;; amdgpu-corpus repo=ROCm/composable_kernel kind=compiled arch=gfx90a opt=O3
	.text
	.amdgcn_target "amdgcn-amd-amdhsa--gfx90a"
	.amdhsa_code_object_version 6
	.section	.text._ZN2ckL12flush_icacheEv,"axG",@progbits,_ZN2ckL12flush_icacheEv,comdat
	.globl	_ZN2ckL12flush_icacheEv         ; -- Begin function _ZN2ckL12flush_icacheEv
	.p2align	8
	.type	_ZN2ckL12flush_icacheEv,@function
_ZN2ckL12flush_icacheEv:                ; @_ZN2ckL12flush_icacheEv
; %bb.0:
	;;#ASMSTART
	s_icache_inv 
	s_nop 0 
	s_nop 0 
	;; [unrolled: 1-line block ×16, first 2 shown]
	
	;;#ASMEND
	s_endpgm
	.section	.rodata,"a",@progbits
	.p2align	6, 0x0
	.amdhsa_kernel _ZN2ckL12flush_icacheEv
		.amdhsa_group_segment_fixed_size 0
		.amdhsa_private_segment_fixed_size 0
		.amdhsa_kernarg_size 0
		.amdhsa_user_sgpr_count 4
		.amdhsa_user_sgpr_private_segment_buffer 1
		.amdhsa_user_sgpr_dispatch_ptr 0
		.amdhsa_user_sgpr_queue_ptr 0
		.amdhsa_user_sgpr_kernarg_segment_ptr 0
		.amdhsa_user_sgpr_dispatch_id 0
		.amdhsa_user_sgpr_flat_scratch_init 0
		.amdhsa_user_sgpr_kernarg_preload_length 0
		.amdhsa_user_sgpr_kernarg_preload_offset 0
		.amdhsa_user_sgpr_private_segment_size 0
		.amdhsa_uses_dynamic_stack 0
		.amdhsa_system_sgpr_private_segment_wavefront_offset 0
		.amdhsa_system_sgpr_workgroup_id_x 1
		.amdhsa_system_sgpr_workgroup_id_y 0
		.amdhsa_system_sgpr_workgroup_id_z 0
		.amdhsa_system_sgpr_workgroup_info 0
		.amdhsa_system_vgpr_workitem_id 0
		.amdhsa_next_free_vgpr 1
		.amdhsa_next_free_sgpr 0
		.amdhsa_accum_offset 4
		.amdhsa_reserve_vcc 0
		.amdhsa_reserve_flat_scratch 0
		.amdhsa_float_round_mode_32 0
		.amdhsa_float_round_mode_16_64 0
		.amdhsa_float_denorm_mode_32 3
		.amdhsa_float_denorm_mode_16_64 3
		.amdhsa_dx10_clamp 1
		.amdhsa_ieee_mode 1
		.amdhsa_fp16_overflow 0
		.amdhsa_tg_split 0
		.amdhsa_exception_fp_ieee_invalid_op 0
		.amdhsa_exception_fp_denorm_src 0
		.amdhsa_exception_fp_ieee_div_zero 0
		.amdhsa_exception_fp_ieee_overflow 0
		.amdhsa_exception_fp_ieee_underflow 0
		.amdhsa_exception_fp_ieee_inexact 0
		.amdhsa_exception_int_div_zero 0
	.end_amdhsa_kernel
	.section	.text._ZN2ckL12flush_icacheEv,"axG",@progbits,_ZN2ckL12flush_icacheEv,comdat
.Lfunc_end0:
	.size	_ZN2ckL12flush_icacheEv, .Lfunc_end0-_ZN2ckL12flush_icacheEv
                                        ; -- End function
	.section	.AMDGPU.csdata,"",@progbits
; Kernel info:
; codeLenInByte = 140
; NumSgprs: 4
; NumVgprs: 0
; NumAgprs: 0
; TotalNumVgprs: 0
; ScratchSize: 0
; MemoryBound: 0
; FloatMode: 240
; IeeeMode: 1
; LDSByteSize: 0 bytes/workgroup (compile time only)
; SGPRBlocks: 0
; VGPRBlocks: 0
; NumSGPRsForWavesPerEU: 4
; NumVGPRsForWavesPerEU: 1
; AccumOffset: 4
; Occupancy: 8
; WaveLimiterHint : 0
; COMPUTE_PGM_RSRC2:SCRATCH_EN: 0
; COMPUTE_PGM_RSRC2:USER_SGPR: 4
; COMPUTE_PGM_RSRC2:TRAP_HANDLER: 0
; COMPUTE_PGM_RSRC2:TGID_X_EN: 1
; COMPUTE_PGM_RSRC2:TGID_Y_EN: 0
; COMPUTE_PGM_RSRC2:TGID_Z_EN: 0
; COMPUTE_PGM_RSRC2:TIDIG_COMP_CNT: 0
; COMPUTE_PGM_RSRC3_GFX90A:ACCUM_OFFSET: 0
; COMPUTE_PGM_RSRC3_GFX90A:TG_SPLIT: 0
	.text
	.p2align	2                               ; -- Begin function _ZNK2ck6detail7applierIiJLi0ELi1ELi2ELi3ELi4ELi5ELi6ELi7ELi8ELi9ELi10ELi11ELi12ELi13ELi14ELi15ELi16ELi17ELi18ELi19ELi20ELi21ELi22ELi23ELi24ELi25ELi26ELi27ELi28ELi29ELi30ELi31ELi32ELi33ELi34ELi35ELi36ELi37ELi38ELi39ELi40ELi41ELi42ELi43ELi44ELi45ELi46ELi47ELi48ELi49ELi50ELi51ELi52ELi53ELi54ELi55ELi56ELi57ELi58ELi59ELi60ELi61ELi62ELi63ELi64ELi65ELi66ELi67ELi68ELi69ELi70ELi71ELi72ELi73ELi74ELi75ELi76ELi77ELi78ELi79ELi80ELi81ELi82ELi83ELi84ELi85ELi86ELi87ELi88ELi89ELi90ELi91ELi92ELi93ELi94ELi95ELi96ELi97ELi98ELi99ELi100ELi101ELi102ELi103ELi104ELi105ELi106ELi107ELi108ELi109ELi110ELi111EEEclIZNKS_11static_fordINS_8SequenceIJLi2ELi7ELi8EEEENS5_IJLi0ELi1ELi2EEEEEclIZNKS_31BlockwiseGemmXdlops_pipeline_v3ILNS_26BlockGemmPipelineSchedulerE0ELi256ENS_9f8_fnuz_tESC_SC_fNS_16TensorDescriptorINS_5TupleIJNS_5EmbedINSE_IJNS_17integral_constantIiLi8EEENSG_IiLi224EEENSG_IiLi16EEEEEENSE_IJSJ_NSG_IiLi128EEENSG_IiLi1EEEEEELb0EEENS_3XorINSE_IJSI_SH_EEELb1EEENS_11PassThroughISJ_EENS_7UnMergeINSE_IJSH_SM_EEELb0EEENSS_ISI_EEST_NSS_ISH_EENS_21Merge_v3_division_modINSE_IJSI_SM_EEEEEST_EEENSE_IJNS5_IJLi0EEEENS5_IJLi2ELi1EEEENS5_IJLi3EEEENS5_IJLi5EEEENS5_IJLi4EEEENS5_IJLi6EEEENS5_IJLi7EEEENS5_IJLi9ELi8EEEENS5_IJLi10EEEEEEENSE_IJNS5_IJLi1ELi2ELi3EEEENS5_IJLi4ELi5EEEES18_NS5_IJLi7ELi8EEEENS5_IJLi9EEEES1B_NS5_IJLi11EEEENS5_IJLi12EEEENS5_IJLi13EEEEEEENS5_IJLi11ELi12ELi13EEEENSG_IlLl28672EEEEENSD_INSE_IJNSF_INSE_IJSH_NSG_IiLi256EEESJ_EEESN_Lb0EEENSP_INSE_IJS1O_SH_EEELb1EEEST_SW_NSS_IS1O_EEST_SY_NSZ_INSE_IJS1O_SM_EEEEEST_EEES1C_S1K_S1L_NSG_IlLl32768EEEEENSD_INSE_IJSO_SR_ST_SW_SX_ST_SY_S11_ST_NSZ_INSE_IJSH_SJ_EEEEENSU_INSE_IJNSG_IiLi7EEENSG_IiLi2EEESJ_EEELb0EEEEEENSE_IJS13_S14_S15_S16_S17_S18_S19_S1A_S1B_NS5_IJLi11ELi13EEEES1I_EEENSE_IJS1D_S1E_S18_S1F_S1G_S1B_S1H_S1I_S1J_NS5_IJLi14EEEENS5_IJLi15ELi16ELi17EEEEEEENS5_IJLi15ELi16ELi17ELi14EEEES1M_EENSD_INSE_IJS1Q_S1S_ST_SW_S1T_ST_SY_S1V_ST_S20_NSU_INSE_IJSH_S22_SJ_EEELb0EEEEEES27_S2A_S2B_S1X_EELi16ELi16ELi224ELi256ELi128ELi16ELi16ELi7ELi8ELi16ELb0ELb0EE3RunILb1ELNS_10TailNumberE10ENSD_INSE_IJNSF_INSE_IJiiEEENSE_IJiSM_EEELb0EEENSU_IS2K_Lb0EEENSS_IiEEEEENSE_IJS13_NS5_IJLi2EEEENS5_IJLi1EEEEEEENSE_IJNS5_IJLi1ELi2EEEENS5_IJLi3ELi4EEEES16_EEENS5_IJLi3ELi5ELi4EEEElEES1N_NS_35ThreadGroupTensorSliceTransfer_v4r1INS_15ThisThreadBlockILi256EEENS_16tensor_operation12element_wise11PassThroughES33_LNS_25InMemoryDataOperationEnumE0ENS5_IJLi8ELi224ELi16EEEENS5_IJLi8ELi32ELi1EEEENS5_IJLi1ELi0ELi2EEEESC_SC_RKS2X_KS1N_S37_S7_Li2ELi2ELi16ELi16ELi1ELi1ELb0ELb1ELi1EiEENS_13DynamicBufferILNS_16AddressSpaceEnumE1EKSC_lLb1ELNS_22AmdBufferCoherenceEnumE0EiEENS3C_ILS3D_2ESC_S1M_Lb1ELS3F_0EiEENSE_IJiiiEEES2X_S1Y_NS2Y_IS30_S33_S33_LS34_0ENS5_IJLi8ELi256ELi16EEEES36_S37_SC_SC_S39_KS1Y_S37_S7_Li2ELi2ELi16ELi16ELi1ELi1ELb0ELb1ELi1EiEES3G_NS3C_ILS3D_2ESC_S1X_Lb1ELS3F_0EiEES3I_NS_25StaticBufferTupleOfVectorILS3D_4EfLi56ELi4ELb1ELb0EEEEEvRKT1_RKT2_RT3_RKT4_RT5_RKT6_RKT7_RKT8_RT9_RKT10_RT11_RKT12_RT13_iEUlT_E0_EEvS4N_EUlS4N_E_EEvS4N_
	.type	_ZNK2ck6detail7applierIiJLi0ELi1ELi2ELi3ELi4ELi5ELi6ELi7ELi8ELi9ELi10ELi11ELi12ELi13ELi14ELi15ELi16ELi17ELi18ELi19ELi20ELi21ELi22ELi23ELi24ELi25ELi26ELi27ELi28ELi29ELi30ELi31ELi32ELi33ELi34ELi35ELi36ELi37ELi38ELi39ELi40ELi41ELi42ELi43ELi44ELi45ELi46ELi47ELi48ELi49ELi50ELi51ELi52ELi53ELi54ELi55ELi56ELi57ELi58ELi59ELi60ELi61ELi62ELi63ELi64ELi65ELi66ELi67ELi68ELi69ELi70ELi71ELi72ELi73ELi74ELi75ELi76ELi77ELi78ELi79ELi80ELi81ELi82ELi83ELi84ELi85ELi86ELi87ELi88ELi89ELi90ELi91ELi92ELi93ELi94ELi95ELi96ELi97ELi98ELi99ELi100ELi101ELi102ELi103ELi104ELi105ELi106ELi107ELi108ELi109ELi110ELi111EEEclIZNKS_11static_fordINS_8SequenceIJLi2ELi7ELi8EEEENS5_IJLi0ELi1ELi2EEEEEclIZNKS_31BlockwiseGemmXdlops_pipeline_v3ILNS_26BlockGemmPipelineSchedulerE0ELi256ENS_9f8_fnuz_tESC_SC_fNS_16TensorDescriptorINS_5TupleIJNS_5EmbedINSE_IJNS_17integral_constantIiLi8EEENSG_IiLi224EEENSG_IiLi16EEEEEENSE_IJSJ_NSG_IiLi128EEENSG_IiLi1EEEEEELb0EEENS_3XorINSE_IJSI_SH_EEELb1EEENS_11PassThroughISJ_EENS_7UnMergeINSE_IJSH_SM_EEELb0EEENSS_ISI_EEST_NSS_ISH_EENS_21Merge_v3_division_modINSE_IJSI_SM_EEEEEST_EEENSE_IJNS5_IJLi0EEEENS5_IJLi2ELi1EEEENS5_IJLi3EEEENS5_IJLi5EEEENS5_IJLi4EEEENS5_IJLi6EEEENS5_IJLi7EEEENS5_IJLi9ELi8EEEENS5_IJLi10EEEEEEENSE_IJNS5_IJLi1ELi2ELi3EEEENS5_IJLi4ELi5EEEES18_NS5_IJLi7ELi8EEEENS5_IJLi9EEEES1B_NS5_IJLi11EEEENS5_IJLi12EEEENS5_IJLi13EEEEEEENS5_IJLi11ELi12ELi13EEEENSG_IlLl28672EEEEENSD_INSE_IJNSF_INSE_IJSH_NSG_IiLi256EEESJ_EEESN_Lb0EEENSP_INSE_IJS1O_SH_EEELb1EEEST_SW_NSS_IS1O_EEST_SY_NSZ_INSE_IJS1O_SM_EEEEEST_EEES1C_S1K_S1L_NSG_IlLl32768EEEEENSD_INSE_IJSO_SR_ST_SW_SX_ST_SY_S11_ST_NSZ_INSE_IJSH_SJ_EEEEENSU_INSE_IJNSG_IiLi7EEENSG_IiLi2EEESJ_EEELb0EEEEEENSE_IJS13_S14_S15_S16_S17_S18_S19_S1A_S1B_NS5_IJLi11ELi13EEEES1I_EEENSE_IJS1D_S1E_S18_S1F_S1G_S1B_S1H_S1I_S1J_NS5_IJLi14EEEENS5_IJLi15ELi16ELi17EEEEEEENS5_IJLi15ELi16ELi17ELi14EEEES1M_EENSD_INSE_IJS1Q_S1S_ST_SW_S1T_ST_SY_S1V_ST_S20_NSU_INSE_IJSH_S22_SJ_EEELb0EEEEEES27_S2A_S2B_S1X_EELi16ELi16ELi224ELi256ELi128ELi16ELi16ELi7ELi8ELi16ELb0ELb0EE3RunILb1ELNS_10TailNumberE10ENSD_INSE_IJNSF_INSE_IJiiEEENSE_IJiSM_EEELb0EEENSU_IS2K_Lb0EEENSS_IiEEEEENSE_IJS13_NS5_IJLi2EEEENS5_IJLi1EEEEEEENSE_IJNS5_IJLi1ELi2EEEENS5_IJLi3ELi4EEEES16_EEENS5_IJLi3ELi5ELi4EEEElEES1N_NS_35ThreadGroupTensorSliceTransfer_v4r1INS_15ThisThreadBlockILi256EEENS_16tensor_operation12element_wise11PassThroughES33_LNS_25InMemoryDataOperationEnumE0ENS5_IJLi8ELi224ELi16EEEENS5_IJLi8ELi32ELi1EEEENS5_IJLi1ELi0ELi2EEEESC_SC_RKS2X_KS1N_S37_S7_Li2ELi2ELi16ELi16ELi1ELi1ELb0ELb1ELi1EiEENS_13DynamicBufferILNS_16AddressSpaceEnumE1EKSC_lLb1ELNS_22AmdBufferCoherenceEnumE0EiEENS3C_ILS3D_2ESC_S1M_Lb1ELS3F_0EiEENSE_IJiiiEEES2X_S1Y_NS2Y_IS30_S33_S33_LS34_0ENS5_IJLi8ELi256ELi16EEEES36_S37_SC_SC_S39_KS1Y_S37_S7_Li2ELi2ELi16ELi16ELi1ELi1ELb0ELb1ELi1EiEES3G_NS3C_ILS3D_2ESC_S1X_Lb1ELS3F_0EiEES3I_NS_25StaticBufferTupleOfVectorILS3D_4EfLi56ELi4ELb1ELb0EEEEEvRKT1_RKT2_RT3_RKT4_RT5_RKT6_RKT7_RKT8_RT9_RKT10_RT11_RKT12_RT13_iEUlT_E0_EEvS4N_EUlS4N_E_EEvS4N_,@function
_ZNK2ck6detail7applierIiJLi0ELi1ELi2ELi3ELi4ELi5ELi6ELi7ELi8ELi9ELi10ELi11ELi12ELi13ELi14ELi15ELi16ELi17ELi18ELi19ELi20ELi21ELi22ELi23ELi24ELi25ELi26ELi27ELi28ELi29ELi30ELi31ELi32ELi33ELi34ELi35ELi36ELi37ELi38ELi39ELi40ELi41ELi42ELi43ELi44ELi45ELi46ELi47ELi48ELi49ELi50ELi51ELi52ELi53ELi54ELi55ELi56ELi57ELi58ELi59ELi60ELi61ELi62ELi63ELi64ELi65ELi66ELi67ELi68ELi69ELi70ELi71ELi72ELi73ELi74ELi75ELi76ELi77ELi78ELi79ELi80ELi81ELi82ELi83ELi84ELi85ELi86ELi87ELi88ELi89ELi90ELi91ELi92ELi93ELi94ELi95ELi96ELi97ELi98ELi99ELi100ELi101ELi102ELi103ELi104ELi105ELi106ELi107ELi108ELi109ELi110ELi111EEEclIZNKS_11static_fordINS_8SequenceIJLi2ELi7ELi8EEEENS5_IJLi0ELi1ELi2EEEEEclIZNKS_31BlockwiseGemmXdlops_pipeline_v3ILNS_26BlockGemmPipelineSchedulerE0ELi256ENS_9f8_fnuz_tESC_SC_fNS_16TensorDescriptorINS_5TupleIJNS_5EmbedINSE_IJNS_17integral_constantIiLi8EEENSG_IiLi224EEENSG_IiLi16EEEEEENSE_IJSJ_NSG_IiLi128EEENSG_IiLi1EEEEEELb0EEENS_3XorINSE_IJSI_SH_EEELb1EEENS_11PassThroughISJ_EENS_7UnMergeINSE_IJSH_SM_EEELb0EEENSS_ISI_EEST_NSS_ISH_EENS_21Merge_v3_division_modINSE_IJSI_SM_EEEEEST_EEENSE_IJNS5_IJLi0EEEENS5_IJLi2ELi1EEEENS5_IJLi3EEEENS5_IJLi5EEEENS5_IJLi4EEEENS5_IJLi6EEEENS5_IJLi7EEEENS5_IJLi9ELi8EEEENS5_IJLi10EEEEEEENSE_IJNS5_IJLi1ELi2ELi3EEEENS5_IJLi4ELi5EEEES18_NS5_IJLi7ELi8EEEENS5_IJLi9EEEES1B_NS5_IJLi11EEEENS5_IJLi12EEEENS5_IJLi13EEEEEEENS5_IJLi11ELi12ELi13EEEENSG_IlLl28672EEEEENSD_INSE_IJNSF_INSE_IJSH_NSG_IiLi256EEESJ_EEESN_Lb0EEENSP_INSE_IJS1O_SH_EEELb1EEEST_SW_NSS_IS1O_EEST_SY_NSZ_INSE_IJS1O_SM_EEEEEST_EEES1C_S1K_S1L_NSG_IlLl32768EEEEENSD_INSE_IJSO_SR_ST_SW_SX_ST_SY_S11_ST_NSZ_INSE_IJSH_SJ_EEEEENSU_INSE_IJNSG_IiLi7EEENSG_IiLi2EEESJ_EEELb0EEEEEENSE_IJS13_S14_S15_S16_S17_S18_S19_S1A_S1B_NS5_IJLi11ELi13EEEES1I_EEENSE_IJS1D_S1E_S18_S1F_S1G_S1B_S1H_S1I_S1J_NS5_IJLi14EEEENS5_IJLi15ELi16ELi17EEEEEEENS5_IJLi15ELi16ELi17ELi14EEEES1M_EENSD_INSE_IJS1Q_S1S_ST_SW_S1T_ST_SY_S1V_ST_S20_NSU_INSE_IJSH_S22_SJ_EEELb0EEEEEES27_S2A_S2B_S1X_EELi16ELi16ELi224ELi256ELi128ELi16ELi16ELi7ELi8ELi16ELb0ELb0EE3RunILb1ELNS_10TailNumberE10ENSD_INSE_IJNSF_INSE_IJiiEEENSE_IJiSM_EEELb0EEENSU_IS2K_Lb0EEENSS_IiEEEEENSE_IJS13_NS5_IJLi2EEEENS5_IJLi1EEEEEEENSE_IJNS5_IJLi1ELi2EEEENS5_IJLi3ELi4EEEES16_EEENS5_IJLi3ELi5ELi4EEEElEES1N_NS_35ThreadGroupTensorSliceTransfer_v4r1INS_15ThisThreadBlockILi256EEENS_16tensor_operation12element_wise11PassThroughES33_LNS_25InMemoryDataOperationEnumE0ENS5_IJLi8ELi224ELi16EEEENS5_IJLi8ELi32ELi1EEEENS5_IJLi1ELi0ELi2EEEESC_SC_RKS2X_KS1N_S37_S7_Li2ELi2ELi16ELi16ELi1ELi1ELb0ELb1ELi1EiEENS_13DynamicBufferILNS_16AddressSpaceEnumE1EKSC_lLb1ELNS_22AmdBufferCoherenceEnumE0EiEENS3C_ILS3D_2ESC_S1M_Lb1ELS3F_0EiEENSE_IJiiiEEES2X_S1Y_NS2Y_IS30_S33_S33_LS34_0ENS5_IJLi8ELi256ELi16EEEES36_S37_SC_SC_S39_KS1Y_S37_S7_Li2ELi2ELi16ELi16ELi1ELi1ELb0ELb1ELi1EiEES3G_NS3C_ILS3D_2ESC_S1X_Lb1ELS3F_0EiEES3I_NS_25StaticBufferTupleOfVectorILS3D_4EfLi56ELi4ELb1ELb0EEEEEvRKT1_RKT2_RT3_RKT4_RT5_RKT6_RKT7_RKT8_RT9_RKT10_RT11_RKT12_RT13_iEUlT_E0_EEvS4N_EUlS4N_E_EEvS4N_: ; @_ZNK2ck6detail7applierIiJLi0ELi1ELi2ELi3ELi4ELi5ELi6ELi7ELi8ELi9ELi10ELi11ELi12ELi13ELi14ELi15ELi16ELi17ELi18ELi19ELi20ELi21ELi22ELi23ELi24ELi25ELi26ELi27ELi28ELi29ELi30ELi31ELi32ELi33ELi34ELi35ELi36ELi37ELi38ELi39ELi40ELi41ELi42ELi43ELi44ELi45ELi46ELi47ELi48ELi49ELi50ELi51ELi52ELi53ELi54ELi55ELi56ELi57ELi58ELi59ELi60ELi61ELi62ELi63ELi64ELi65ELi66ELi67ELi68ELi69ELi70ELi71ELi72ELi73ELi74ELi75ELi76ELi77ELi78ELi79ELi80ELi81ELi82ELi83ELi84ELi85ELi86ELi87ELi88ELi89ELi90ELi91ELi92ELi93ELi94ELi95ELi96ELi97ELi98ELi99ELi100ELi101ELi102ELi103ELi104ELi105ELi106ELi107ELi108ELi109ELi110ELi111EEEclIZNKS_11static_fordINS_8SequenceIJLi2ELi7ELi8EEEENS5_IJLi0ELi1ELi2EEEEEclIZNKS_31BlockwiseGemmXdlops_pipeline_v3ILNS_26BlockGemmPipelineSchedulerE0ELi256ENS_9f8_fnuz_tESC_SC_fNS_16TensorDescriptorINS_5TupleIJNS_5EmbedINSE_IJNS_17integral_constantIiLi8EEENSG_IiLi224EEENSG_IiLi16EEEEEENSE_IJSJ_NSG_IiLi128EEENSG_IiLi1EEEEEELb0EEENS_3XorINSE_IJSI_SH_EEELb1EEENS_11PassThroughISJ_EENS_7UnMergeINSE_IJSH_SM_EEELb0EEENSS_ISI_EEST_NSS_ISH_EENS_21Merge_v3_division_modINSE_IJSI_SM_EEEEEST_EEENSE_IJNS5_IJLi0EEEENS5_IJLi2ELi1EEEENS5_IJLi3EEEENS5_IJLi5EEEENS5_IJLi4EEEENS5_IJLi6EEEENS5_IJLi7EEEENS5_IJLi9ELi8EEEENS5_IJLi10EEEEEEENSE_IJNS5_IJLi1ELi2ELi3EEEENS5_IJLi4ELi5EEEES18_NS5_IJLi7ELi8EEEENS5_IJLi9EEEES1B_NS5_IJLi11EEEENS5_IJLi12EEEENS5_IJLi13EEEEEEENS5_IJLi11ELi12ELi13EEEENSG_IlLl28672EEEEENSD_INSE_IJNSF_INSE_IJSH_NSG_IiLi256EEESJ_EEESN_Lb0EEENSP_INSE_IJS1O_SH_EEELb1EEEST_SW_NSS_IS1O_EEST_SY_NSZ_INSE_IJS1O_SM_EEEEEST_EEES1C_S1K_S1L_NSG_IlLl32768EEEEENSD_INSE_IJSO_SR_ST_SW_SX_ST_SY_S11_ST_NSZ_INSE_IJSH_SJ_EEEEENSU_INSE_IJNSG_IiLi7EEENSG_IiLi2EEESJ_EEELb0EEEEEENSE_IJS13_S14_S15_S16_S17_S18_S19_S1A_S1B_NS5_IJLi11ELi13EEEES1I_EEENSE_IJS1D_S1E_S18_S1F_S1G_S1B_S1H_S1I_S1J_NS5_IJLi14EEEENS5_IJLi15ELi16ELi17EEEEEEENS5_IJLi15ELi16ELi17ELi14EEEES1M_EENSD_INSE_IJS1Q_S1S_ST_SW_S1T_ST_SY_S1V_ST_S20_NSU_INSE_IJSH_S22_SJ_EEELb0EEEEEES27_S2A_S2B_S1X_EELi16ELi16ELi224ELi256ELi128ELi16ELi16ELi7ELi8ELi16ELb0ELb0EE3RunILb1ELNS_10TailNumberE10ENSD_INSE_IJNSF_INSE_IJiiEEENSE_IJiSM_EEELb0EEENSU_IS2K_Lb0EEENSS_IiEEEEENSE_IJS13_NS5_IJLi2EEEENS5_IJLi1EEEEEEENSE_IJNS5_IJLi1ELi2EEEENS5_IJLi3ELi4EEEES16_EEENS5_IJLi3ELi5ELi4EEEElEES1N_NS_35ThreadGroupTensorSliceTransfer_v4r1INS_15ThisThreadBlockILi256EEENS_16tensor_operation12element_wise11PassThroughES33_LNS_25InMemoryDataOperationEnumE0ENS5_IJLi8ELi224ELi16EEEENS5_IJLi8ELi32ELi1EEEENS5_IJLi1ELi0ELi2EEEESC_SC_RKS2X_KS1N_S37_S7_Li2ELi2ELi16ELi16ELi1ELi1ELb0ELb1ELi1EiEENS_13DynamicBufferILNS_16AddressSpaceEnumE1EKSC_lLb1ELNS_22AmdBufferCoherenceEnumE0EiEENS3C_ILS3D_2ESC_S1M_Lb1ELS3F_0EiEENSE_IJiiiEEES2X_S1Y_NS2Y_IS30_S33_S33_LS34_0ENS5_IJLi8ELi256ELi16EEEES36_S37_SC_SC_S39_KS1Y_S37_S7_Li2ELi2ELi16ELi16ELi1ELi1ELb0ELb1ELi1EiEES3G_NS3C_ILS3D_2ESC_S1X_Lb1ELS3F_0EiEES3I_NS_25StaticBufferTupleOfVectorILS3D_4EfLi56ELi4ELb1ELb0EEEEEvRKT1_RKT2_RT3_RKT4_RT5_RKT6_RKT7_RKT8_RT9_RKT10_RT11_RKT12_RT13_iEUlT_E0_EEvS4N_EUlS4N_E_EEvS4N_
; %bb.0:
	s_waitcnt vmcnt(0) expcnt(0) lgkmcnt(0)
	flat_load_dwordx4 v[12:15], v[0:1]
	flat_load_dwordx2 v[10:11], v[0:1] offset:16
	s_movk_i32 s4, 0x7f
                                        ; implicit-def: $sgpr10
	s_waitcnt vmcnt(0) lgkmcnt(0)
	flat_load_dwordx4 v[6:9], v[12:13]
	flat_load_dwordx4 v[2:5], v[14:15]
	s_waitcnt vmcnt(0) lgkmcnt(0)
	v_cmp_gt_i16_sdwa s[6:7], v6, s4 src0_sel:BYTE_0 src1_sel:DWORD
	s_mov_b64 s[4:5], 0
	s_and_saveexec_b64 s[8:9], s[6:7]
	s_xor_b64 s[6:7], exec, s[8:9]
	s_cbranch_execz .LBB1_1
; %bb.35841:
	s_getpc_b64 s[14:15]
.Lpost_getpc3584:
	s_add_u32 s14, s14, (.LBB1_14337-.Lpost_getpc3584)&4294967295
	s_addc_u32 s15, s15, (.LBB1_14337-.Lpost_getpc3584)>>32
	s_setpc_b64 s[14:15]
.LBB1_1:
	s_or_saveexec_b64 s[6:7], s[6:7]
	v_mov_b32_e32 v12, s10
	s_xor_b64 exec, exec, s[6:7]
	s_cbranch_execz .LBB1_2
; %bb.35843:
	s_getpc_b64 s[14:15]
.Lpost_getpc3585:
	s_add_u32 s14, s14, (.LBB1_14340-.Lpost_getpc3585)&4294967295
	s_addc_u32 s15, s15, (.LBB1_14340-.Lpost_getpc3585)>>32
	s_setpc_b64 s[14:15]
.LBB1_2:
	s_or_b64 exec, exec, s[6:7]
	s_and_saveexec_b64 s[6:7], s[4:5]
	s_cbranch_execz .LBB1_4
.LBB1_3:
	v_and_b32_e32 v12, 7, v6
	v_ffbh_u32_e32 v14, v12
	v_min_u32_e32 v14, 32, v14
	v_lshrrev_b16_e32 v13, 3, v6
	v_subrev_u32_e32 v15, 28, v14
	v_and_b32_e32 v13, 15, v13
	v_lshlrev_b32_e32 v15, v15, v6
	v_sub_u32_e32 v14, 29, v14
	v_and_b32_e32 v15, 7, v15
	v_cmp_eq_u16_e32 vcc, 0, v13
	v_cndmask_b32_e32 v12, v12, v15, vcc
	v_cndmask_b32_e32 v13, v13, v14, vcc
	v_lshlrev_b32_e32 v14, 24, v6
	v_mov_b32_e32 v15, 0x3b800000
	v_lshlrev_b32_e32 v12, 20, v12
	v_and_b32_e32 v14, 0x80000000, v14
	v_lshl_add_u32 v13, v13, 23, v15
	v_or3_b32 v12, v14, v13, v12
.LBB1_4:
	s_or_b64 exec, exec, s[6:7]
	s_movk_i32 s4, 0x7f
	v_cmp_gt_i16_sdwa s[6:7], v2, s4 src0_sel:BYTE_0 src1_sel:DWORD
	s_mov_b64 s[4:5], 0
                                        ; implicit-def: $sgpr10
	s_and_saveexec_b64 s[8:9], s[6:7]
	s_xor_b64 s[6:7], exec, s[8:9]
	s_cbranch_execz .LBB1_5
; %bb.35845:
	s_getpc_b64 s[14:15]
.Lpost_getpc3586:
	s_add_u32 s14, s14, (.LBB1_14341-.Lpost_getpc3586)&4294967295
	s_addc_u32 s15, s15, (.LBB1_14341-.Lpost_getpc3586)>>32
	s_setpc_b64 s[14:15]
.LBB1_5:
	s_or_saveexec_b64 s[6:7], s[6:7]
	v_mov_b32_e32 v13, s10
	s_xor_b64 exec, exec, s[6:7]
	s_cbranch_execz .LBB1_6
; %bb.35847:
	s_getpc_b64 s[14:15]
.Lpost_getpc3587:
	s_add_u32 s14, s14, (.LBB1_14344-.Lpost_getpc3587)&4294967295
	s_addc_u32 s15, s15, (.LBB1_14344-.Lpost_getpc3587)>>32
	s_setpc_b64 s[14:15]
.LBB1_6:
	s_or_b64 exec, exec, s[6:7]
	s_and_saveexec_b64 s[6:7], s[4:5]
	s_cbranch_execz .LBB1_8
.LBB1_7:
	v_and_b32_e32 v13, 7, v2
	v_ffbh_u32_e32 v15, v13
	v_min_u32_e32 v15, 32, v15
	v_lshrrev_b16_e32 v14, 3, v2
	v_subrev_u32_e32 v16, 28, v15
	v_and_b32_e32 v14, 15, v14
	v_lshlrev_b32_e32 v16, v16, v2
	v_sub_u32_e32 v15, 29, v15
	v_and_b32_e32 v16, 7, v16
	v_cmp_eq_u16_e32 vcc, 0, v14
	v_cndmask_b32_e32 v13, v13, v16, vcc
	v_cndmask_b32_e32 v14, v14, v15, vcc
	v_lshlrev_b32_e32 v15, 24, v2
	v_mov_b32_e32 v16, 0x3b800000
	v_lshlrev_b32_e32 v13, 20, v13
	v_and_b32_e32 v15, 0x80000000, v15
	v_lshl_add_u32 v14, v14, 23, v16
	v_or3_b32 v13, v15, v14, v13
.LBB1_8:
	s_or_b64 exec, exec, s[6:7]
	flat_load_dwordx4 a[0:3], v[10:11]
	s_movk_i32 s4, 0x7f
                                        ; implicit-def: $sgpr10
	s_waitcnt vmcnt(0) lgkmcnt(0)
	v_mfma_f32_16x16x4f32 a[0:3], v12, v13, a[0:3]
	v_lshrrev_b32_e32 v13, 8, v6
	v_cmp_gt_i16_sdwa s[6:7], v13, s4 src0_sel:BYTE_0 src1_sel:DWORD
	s_mov_b64 s[4:5], 0
	s_and_saveexec_b64 s[8:9], s[6:7]
	s_xor_b64 s[6:7], exec, s[8:9]
	s_cbranch_execz .LBB1_9
; %bb.35849:
	s_getpc_b64 s[14:15]
.Lpost_getpc3588:
	s_add_u32 s14, s14, (.LBB1_14345-.Lpost_getpc3588)&4294967295
	s_addc_u32 s15, s15, (.LBB1_14345-.Lpost_getpc3588)>>32
	s_setpc_b64 s[14:15]
.LBB1_9:
	s_or_saveexec_b64 s[6:7], s[6:7]
	v_mov_b32_e32 v12, s10
	s_xor_b64 exec, exec, s[6:7]
	s_cbranch_execz .LBB1_10
; %bb.35851:
	s_getpc_b64 s[14:15]
.Lpost_getpc3589:
	s_add_u32 s14, s14, (.LBB1_14348-.Lpost_getpc3589)&4294967295
	s_addc_u32 s15, s15, (.LBB1_14348-.Lpost_getpc3589)>>32
	s_setpc_b64 s[14:15]
.LBB1_10:
	s_or_b64 exec, exec, s[6:7]
	s_and_saveexec_b64 s[6:7], s[4:5]
	s_cbranch_execz .LBB1_12
.LBB1_11:
	v_bfe_u32 v12, v6, 8, 3
	v_ffbh_u32_e32 v15, v12
	v_min_u32_e32 v15, 32, v15
	v_lshrrev_b16_e32 v14, 3, v13
	v_subrev_u32_e32 v16, 28, v15
	v_and_b32_e32 v14, 15, v14
	v_lshlrev_b32_e32 v13, v16, v13
	v_sub_u32_e32 v15, 29, v15
	v_and_b32_e32 v13, 7, v13
	v_cmp_eq_u16_e32 vcc, 0, v14
	v_cndmask_b32_e32 v12, v12, v13, vcc
	v_cndmask_b32_e32 v13, v14, v15, vcc
	v_lshlrev_b32_e32 v14, 16, v6
	v_mov_b32_e32 v15, 0x3b800000
	v_lshlrev_b32_e32 v12, 20, v12
	v_and_b32_e32 v14, 0x80000000, v14
	v_lshl_add_u32 v13, v13, 23, v15
	v_or3_b32 v12, v14, v13, v12
.LBB1_12:
	s_or_b64 exec, exec, s[6:7]
	v_lshrrev_b32_e32 v13, 8, v2
	s_movk_i32 s4, 0x7f
	v_cmp_gt_i16_sdwa s[6:7], v13, s4 src0_sel:BYTE_0 src1_sel:DWORD
	s_mov_b64 s[4:5], 0
                                        ; implicit-def: $sgpr10
	s_and_saveexec_b64 s[8:9], s[6:7]
	s_xor_b64 s[6:7], exec, s[8:9]
	s_cbranch_execz .LBB1_13
; %bb.35853:
	s_getpc_b64 s[14:15]
.Lpost_getpc3590:
	s_add_u32 s14, s14, (.LBB1_14349-.Lpost_getpc3590)&4294967295
	s_addc_u32 s15, s15, (.LBB1_14349-.Lpost_getpc3590)>>32
	s_setpc_b64 s[14:15]
.LBB1_13:
	s_or_saveexec_b64 s[6:7], s[6:7]
	v_mov_b32_e32 v14, s10
	s_xor_b64 exec, exec, s[6:7]
	s_cbranch_execz .LBB1_14
; %bb.35855:
	s_getpc_b64 s[14:15]
.Lpost_getpc3591:
	s_add_u32 s14, s14, (.LBB1_14352-.Lpost_getpc3591)&4294967295
	s_addc_u32 s15, s15, (.LBB1_14352-.Lpost_getpc3591)>>32
	s_setpc_b64 s[14:15]
.LBB1_14:
	s_or_b64 exec, exec, s[6:7]
	s_and_saveexec_b64 s[6:7], s[4:5]
	s_cbranch_execz .LBB1_16
.LBB1_15:
	v_bfe_u32 v14, v2, 8, 3
	v_ffbh_u32_e32 v16, v14
	v_min_u32_e32 v16, 32, v16
	v_lshrrev_b16_e32 v15, 3, v13
	v_subrev_u32_e32 v17, 28, v16
	v_and_b32_e32 v15, 15, v15
	v_lshlrev_b32_e32 v13, v17, v13
	v_sub_u32_e32 v16, 29, v16
	v_and_b32_e32 v13, 7, v13
	v_cmp_eq_u16_e32 vcc, 0, v15
	v_cndmask_b32_e32 v13, v14, v13, vcc
	v_cndmask_b32_e32 v14, v15, v16, vcc
	v_lshlrev_b32_e32 v15, 16, v2
	v_mov_b32_e32 v16, 0x3b800000
	v_lshlrev_b32_e32 v13, 20, v13
	v_and_b32_e32 v15, 0x80000000, v15
	v_lshl_add_u32 v14, v14, 23, v16
	v_or3_b32 v14, v15, v14, v13
.LBB1_16:
	s_or_b64 exec, exec, s[6:7]
	s_nop 0
	v_mfma_f32_16x16x4f32 a[0:3], v12, v14, a[0:3]
	s_movk_i32 s4, 0xff
	v_and_b32_sdwa v13, v6, s4 dst_sel:DWORD dst_unused:UNUSED_PAD src0_sel:WORD_1 src1_sel:DWORD
	s_movk_i32 s4, 0x7f
	v_cmp_lt_i16_e32 vcc, s4, v13
	s_mov_b64 s[4:5], 0
                                        ; implicit-def: $sgpr10
	s_and_saveexec_b64 s[6:7], vcc
	s_xor_b64 s[6:7], exec, s[6:7]
	s_cbranch_execz .LBB1_17
; %bb.35857:
	s_getpc_b64 s[14:15]
.Lpost_getpc3592:
	s_add_u32 s14, s14, (.LBB1_14353-.Lpost_getpc3592)&4294967295
	s_addc_u32 s15, s15, (.LBB1_14353-.Lpost_getpc3592)>>32
	s_setpc_b64 s[14:15]
.LBB1_17:
	s_or_saveexec_b64 s[6:7], s[6:7]
	v_mov_b32_e32 v12, s10
	s_xor_b64 exec, exec, s[6:7]
	s_cbranch_execz .LBB1_18
; %bb.35859:
	s_getpc_b64 s[14:15]
.Lpost_getpc3593:
	s_add_u32 s14, s14, (.LBB1_14356-.Lpost_getpc3593)&4294967295
	s_addc_u32 s15, s15, (.LBB1_14356-.Lpost_getpc3593)>>32
	s_setpc_b64 s[14:15]
.LBB1_18:
	s_or_b64 exec, exec, s[6:7]
	s_and_saveexec_b64 s[6:7], s[4:5]
	s_cbranch_execz .LBB1_20
.LBB1_19:
	v_bfe_u32 v12, v6, 16, 3
	v_ffbh_u32_e32 v15, v12
	v_min_u32_e32 v15, 32, v15
	v_lshrrev_b32_e32 v13, 19, v6
	v_subrev_u32_e32 v16, 28, v15
	v_and_b32_e32 v13, 15, v13
	v_lshlrev_b32_sdwa v16, v16, v6 dst_sel:DWORD dst_unused:UNUSED_PAD src0_sel:DWORD src1_sel:WORD_1
	v_bfe_u32 v14, v6, 19, 4
	v_sub_u32_e32 v15, 29, v15
	v_and_b32_e32 v16, 7, v16
	v_cmp_eq_u16_e32 vcc, 0, v13
	v_cndmask_b32_e32 v12, v12, v16, vcc
	v_cndmask_b32_e32 v13, v14, v15, vcc
	v_lshlrev_b32_e32 v14, 8, v6
	v_mov_b32_e32 v15, 0x3b800000
	v_lshlrev_b32_e32 v12, 20, v12
	v_and_b32_e32 v14, 0x80000000, v14
	v_lshl_add_u32 v13, v13, 23, v15
	v_or3_b32 v12, v14, v13, v12
.LBB1_20:
	s_or_b64 exec, exec, s[6:7]
	s_movk_i32 s4, 0xff
	v_and_b32_sdwa v13, v2, s4 dst_sel:DWORD dst_unused:UNUSED_PAD src0_sel:WORD_1 src1_sel:DWORD
	s_movk_i32 s4, 0x7f
	v_cmp_lt_i16_e32 vcc, s4, v13
	s_mov_b64 s[4:5], 0
                                        ; implicit-def: $sgpr10
	s_and_saveexec_b64 s[6:7], vcc
	s_xor_b64 s[6:7], exec, s[6:7]
	s_cbranch_execz .LBB1_21
; %bb.35861:
	s_getpc_b64 s[14:15]
.Lpost_getpc3594:
	s_add_u32 s14, s14, (.LBB1_14357-.Lpost_getpc3594)&4294967295
	s_addc_u32 s15, s15, (.LBB1_14357-.Lpost_getpc3594)>>32
	s_setpc_b64 s[14:15]
.LBB1_21:
	s_or_saveexec_b64 s[6:7], s[6:7]
	v_mov_b32_e32 v14, s10
	s_xor_b64 exec, exec, s[6:7]
	s_cbranch_execz .LBB1_22
; %bb.35863:
	s_getpc_b64 s[14:15]
.Lpost_getpc3595:
	s_add_u32 s14, s14, (.LBB1_14360-.Lpost_getpc3595)&4294967295
	s_addc_u32 s15, s15, (.LBB1_14360-.Lpost_getpc3595)>>32
	s_setpc_b64 s[14:15]
.LBB1_22:
	s_or_b64 exec, exec, s[6:7]
	s_and_saveexec_b64 s[6:7], s[4:5]
	s_cbranch_execz .LBB1_24
.LBB1_23:
	v_bfe_u32 v13, v2, 16, 3
	v_ffbh_u32_e32 v16, v13
	v_min_u32_e32 v16, 32, v16
	v_lshrrev_b32_e32 v14, 19, v2
	v_subrev_u32_e32 v17, 28, v16
	v_and_b32_e32 v14, 15, v14
	v_lshlrev_b32_sdwa v17, v17, v2 dst_sel:DWORD dst_unused:UNUSED_PAD src0_sel:DWORD src1_sel:WORD_1
	v_bfe_u32 v15, v2, 19, 4
	v_sub_u32_e32 v16, 29, v16
	v_and_b32_e32 v17, 7, v17
	v_cmp_eq_u16_e32 vcc, 0, v14
	v_cndmask_b32_e32 v13, v13, v17, vcc
	v_cndmask_b32_e32 v14, v15, v16, vcc
	v_lshlrev_b32_e32 v15, 8, v2
	v_mov_b32_e32 v16, 0x3b800000
	v_lshlrev_b32_e32 v13, 20, v13
	v_and_b32_e32 v15, 0x80000000, v15
	v_lshl_add_u32 v14, v14, 23, v16
	v_or3_b32 v14, v15, v14, v13
.LBB1_24:
	s_or_b64 exec, exec, s[6:7]
	s_nop 0
	v_mfma_f32_16x16x4f32 a[0:3], v12, v14, a[0:3]
	s_movk_i32 s4, 0x7f
	v_cmp_gt_i16_sdwa s[6:7], v6, s4 src0_sel:BYTE_3 src1_sel:DWORD
	s_mov_b64 s[4:5], 0
                                        ; implicit-def: $sgpr10
	s_and_saveexec_b64 s[8:9], s[6:7]
	s_xor_b64 s[6:7], exec, s[8:9]
	s_cbranch_execz .LBB1_25
; %bb.35865:
	s_getpc_b64 s[14:15]
.Lpost_getpc3596:
	s_add_u32 s14, s14, (.LBB1_14361-.Lpost_getpc3596)&4294967295
	s_addc_u32 s15, s15, (.LBB1_14361-.Lpost_getpc3596)>>32
	s_setpc_b64 s[14:15]
.LBB1_25:
	s_or_saveexec_b64 s[6:7], s[6:7]
	v_mov_b32_e32 v12, s10
	s_xor_b64 exec, exec, s[6:7]
	s_cbranch_execz .LBB1_26
; %bb.35867:
	s_getpc_b64 s[14:15]
.Lpost_getpc3597:
	s_add_u32 s14, s14, (.LBB1_14364-.Lpost_getpc3597)&4294967295
	s_addc_u32 s15, s15, (.LBB1_14364-.Lpost_getpc3597)>>32
	s_setpc_b64 s[14:15]
.LBB1_26:
	s_or_b64 exec, exec, s[6:7]
	s_and_saveexec_b64 s[6:7], s[4:5]
	s_cbranch_execz .LBB1_28
.LBB1_27:
	v_bfe_u32 v12, v6, 24, 3
	v_ffbh_u32_e32 v16, v12
	v_min_u32_e32 v16, 32, v16
	v_lshrrev_b32_e32 v14, 27, v6
	v_subrev_u32_e32 v17, 28, v16
	v_and_b32_e32 v13, 0x80000000, v6
	v_and_b32_e32 v14, 15, v14
	v_bfe_u32 v15, v6, 27, 4
	v_lshlrev_b32_sdwa v6, v17, v6 dst_sel:DWORD dst_unused:UNUSED_PAD src0_sel:DWORD src1_sel:BYTE_3
	v_sub_u32_e32 v16, 29, v16
	v_and_b32_e32 v6, 7, v6
	v_cmp_eq_u16_e32 vcc, 0, v14
	v_cndmask_b32_e32 v6, v12, v6, vcc
	v_cndmask_b32_e32 v12, v15, v16, vcc
	v_mov_b32_e32 v14, 0x3b800000
	v_lshlrev_b32_e32 v6, 20, v6
	v_lshl_add_u32 v12, v12, 23, v14
	v_or3_b32 v12, v13, v12, v6
.LBB1_28:
	s_or_b64 exec, exec, s[6:7]
	s_movk_i32 s4, 0x7f
	v_cmp_gt_i16_sdwa s[6:7], v2, s4 src0_sel:BYTE_3 src1_sel:DWORD
	s_mov_b64 s[4:5], 0
                                        ; implicit-def: $sgpr10
	s_and_saveexec_b64 s[8:9], s[6:7]
	s_xor_b64 s[6:7], exec, s[8:9]
	s_cbranch_execz .LBB1_29
; %bb.35869:
	s_getpc_b64 s[14:15]
.Lpost_getpc3598:
	s_add_u32 s14, s14, (.LBB1_14365-.Lpost_getpc3598)&4294967295
	s_addc_u32 s15, s15, (.LBB1_14365-.Lpost_getpc3598)>>32
	s_setpc_b64 s[14:15]
.LBB1_29:
	s_or_saveexec_b64 s[6:7], s[6:7]
	v_mov_b32_e32 v6, s10
	s_xor_b64 exec, exec, s[6:7]
	s_cbranch_execz .LBB1_30
; %bb.35871:
	s_getpc_b64 s[14:15]
.Lpost_getpc3599:
	s_add_u32 s14, s14, (.LBB1_14368-.Lpost_getpc3599)&4294967295
	s_addc_u32 s15, s15, (.LBB1_14368-.Lpost_getpc3599)>>32
	s_setpc_b64 s[14:15]
.LBB1_30:
	s_or_b64 exec, exec, s[6:7]
	s_and_saveexec_b64 s[6:7], s[4:5]
	s_cbranch_execz .LBB1_32
.LBB1_31:
	v_bfe_u32 v6, v2, 24, 3
	v_ffbh_u32_e32 v16, v6
	v_min_u32_e32 v16, 32, v16
	v_lshrrev_b32_e32 v14, 27, v2
	v_subrev_u32_e32 v17, 28, v16
	v_and_b32_e32 v13, 0x80000000, v2
	v_and_b32_e32 v14, 15, v14
	v_bfe_u32 v15, v2, 27, 4
	v_lshlrev_b32_sdwa v2, v17, v2 dst_sel:DWORD dst_unused:UNUSED_PAD src0_sel:DWORD src1_sel:BYTE_3
	v_sub_u32_e32 v16, 29, v16
	v_and_b32_e32 v2, 7, v2
	v_cmp_eq_u16_e32 vcc, 0, v14
	v_cndmask_b32_e32 v2, v6, v2, vcc
	v_cndmask_b32_e32 v6, v15, v16, vcc
	v_mov_b32_e32 v14, 0x3b800000
	v_lshlrev_b32_e32 v2, 20, v2
	v_lshl_add_u32 v6, v6, 23, v14
	v_or3_b32 v6, v13, v6, v2
.LBB1_32:
	s_or_b64 exec, exec, s[6:7]
	s_nop 0
	v_mfma_f32_16x16x4f32 a[0:3], v12, v6, a[0:3]
	s_movk_i32 s4, 0x7f
	v_cmp_gt_i16_sdwa s[6:7], v7, s4 src0_sel:BYTE_0 src1_sel:DWORD
	s_mov_b64 s[4:5], 0
                                        ; implicit-def: $sgpr10
	s_and_saveexec_b64 s[8:9], s[6:7]
	s_xor_b64 s[6:7], exec, s[8:9]
	s_cbranch_execz .LBB1_33
; %bb.35873:
	s_getpc_b64 s[14:15]
.Lpost_getpc3600:
	s_add_u32 s14, s14, (.LBB1_14369-.Lpost_getpc3600)&4294967295
	s_addc_u32 s15, s15, (.LBB1_14369-.Lpost_getpc3600)>>32
	s_setpc_b64 s[14:15]
.LBB1_33:
	s_or_saveexec_b64 s[6:7], s[6:7]
	v_mov_b32_e32 v2, s10
	s_xor_b64 exec, exec, s[6:7]
	s_cbranch_execz .LBB1_34
; %bb.35875:
	s_getpc_b64 s[14:15]
.Lpost_getpc3601:
	s_add_u32 s14, s14, (.LBB1_14372-.Lpost_getpc3601)&4294967295
	s_addc_u32 s15, s15, (.LBB1_14372-.Lpost_getpc3601)>>32
	s_setpc_b64 s[14:15]
.LBB1_34:
	s_or_b64 exec, exec, s[6:7]
	s_and_saveexec_b64 s[6:7], s[4:5]
	s_cbranch_execz .LBB1_36
.LBB1_35:
	v_and_b32_e32 v2, 7, v7
	v_ffbh_u32_e32 v12, v2
	v_min_u32_e32 v12, 32, v12
	v_lshrrev_b16_e32 v6, 3, v7
	v_subrev_u32_e32 v13, 28, v12
	v_and_b32_e32 v6, 15, v6
	v_lshlrev_b32_e32 v13, v13, v7
	v_sub_u32_e32 v12, 29, v12
	v_and_b32_e32 v13, 7, v13
	v_cmp_eq_u16_e32 vcc, 0, v6
	v_cndmask_b32_e32 v2, v2, v13, vcc
	v_cndmask_b32_e32 v6, v6, v12, vcc
	v_lshlrev_b32_e32 v12, 24, v7
	v_mov_b32_e32 v13, 0x3b800000
	v_lshlrev_b32_e32 v2, 20, v2
	v_and_b32_e32 v12, 0x80000000, v12
	v_lshl_add_u32 v6, v6, 23, v13
	v_or3_b32 v2, v12, v6, v2
.LBB1_36:
	s_or_b64 exec, exec, s[6:7]
	s_movk_i32 s4, 0x7f
	v_cmp_gt_i16_sdwa s[6:7], v3, s4 src0_sel:BYTE_0 src1_sel:DWORD
	s_mov_b64 s[4:5], 0
                                        ; implicit-def: $sgpr10
	s_and_saveexec_b64 s[8:9], s[6:7]
	s_xor_b64 s[6:7], exec, s[8:9]
	s_cbranch_execz .LBB1_37
; %bb.35877:
	s_getpc_b64 s[14:15]
.Lpost_getpc3602:
	s_add_u32 s14, s14, (.LBB1_14373-.Lpost_getpc3602)&4294967295
	s_addc_u32 s15, s15, (.LBB1_14373-.Lpost_getpc3602)>>32
	s_setpc_b64 s[14:15]
.LBB1_37:
	s_or_saveexec_b64 s[6:7], s[6:7]
	v_mov_b32_e32 v6, s10
	s_xor_b64 exec, exec, s[6:7]
	s_cbranch_execz .LBB1_38
; %bb.35879:
	s_getpc_b64 s[14:15]
.Lpost_getpc3603:
	s_add_u32 s14, s14, (.LBB1_14376-.Lpost_getpc3603)&4294967295
	s_addc_u32 s15, s15, (.LBB1_14376-.Lpost_getpc3603)>>32
	s_setpc_b64 s[14:15]
.LBB1_38:
	s_or_b64 exec, exec, s[6:7]
	s_and_saveexec_b64 s[6:7], s[4:5]
	s_cbranch_execz .LBB1_40
.LBB1_39:
	v_and_b32_e32 v6, 7, v3
	v_ffbh_u32_e32 v13, v6
	v_min_u32_e32 v13, 32, v13
	v_lshrrev_b16_e32 v12, 3, v3
	v_subrev_u32_e32 v14, 28, v13
	v_and_b32_e32 v12, 15, v12
	v_lshlrev_b32_e32 v14, v14, v3
	v_sub_u32_e32 v13, 29, v13
	v_and_b32_e32 v14, 7, v14
	v_cmp_eq_u16_e32 vcc, 0, v12
	v_cndmask_b32_e32 v6, v6, v14, vcc
	v_cndmask_b32_e32 v12, v12, v13, vcc
	v_lshlrev_b32_e32 v13, 24, v3
	v_mov_b32_e32 v14, 0x3b800000
	v_lshlrev_b32_e32 v6, 20, v6
	v_and_b32_e32 v13, 0x80000000, v13
	v_lshl_add_u32 v12, v12, 23, v14
	v_or3_b32 v6, v13, v12, v6
.LBB1_40:
	s_or_b64 exec, exec, s[6:7]
	s_nop 0
	v_mfma_f32_16x16x4f32 a[0:3], v2, v6, a[0:3]
	v_lshrrev_b32_e32 v6, 8, v7
	s_movk_i32 s4, 0x7f
	v_cmp_gt_i16_sdwa s[6:7], v6, s4 src0_sel:BYTE_0 src1_sel:DWORD
	s_mov_b64 s[4:5], 0
                                        ; implicit-def: $sgpr10
	s_and_saveexec_b64 s[8:9], s[6:7]
	s_xor_b64 s[6:7], exec, s[8:9]
	s_cbranch_execz .LBB1_41
; %bb.35881:
	s_getpc_b64 s[14:15]
.Lpost_getpc3604:
	s_add_u32 s14, s14, (.LBB1_14377-.Lpost_getpc3604)&4294967295
	s_addc_u32 s15, s15, (.LBB1_14377-.Lpost_getpc3604)>>32
	s_setpc_b64 s[14:15]
.LBB1_41:
	s_or_saveexec_b64 s[6:7], s[6:7]
	v_mov_b32_e32 v2, s10
	s_xor_b64 exec, exec, s[6:7]
	s_cbranch_execz .LBB1_42
; %bb.35883:
	s_getpc_b64 s[14:15]
.Lpost_getpc3605:
	s_add_u32 s14, s14, (.LBB1_14380-.Lpost_getpc3605)&4294967295
	s_addc_u32 s15, s15, (.LBB1_14380-.Lpost_getpc3605)>>32
	s_setpc_b64 s[14:15]
.LBB1_42:
	s_or_b64 exec, exec, s[6:7]
	s_and_saveexec_b64 s[6:7], s[4:5]
	s_cbranch_execz .LBB1_44
.LBB1_43:
	v_bfe_u32 v2, v7, 8, 3
	v_ffbh_u32_e32 v13, v2
	v_min_u32_e32 v13, 32, v13
	v_lshrrev_b16_e32 v12, 3, v6
	v_subrev_u32_e32 v14, 28, v13
	v_and_b32_e32 v12, 15, v12
	v_lshlrev_b32_e32 v6, v14, v6
	v_sub_u32_e32 v13, 29, v13
	v_and_b32_e32 v6, 7, v6
	v_cmp_eq_u16_e32 vcc, 0, v12
	v_cndmask_b32_e32 v2, v2, v6, vcc
	v_cndmask_b32_e32 v6, v12, v13, vcc
	v_lshlrev_b32_e32 v12, 16, v7
	v_mov_b32_e32 v13, 0x3b800000
	v_lshlrev_b32_e32 v2, 20, v2
	v_and_b32_e32 v12, 0x80000000, v12
	v_lshl_add_u32 v6, v6, 23, v13
	v_or3_b32 v2, v12, v6, v2
.LBB1_44:
	s_or_b64 exec, exec, s[6:7]
	v_lshrrev_b32_e32 v6, 8, v3
	s_movk_i32 s4, 0x7f
	v_cmp_gt_i16_sdwa s[6:7], v6, s4 src0_sel:BYTE_0 src1_sel:DWORD
	s_mov_b64 s[4:5], 0
                                        ; implicit-def: $sgpr10
	s_and_saveexec_b64 s[8:9], s[6:7]
	s_xor_b64 s[6:7], exec, s[8:9]
	s_cbranch_execz .LBB1_45
; %bb.35885:
	s_getpc_b64 s[14:15]
.Lpost_getpc3606:
	s_add_u32 s14, s14, (.LBB1_14381-.Lpost_getpc3606)&4294967295
	s_addc_u32 s15, s15, (.LBB1_14381-.Lpost_getpc3606)>>32
	s_setpc_b64 s[14:15]
.LBB1_45:
	s_or_saveexec_b64 s[6:7], s[6:7]
	v_mov_b32_e32 v12, s10
	s_xor_b64 exec, exec, s[6:7]
	s_cbranch_execz .LBB1_46
; %bb.35887:
	s_getpc_b64 s[14:15]
.Lpost_getpc3607:
	s_add_u32 s14, s14, (.LBB1_14384-.Lpost_getpc3607)&4294967295
	s_addc_u32 s15, s15, (.LBB1_14384-.Lpost_getpc3607)>>32
	s_setpc_b64 s[14:15]
.LBB1_46:
	s_or_b64 exec, exec, s[6:7]
	s_and_saveexec_b64 s[6:7], s[4:5]
	s_cbranch_execz .LBB1_48
.LBB1_47:
	v_bfe_u32 v12, v3, 8, 3
	v_ffbh_u32_e32 v14, v12
	v_min_u32_e32 v14, 32, v14
	v_lshrrev_b16_e32 v13, 3, v6
	v_subrev_u32_e32 v15, 28, v14
	v_and_b32_e32 v13, 15, v13
	v_lshlrev_b32_e32 v6, v15, v6
	v_sub_u32_e32 v14, 29, v14
	v_and_b32_e32 v6, 7, v6
	v_cmp_eq_u16_e32 vcc, 0, v13
	v_cndmask_b32_e32 v6, v12, v6, vcc
	v_cndmask_b32_e32 v12, v13, v14, vcc
	v_lshlrev_b32_e32 v13, 16, v3
	v_mov_b32_e32 v14, 0x3b800000
	v_lshlrev_b32_e32 v6, 20, v6
	v_and_b32_e32 v13, 0x80000000, v13
	v_lshl_add_u32 v12, v12, 23, v14
	v_or3_b32 v12, v13, v12, v6
.LBB1_48:
	s_or_b64 exec, exec, s[6:7]
	s_nop 0
	v_mfma_f32_16x16x4f32 a[0:3], v2, v12, a[0:3]
	s_movk_i32 s4, 0xff
	v_and_b32_sdwa v6, v7, s4 dst_sel:DWORD dst_unused:UNUSED_PAD src0_sel:WORD_1 src1_sel:DWORD
	s_movk_i32 s4, 0x7f
	v_cmp_lt_i16_e32 vcc, s4, v6
	s_mov_b64 s[4:5], 0
                                        ; implicit-def: $sgpr10
	s_and_saveexec_b64 s[6:7], vcc
	s_xor_b64 s[6:7], exec, s[6:7]
	s_cbranch_execz .LBB1_49
; %bb.35889:
	s_getpc_b64 s[14:15]
.Lpost_getpc3608:
	s_add_u32 s14, s14, (.LBB1_14385-.Lpost_getpc3608)&4294967295
	s_addc_u32 s15, s15, (.LBB1_14385-.Lpost_getpc3608)>>32
	s_setpc_b64 s[14:15]
.LBB1_49:
	s_or_saveexec_b64 s[6:7], s[6:7]
	v_mov_b32_e32 v2, s10
	s_xor_b64 exec, exec, s[6:7]
	s_cbranch_execz .LBB1_50
; %bb.35891:
	s_getpc_b64 s[14:15]
.Lpost_getpc3609:
	s_add_u32 s14, s14, (.LBB1_14388-.Lpost_getpc3609)&4294967295
	s_addc_u32 s15, s15, (.LBB1_14388-.Lpost_getpc3609)>>32
	s_setpc_b64 s[14:15]
.LBB1_50:
	s_or_b64 exec, exec, s[6:7]
	s_and_saveexec_b64 s[6:7], s[4:5]
	s_cbranch_execz .LBB1_52
.LBB1_51:
	v_bfe_u32 v2, v7, 16, 3
	v_ffbh_u32_e32 v13, v2
	v_min_u32_e32 v13, 32, v13
	v_lshrrev_b32_e32 v6, 19, v7
	v_subrev_u32_e32 v14, 28, v13
	v_and_b32_e32 v6, 15, v6
	v_lshlrev_b32_sdwa v14, v14, v7 dst_sel:DWORD dst_unused:UNUSED_PAD src0_sel:DWORD src1_sel:WORD_1
	v_bfe_u32 v12, v7, 19, 4
	v_sub_u32_e32 v13, 29, v13
	v_and_b32_e32 v14, 7, v14
	v_cmp_eq_u16_e32 vcc, 0, v6
	v_cndmask_b32_e32 v2, v2, v14, vcc
	v_cndmask_b32_e32 v6, v12, v13, vcc
	v_lshlrev_b32_e32 v12, 8, v7
	v_mov_b32_e32 v13, 0x3b800000
	v_lshlrev_b32_e32 v2, 20, v2
	v_and_b32_e32 v12, 0x80000000, v12
	v_lshl_add_u32 v6, v6, 23, v13
	v_or3_b32 v2, v12, v6, v2
.LBB1_52:
	s_or_b64 exec, exec, s[6:7]
	s_movk_i32 s4, 0xff
	v_and_b32_sdwa v6, v3, s4 dst_sel:DWORD dst_unused:UNUSED_PAD src0_sel:WORD_1 src1_sel:DWORD
	s_movk_i32 s4, 0x7f
	v_cmp_lt_i16_e32 vcc, s4, v6
	s_mov_b64 s[4:5], 0
                                        ; implicit-def: $sgpr10
	s_and_saveexec_b64 s[6:7], vcc
	s_xor_b64 s[6:7], exec, s[6:7]
	s_cbranch_execz .LBB1_53
; %bb.35893:
	s_getpc_b64 s[14:15]
.Lpost_getpc3610:
	s_add_u32 s14, s14, (.LBB1_14389-.Lpost_getpc3610)&4294967295
	s_addc_u32 s15, s15, (.LBB1_14389-.Lpost_getpc3610)>>32
	s_setpc_b64 s[14:15]
.LBB1_53:
	s_or_saveexec_b64 s[6:7], s[6:7]
	v_mov_b32_e32 v12, s10
	s_xor_b64 exec, exec, s[6:7]
	s_cbranch_execz .LBB1_54
; %bb.35895:
	s_getpc_b64 s[14:15]
.Lpost_getpc3611:
	s_add_u32 s14, s14, (.LBB1_14392-.Lpost_getpc3611)&4294967295
	s_addc_u32 s15, s15, (.LBB1_14392-.Lpost_getpc3611)>>32
	s_setpc_b64 s[14:15]
.LBB1_54:
	s_or_b64 exec, exec, s[6:7]
	s_and_saveexec_b64 s[6:7], s[4:5]
	s_cbranch_execz .LBB1_56
.LBB1_55:
	v_bfe_u32 v6, v3, 16, 3
	v_ffbh_u32_e32 v14, v6
	v_min_u32_e32 v14, 32, v14
	v_lshrrev_b32_e32 v12, 19, v3
	v_subrev_u32_e32 v15, 28, v14
	v_and_b32_e32 v12, 15, v12
	v_lshlrev_b32_sdwa v15, v15, v3 dst_sel:DWORD dst_unused:UNUSED_PAD src0_sel:DWORD src1_sel:WORD_1
	v_bfe_u32 v13, v3, 19, 4
	v_sub_u32_e32 v14, 29, v14
	v_and_b32_e32 v15, 7, v15
	v_cmp_eq_u16_e32 vcc, 0, v12
	v_cndmask_b32_e32 v6, v6, v15, vcc
	v_cndmask_b32_e32 v12, v13, v14, vcc
	v_lshlrev_b32_e32 v13, 8, v3
	v_mov_b32_e32 v14, 0x3b800000
	v_lshlrev_b32_e32 v6, 20, v6
	v_and_b32_e32 v13, 0x80000000, v13
	v_lshl_add_u32 v12, v12, 23, v14
	v_or3_b32 v12, v13, v12, v6
.LBB1_56:
	s_or_b64 exec, exec, s[6:7]
	s_nop 0
	v_mfma_f32_16x16x4f32 a[0:3], v2, v12, a[0:3]
	s_movk_i32 s4, 0x7f
	v_cmp_gt_i16_sdwa s[6:7], v7, s4 src0_sel:BYTE_3 src1_sel:DWORD
	s_mov_b64 s[4:5], 0
                                        ; implicit-def: $sgpr10
	s_and_saveexec_b64 s[8:9], s[6:7]
	s_xor_b64 s[6:7], exec, s[8:9]
	s_cbranch_execz .LBB1_57
; %bb.35897:
	s_getpc_b64 s[14:15]
.Lpost_getpc3612:
	s_add_u32 s14, s14, (.LBB1_14393-.Lpost_getpc3612)&4294967295
	s_addc_u32 s15, s15, (.LBB1_14393-.Lpost_getpc3612)>>32
	s_setpc_b64 s[14:15]
.LBB1_57:
	s_or_saveexec_b64 s[6:7], s[6:7]
	v_mov_b32_e32 v2, s10
	s_xor_b64 exec, exec, s[6:7]
	s_cbranch_execz .LBB1_58
; %bb.35899:
	s_getpc_b64 s[14:15]
.Lpost_getpc3613:
	s_add_u32 s14, s14, (.LBB1_14396-.Lpost_getpc3613)&4294967295
	s_addc_u32 s15, s15, (.LBB1_14396-.Lpost_getpc3613)>>32
	s_setpc_b64 s[14:15]
.LBB1_58:
	s_or_b64 exec, exec, s[6:7]
	s_and_saveexec_b64 s[6:7], s[4:5]
	s_cbranch_execz .LBB1_60
.LBB1_59:
	v_bfe_u32 v2, v7, 24, 3
	v_ffbh_u32_e32 v14, v2
	v_min_u32_e32 v14, 32, v14
	v_lshrrev_b32_e32 v12, 27, v7
	v_subrev_u32_e32 v15, 28, v14
	v_and_b32_e32 v6, 0x80000000, v7
	v_and_b32_e32 v12, 15, v12
	v_bfe_u32 v13, v7, 27, 4
	v_lshlrev_b32_sdwa v7, v15, v7 dst_sel:DWORD dst_unused:UNUSED_PAD src0_sel:DWORD src1_sel:BYTE_3
	v_sub_u32_e32 v14, 29, v14
	v_and_b32_e32 v7, 7, v7
	v_cmp_eq_u16_e32 vcc, 0, v12
	v_cndmask_b32_e32 v2, v2, v7, vcc
	v_cndmask_b32_e32 v7, v13, v14, vcc
	v_mov_b32_e32 v12, 0x3b800000
	v_lshlrev_b32_e32 v2, 20, v2
	v_lshl_add_u32 v7, v7, 23, v12
	v_or3_b32 v2, v6, v7, v2
.LBB1_60:
	s_or_b64 exec, exec, s[6:7]
	s_movk_i32 s4, 0x7f
	v_cmp_gt_i16_sdwa s[6:7], v3, s4 src0_sel:BYTE_3 src1_sel:DWORD
	s_mov_b64 s[4:5], 0
                                        ; implicit-def: $sgpr10
	s_and_saveexec_b64 s[8:9], s[6:7]
	s_xor_b64 s[6:7], exec, s[8:9]
	s_cbranch_execz .LBB1_61
; %bb.35901:
	s_getpc_b64 s[14:15]
.Lpost_getpc3614:
	s_add_u32 s14, s14, (.LBB1_14397-.Lpost_getpc3614)&4294967295
	s_addc_u32 s15, s15, (.LBB1_14397-.Lpost_getpc3614)>>32
	s_setpc_b64 s[14:15]
.LBB1_61:
	s_or_saveexec_b64 s[6:7], s[6:7]
	v_mov_b32_e32 v6, s10
	s_xor_b64 exec, exec, s[6:7]
	s_cbranch_execz .LBB1_62
; %bb.35903:
	s_getpc_b64 s[14:15]
.Lpost_getpc3615:
	s_add_u32 s14, s14, (.LBB1_14400-.Lpost_getpc3615)&4294967295
	s_addc_u32 s15, s15, (.LBB1_14400-.Lpost_getpc3615)>>32
	s_setpc_b64 s[14:15]
.LBB1_62:
	s_or_b64 exec, exec, s[6:7]
	s_and_saveexec_b64 s[6:7], s[4:5]
	s_cbranch_execz .LBB1_64
.LBB1_63:
	v_bfe_u32 v6, v3, 24, 3
	v_ffbh_u32_e32 v14, v6
	v_min_u32_e32 v14, 32, v14
	v_lshrrev_b32_e32 v12, 27, v3
	v_subrev_u32_e32 v15, 28, v14
	v_and_b32_e32 v7, 0x80000000, v3
	v_and_b32_e32 v12, 15, v12
	v_bfe_u32 v13, v3, 27, 4
	v_lshlrev_b32_sdwa v3, v15, v3 dst_sel:DWORD dst_unused:UNUSED_PAD src0_sel:DWORD src1_sel:BYTE_3
	v_sub_u32_e32 v14, 29, v14
	v_and_b32_e32 v3, 7, v3
	v_cmp_eq_u16_e32 vcc, 0, v12
	v_cndmask_b32_e32 v3, v6, v3, vcc
	v_cndmask_b32_e32 v6, v13, v14, vcc
	v_mov_b32_e32 v12, 0x3b800000
	v_lshlrev_b32_e32 v3, 20, v3
	v_lshl_add_u32 v6, v6, 23, v12
	v_or3_b32 v6, v7, v6, v3
.LBB1_64:
	s_or_b64 exec, exec, s[6:7]
	s_nop 0
	v_mfma_f32_16x16x4f32 a[0:3], v2, v6, a[0:3]
	s_movk_i32 s4, 0x7f
	v_cmp_gt_i16_sdwa s[6:7], v8, s4 src0_sel:BYTE_0 src1_sel:DWORD
	s_mov_b64 s[4:5], 0
                                        ; implicit-def: $sgpr10
	s_and_saveexec_b64 s[8:9], s[6:7]
	s_xor_b64 s[6:7], exec, s[8:9]
	s_cbranch_execz .LBB1_65
; %bb.35905:
	s_getpc_b64 s[14:15]
.Lpost_getpc3616:
	s_add_u32 s14, s14, (.LBB1_14401-.Lpost_getpc3616)&4294967295
	s_addc_u32 s15, s15, (.LBB1_14401-.Lpost_getpc3616)>>32
	s_setpc_b64 s[14:15]
.LBB1_65:
	s_or_saveexec_b64 s[6:7], s[6:7]
	v_mov_b32_e32 v2, s10
	s_xor_b64 exec, exec, s[6:7]
	s_cbranch_execz .LBB1_66
; %bb.35907:
	s_getpc_b64 s[14:15]
.Lpost_getpc3617:
	s_add_u32 s14, s14, (.LBB1_14404-.Lpost_getpc3617)&4294967295
	s_addc_u32 s15, s15, (.LBB1_14404-.Lpost_getpc3617)>>32
	s_setpc_b64 s[14:15]
.LBB1_66:
	s_or_b64 exec, exec, s[6:7]
	s_and_saveexec_b64 s[6:7], s[4:5]
	s_cbranch_execz .LBB1_68
.LBB1_67:
	v_and_b32_e32 v2, 7, v8
	v_ffbh_u32_e32 v6, v2
	v_min_u32_e32 v6, 32, v6
	v_lshrrev_b16_e32 v3, 3, v8
	v_subrev_u32_e32 v7, 28, v6
	v_and_b32_e32 v3, 15, v3
	v_lshlrev_b32_e32 v7, v7, v8
	v_sub_u32_e32 v6, 29, v6
	v_and_b32_e32 v7, 7, v7
	v_cmp_eq_u16_e32 vcc, 0, v3
	v_cndmask_b32_e32 v2, v2, v7, vcc
	v_cndmask_b32_e32 v3, v3, v6, vcc
	v_lshlrev_b32_e32 v6, 24, v8
	v_mov_b32_e32 v7, 0x3b800000
	v_lshlrev_b32_e32 v2, 20, v2
	v_and_b32_e32 v6, 0x80000000, v6
	v_lshl_add_u32 v3, v3, 23, v7
	v_or3_b32 v2, v6, v3, v2
.LBB1_68:
	s_or_b64 exec, exec, s[6:7]
	s_movk_i32 s4, 0x7f
	v_cmp_gt_i16_sdwa s[6:7], v4, s4 src0_sel:BYTE_0 src1_sel:DWORD
	s_mov_b64 s[4:5], 0
                                        ; implicit-def: $sgpr10
	s_and_saveexec_b64 s[8:9], s[6:7]
	s_xor_b64 s[6:7], exec, s[8:9]
	s_cbranch_execz .LBB1_69
; %bb.35909:
	s_getpc_b64 s[14:15]
.Lpost_getpc3618:
	s_add_u32 s14, s14, (.LBB1_14405-.Lpost_getpc3618)&4294967295
	s_addc_u32 s15, s15, (.LBB1_14405-.Lpost_getpc3618)>>32
	s_setpc_b64 s[14:15]
.LBB1_69:
	s_or_saveexec_b64 s[6:7], s[6:7]
	v_mov_b32_e32 v3, s10
	s_xor_b64 exec, exec, s[6:7]
	s_cbranch_execz .LBB1_70
; %bb.35911:
	s_getpc_b64 s[14:15]
.Lpost_getpc3619:
	s_add_u32 s14, s14, (.LBB1_14408-.Lpost_getpc3619)&4294967295
	s_addc_u32 s15, s15, (.LBB1_14408-.Lpost_getpc3619)>>32
	s_setpc_b64 s[14:15]
.LBB1_70:
	s_or_b64 exec, exec, s[6:7]
	s_and_saveexec_b64 s[6:7], s[4:5]
	s_cbranch_execz .LBB1_72
.LBB1_71:
	v_and_b32_e32 v3, 7, v4
	v_ffbh_u32_e32 v7, v3
	v_min_u32_e32 v7, 32, v7
	v_lshrrev_b16_e32 v6, 3, v4
	v_subrev_u32_e32 v12, 28, v7
	v_and_b32_e32 v6, 15, v6
	v_lshlrev_b32_e32 v12, v12, v4
	v_sub_u32_e32 v7, 29, v7
	v_and_b32_e32 v12, 7, v12
	v_cmp_eq_u16_e32 vcc, 0, v6
	v_cndmask_b32_e32 v3, v3, v12, vcc
	v_cndmask_b32_e32 v6, v6, v7, vcc
	v_lshlrev_b32_e32 v7, 24, v4
	v_mov_b32_e32 v12, 0x3b800000
	v_lshlrev_b32_e32 v3, 20, v3
	v_and_b32_e32 v7, 0x80000000, v7
	v_lshl_add_u32 v6, v6, 23, v12
	v_or3_b32 v3, v7, v6, v3
.LBB1_72:
	s_or_b64 exec, exec, s[6:7]
	s_nop 0
	v_mfma_f32_16x16x4f32 a[0:3], v2, v3, a[0:3]
	v_lshrrev_b32_e32 v3, 8, v8
	s_movk_i32 s4, 0x7f
	v_cmp_gt_i16_sdwa s[6:7], v3, s4 src0_sel:BYTE_0 src1_sel:DWORD
	s_mov_b64 s[4:5], 0
                                        ; implicit-def: $sgpr10
	s_and_saveexec_b64 s[8:9], s[6:7]
	s_xor_b64 s[6:7], exec, s[8:9]
	s_cbranch_execz .LBB1_73
; %bb.35913:
	s_getpc_b64 s[14:15]
.Lpost_getpc3620:
	s_add_u32 s14, s14, (.LBB1_14409-.Lpost_getpc3620)&4294967295
	s_addc_u32 s15, s15, (.LBB1_14409-.Lpost_getpc3620)>>32
	s_setpc_b64 s[14:15]
.LBB1_73:
	s_or_saveexec_b64 s[6:7], s[6:7]
	v_mov_b32_e32 v2, s10
	s_xor_b64 exec, exec, s[6:7]
	s_cbranch_execz .LBB1_74
; %bb.35915:
	s_getpc_b64 s[14:15]
.Lpost_getpc3621:
	s_add_u32 s14, s14, (.LBB1_14412-.Lpost_getpc3621)&4294967295
	s_addc_u32 s15, s15, (.LBB1_14412-.Lpost_getpc3621)>>32
	s_setpc_b64 s[14:15]
.LBB1_74:
	s_or_b64 exec, exec, s[6:7]
	s_and_saveexec_b64 s[6:7], s[4:5]
	s_cbranch_execz .LBB1_76
.LBB1_75:
	v_bfe_u32 v2, v8, 8, 3
	v_ffbh_u32_e32 v7, v2
	v_min_u32_e32 v7, 32, v7
	v_lshrrev_b16_e32 v6, 3, v3
	v_subrev_u32_e32 v12, 28, v7
	v_and_b32_e32 v6, 15, v6
	v_lshlrev_b32_e32 v3, v12, v3
	v_sub_u32_e32 v7, 29, v7
	v_and_b32_e32 v3, 7, v3
	v_cmp_eq_u16_e32 vcc, 0, v6
	v_cndmask_b32_e32 v2, v2, v3, vcc
	v_cndmask_b32_e32 v3, v6, v7, vcc
	v_lshlrev_b32_e32 v6, 16, v8
	v_mov_b32_e32 v7, 0x3b800000
	v_lshlrev_b32_e32 v2, 20, v2
	v_and_b32_e32 v6, 0x80000000, v6
	v_lshl_add_u32 v3, v3, 23, v7
	v_or3_b32 v2, v6, v3, v2
.LBB1_76:
	s_or_b64 exec, exec, s[6:7]
	v_lshrrev_b32_e32 v3, 8, v4
	s_movk_i32 s4, 0x7f
	v_cmp_gt_i16_sdwa s[6:7], v3, s4 src0_sel:BYTE_0 src1_sel:DWORD
	s_mov_b64 s[4:5], 0
                                        ; implicit-def: $sgpr10
	s_and_saveexec_b64 s[8:9], s[6:7]
	s_xor_b64 s[6:7], exec, s[8:9]
	s_cbranch_execz .LBB1_77
; %bb.35917:
	s_getpc_b64 s[14:15]
.Lpost_getpc3622:
	s_add_u32 s14, s14, (.LBB1_14413-.Lpost_getpc3622)&4294967295
	s_addc_u32 s15, s15, (.LBB1_14413-.Lpost_getpc3622)>>32
	s_setpc_b64 s[14:15]
.LBB1_77:
	s_or_saveexec_b64 s[6:7], s[6:7]
	v_mov_b32_e32 v6, s10
	s_xor_b64 exec, exec, s[6:7]
	s_cbranch_execz .LBB1_78
; %bb.35919:
	s_getpc_b64 s[14:15]
.Lpost_getpc3623:
	s_add_u32 s14, s14, (.LBB1_14416-.Lpost_getpc3623)&4294967295
	s_addc_u32 s15, s15, (.LBB1_14416-.Lpost_getpc3623)>>32
	s_setpc_b64 s[14:15]
.LBB1_78:
	s_or_b64 exec, exec, s[6:7]
	s_and_saveexec_b64 s[6:7], s[4:5]
	s_cbranch_execz .LBB1_80
.LBB1_79:
	v_bfe_u32 v6, v4, 8, 3
	v_ffbh_u32_e32 v12, v6
	v_min_u32_e32 v12, 32, v12
	v_lshrrev_b16_e32 v7, 3, v3
	v_subrev_u32_e32 v13, 28, v12
	v_and_b32_e32 v7, 15, v7
	v_lshlrev_b32_e32 v3, v13, v3
	v_sub_u32_e32 v12, 29, v12
	v_and_b32_e32 v3, 7, v3
	v_cmp_eq_u16_e32 vcc, 0, v7
	v_cndmask_b32_e32 v3, v6, v3, vcc
	v_cndmask_b32_e32 v6, v7, v12, vcc
	v_lshlrev_b32_e32 v7, 16, v4
	v_mov_b32_e32 v12, 0x3b800000
	v_lshlrev_b32_e32 v3, 20, v3
	v_and_b32_e32 v7, 0x80000000, v7
	v_lshl_add_u32 v6, v6, 23, v12
	v_or3_b32 v6, v7, v6, v3
.LBB1_80:
	s_or_b64 exec, exec, s[6:7]
	s_nop 0
	v_mfma_f32_16x16x4f32 a[0:3], v2, v6, a[0:3]
	s_movk_i32 s4, 0xff
	v_and_b32_sdwa v3, v8, s4 dst_sel:DWORD dst_unused:UNUSED_PAD src0_sel:WORD_1 src1_sel:DWORD
	s_movk_i32 s4, 0x7f
	v_cmp_lt_i16_e32 vcc, s4, v3
	s_mov_b64 s[4:5], 0
                                        ; implicit-def: $sgpr10
	s_and_saveexec_b64 s[6:7], vcc
	s_xor_b64 s[6:7], exec, s[6:7]
	s_cbranch_execz .LBB1_81
; %bb.35921:
	s_getpc_b64 s[14:15]
.Lpost_getpc3624:
	s_add_u32 s14, s14, (.LBB1_14417-.Lpost_getpc3624)&4294967295
	s_addc_u32 s15, s15, (.LBB1_14417-.Lpost_getpc3624)>>32
	s_setpc_b64 s[14:15]
.LBB1_81:
	s_or_saveexec_b64 s[6:7], s[6:7]
	v_mov_b32_e32 v2, s10
	s_xor_b64 exec, exec, s[6:7]
	s_cbranch_execz .LBB1_82
; %bb.35923:
	s_getpc_b64 s[14:15]
.Lpost_getpc3625:
	s_add_u32 s14, s14, (.LBB1_14420-.Lpost_getpc3625)&4294967295
	s_addc_u32 s15, s15, (.LBB1_14420-.Lpost_getpc3625)>>32
	s_setpc_b64 s[14:15]
.LBB1_82:
	s_or_b64 exec, exec, s[6:7]
	s_and_saveexec_b64 s[6:7], s[4:5]
	s_cbranch_execz .LBB1_84
.LBB1_83:
	v_bfe_u32 v2, v8, 16, 3
	v_ffbh_u32_e32 v7, v2
	v_min_u32_e32 v7, 32, v7
	v_lshrrev_b32_e32 v3, 19, v8
	v_subrev_u32_e32 v12, 28, v7
	v_and_b32_e32 v3, 15, v3
	v_lshlrev_b32_sdwa v12, v12, v8 dst_sel:DWORD dst_unused:UNUSED_PAD src0_sel:DWORD src1_sel:WORD_1
	v_bfe_u32 v6, v8, 19, 4
	v_sub_u32_e32 v7, 29, v7
	v_and_b32_e32 v12, 7, v12
	v_cmp_eq_u16_e32 vcc, 0, v3
	v_cndmask_b32_e32 v2, v2, v12, vcc
	v_cndmask_b32_e32 v3, v6, v7, vcc
	v_lshlrev_b32_e32 v6, 8, v8
	v_mov_b32_e32 v7, 0x3b800000
	v_lshlrev_b32_e32 v2, 20, v2
	v_and_b32_e32 v6, 0x80000000, v6
	v_lshl_add_u32 v3, v3, 23, v7
	v_or3_b32 v2, v6, v3, v2
.LBB1_84:
	s_or_b64 exec, exec, s[6:7]
	s_movk_i32 s4, 0xff
	v_and_b32_sdwa v3, v4, s4 dst_sel:DWORD dst_unused:UNUSED_PAD src0_sel:WORD_1 src1_sel:DWORD
	s_movk_i32 s4, 0x7f
	v_cmp_lt_i16_e32 vcc, s4, v3
	s_mov_b64 s[4:5], 0
                                        ; implicit-def: $sgpr10
	s_and_saveexec_b64 s[6:7], vcc
	s_xor_b64 s[6:7], exec, s[6:7]
	s_cbranch_execz .LBB1_85
; %bb.35925:
	s_getpc_b64 s[14:15]
.Lpost_getpc3626:
	s_add_u32 s14, s14, (.LBB1_14421-.Lpost_getpc3626)&4294967295
	s_addc_u32 s15, s15, (.LBB1_14421-.Lpost_getpc3626)>>32
	s_setpc_b64 s[14:15]
.LBB1_85:
	s_or_saveexec_b64 s[6:7], s[6:7]
	v_mov_b32_e32 v6, s10
	s_xor_b64 exec, exec, s[6:7]
	s_cbranch_execz .LBB1_86
; %bb.35927:
	s_getpc_b64 s[14:15]
.Lpost_getpc3627:
	s_add_u32 s14, s14, (.LBB1_14424-.Lpost_getpc3627)&4294967295
	s_addc_u32 s15, s15, (.LBB1_14424-.Lpost_getpc3627)>>32
	s_setpc_b64 s[14:15]
.LBB1_86:
	s_or_b64 exec, exec, s[6:7]
	s_and_saveexec_b64 s[6:7], s[4:5]
	s_cbranch_execz .LBB1_88
.LBB1_87:
	v_bfe_u32 v3, v4, 16, 3
	v_ffbh_u32_e32 v12, v3
	v_min_u32_e32 v12, 32, v12
	v_lshrrev_b32_e32 v6, 19, v4
	v_subrev_u32_e32 v13, 28, v12
	v_and_b32_e32 v6, 15, v6
	v_lshlrev_b32_sdwa v13, v13, v4 dst_sel:DWORD dst_unused:UNUSED_PAD src0_sel:DWORD src1_sel:WORD_1
	v_bfe_u32 v7, v4, 19, 4
	v_sub_u32_e32 v12, 29, v12
	v_and_b32_e32 v13, 7, v13
	v_cmp_eq_u16_e32 vcc, 0, v6
	v_cndmask_b32_e32 v3, v3, v13, vcc
	v_cndmask_b32_e32 v6, v7, v12, vcc
	v_lshlrev_b32_e32 v7, 8, v4
	v_mov_b32_e32 v12, 0x3b800000
	v_lshlrev_b32_e32 v3, 20, v3
	v_and_b32_e32 v7, 0x80000000, v7
	v_lshl_add_u32 v6, v6, 23, v12
	v_or3_b32 v6, v7, v6, v3
.LBB1_88:
	s_or_b64 exec, exec, s[6:7]
	s_nop 0
	v_mfma_f32_16x16x4f32 a[0:3], v2, v6, a[0:3]
	s_movk_i32 s4, 0x7f
	v_cmp_gt_i16_sdwa s[6:7], v8, s4 src0_sel:BYTE_3 src1_sel:DWORD
	s_mov_b64 s[4:5], 0
                                        ; implicit-def: $sgpr10
	s_and_saveexec_b64 s[8:9], s[6:7]
	s_xor_b64 s[6:7], exec, s[8:9]
	s_cbranch_execz .LBB1_89
; %bb.35929:
	s_getpc_b64 s[14:15]
.Lpost_getpc3628:
	s_add_u32 s14, s14, (.LBB1_14425-.Lpost_getpc3628)&4294967295
	s_addc_u32 s15, s15, (.LBB1_14425-.Lpost_getpc3628)>>32
	s_setpc_b64 s[14:15]
.LBB1_89:
	s_or_saveexec_b64 s[6:7], s[6:7]
	v_mov_b32_e32 v2, s10
	s_xor_b64 exec, exec, s[6:7]
	s_cbranch_execz .LBB1_90
; %bb.35931:
	s_getpc_b64 s[14:15]
.Lpost_getpc3629:
	s_add_u32 s14, s14, (.LBB1_14428-.Lpost_getpc3629)&4294967295
	s_addc_u32 s15, s15, (.LBB1_14428-.Lpost_getpc3629)>>32
	s_setpc_b64 s[14:15]
.LBB1_90:
	s_or_b64 exec, exec, s[6:7]
	s_and_saveexec_b64 s[6:7], s[4:5]
	s_cbranch_execz .LBB1_92
.LBB1_91:
	v_bfe_u32 v2, v8, 24, 3
	v_ffbh_u32_e32 v12, v2
	v_min_u32_e32 v12, 32, v12
	v_lshrrev_b32_e32 v6, 27, v8
	v_subrev_u32_e32 v13, 28, v12
	v_and_b32_e32 v3, 0x80000000, v8
	v_and_b32_e32 v6, 15, v6
	v_bfe_u32 v7, v8, 27, 4
	v_lshlrev_b32_sdwa v8, v13, v8 dst_sel:DWORD dst_unused:UNUSED_PAD src0_sel:DWORD src1_sel:BYTE_3
	v_sub_u32_e32 v12, 29, v12
	v_and_b32_e32 v8, 7, v8
	v_cmp_eq_u16_e32 vcc, 0, v6
	v_cndmask_b32_e32 v2, v2, v8, vcc
	v_cndmask_b32_e32 v6, v7, v12, vcc
	v_mov_b32_e32 v7, 0x3b800000
	v_lshlrev_b32_e32 v2, 20, v2
	v_lshl_add_u32 v6, v6, 23, v7
	v_or3_b32 v2, v3, v6, v2
.LBB1_92:
	s_or_b64 exec, exec, s[6:7]
	s_movk_i32 s4, 0x7f
	v_cmp_gt_i16_sdwa s[6:7], v4, s4 src0_sel:BYTE_3 src1_sel:DWORD
	s_mov_b64 s[4:5], 0
                                        ; implicit-def: $sgpr10
	s_and_saveexec_b64 s[8:9], s[6:7]
	s_xor_b64 s[6:7], exec, s[8:9]
	s_cbranch_execz .LBB1_93
; %bb.35933:
	s_getpc_b64 s[14:15]
.Lpost_getpc3630:
	s_add_u32 s14, s14, (.LBB1_14429-.Lpost_getpc3630)&4294967295
	s_addc_u32 s15, s15, (.LBB1_14429-.Lpost_getpc3630)>>32
	s_setpc_b64 s[14:15]
.LBB1_93:
	s_or_saveexec_b64 s[6:7], s[6:7]
	v_mov_b32_e32 v3, s10
	s_xor_b64 exec, exec, s[6:7]
	s_cbranch_execz .LBB1_94
; %bb.35935:
	s_getpc_b64 s[14:15]
.Lpost_getpc3631:
	s_add_u32 s14, s14, (.LBB1_14432-.Lpost_getpc3631)&4294967295
	s_addc_u32 s15, s15, (.LBB1_14432-.Lpost_getpc3631)>>32
	s_setpc_b64 s[14:15]
.LBB1_94:
	s_or_b64 exec, exec, s[6:7]
	s_and_saveexec_b64 s[6:7], s[4:5]
	s_cbranch_execz .LBB1_96
.LBB1_95:
	v_bfe_u32 v3, v4, 24, 3
	v_ffbh_u32_e32 v12, v3
	v_min_u32_e32 v12, 32, v12
	v_lshrrev_b32_e32 v7, 27, v4
	v_subrev_u32_e32 v13, 28, v12
	v_and_b32_e32 v6, 0x80000000, v4
	v_and_b32_e32 v7, 15, v7
	v_bfe_u32 v8, v4, 27, 4
	v_lshlrev_b32_sdwa v4, v13, v4 dst_sel:DWORD dst_unused:UNUSED_PAD src0_sel:DWORD src1_sel:BYTE_3
	v_sub_u32_e32 v12, 29, v12
	v_and_b32_e32 v4, 7, v4
	v_cmp_eq_u16_e32 vcc, 0, v7
	v_cndmask_b32_e32 v3, v3, v4, vcc
	v_cndmask_b32_e32 v4, v8, v12, vcc
	v_mov_b32_e32 v7, 0x3b800000
	v_lshlrev_b32_e32 v3, 20, v3
	v_lshl_add_u32 v4, v4, 23, v7
	v_or3_b32 v3, v6, v4, v3
.LBB1_96:
	s_or_b64 exec, exec, s[6:7]
	s_nop 0
	v_mfma_f32_16x16x4f32 a[0:3], v2, v3, a[0:3]
	s_movk_i32 s4, 0x7f
	v_cmp_gt_i16_sdwa s[6:7], v9, s4 src0_sel:BYTE_0 src1_sel:DWORD
	s_mov_b64 s[4:5], 0
                                        ; implicit-def: $sgpr10
	s_and_saveexec_b64 s[8:9], s[6:7]
	s_xor_b64 s[6:7], exec, s[8:9]
	s_cbranch_execz .LBB1_97
; %bb.35937:
	s_getpc_b64 s[14:15]
.Lpost_getpc3632:
	s_add_u32 s14, s14, (.LBB1_14433-.Lpost_getpc3632)&4294967295
	s_addc_u32 s15, s15, (.LBB1_14433-.Lpost_getpc3632)>>32
	s_setpc_b64 s[14:15]
.LBB1_97:
	s_or_saveexec_b64 s[6:7], s[6:7]
	v_mov_b32_e32 v2, s10
	s_xor_b64 exec, exec, s[6:7]
	s_cbranch_execz .LBB1_98
; %bb.35939:
	s_getpc_b64 s[14:15]
.Lpost_getpc3633:
	s_add_u32 s14, s14, (.LBB1_14436-.Lpost_getpc3633)&4294967295
	s_addc_u32 s15, s15, (.LBB1_14436-.Lpost_getpc3633)>>32
	s_setpc_b64 s[14:15]
.LBB1_98:
	s_or_b64 exec, exec, s[6:7]
	s_and_saveexec_b64 s[6:7], s[4:5]
	s_cbranch_execz .LBB1_100
.LBB1_99:
	v_mov_b32_e32 v2, 8
	v_and_b32_e32 v3, 7, v9
	v_lshrrev_b32_sdwa v2, v2, v9 dst_sel:BYTE_1 dst_unused:UNUSED_PAD src0_sel:DWORD src1_sel:DWORD
	v_ffbh_u32_e32 v4, v3
	v_or_b32_sdwa v2, v9, v2 dst_sel:DWORD dst_unused:UNUSED_PAD src0_sel:BYTE_0 src1_sel:DWORD
	v_min_u32_e32 v4, 32, v4
	v_lshrrev_b16_e32 v2, 3, v2
	v_subrev_u32_e32 v6, 28, v4
	v_and_b32_e32 v2, 15, v2
	v_lshlrev_b32_e32 v6, v6, v9
	v_sub_u32_e32 v4, 29, v4
	v_and_b32_e32 v6, 7, v6
	v_cmp_eq_u16_e32 vcc, 0, v2
	v_cndmask_b32_e32 v3, v3, v6, vcc
	v_cndmask_b32_e32 v2, v2, v4, vcc
	v_lshlrev_b32_e32 v4, 24, v9
	v_mov_b32_e32 v6, 0x3b800000
	v_lshlrev_b32_e32 v3, 20, v3
	v_and_b32_e32 v4, 0x80000000, v4
	v_lshl_add_u32 v2, v2, 23, v6
	v_or3_b32 v2, v4, v2, v3
.LBB1_100:
	s_or_b64 exec, exec, s[6:7]
	s_movk_i32 s4, 0x7f
	v_cmp_gt_i16_sdwa s[6:7], v5, s4 src0_sel:BYTE_0 src1_sel:DWORD
	s_mov_b64 s[4:5], 0
                                        ; implicit-def: $sgpr10
	s_and_saveexec_b64 s[8:9], s[6:7]
	s_xor_b64 s[6:7], exec, s[8:9]
	s_cbranch_execz .LBB1_101
; %bb.35941:
	s_getpc_b64 s[14:15]
.Lpost_getpc3634:
	s_add_u32 s14, s14, (.LBB1_14437-.Lpost_getpc3634)&4294967295
	s_addc_u32 s15, s15, (.LBB1_14437-.Lpost_getpc3634)>>32
	s_setpc_b64 s[14:15]
.LBB1_101:
	s_or_saveexec_b64 s[6:7], s[6:7]
	v_mov_b32_e32 v3, s10
	s_xor_b64 exec, exec, s[6:7]
	s_cbranch_execz .LBB1_102
; %bb.35943:
	s_getpc_b64 s[14:15]
.Lpost_getpc3635:
	s_add_u32 s14, s14, (.LBB1_14440-.Lpost_getpc3635)&4294967295
	s_addc_u32 s15, s15, (.LBB1_14440-.Lpost_getpc3635)>>32
	s_setpc_b64 s[14:15]
.LBB1_102:
	s_or_b64 exec, exec, s[6:7]
	s_and_saveexec_b64 s[6:7], s[4:5]
	s_cbranch_execz .LBB1_104
.LBB1_103:
	v_mov_b32_e32 v3, 8
	v_and_b32_e32 v4, 7, v5
	v_lshrrev_b32_sdwa v3, v3, v5 dst_sel:BYTE_1 dst_unused:UNUSED_PAD src0_sel:DWORD src1_sel:DWORD
	v_ffbh_u32_e32 v6, v4
	v_or_b32_sdwa v3, v5, v3 dst_sel:DWORD dst_unused:UNUSED_PAD src0_sel:BYTE_0 src1_sel:DWORD
	v_min_u32_e32 v6, 32, v6
	v_lshrrev_b16_e32 v3, 3, v3
	v_subrev_u32_e32 v7, 28, v6
	v_and_b32_e32 v3, 15, v3
	v_lshlrev_b32_e32 v7, v7, v5
	v_sub_u32_e32 v6, 29, v6
	v_and_b32_e32 v7, 7, v7
	v_cmp_eq_u16_e32 vcc, 0, v3
	v_cndmask_b32_e32 v4, v4, v7, vcc
	v_cndmask_b32_e32 v3, v3, v6, vcc
	v_lshlrev_b32_e32 v6, 24, v5
	v_mov_b32_e32 v7, 0x3b800000
	v_lshlrev_b32_e32 v4, 20, v4
	v_and_b32_e32 v6, 0x80000000, v6
	v_lshl_add_u32 v3, v3, 23, v7
	v_or3_b32 v3, v6, v3, v4
.LBB1_104:
	s_or_b64 exec, exec, s[6:7]
	s_nop 0
	v_mfma_f32_16x16x4f32 a[0:3], v2, v3, a[0:3]
	v_lshrrev_b32_e32 v3, 8, v9
	s_movk_i32 s4, 0x7f
	v_cmp_gt_i16_sdwa s[6:7], v3, s4 src0_sel:BYTE_0 src1_sel:DWORD
	s_mov_b64 s[4:5], 0
                                        ; implicit-def: $sgpr10
	s_and_saveexec_b64 s[8:9], s[6:7]
	s_xor_b64 s[6:7], exec, s[8:9]
	s_cbranch_execz .LBB1_105
; %bb.35945:
	s_getpc_b64 s[14:15]
.Lpost_getpc3636:
	s_add_u32 s14, s14, (.LBB1_14441-.Lpost_getpc3636)&4294967295
	s_addc_u32 s15, s15, (.LBB1_14441-.Lpost_getpc3636)>>32
	s_setpc_b64 s[14:15]
.LBB1_105:
	s_or_saveexec_b64 s[6:7], s[6:7]
	v_mov_b32_e32 v2, s10
	s_xor_b64 exec, exec, s[6:7]
	s_cbranch_execz .LBB1_106
; %bb.35947:
	s_getpc_b64 s[14:15]
.Lpost_getpc3637:
	s_add_u32 s14, s14, (.LBB1_14444-.Lpost_getpc3637)&4294967295
	s_addc_u32 s15, s15, (.LBB1_14444-.Lpost_getpc3637)>>32
	s_setpc_b64 s[14:15]
.LBB1_106:
	s_or_b64 exec, exec, s[6:7]
	s_and_saveexec_b64 s[6:7], s[4:5]
	s_cbranch_execz .LBB1_108
.LBB1_107:
	v_bfe_u32 v2, v9, 8, 3
	v_ffbh_u32_e32 v6, v2
	v_min_u32_e32 v6, 32, v6
	v_lshrrev_b16_e32 v4, 3, v3
	v_subrev_u32_e32 v7, 28, v6
	v_and_b32_e32 v4, 15, v4
	v_lshlrev_b32_e32 v3, v7, v3
	v_sub_u32_e32 v6, 29, v6
	v_and_b32_e32 v3, 7, v3
	v_cmp_eq_u16_e32 vcc, 0, v4
	v_cndmask_b32_e32 v2, v2, v3, vcc
	v_cndmask_b32_e32 v3, v4, v6, vcc
	v_lshlrev_b32_e32 v4, 16, v9
	v_mov_b32_e32 v6, 0x3b800000
	v_lshlrev_b32_e32 v2, 20, v2
	v_and_b32_e32 v4, 0x80000000, v4
	v_lshl_add_u32 v3, v3, 23, v6
	v_or3_b32 v2, v4, v3, v2
.LBB1_108:
	s_or_b64 exec, exec, s[6:7]
	v_lshrrev_b32_e32 v3, 8, v5
	s_movk_i32 s4, 0x7f
	v_cmp_gt_i16_sdwa s[6:7], v3, s4 src0_sel:BYTE_0 src1_sel:DWORD
	s_mov_b64 s[4:5], 0
                                        ; implicit-def: $sgpr10
	s_and_saveexec_b64 s[8:9], s[6:7]
	s_xor_b64 s[6:7], exec, s[8:9]
	s_cbranch_execz .LBB1_109
; %bb.35949:
	s_getpc_b64 s[14:15]
.Lpost_getpc3638:
	s_add_u32 s14, s14, (.LBB1_14445-.Lpost_getpc3638)&4294967295
	s_addc_u32 s15, s15, (.LBB1_14445-.Lpost_getpc3638)>>32
	s_setpc_b64 s[14:15]
.LBB1_109:
	s_or_saveexec_b64 s[6:7], s[6:7]
	v_mov_b32_e32 v4, s10
	s_xor_b64 exec, exec, s[6:7]
	s_cbranch_execz .LBB1_110
; %bb.35951:
	s_getpc_b64 s[14:15]
.Lpost_getpc3639:
	s_add_u32 s14, s14, (.LBB1_14448-.Lpost_getpc3639)&4294967295
	s_addc_u32 s15, s15, (.LBB1_14448-.Lpost_getpc3639)>>32
	s_setpc_b64 s[14:15]
.LBB1_110:
	s_or_b64 exec, exec, s[6:7]
	s_and_saveexec_b64 s[6:7], s[4:5]
	s_cbranch_execz .LBB1_112
.LBB1_111:
	v_bfe_u32 v4, v5, 8, 3
	v_ffbh_u32_e32 v7, v4
	v_min_u32_e32 v7, 32, v7
	v_lshrrev_b16_e32 v6, 3, v3
	v_subrev_u32_e32 v8, 28, v7
	v_and_b32_e32 v6, 15, v6
	v_lshlrev_b32_e32 v3, v8, v3
	v_sub_u32_e32 v7, 29, v7
	v_and_b32_e32 v3, 7, v3
	v_cmp_eq_u16_e32 vcc, 0, v6
	v_cndmask_b32_e32 v3, v4, v3, vcc
	v_cndmask_b32_e32 v4, v6, v7, vcc
	v_lshlrev_b32_e32 v6, 16, v5
	v_mov_b32_e32 v7, 0x3b800000
	v_lshlrev_b32_e32 v3, 20, v3
	v_and_b32_e32 v6, 0x80000000, v6
	v_lshl_add_u32 v4, v4, 23, v7
	v_or3_b32 v4, v6, v4, v3
.LBB1_112:
	s_or_b64 exec, exec, s[6:7]
	s_nop 0
	v_mfma_f32_16x16x4f32 a[0:3], v2, v4, a[0:3]
	s_movk_i32 s4, 0xff
	v_and_b32_sdwa v3, v9, s4 dst_sel:DWORD dst_unused:UNUSED_PAD src0_sel:WORD_1 src1_sel:DWORD
	s_movk_i32 s4, 0x7f
	v_cmp_lt_i16_e32 vcc, s4, v3
	s_mov_b64 s[4:5], 0
                                        ; implicit-def: $sgpr10
	s_and_saveexec_b64 s[6:7], vcc
	s_xor_b64 s[6:7], exec, s[6:7]
	s_cbranch_execz .LBB1_113
; %bb.35953:
	s_getpc_b64 s[14:15]
.Lpost_getpc3640:
	s_add_u32 s14, s14, (.LBB1_14449-.Lpost_getpc3640)&4294967295
	s_addc_u32 s15, s15, (.LBB1_14449-.Lpost_getpc3640)>>32
	s_setpc_b64 s[14:15]
.LBB1_113:
	s_or_saveexec_b64 s[6:7], s[6:7]
	v_mov_b32_e32 v2, s10
	s_xor_b64 exec, exec, s[6:7]
	s_cbranch_execz .LBB1_114
; %bb.35955:
	s_getpc_b64 s[14:15]
.Lpost_getpc3641:
	s_add_u32 s14, s14, (.LBB1_14452-.Lpost_getpc3641)&4294967295
	s_addc_u32 s15, s15, (.LBB1_14452-.Lpost_getpc3641)>>32
	s_setpc_b64 s[14:15]
.LBB1_114:
	s_or_b64 exec, exec, s[6:7]
	s_and_saveexec_b64 s[6:7], s[4:5]
	s_cbranch_execz .LBB1_116
.LBB1_115:
	v_bfe_u32 v2, v9, 16, 3
	v_ffbh_u32_e32 v6, v2
	v_min_u32_e32 v6, 32, v6
	v_lshrrev_b32_e32 v3, 19, v9
	v_subrev_u32_e32 v7, 28, v6
	v_and_b32_e32 v3, 15, v3
	v_lshlrev_b32_sdwa v7, v7, v9 dst_sel:DWORD dst_unused:UNUSED_PAD src0_sel:DWORD src1_sel:WORD_1
	v_bfe_u32 v4, v9, 19, 4
	v_sub_u32_e32 v6, 29, v6
	v_and_b32_e32 v7, 7, v7
	v_cmp_eq_u16_e32 vcc, 0, v3
	v_cndmask_b32_e32 v2, v2, v7, vcc
	v_cndmask_b32_e32 v3, v4, v6, vcc
	v_lshlrev_b32_e32 v4, 8, v9
	v_mov_b32_e32 v6, 0x3b800000
	v_lshlrev_b32_e32 v2, 20, v2
	v_and_b32_e32 v4, 0x80000000, v4
	v_lshl_add_u32 v3, v3, 23, v6
	v_or3_b32 v2, v4, v3, v2
.LBB1_116:
	s_or_b64 exec, exec, s[6:7]
	s_movk_i32 s4, 0xff
	v_and_b32_sdwa v3, v5, s4 dst_sel:DWORD dst_unused:UNUSED_PAD src0_sel:WORD_1 src1_sel:DWORD
	s_movk_i32 s4, 0x7f
	v_cmp_lt_i16_e32 vcc, s4, v3
	s_mov_b64 s[4:5], 0
                                        ; implicit-def: $sgpr10
	s_and_saveexec_b64 s[6:7], vcc
	s_xor_b64 s[6:7], exec, s[6:7]
	s_cbranch_execz .LBB1_117
; %bb.35957:
	s_getpc_b64 s[14:15]
.Lpost_getpc3642:
	s_add_u32 s14, s14, (.LBB1_14453-.Lpost_getpc3642)&4294967295
	s_addc_u32 s15, s15, (.LBB1_14453-.Lpost_getpc3642)>>32
	s_setpc_b64 s[14:15]
.LBB1_117:
	s_or_saveexec_b64 s[6:7], s[6:7]
	v_mov_b32_e32 v4, s10
	s_xor_b64 exec, exec, s[6:7]
	s_cbranch_execz .LBB1_118
; %bb.35959:
	s_getpc_b64 s[14:15]
.Lpost_getpc3643:
	s_add_u32 s14, s14, (.LBB1_14456-.Lpost_getpc3643)&4294967295
	s_addc_u32 s15, s15, (.LBB1_14456-.Lpost_getpc3643)>>32
	s_setpc_b64 s[14:15]
.LBB1_118:
	s_or_b64 exec, exec, s[6:7]
	s_and_saveexec_b64 s[6:7], s[4:5]
	s_cbranch_execz .LBB1_120
.LBB1_119:
	v_bfe_u32 v3, v5, 16, 3
	v_ffbh_u32_e32 v7, v3
	v_min_u32_e32 v7, 32, v7
	v_lshrrev_b32_e32 v4, 19, v5
	v_subrev_u32_e32 v8, 28, v7
	v_and_b32_e32 v4, 15, v4
	v_lshlrev_b32_sdwa v8, v8, v5 dst_sel:DWORD dst_unused:UNUSED_PAD src0_sel:DWORD src1_sel:WORD_1
	v_bfe_u32 v6, v5, 19, 4
	v_sub_u32_e32 v7, 29, v7
	v_and_b32_e32 v8, 7, v8
	v_cmp_eq_u16_e32 vcc, 0, v4
	v_cndmask_b32_e32 v3, v3, v8, vcc
	v_cndmask_b32_e32 v4, v6, v7, vcc
	v_lshlrev_b32_e32 v6, 8, v5
	v_mov_b32_e32 v7, 0x3b800000
	v_lshlrev_b32_e32 v3, 20, v3
	v_and_b32_e32 v6, 0x80000000, v6
	v_lshl_add_u32 v4, v4, 23, v7
	v_or3_b32 v4, v6, v4, v3
.LBB1_120:
	s_or_b64 exec, exec, s[6:7]
	s_nop 0
	v_mfma_f32_16x16x4f32 a[0:3], v2, v4, a[0:3]
	s_movk_i32 s4, 0x7f
	v_cmp_gt_i16_sdwa s[6:7], v9, s4 src0_sel:BYTE_3 src1_sel:DWORD
	s_mov_b64 s[4:5], 0
                                        ; implicit-def: $sgpr10
	s_and_saveexec_b64 s[8:9], s[6:7]
	s_xor_b64 s[6:7], exec, s[8:9]
	s_cbranch_execz .LBB1_121
; %bb.35961:
	s_getpc_b64 s[14:15]
.Lpost_getpc3644:
	s_add_u32 s14, s14, (.LBB1_14457-.Lpost_getpc3644)&4294967295
	s_addc_u32 s15, s15, (.LBB1_14457-.Lpost_getpc3644)>>32
	s_setpc_b64 s[14:15]
.LBB1_121:
	s_or_saveexec_b64 s[6:7], s[6:7]
	v_mov_b32_e32 v2, s10
	s_xor_b64 exec, exec, s[6:7]
	s_cbranch_execz .LBB1_122
; %bb.35963:
	s_getpc_b64 s[14:15]
.Lpost_getpc3645:
	s_add_u32 s14, s14, (.LBB1_14460-.Lpost_getpc3645)&4294967295
	s_addc_u32 s15, s15, (.LBB1_14460-.Lpost_getpc3645)>>32
	s_setpc_b64 s[14:15]
.LBB1_122:
	s_or_b64 exec, exec, s[6:7]
	s_and_saveexec_b64 s[6:7], s[4:5]
	s_cbranch_execz .LBB1_124
.LBB1_123:
	v_bfe_u32 v2, v9, 24, 3
	v_ffbh_u32_e32 v7, v2
	v_min_u32_e32 v7, 32, v7
	v_lshrrev_b32_e32 v4, 27, v9
	v_subrev_u32_e32 v8, 28, v7
	v_and_b32_e32 v4, 15, v4
	v_lshlrev_b32_sdwa v8, v8, v9 dst_sel:DWORD dst_unused:UNUSED_PAD src0_sel:DWORD src1_sel:BYTE_3
	v_bfe_u32 v6, v9, 27, 4
	v_sub_u32_e32 v7, 29, v7
	v_and_b32_e32 v8, 7, v8
	v_cmp_eq_u16_e32 vcc, 0, v4
	v_cndmask_b32_e32 v2, v2, v8, vcc
	v_cndmask_b32_e32 v4, v6, v7, vcc
	v_mov_b32_e32 v6, 0x3b800000
	v_and_b32_e32 v3, 0x80000000, v9
	v_lshlrev_b32_e32 v2, 20, v2
	v_lshl_add_u32 v4, v4, 23, v6
	v_or3_b32 v2, v3, v4, v2
.LBB1_124:
	s_or_b64 exec, exec, s[6:7]
	s_movk_i32 s4, 0x7f
	v_cmp_gt_i16_sdwa s[6:7], v5, s4 src0_sel:BYTE_3 src1_sel:DWORD
	s_mov_b64 s[4:5], 0
                                        ; implicit-def: $sgpr10
	s_and_saveexec_b64 s[8:9], s[6:7]
	s_xor_b64 s[6:7], exec, s[8:9]
	s_cbranch_execz .LBB1_125
; %bb.35965:
	s_getpc_b64 s[14:15]
.Lpost_getpc3646:
	s_add_u32 s14, s14, (.LBB1_14461-.Lpost_getpc3646)&4294967295
	s_addc_u32 s15, s15, (.LBB1_14461-.Lpost_getpc3646)>>32
	s_setpc_b64 s[14:15]
.LBB1_125:
	s_or_saveexec_b64 s[6:7], s[6:7]
	v_mov_b32_e32 v3, s10
	s_xor_b64 exec, exec, s[6:7]
	s_cbranch_execz .LBB1_126
; %bb.35967:
	s_getpc_b64 s[14:15]
.Lpost_getpc3647:
	s_add_u32 s14, s14, (.LBB1_14464-.Lpost_getpc3647)&4294967295
	s_addc_u32 s15, s15, (.LBB1_14464-.Lpost_getpc3647)>>32
	s_setpc_b64 s[14:15]
.LBB1_126:
	s_or_b64 exec, exec, s[6:7]
	s_and_saveexec_b64 s[6:7], s[4:5]
	s_cbranch_execz .LBB1_128
.LBB1_127:
	v_bfe_u32 v3, v5, 24, 3
	v_ffbh_u32_e32 v8, v3
	v_min_u32_e32 v8, 32, v8
	v_lshrrev_b32_e32 v6, 27, v5
	v_subrev_u32_e32 v9, 28, v8
	v_and_b32_e32 v4, 0x80000000, v5
	v_and_b32_e32 v6, 15, v6
	v_bfe_u32 v7, v5, 27, 4
	v_lshlrev_b32_sdwa v5, v9, v5 dst_sel:DWORD dst_unused:UNUSED_PAD src0_sel:DWORD src1_sel:BYTE_3
	v_sub_u32_e32 v8, 29, v8
	v_and_b32_e32 v5, 7, v5
	v_cmp_eq_u16_e32 vcc, 0, v6
	v_cndmask_b32_e32 v3, v3, v5, vcc
	v_cndmask_b32_e32 v5, v7, v8, vcc
	v_mov_b32_e32 v6, 0x3b800000
	v_lshlrev_b32_e32 v3, 20, v3
	v_lshl_add_u32 v5, v5, 23, v6
	v_or3_b32 v3, v4, v5, v3
.LBB1_128:
	s_or_b64 exec, exec, s[6:7]
	s_nop 0
	v_mfma_f32_16x16x4f32 a[0:3], v2, v3, a[0:3]
	s_movk_i32 s4, 0x7f
                                        ; implicit-def: $sgpr10
	s_nop 7
	s_nop 1
	flat_store_dwordx4 v[10:11], a[0:3]
	flat_load_dwordx4 v[12:15], v[0:1]
	s_nop 0
	flat_load_dwordx2 v[10:11], v[0:1] offset:16
	s_waitcnt vmcnt(0) lgkmcnt(0)
	flat_load_dwordx4 v[6:9], v[12:13]
	flat_load_dwordx4 v[2:5], v[14:15] offset:16
	s_waitcnt vmcnt(0) lgkmcnt(0)
	v_cmp_gt_i16_sdwa s[6:7], v6, s4 src0_sel:BYTE_0 src1_sel:DWORD
	s_mov_b64 s[4:5], 0
	s_and_saveexec_b64 s[8:9], s[6:7]
	s_xor_b64 s[6:7], exec, s[8:9]
	s_cbranch_execz .LBB1_129
; %bb.35969:
	s_getpc_b64 s[14:15]
.Lpost_getpc3648:
	s_add_u32 s14, s14, (.LBB1_14465-.Lpost_getpc3648)&4294967295
	s_addc_u32 s15, s15, (.LBB1_14465-.Lpost_getpc3648)>>32
	s_setpc_b64 s[14:15]
.LBB1_129:
	s_or_saveexec_b64 s[6:7], s[6:7]
	v_mov_b32_e32 v12, s10
	s_xor_b64 exec, exec, s[6:7]
	s_cbranch_execz .LBB1_130
; %bb.35971:
	s_getpc_b64 s[14:15]
.Lpost_getpc3649:
	s_add_u32 s14, s14, (.LBB1_14468-.Lpost_getpc3649)&4294967295
	s_addc_u32 s15, s15, (.LBB1_14468-.Lpost_getpc3649)>>32
	s_setpc_b64 s[14:15]
.LBB1_130:
	s_or_b64 exec, exec, s[6:7]
	s_and_saveexec_b64 s[6:7], s[4:5]
	s_cbranch_execz .LBB1_132
.LBB1_131:
	v_and_b32_e32 v12, 7, v6
	v_ffbh_u32_e32 v14, v12
	v_min_u32_e32 v14, 32, v14
	v_lshrrev_b16_e32 v13, 3, v6
	v_subrev_u32_e32 v15, 28, v14
	v_and_b32_e32 v13, 15, v13
	v_lshlrev_b32_e32 v15, v15, v6
	v_sub_u32_e32 v14, 29, v14
	v_and_b32_e32 v15, 7, v15
	v_cmp_eq_u16_e32 vcc, 0, v13
	v_cndmask_b32_e32 v12, v12, v15, vcc
	v_cndmask_b32_e32 v13, v13, v14, vcc
	v_lshlrev_b32_e32 v14, 24, v6
	v_mov_b32_e32 v15, 0x3b800000
	v_lshlrev_b32_e32 v12, 20, v12
	v_and_b32_e32 v14, 0x80000000, v14
	v_lshl_add_u32 v13, v13, 23, v15
	v_or3_b32 v12, v14, v13, v12
.LBB1_132:
	s_or_b64 exec, exec, s[6:7]
	s_movk_i32 s4, 0x7f
	v_cmp_gt_i16_sdwa s[6:7], v2, s4 src0_sel:BYTE_0 src1_sel:DWORD
	s_mov_b64 s[4:5], 0
                                        ; implicit-def: $sgpr10
	s_and_saveexec_b64 s[8:9], s[6:7]
	s_xor_b64 s[6:7], exec, s[8:9]
	s_cbranch_execz .LBB1_133
; %bb.35973:
	s_getpc_b64 s[14:15]
.Lpost_getpc3650:
	s_add_u32 s14, s14, (.LBB1_14469-.Lpost_getpc3650)&4294967295
	s_addc_u32 s15, s15, (.LBB1_14469-.Lpost_getpc3650)>>32
	s_setpc_b64 s[14:15]
.LBB1_133:
	s_or_saveexec_b64 s[6:7], s[6:7]
	v_mov_b32_e32 v13, s10
	s_xor_b64 exec, exec, s[6:7]
	s_cbranch_execz .LBB1_134
; %bb.35975:
	s_getpc_b64 s[14:15]
.Lpost_getpc3651:
	s_add_u32 s14, s14, (.LBB1_14472-.Lpost_getpc3651)&4294967295
	s_addc_u32 s15, s15, (.LBB1_14472-.Lpost_getpc3651)>>32
	s_setpc_b64 s[14:15]
.LBB1_134:
	s_or_b64 exec, exec, s[6:7]
	s_and_saveexec_b64 s[6:7], s[4:5]
	s_cbranch_execz .LBB1_136
.LBB1_135:
	v_and_b32_e32 v13, 7, v2
	v_ffbh_u32_e32 v15, v13
	v_min_u32_e32 v15, 32, v15
	v_lshrrev_b16_e32 v14, 3, v2
	v_subrev_u32_e32 v16, 28, v15
	v_and_b32_e32 v14, 15, v14
	v_lshlrev_b32_e32 v16, v16, v2
	v_sub_u32_e32 v15, 29, v15
	v_and_b32_e32 v16, 7, v16
	v_cmp_eq_u16_e32 vcc, 0, v14
	v_cndmask_b32_e32 v13, v13, v16, vcc
	v_cndmask_b32_e32 v14, v14, v15, vcc
	v_lshlrev_b32_e32 v15, 24, v2
	v_mov_b32_e32 v16, 0x3b800000
	v_lshlrev_b32_e32 v13, 20, v13
	v_and_b32_e32 v15, 0x80000000, v15
	v_lshl_add_u32 v14, v14, 23, v16
	v_or3_b32 v13, v15, v14, v13
.LBB1_136:
	s_or_b64 exec, exec, s[6:7]
	flat_load_dwordx4 a[0:3], v[10:11] offset:16
	s_movk_i32 s4, 0x7f
                                        ; implicit-def: $sgpr10
	s_waitcnt vmcnt(0) lgkmcnt(0)
	v_mfma_f32_16x16x4f32 a[0:3], v12, v13, a[0:3]
	v_lshrrev_b32_e32 v13, 8, v6
	v_cmp_gt_i16_sdwa s[6:7], v13, s4 src0_sel:BYTE_0 src1_sel:DWORD
	s_mov_b64 s[4:5], 0
	s_and_saveexec_b64 s[8:9], s[6:7]
	s_xor_b64 s[6:7], exec, s[8:9]
	s_cbranch_execz .LBB1_137
; %bb.35977:
	s_getpc_b64 s[14:15]
.Lpost_getpc3652:
	s_add_u32 s14, s14, (.LBB1_14473-.Lpost_getpc3652)&4294967295
	s_addc_u32 s15, s15, (.LBB1_14473-.Lpost_getpc3652)>>32
	s_setpc_b64 s[14:15]
.LBB1_137:
	s_or_saveexec_b64 s[6:7], s[6:7]
	v_mov_b32_e32 v12, s10
	s_xor_b64 exec, exec, s[6:7]
	s_cbranch_execz .LBB1_138
; %bb.35979:
	s_getpc_b64 s[14:15]
.Lpost_getpc3653:
	s_add_u32 s14, s14, (.LBB1_14476-.Lpost_getpc3653)&4294967295
	s_addc_u32 s15, s15, (.LBB1_14476-.Lpost_getpc3653)>>32
	s_setpc_b64 s[14:15]
.LBB1_138:
	s_or_b64 exec, exec, s[6:7]
	s_and_saveexec_b64 s[6:7], s[4:5]
	s_cbranch_execz .LBB1_140
.LBB1_139:
	v_bfe_u32 v12, v6, 8, 3
	v_ffbh_u32_e32 v15, v12
	v_min_u32_e32 v15, 32, v15
	v_lshrrev_b16_e32 v14, 3, v13
	v_subrev_u32_e32 v16, 28, v15
	v_and_b32_e32 v14, 15, v14
	v_lshlrev_b32_e32 v13, v16, v13
	v_sub_u32_e32 v15, 29, v15
	v_and_b32_e32 v13, 7, v13
	v_cmp_eq_u16_e32 vcc, 0, v14
	v_cndmask_b32_e32 v12, v12, v13, vcc
	v_cndmask_b32_e32 v13, v14, v15, vcc
	v_lshlrev_b32_e32 v14, 16, v6
	v_mov_b32_e32 v15, 0x3b800000
	v_lshlrev_b32_e32 v12, 20, v12
	v_and_b32_e32 v14, 0x80000000, v14
	v_lshl_add_u32 v13, v13, 23, v15
	v_or3_b32 v12, v14, v13, v12
.LBB1_140:
	s_or_b64 exec, exec, s[6:7]
	v_lshrrev_b32_e32 v13, 8, v2
	s_movk_i32 s4, 0x7f
	v_cmp_gt_i16_sdwa s[6:7], v13, s4 src0_sel:BYTE_0 src1_sel:DWORD
	s_mov_b64 s[4:5], 0
                                        ; implicit-def: $sgpr10
	s_and_saveexec_b64 s[8:9], s[6:7]
	s_xor_b64 s[6:7], exec, s[8:9]
	s_cbranch_execz .LBB1_141
; %bb.35981:
	s_getpc_b64 s[14:15]
.Lpost_getpc3654:
	s_add_u32 s14, s14, (.LBB1_14477-.Lpost_getpc3654)&4294967295
	s_addc_u32 s15, s15, (.LBB1_14477-.Lpost_getpc3654)>>32
	s_setpc_b64 s[14:15]
.LBB1_141:
	s_or_saveexec_b64 s[6:7], s[6:7]
	v_mov_b32_e32 v14, s10
	s_xor_b64 exec, exec, s[6:7]
	s_cbranch_execz .LBB1_142
; %bb.35983:
	s_getpc_b64 s[14:15]
.Lpost_getpc3655:
	s_add_u32 s14, s14, (.LBB1_14480-.Lpost_getpc3655)&4294967295
	s_addc_u32 s15, s15, (.LBB1_14480-.Lpost_getpc3655)>>32
	s_setpc_b64 s[14:15]
.LBB1_142:
	s_or_b64 exec, exec, s[6:7]
	s_and_saveexec_b64 s[6:7], s[4:5]
	s_cbranch_execz .LBB1_144
.LBB1_143:
	v_bfe_u32 v14, v2, 8, 3
	v_ffbh_u32_e32 v16, v14
	v_min_u32_e32 v16, 32, v16
	v_lshrrev_b16_e32 v15, 3, v13
	v_subrev_u32_e32 v17, 28, v16
	v_and_b32_e32 v15, 15, v15
	v_lshlrev_b32_e32 v13, v17, v13
	v_sub_u32_e32 v16, 29, v16
	v_and_b32_e32 v13, 7, v13
	v_cmp_eq_u16_e32 vcc, 0, v15
	v_cndmask_b32_e32 v13, v14, v13, vcc
	v_cndmask_b32_e32 v14, v15, v16, vcc
	v_lshlrev_b32_e32 v15, 16, v2
	v_mov_b32_e32 v16, 0x3b800000
	v_lshlrev_b32_e32 v13, 20, v13
	v_and_b32_e32 v15, 0x80000000, v15
	v_lshl_add_u32 v14, v14, 23, v16
	v_or3_b32 v14, v15, v14, v13
.LBB1_144:
	s_or_b64 exec, exec, s[6:7]
	s_nop 0
	v_mfma_f32_16x16x4f32 a[0:3], v12, v14, a[0:3]
	s_movk_i32 s4, 0xff
	v_and_b32_sdwa v13, v6, s4 dst_sel:DWORD dst_unused:UNUSED_PAD src0_sel:WORD_1 src1_sel:DWORD
	s_movk_i32 s4, 0x7f
	v_cmp_lt_i16_e32 vcc, s4, v13
	s_mov_b64 s[4:5], 0
                                        ; implicit-def: $sgpr10
	s_and_saveexec_b64 s[6:7], vcc
	s_xor_b64 s[6:7], exec, s[6:7]
	s_cbranch_execz .LBB1_145
; %bb.35985:
	s_getpc_b64 s[14:15]
.Lpost_getpc3656:
	s_add_u32 s14, s14, (.LBB1_14481-.Lpost_getpc3656)&4294967295
	s_addc_u32 s15, s15, (.LBB1_14481-.Lpost_getpc3656)>>32
	s_setpc_b64 s[14:15]
.LBB1_145:
	s_or_saveexec_b64 s[6:7], s[6:7]
	v_mov_b32_e32 v12, s10
	s_xor_b64 exec, exec, s[6:7]
	s_cbranch_execz .LBB1_146
; %bb.35987:
	s_getpc_b64 s[14:15]
.Lpost_getpc3657:
	s_add_u32 s14, s14, (.LBB1_14484-.Lpost_getpc3657)&4294967295
	s_addc_u32 s15, s15, (.LBB1_14484-.Lpost_getpc3657)>>32
	s_setpc_b64 s[14:15]
.LBB1_146:
	s_or_b64 exec, exec, s[6:7]
	s_and_saveexec_b64 s[6:7], s[4:5]
	s_cbranch_execz .LBB1_148
.LBB1_147:
	v_bfe_u32 v12, v6, 16, 3
	v_ffbh_u32_e32 v15, v12
	v_min_u32_e32 v15, 32, v15
	v_lshrrev_b32_e32 v13, 19, v6
	v_subrev_u32_e32 v16, 28, v15
	v_and_b32_e32 v13, 15, v13
	v_lshlrev_b32_sdwa v16, v16, v6 dst_sel:DWORD dst_unused:UNUSED_PAD src0_sel:DWORD src1_sel:WORD_1
	v_bfe_u32 v14, v6, 19, 4
	v_sub_u32_e32 v15, 29, v15
	v_and_b32_e32 v16, 7, v16
	v_cmp_eq_u16_e32 vcc, 0, v13
	v_cndmask_b32_e32 v12, v12, v16, vcc
	v_cndmask_b32_e32 v13, v14, v15, vcc
	v_lshlrev_b32_e32 v14, 8, v6
	v_mov_b32_e32 v15, 0x3b800000
	v_lshlrev_b32_e32 v12, 20, v12
	v_and_b32_e32 v14, 0x80000000, v14
	v_lshl_add_u32 v13, v13, 23, v15
	v_or3_b32 v12, v14, v13, v12
.LBB1_148:
	s_or_b64 exec, exec, s[6:7]
	s_movk_i32 s4, 0xff
	v_and_b32_sdwa v13, v2, s4 dst_sel:DWORD dst_unused:UNUSED_PAD src0_sel:WORD_1 src1_sel:DWORD
	s_movk_i32 s4, 0x7f
	v_cmp_lt_i16_e32 vcc, s4, v13
	s_mov_b64 s[4:5], 0
                                        ; implicit-def: $sgpr10
	s_and_saveexec_b64 s[6:7], vcc
	s_xor_b64 s[6:7], exec, s[6:7]
	s_cbranch_execz .LBB1_149
; %bb.35989:
	s_getpc_b64 s[14:15]
.Lpost_getpc3658:
	s_add_u32 s14, s14, (.LBB1_14485-.Lpost_getpc3658)&4294967295
	s_addc_u32 s15, s15, (.LBB1_14485-.Lpost_getpc3658)>>32
	s_setpc_b64 s[14:15]
.LBB1_149:
	s_or_saveexec_b64 s[6:7], s[6:7]
	v_mov_b32_e32 v14, s10
	s_xor_b64 exec, exec, s[6:7]
	s_cbranch_execz .LBB1_150
; %bb.35991:
	s_getpc_b64 s[14:15]
.Lpost_getpc3659:
	s_add_u32 s14, s14, (.LBB1_14488-.Lpost_getpc3659)&4294967295
	s_addc_u32 s15, s15, (.LBB1_14488-.Lpost_getpc3659)>>32
	s_setpc_b64 s[14:15]
.LBB1_150:
	s_or_b64 exec, exec, s[6:7]
	s_and_saveexec_b64 s[6:7], s[4:5]
	s_cbranch_execz .LBB1_152
.LBB1_151:
	v_bfe_u32 v13, v2, 16, 3
	v_ffbh_u32_e32 v16, v13
	v_min_u32_e32 v16, 32, v16
	v_lshrrev_b32_e32 v14, 19, v2
	v_subrev_u32_e32 v17, 28, v16
	v_and_b32_e32 v14, 15, v14
	v_lshlrev_b32_sdwa v17, v17, v2 dst_sel:DWORD dst_unused:UNUSED_PAD src0_sel:DWORD src1_sel:WORD_1
	v_bfe_u32 v15, v2, 19, 4
	v_sub_u32_e32 v16, 29, v16
	v_and_b32_e32 v17, 7, v17
	v_cmp_eq_u16_e32 vcc, 0, v14
	v_cndmask_b32_e32 v13, v13, v17, vcc
	v_cndmask_b32_e32 v14, v15, v16, vcc
	v_lshlrev_b32_e32 v15, 8, v2
	v_mov_b32_e32 v16, 0x3b800000
	v_lshlrev_b32_e32 v13, 20, v13
	v_and_b32_e32 v15, 0x80000000, v15
	v_lshl_add_u32 v14, v14, 23, v16
	v_or3_b32 v14, v15, v14, v13
.LBB1_152:
	s_or_b64 exec, exec, s[6:7]
	s_nop 0
	v_mfma_f32_16x16x4f32 a[0:3], v12, v14, a[0:3]
	s_movk_i32 s4, 0x7f
	v_cmp_gt_i16_sdwa s[6:7], v6, s4 src0_sel:BYTE_3 src1_sel:DWORD
	s_mov_b64 s[4:5], 0
                                        ; implicit-def: $sgpr10
	s_and_saveexec_b64 s[8:9], s[6:7]
	s_xor_b64 s[6:7], exec, s[8:9]
	s_cbranch_execz .LBB1_153
; %bb.35993:
	s_getpc_b64 s[14:15]
.Lpost_getpc3660:
	s_add_u32 s14, s14, (.LBB1_14489-.Lpost_getpc3660)&4294967295
	s_addc_u32 s15, s15, (.LBB1_14489-.Lpost_getpc3660)>>32
	s_setpc_b64 s[14:15]
.LBB1_153:
	s_or_saveexec_b64 s[6:7], s[6:7]
	v_mov_b32_e32 v12, s10
	s_xor_b64 exec, exec, s[6:7]
	s_cbranch_execz .LBB1_154
; %bb.35995:
	s_getpc_b64 s[14:15]
.Lpost_getpc3661:
	s_add_u32 s14, s14, (.LBB1_14492-.Lpost_getpc3661)&4294967295
	s_addc_u32 s15, s15, (.LBB1_14492-.Lpost_getpc3661)>>32
	s_setpc_b64 s[14:15]
.LBB1_154:
	s_or_b64 exec, exec, s[6:7]
	s_and_saveexec_b64 s[6:7], s[4:5]
	s_cbranch_execz .LBB1_156
.LBB1_155:
	v_bfe_u32 v12, v6, 24, 3
	v_ffbh_u32_e32 v16, v12
	v_min_u32_e32 v16, 32, v16
	v_lshrrev_b32_e32 v14, 27, v6
	v_subrev_u32_e32 v17, 28, v16
	v_and_b32_e32 v13, 0x80000000, v6
	v_and_b32_e32 v14, 15, v14
	v_bfe_u32 v15, v6, 27, 4
	v_lshlrev_b32_sdwa v6, v17, v6 dst_sel:DWORD dst_unused:UNUSED_PAD src0_sel:DWORD src1_sel:BYTE_3
	v_sub_u32_e32 v16, 29, v16
	v_and_b32_e32 v6, 7, v6
	v_cmp_eq_u16_e32 vcc, 0, v14
	v_cndmask_b32_e32 v6, v12, v6, vcc
	v_cndmask_b32_e32 v12, v15, v16, vcc
	v_mov_b32_e32 v14, 0x3b800000
	v_lshlrev_b32_e32 v6, 20, v6
	v_lshl_add_u32 v12, v12, 23, v14
	v_or3_b32 v12, v13, v12, v6
.LBB1_156:
	s_or_b64 exec, exec, s[6:7]
	s_movk_i32 s4, 0x7f
	v_cmp_gt_i16_sdwa s[6:7], v2, s4 src0_sel:BYTE_3 src1_sel:DWORD
	s_mov_b64 s[4:5], 0
                                        ; implicit-def: $sgpr10
	s_and_saveexec_b64 s[8:9], s[6:7]
	s_xor_b64 s[6:7], exec, s[8:9]
	s_cbranch_execz .LBB1_157
; %bb.35997:
	s_getpc_b64 s[14:15]
.Lpost_getpc3662:
	s_add_u32 s14, s14, (.LBB1_14493-.Lpost_getpc3662)&4294967295
	s_addc_u32 s15, s15, (.LBB1_14493-.Lpost_getpc3662)>>32
	s_setpc_b64 s[14:15]
.LBB1_157:
	s_or_saveexec_b64 s[6:7], s[6:7]
	v_mov_b32_e32 v6, s10
	s_xor_b64 exec, exec, s[6:7]
	s_cbranch_execz .LBB1_158
; %bb.35999:
	s_getpc_b64 s[14:15]
.Lpost_getpc3663:
	s_add_u32 s14, s14, (.LBB1_14496-.Lpost_getpc3663)&4294967295
	s_addc_u32 s15, s15, (.LBB1_14496-.Lpost_getpc3663)>>32
	s_setpc_b64 s[14:15]
.LBB1_158:
	s_or_b64 exec, exec, s[6:7]
	s_and_saveexec_b64 s[6:7], s[4:5]
	s_cbranch_execz .LBB1_160
.LBB1_159:
	v_bfe_u32 v6, v2, 24, 3
	v_ffbh_u32_e32 v16, v6
	v_min_u32_e32 v16, 32, v16
	v_lshrrev_b32_e32 v14, 27, v2
	v_subrev_u32_e32 v17, 28, v16
	v_and_b32_e32 v13, 0x80000000, v2
	v_and_b32_e32 v14, 15, v14
	v_bfe_u32 v15, v2, 27, 4
	v_lshlrev_b32_sdwa v2, v17, v2 dst_sel:DWORD dst_unused:UNUSED_PAD src0_sel:DWORD src1_sel:BYTE_3
	v_sub_u32_e32 v16, 29, v16
	v_and_b32_e32 v2, 7, v2
	v_cmp_eq_u16_e32 vcc, 0, v14
	v_cndmask_b32_e32 v2, v6, v2, vcc
	v_cndmask_b32_e32 v6, v15, v16, vcc
	v_mov_b32_e32 v14, 0x3b800000
	v_lshlrev_b32_e32 v2, 20, v2
	v_lshl_add_u32 v6, v6, 23, v14
	v_or3_b32 v6, v13, v6, v2
.LBB1_160:
	s_or_b64 exec, exec, s[6:7]
	s_nop 0
	v_mfma_f32_16x16x4f32 a[0:3], v12, v6, a[0:3]
	s_movk_i32 s4, 0x7f
	v_cmp_gt_i16_sdwa s[6:7], v7, s4 src0_sel:BYTE_0 src1_sel:DWORD
	s_mov_b64 s[4:5], 0
                                        ; implicit-def: $sgpr10
	s_and_saveexec_b64 s[8:9], s[6:7]
	s_xor_b64 s[6:7], exec, s[8:9]
	s_cbranch_execz .LBB1_161
; %bb.36001:
	s_getpc_b64 s[14:15]
.Lpost_getpc3664:
	s_add_u32 s14, s14, (.LBB1_14497-.Lpost_getpc3664)&4294967295
	s_addc_u32 s15, s15, (.LBB1_14497-.Lpost_getpc3664)>>32
	s_setpc_b64 s[14:15]
.LBB1_161:
	s_or_saveexec_b64 s[6:7], s[6:7]
	v_mov_b32_e32 v2, s10
	s_xor_b64 exec, exec, s[6:7]
	s_cbranch_execz .LBB1_162
; %bb.36003:
	s_getpc_b64 s[14:15]
.Lpost_getpc3665:
	s_add_u32 s14, s14, (.LBB1_14500-.Lpost_getpc3665)&4294967295
	s_addc_u32 s15, s15, (.LBB1_14500-.Lpost_getpc3665)>>32
	s_setpc_b64 s[14:15]
.LBB1_162:
	s_or_b64 exec, exec, s[6:7]
	s_and_saveexec_b64 s[6:7], s[4:5]
	s_cbranch_execz .LBB1_164
.LBB1_163:
	v_and_b32_e32 v2, 7, v7
	v_ffbh_u32_e32 v12, v2
	v_min_u32_e32 v12, 32, v12
	v_lshrrev_b16_e32 v6, 3, v7
	v_subrev_u32_e32 v13, 28, v12
	v_and_b32_e32 v6, 15, v6
	v_lshlrev_b32_e32 v13, v13, v7
	v_sub_u32_e32 v12, 29, v12
	v_and_b32_e32 v13, 7, v13
	v_cmp_eq_u16_e32 vcc, 0, v6
	v_cndmask_b32_e32 v2, v2, v13, vcc
	v_cndmask_b32_e32 v6, v6, v12, vcc
	v_lshlrev_b32_e32 v12, 24, v7
	v_mov_b32_e32 v13, 0x3b800000
	v_lshlrev_b32_e32 v2, 20, v2
	v_and_b32_e32 v12, 0x80000000, v12
	v_lshl_add_u32 v6, v6, 23, v13
	v_or3_b32 v2, v12, v6, v2
.LBB1_164:
	s_or_b64 exec, exec, s[6:7]
	s_movk_i32 s4, 0x7f
	v_cmp_gt_i16_sdwa s[6:7], v3, s4 src0_sel:BYTE_0 src1_sel:DWORD
	s_mov_b64 s[4:5], 0
                                        ; implicit-def: $sgpr10
	s_and_saveexec_b64 s[8:9], s[6:7]
	s_xor_b64 s[6:7], exec, s[8:9]
	s_cbranch_execz .LBB1_165
; %bb.36005:
	s_getpc_b64 s[14:15]
.Lpost_getpc3666:
	s_add_u32 s14, s14, (.LBB1_14501-.Lpost_getpc3666)&4294967295
	s_addc_u32 s15, s15, (.LBB1_14501-.Lpost_getpc3666)>>32
	s_setpc_b64 s[14:15]
.LBB1_165:
	s_or_saveexec_b64 s[6:7], s[6:7]
	v_mov_b32_e32 v6, s10
	s_xor_b64 exec, exec, s[6:7]
	s_cbranch_execz .LBB1_166
; %bb.36007:
	s_getpc_b64 s[14:15]
.Lpost_getpc3667:
	s_add_u32 s14, s14, (.LBB1_14504-.Lpost_getpc3667)&4294967295
	s_addc_u32 s15, s15, (.LBB1_14504-.Lpost_getpc3667)>>32
	s_setpc_b64 s[14:15]
.LBB1_166:
	s_or_b64 exec, exec, s[6:7]
	s_and_saveexec_b64 s[6:7], s[4:5]
	s_cbranch_execz .LBB1_168
.LBB1_167:
	v_and_b32_e32 v6, 7, v3
	v_ffbh_u32_e32 v13, v6
	v_min_u32_e32 v13, 32, v13
	v_lshrrev_b16_e32 v12, 3, v3
	v_subrev_u32_e32 v14, 28, v13
	v_and_b32_e32 v12, 15, v12
	v_lshlrev_b32_e32 v14, v14, v3
	v_sub_u32_e32 v13, 29, v13
	v_and_b32_e32 v14, 7, v14
	v_cmp_eq_u16_e32 vcc, 0, v12
	v_cndmask_b32_e32 v6, v6, v14, vcc
	v_cndmask_b32_e32 v12, v12, v13, vcc
	v_lshlrev_b32_e32 v13, 24, v3
	v_mov_b32_e32 v14, 0x3b800000
	v_lshlrev_b32_e32 v6, 20, v6
	v_and_b32_e32 v13, 0x80000000, v13
	v_lshl_add_u32 v12, v12, 23, v14
	v_or3_b32 v6, v13, v12, v6
.LBB1_168:
	s_or_b64 exec, exec, s[6:7]
	s_nop 0
	v_mfma_f32_16x16x4f32 a[0:3], v2, v6, a[0:3]
	v_lshrrev_b32_e32 v6, 8, v7
	s_movk_i32 s4, 0x7f
	v_cmp_gt_i16_sdwa s[6:7], v6, s4 src0_sel:BYTE_0 src1_sel:DWORD
	s_mov_b64 s[4:5], 0
                                        ; implicit-def: $sgpr10
	s_and_saveexec_b64 s[8:9], s[6:7]
	s_xor_b64 s[6:7], exec, s[8:9]
	s_cbranch_execz .LBB1_169
; %bb.36009:
	s_getpc_b64 s[14:15]
.Lpost_getpc3668:
	s_add_u32 s14, s14, (.LBB1_14505-.Lpost_getpc3668)&4294967295
	s_addc_u32 s15, s15, (.LBB1_14505-.Lpost_getpc3668)>>32
	s_setpc_b64 s[14:15]
.LBB1_169:
	s_or_saveexec_b64 s[6:7], s[6:7]
	v_mov_b32_e32 v2, s10
	s_xor_b64 exec, exec, s[6:7]
	s_cbranch_execz .LBB1_170
; %bb.36011:
	s_getpc_b64 s[14:15]
.Lpost_getpc3669:
	s_add_u32 s14, s14, (.LBB1_14508-.Lpost_getpc3669)&4294967295
	s_addc_u32 s15, s15, (.LBB1_14508-.Lpost_getpc3669)>>32
	s_setpc_b64 s[14:15]
.LBB1_170:
	s_or_b64 exec, exec, s[6:7]
	s_and_saveexec_b64 s[6:7], s[4:5]
	s_cbranch_execz .LBB1_172
.LBB1_171:
	v_bfe_u32 v2, v7, 8, 3
	v_ffbh_u32_e32 v13, v2
	v_min_u32_e32 v13, 32, v13
	v_lshrrev_b16_e32 v12, 3, v6
	v_subrev_u32_e32 v14, 28, v13
	v_and_b32_e32 v12, 15, v12
	v_lshlrev_b32_e32 v6, v14, v6
	v_sub_u32_e32 v13, 29, v13
	v_and_b32_e32 v6, 7, v6
	v_cmp_eq_u16_e32 vcc, 0, v12
	v_cndmask_b32_e32 v2, v2, v6, vcc
	v_cndmask_b32_e32 v6, v12, v13, vcc
	v_lshlrev_b32_e32 v12, 16, v7
	v_mov_b32_e32 v13, 0x3b800000
	v_lshlrev_b32_e32 v2, 20, v2
	v_and_b32_e32 v12, 0x80000000, v12
	v_lshl_add_u32 v6, v6, 23, v13
	v_or3_b32 v2, v12, v6, v2
.LBB1_172:
	s_or_b64 exec, exec, s[6:7]
	v_lshrrev_b32_e32 v6, 8, v3
	s_movk_i32 s4, 0x7f
	v_cmp_gt_i16_sdwa s[6:7], v6, s4 src0_sel:BYTE_0 src1_sel:DWORD
	s_mov_b64 s[4:5], 0
                                        ; implicit-def: $sgpr10
	s_and_saveexec_b64 s[8:9], s[6:7]
	s_xor_b64 s[6:7], exec, s[8:9]
	s_cbranch_execz .LBB1_173
; %bb.36013:
	s_getpc_b64 s[14:15]
.Lpost_getpc3670:
	s_add_u32 s14, s14, (.LBB1_14509-.Lpost_getpc3670)&4294967295
	s_addc_u32 s15, s15, (.LBB1_14509-.Lpost_getpc3670)>>32
	s_setpc_b64 s[14:15]
.LBB1_173:
	s_or_saveexec_b64 s[6:7], s[6:7]
	v_mov_b32_e32 v12, s10
	s_xor_b64 exec, exec, s[6:7]
	s_cbranch_execz .LBB1_174
; %bb.36015:
	s_getpc_b64 s[14:15]
.Lpost_getpc3671:
	s_add_u32 s14, s14, (.LBB1_14512-.Lpost_getpc3671)&4294967295
	s_addc_u32 s15, s15, (.LBB1_14512-.Lpost_getpc3671)>>32
	s_setpc_b64 s[14:15]
.LBB1_174:
	s_or_b64 exec, exec, s[6:7]
	s_and_saveexec_b64 s[6:7], s[4:5]
	s_cbranch_execz .LBB1_176
.LBB1_175:
	v_bfe_u32 v12, v3, 8, 3
	v_ffbh_u32_e32 v14, v12
	v_min_u32_e32 v14, 32, v14
	v_lshrrev_b16_e32 v13, 3, v6
	v_subrev_u32_e32 v15, 28, v14
	v_and_b32_e32 v13, 15, v13
	v_lshlrev_b32_e32 v6, v15, v6
	v_sub_u32_e32 v14, 29, v14
	v_and_b32_e32 v6, 7, v6
	v_cmp_eq_u16_e32 vcc, 0, v13
	v_cndmask_b32_e32 v6, v12, v6, vcc
	v_cndmask_b32_e32 v12, v13, v14, vcc
	v_lshlrev_b32_e32 v13, 16, v3
	v_mov_b32_e32 v14, 0x3b800000
	v_lshlrev_b32_e32 v6, 20, v6
	v_and_b32_e32 v13, 0x80000000, v13
	v_lshl_add_u32 v12, v12, 23, v14
	v_or3_b32 v12, v13, v12, v6
.LBB1_176:
	s_or_b64 exec, exec, s[6:7]
	s_nop 0
	v_mfma_f32_16x16x4f32 a[0:3], v2, v12, a[0:3]
	s_movk_i32 s4, 0xff
	v_and_b32_sdwa v6, v7, s4 dst_sel:DWORD dst_unused:UNUSED_PAD src0_sel:WORD_1 src1_sel:DWORD
	s_movk_i32 s4, 0x7f
	v_cmp_lt_i16_e32 vcc, s4, v6
	s_mov_b64 s[4:5], 0
                                        ; implicit-def: $sgpr10
	s_and_saveexec_b64 s[6:7], vcc
	s_xor_b64 s[6:7], exec, s[6:7]
	s_cbranch_execz .LBB1_177
; %bb.36017:
	s_getpc_b64 s[14:15]
.Lpost_getpc3672:
	s_add_u32 s14, s14, (.LBB1_14513-.Lpost_getpc3672)&4294967295
	s_addc_u32 s15, s15, (.LBB1_14513-.Lpost_getpc3672)>>32
	s_setpc_b64 s[14:15]
.LBB1_177:
	s_or_saveexec_b64 s[6:7], s[6:7]
	v_mov_b32_e32 v2, s10
	s_xor_b64 exec, exec, s[6:7]
	s_cbranch_execz .LBB1_178
; %bb.36019:
	s_getpc_b64 s[14:15]
.Lpost_getpc3673:
	s_add_u32 s14, s14, (.LBB1_14516-.Lpost_getpc3673)&4294967295
	s_addc_u32 s15, s15, (.LBB1_14516-.Lpost_getpc3673)>>32
	s_setpc_b64 s[14:15]
.LBB1_178:
	s_or_b64 exec, exec, s[6:7]
	s_and_saveexec_b64 s[6:7], s[4:5]
	s_cbranch_execz .LBB1_180
.LBB1_179:
	v_bfe_u32 v2, v7, 16, 3
	v_ffbh_u32_e32 v13, v2
	v_min_u32_e32 v13, 32, v13
	v_lshrrev_b32_e32 v6, 19, v7
	v_subrev_u32_e32 v14, 28, v13
	v_and_b32_e32 v6, 15, v6
	v_lshlrev_b32_sdwa v14, v14, v7 dst_sel:DWORD dst_unused:UNUSED_PAD src0_sel:DWORD src1_sel:WORD_1
	v_bfe_u32 v12, v7, 19, 4
	v_sub_u32_e32 v13, 29, v13
	v_and_b32_e32 v14, 7, v14
	v_cmp_eq_u16_e32 vcc, 0, v6
	v_cndmask_b32_e32 v2, v2, v14, vcc
	v_cndmask_b32_e32 v6, v12, v13, vcc
	v_lshlrev_b32_e32 v12, 8, v7
	v_mov_b32_e32 v13, 0x3b800000
	v_lshlrev_b32_e32 v2, 20, v2
	v_and_b32_e32 v12, 0x80000000, v12
	v_lshl_add_u32 v6, v6, 23, v13
	v_or3_b32 v2, v12, v6, v2
.LBB1_180:
	s_or_b64 exec, exec, s[6:7]
	s_movk_i32 s4, 0xff
	v_and_b32_sdwa v6, v3, s4 dst_sel:DWORD dst_unused:UNUSED_PAD src0_sel:WORD_1 src1_sel:DWORD
	s_movk_i32 s4, 0x7f
	v_cmp_lt_i16_e32 vcc, s4, v6
	s_mov_b64 s[4:5], 0
                                        ; implicit-def: $sgpr10
	s_and_saveexec_b64 s[6:7], vcc
	s_xor_b64 s[6:7], exec, s[6:7]
	s_cbranch_execz .LBB1_181
; %bb.36021:
	s_getpc_b64 s[14:15]
.Lpost_getpc3674:
	s_add_u32 s14, s14, (.LBB1_14517-.Lpost_getpc3674)&4294967295
	s_addc_u32 s15, s15, (.LBB1_14517-.Lpost_getpc3674)>>32
	s_setpc_b64 s[14:15]
.LBB1_181:
	s_or_saveexec_b64 s[6:7], s[6:7]
	v_mov_b32_e32 v12, s10
	s_xor_b64 exec, exec, s[6:7]
	s_cbranch_execz .LBB1_182
; %bb.36023:
	s_getpc_b64 s[14:15]
.Lpost_getpc3675:
	s_add_u32 s14, s14, (.LBB1_14520-.Lpost_getpc3675)&4294967295
	s_addc_u32 s15, s15, (.LBB1_14520-.Lpost_getpc3675)>>32
	s_setpc_b64 s[14:15]
.LBB1_182:
	s_or_b64 exec, exec, s[6:7]
	s_and_saveexec_b64 s[6:7], s[4:5]
	s_cbranch_execz .LBB1_184
.LBB1_183:
	v_bfe_u32 v6, v3, 16, 3
	v_ffbh_u32_e32 v14, v6
	v_min_u32_e32 v14, 32, v14
	v_lshrrev_b32_e32 v12, 19, v3
	v_subrev_u32_e32 v15, 28, v14
	v_and_b32_e32 v12, 15, v12
	v_lshlrev_b32_sdwa v15, v15, v3 dst_sel:DWORD dst_unused:UNUSED_PAD src0_sel:DWORD src1_sel:WORD_1
	v_bfe_u32 v13, v3, 19, 4
	v_sub_u32_e32 v14, 29, v14
	v_and_b32_e32 v15, 7, v15
	v_cmp_eq_u16_e32 vcc, 0, v12
	v_cndmask_b32_e32 v6, v6, v15, vcc
	v_cndmask_b32_e32 v12, v13, v14, vcc
	v_lshlrev_b32_e32 v13, 8, v3
	v_mov_b32_e32 v14, 0x3b800000
	v_lshlrev_b32_e32 v6, 20, v6
	v_and_b32_e32 v13, 0x80000000, v13
	v_lshl_add_u32 v12, v12, 23, v14
	v_or3_b32 v12, v13, v12, v6
.LBB1_184:
	s_or_b64 exec, exec, s[6:7]
	s_nop 0
	v_mfma_f32_16x16x4f32 a[0:3], v2, v12, a[0:3]
	s_movk_i32 s4, 0x7f
	v_cmp_gt_i16_sdwa s[6:7], v7, s4 src0_sel:BYTE_3 src1_sel:DWORD
	s_mov_b64 s[4:5], 0
                                        ; implicit-def: $sgpr10
	s_and_saveexec_b64 s[8:9], s[6:7]
	s_xor_b64 s[6:7], exec, s[8:9]
	s_cbranch_execz .LBB1_185
; %bb.36025:
	s_getpc_b64 s[14:15]
.Lpost_getpc3676:
	s_add_u32 s14, s14, (.LBB1_14521-.Lpost_getpc3676)&4294967295
	s_addc_u32 s15, s15, (.LBB1_14521-.Lpost_getpc3676)>>32
	s_setpc_b64 s[14:15]
.LBB1_185:
	s_or_saveexec_b64 s[6:7], s[6:7]
	v_mov_b32_e32 v2, s10
	s_xor_b64 exec, exec, s[6:7]
	s_cbranch_execz .LBB1_186
; %bb.36027:
	s_getpc_b64 s[14:15]
.Lpost_getpc3677:
	s_add_u32 s14, s14, (.LBB1_14524-.Lpost_getpc3677)&4294967295
	s_addc_u32 s15, s15, (.LBB1_14524-.Lpost_getpc3677)>>32
	s_setpc_b64 s[14:15]
.LBB1_186:
	s_or_b64 exec, exec, s[6:7]
	s_and_saveexec_b64 s[6:7], s[4:5]
	s_cbranch_execz .LBB1_188
.LBB1_187:
	v_bfe_u32 v2, v7, 24, 3
	v_ffbh_u32_e32 v14, v2
	v_min_u32_e32 v14, 32, v14
	v_lshrrev_b32_e32 v12, 27, v7
	v_subrev_u32_e32 v15, 28, v14
	v_and_b32_e32 v6, 0x80000000, v7
	v_and_b32_e32 v12, 15, v12
	v_bfe_u32 v13, v7, 27, 4
	v_lshlrev_b32_sdwa v7, v15, v7 dst_sel:DWORD dst_unused:UNUSED_PAD src0_sel:DWORD src1_sel:BYTE_3
	v_sub_u32_e32 v14, 29, v14
	v_and_b32_e32 v7, 7, v7
	v_cmp_eq_u16_e32 vcc, 0, v12
	v_cndmask_b32_e32 v2, v2, v7, vcc
	v_cndmask_b32_e32 v7, v13, v14, vcc
	v_mov_b32_e32 v12, 0x3b800000
	v_lshlrev_b32_e32 v2, 20, v2
	v_lshl_add_u32 v7, v7, 23, v12
	v_or3_b32 v2, v6, v7, v2
.LBB1_188:
	s_or_b64 exec, exec, s[6:7]
	s_movk_i32 s4, 0x7f
	v_cmp_gt_i16_sdwa s[6:7], v3, s4 src0_sel:BYTE_3 src1_sel:DWORD
	s_mov_b64 s[4:5], 0
                                        ; implicit-def: $sgpr10
	s_and_saveexec_b64 s[8:9], s[6:7]
	s_xor_b64 s[6:7], exec, s[8:9]
	s_cbranch_execz .LBB1_189
; %bb.36029:
	s_getpc_b64 s[14:15]
.Lpost_getpc3678:
	s_add_u32 s14, s14, (.LBB1_14525-.Lpost_getpc3678)&4294967295
	s_addc_u32 s15, s15, (.LBB1_14525-.Lpost_getpc3678)>>32
	s_setpc_b64 s[14:15]
.LBB1_189:
	s_or_saveexec_b64 s[6:7], s[6:7]
	v_mov_b32_e32 v6, s10
	s_xor_b64 exec, exec, s[6:7]
	s_cbranch_execz .LBB1_190
; %bb.36031:
	s_getpc_b64 s[14:15]
.Lpost_getpc3679:
	s_add_u32 s14, s14, (.LBB1_14528-.Lpost_getpc3679)&4294967295
	s_addc_u32 s15, s15, (.LBB1_14528-.Lpost_getpc3679)>>32
	s_setpc_b64 s[14:15]
.LBB1_190:
	s_or_b64 exec, exec, s[6:7]
	s_and_saveexec_b64 s[6:7], s[4:5]
	s_cbranch_execz .LBB1_192
.LBB1_191:
	v_bfe_u32 v6, v3, 24, 3
	v_ffbh_u32_e32 v14, v6
	v_min_u32_e32 v14, 32, v14
	v_lshrrev_b32_e32 v12, 27, v3
	v_subrev_u32_e32 v15, 28, v14
	v_and_b32_e32 v7, 0x80000000, v3
	v_and_b32_e32 v12, 15, v12
	v_bfe_u32 v13, v3, 27, 4
	v_lshlrev_b32_sdwa v3, v15, v3 dst_sel:DWORD dst_unused:UNUSED_PAD src0_sel:DWORD src1_sel:BYTE_3
	v_sub_u32_e32 v14, 29, v14
	v_and_b32_e32 v3, 7, v3
	v_cmp_eq_u16_e32 vcc, 0, v12
	v_cndmask_b32_e32 v3, v6, v3, vcc
	v_cndmask_b32_e32 v6, v13, v14, vcc
	v_mov_b32_e32 v12, 0x3b800000
	v_lshlrev_b32_e32 v3, 20, v3
	v_lshl_add_u32 v6, v6, 23, v12
	v_or3_b32 v6, v7, v6, v3
.LBB1_192:
	s_or_b64 exec, exec, s[6:7]
	s_nop 0
	v_mfma_f32_16x16x4f32 a[0:3], v2, v6, a[0:3]
	s_movk_i32 s4, 0x7f
	v_cmp_gt_i16_sdwa s[6:7], v8, s4 src0_sel:BYTE_0 src1_sel:DWORD
	s_mov_b64 s[4:5], 0
                                        ; implicit-def: $sgpr10
	s_and_saveexec_b64 s[8:9], s[6:7]
	s_xor_b64 s[6:7], exec, s[8:9]
	s_cbranch_execz .LBB1_193
; %bb.36033:
	s_getpc_b64 s[14:15]
.Lpost_getpc3680:
	s_add_u32 s14, s14, (.LBB1_14529-.Lpost_getpc3680)&4294967295
	s_addc_u32 s15, s15, (.LBB1_14529-.Lpost_getpc3680)>>32
	s_setpc_b64 s[14:15]
.LBB1_193:
	s_or_saveexec_b64 s[6:7], s[6:7]
	v_mov_b32_e32 v2, s10
	s_xor_b64 exec, exec, s[6:7]
	s_cbranch_execz .LBB1_194
; %bb.36035:
	s_getpc_b64 s[14:15]
.Lpost_getpc3681:
	s_add_u32 s14, s14, (.LBB1_14532-.Lpost_getpc3681)&4294967295
	s_addc_u32 s15, s15, (.LBB1_14532-.Lpost_getpc3681)>>32
	s_setpc_b64 s[14:15]
.LBB1_194:
	s_or_b64 exec, exec, s[6:7]
	s_and_saveexec_b64 s[6:7], s[4:5]
	s_cbranch_execz .LBB1_196
.LBB1_195:
	v_and_b32_e32 v2, 7, v8
	v_ffbh_u32_e32 v6, v2
	v_min_u32_e32 v6, 32, v6
	v_lshrrev_b16_e32 v3, 3, v8
	v_subrev_u32_e32 v7, 28, v6
	v_and_b32_e32 v3, 15, v3
	v_lshlrev_b32_e32 v7, v7, v8
	v_sub_u32_e32 v6, 29, v6
	v_and_b32_e32 v7, 7, v7
	v_cmp_eq_u16_e32 vcc, 0, v3
	v_cndmask_b32_e32 v2, v2, v7, vcc
	v_cndmask_b32_e32 v3, v3, v6, vcc
	v_lshlrev_b32_e32 v6, 24, v8
	v_mov_b32_e32 v7, 0x3b800000
	v_lshlrev_b32_e32 v2, 20, v2
	v_and_b32_e32 v6, 0x80000000, v6
	v_lshl_add_u32 v3, v3, 23, v7
	v_or3_b32 v2, v6, v3, v2
.LBB1_196:
	s_or_b64 exec, exec, s[6:7]
	s_movk_i32 s4, 0x7f
	v_cmp_gt_i16_sdwa s[6:7], v4, s4 src0_sel:BYTE_0 src1_sel:DWORD
	s_mov_b64 s[4:5], 0
                                        ; implicit-def: $sgpr10
	s_and_saveexec_b64 s[8:9], s[6:7]
	s_xor_b64 s[6:7], exec, s[8:9]
	s_cbranch_execz .LBB1_197
; %bb.36037:
	s_getpc_b64 s[14:15]
.Lpost_getpc3682:
	s_add_u32 s14, s14, (.LBB1_14533-.Lpost_getpc3682)&4294967295
	s_addc_u32 s15, s15, (.LBB1_14533-.Lpost_getpc3682)>>32
	s_setpc_b64 s[14:15]
.LBB1_197:
	s_or_saveexec_b64 s[6:7], s[6:7]
	v_mov_b32_e32 v3, s10
	s_xor_b64 exec, exec, s[6:7]
	s_cbranch_execz .LBB1_198
; %bb.36039:
	s_getpc_b64 s[14:15]
.Lpost_getpc3683:
	s_add_u32 s14, s14, (.LBB1_14536-.Lpost_getpc3683)&4294967295
	s_addc_u32 s15, s15, (.LBB1_14536-.Lpost_getpc3683)>>32
	s_setpc_b64 s[14:15]
.LBB1_198:
	s_or_b64 exec, exec, s[6:7]
	s_and_saveexec_b64 s[6:7], s[4:5]
	s_cbranch_execz .LBB1_200
.LBB1_199:
	v_and_b32_e32 v3, 7, v4
	v_ffbh_u32_e32 v7, v3
	v_min_u32_e32 v7, 32, v7
	v_lshrrev_b16_e32 v6, 3, v4
	v_subrev_u32_e32 v12, 28, v7
	v_and_b32_e32 v6, 15, v6
	v_lshlrev_b32_e32 v12, v12, v4
	v_sub_u32_e32 v7, 29, v7
	v_and_b32_e32 v12, 7, v12
	v_cmp_eq_u16_e32 vcc, 0, v6
	v_cndmask_b32_e32 v3, v3, v12, vcc
	v_cndmask_b32_e32 v6, v6, v7, vcc
	v_lshlrev_b32_e32 v7, 24, v4
	v_mov_b32_e32 v12, 0x3b800000
	v_lshlrev_b32_e32 v3, 20, v3
	v_and_b32_e32 v7, 0x80000000, v7
	v_lshl_add_u32 v6, v6, 23, v12
	v_or3_b32 v3, v7, v6, v3
.LBB1_200:
	s_or_b64 exec, exec, s[6:7]
	s_nop 0
	v_mfma_f32_16x16x4f32 a[0:3], v2, v3, a[0:3]
	v_lshrrev_b32_e32 v3, 8, v8
	s_movk_i32 s4, 0x7f
	v_cmp_gt_i16_sdwa s[6:7], v3, s4 src0_sel:BYTE_0 src1_sel:DWORD
	s_mov_b64 s[4:5], 0
                                        ; implicit-def: $sgpr10
	s_and_saveexec_b64 s[8:9], s[6:7]
	s_xor_b64 s[6:7], exec, s[8:9]
	s_cbranch_execz .LBB1_201
; %bb.36041:
	s_getpc_b64 s[14:15]
.Lpost_getpc3684:
	s_add_u32 s14, s14, (.LBB1_14537-.Lpost_getpc3684)&4294967295
	s_addc_u32 s15, s15, (.LBB1_14537-.Lpost_getpc3684)>>32
	s_setpc_b64 s[14:15]
.LBB1_201:
	s_or_saveexec_b64 s[6:7], s[6:7]
	v_mov_b32_e32 v2, s10
	s_xor_b64 exec, exec, s[6:7]
	s_cbranch_execz .LBB1_202
; %bb.36043:
	s_getpc_b64 s[14:15]
.Lpost_getpc3685:
	s_add_u32 s14, s14, (.LBB1_14540-.Lpost_getpc3685)&4294967295
	s_addc_u32 s15, s15, (.LBB1_14540-.Lpost_getpc3685)>>32
	s_setpc_b64 s[14:15]
.LBB1_202:
	s_or_b64 exec, exec, s[6:7]
	s_and_saveexec_b64 s[6:7], s[4:5]
	s_cbranch_execz .LBB1_204
.LBB1_203:
	v_bfe_u32 v2, v8, 8, 3
	v_ffbh_u32_e32 v7, v2
	v_min_u32_e32 v7, 32, v7
	v_lshrrev_b16_e32 v6, 3, v3
	v_subrev_u32_e32 v12, 28, v7
	v_and_b32_e32 v6, 15, v6
	v_lshlrev_b32_e32 v3, v12, v3
	v_sub_u32_e32 v7, 29, v7
	v_and_b32_e32 v3, 7, v3
	v_cmp_eq_u16_e32 vcc, 0, v6
	v_cndmask_b32_e32 v2, v2, v3, vcc
	v_cndmask_b32_e32 v3, v6, v7, vcc
	v_lshlrev_b32_e32 v6, 16, v8
	v_mov_b32_e32 v7, 0x3b800000
	v_lshlrev_b32_e32 v2, 20, v2
	v_and_b32_e32 v6, 0x80000000, v6
	v_lshl_add_u32 v3, v3, 23, v7
	v_or3_b32 v2, v6, v3, v2
.LBB1_204:
	s_or_b64 exec, exec, s[6:7]
	v_lshrrev_b32_e32 v3, 8, v4
	s_movk_i32 s4, 0x7f
	v_cmp_gt_i16_sdwa s[6:7], v3, s4 src0_sel:BYTE_0 src1_sel:DWORD
	s_mov_b64 s[4:5], 0
                                        ; implicit-def: $sgpr10
	s_and_saveexec_b64 s[8:9], s[6:7]
	s_xor_b64 s[6:7], exec, s[8:9]
	s_cbranch_execz .LBB1_205
; %bb.36045:
	s_getpc_b64 s[14:15]
.Lpost_getpc3686:
	s_add_u32 s14, s14, (.LBB1_14541-.Lpost_getpc3686)&4294967295
	s_addc_u32 s15, s15, (.LBB1_14541-.Lpost_getpc3686)>>32
	s_setpc_b64 s[14:15]
.LBB1_205:
	s_or_saveexec_b64 s[6:7], s[6:7]
	v_mov_b32_e32 v6, s10
	s_xor_b64 exec, exec, s[6:7]
	s_cbranch_execz .LBB1_206
; %bb.36047:
	s_getpc_b64 s[14:15]
.Lpost_getpc3687:
	s_add_u32 s14, s14, (.LBB1_14544-.Lpost_getpc3687)&4294967295
	s_addc_u32 s15, s15, (.LBB1_14544-.Lpost_getpc3687)>>32
	s_setpc_b64 s[14:15]
.LBB1_206:
	s_or_b64 exec, exec, s[6:7]
	s_and_saveexec_b64 s[6:7], s[4:5]
	s_cbranch_execz .LBB1_208
.LBB1_207:
	v_bfe_u32 v6, v4, 8, 3
	v_ffbh_u32_e32 v12, v6
	v_min_u32_e32 v12, 32, v12
	v_lshrrev_b16_e32 v7, 3, v3
	v_subrev_u32_e32 v13, 28, v12
	v_and_b32_e32 v7, 15, v7
	v_lshlrev_b32_e32 v3, v13, v3
	v_sub_u32_e32 v12, 29, v12
	v_and_b32_e32 v3, 7, v3
	v_cmp_eq_u16_e32 vcc, 0, v7
	v_cndmask_b32_e32 v3, v6, v3, vcc
	v_cndmask_b32_e32 v6, v7, v12, vcc
	v_lshlrev_b32_e32 v7, 16, v4
	v_mov_b32_e32 v12, 0x3b800000
	v_lshlrev_b32_e32 v3, 20, v3
	v_and_b32_e32 v7, 0x80000000, v7
	v_lshl_add_u32 v6, v6, 23, v12
	v_or3_b32 v6, v7, v6, v3
.LBB1_208:
	s_or_b64 exec, exec, s[6:7]
	s_nop 0
	v_mfma_f32_16x16x4f32 a[0:3], v2, v6, a[0:3]
	s_movk_i32 s4, 0xff
	v_and_b32_sdwa v3, v8, s4 dst_sel:DWORD dst_unused:UNUSED_PAD src0_sel:WORD_1 src1_sel:DWORD
	s_movk_i32 s4, 0x7f
	v_cmp_lt_i16_e32 vcc, s4, v3
	s_mov_b64 s[4:5], 0
                                        ; implicit-def: $sgpr10
	s_and_saveexec_b64 s[6:7], vcc
	s_xor_b64 s[6:7], exec, s[6:7]
	s_cbranch_execz .LBB1_209
; %bb.36049:
	s_getpc_b64 s[14:15]
.Lpost_getpc3688:
	s_add_u32 s14, s14, (.LBB1_14545-.Lpost_getpc3688)&4294967295
	s_addc_u32 s15, s15, (.LBB1_14545-.Lpost_getpc3688)>>32
	s_setpc_b64 s[14:15]
.LBB1_209:
	s_or_saveexec_b64 s[6:7], s[6:7]
	v_mov_b32_e32 v2, s10
	s_xor_b64 exec, exec, s[6:7]
	s_cbranch_execz .LBB1_210
; %bb.36051:
	s_getpc_b64 s[14:15]
.Lpost_getpc3689:
	s_add_u32 s14, s14, (.LBB1_14548-.Lpost_getpc3689)&4294967295
	s_addc_u32 s15, s15, (.LBB1_14548-.Lpost_getpc3689)>>32
	s_setpc_b64 s[14:15]
.LBB1_210:
	s_or_b64 exec, exec, s[6:7]
	s_and_saveexec_b64 s[6:7], s[4:5]
	s_cbranch_execz .LBB1_212
.LBB1_211:
	v_bfe_u32 v2, v8, 16, 3
	v_ffbh_u32_e32 v7, v2
	v_min_u32_e32 v7, 32, v7
	v_lshrrev_b32_e32 v3, 19, v8
	v_subrev_u32_e32 v12, 28, v7
	v_and_b32_e32 v3, 15, v3
	v_lshlrev_b32_sdwa v12, v12, v8 dst_sel:DWORD dst_unused:UNUSED_PAD src0_sel:DWORD src1_sel:WORD_1
	v_bfe_u32 v6, v8, 19, 4
	v_sub_u32_e32 v7, 29, v7
	v_and_b32_e32 v12, 7, v12
	v_cmp_eq_u16_e32 vcc, 0, v3
	v_cndmask_b32_e32 v2, v2, v12, vcc
	v_cndmask_b32_e32 v3, v6, v7, vcc
	v_lshlrev_b32_e32 v6, 8, v8
	v_mov_b32_e32 v7, 0x3b800000
	v_lshlrev_b32_e32 v2, 20, v2
	v_and_b32_e32 v6, 0x80000000, v6
	v_lshl_add_u32 v3, v3, 23, v7
	v_or3_b32 v2, v6, v3, v2
.LBB1_212:
	s_or_b64 exec, exec, s[6:7]
	s_movk_i32 s4, 0xff
	v_and_b32_sdwa v3, v4, s4 dst_sel:DWORD dst_unused:UNUSED_PAD src0_sel:WORD_1 src1_sel:DWORD
	s_movk_i32 s4, 0x7f
	v_cmp_lt_i16_e32 vcc, s4, v3
	s_mov_b64 s[4:5], 0
                                        ; implicit-def: $sgpr10
	s_and_saveexec_b64 s[6:7], vcc
	s_xor_b64 s[6:7], exec, s[6:7]
	s_cbranch_execz .LBB1_213
; %bb.36053:
	s_getpc_b64 s[14:15]
.Lpost_getpc3690:
	s_add_u32 s14, s14, (.LBB1_14549-.Lpost_getpc3690)&4294967295
	s_addc_u32 s15, s15, (.LBB1_14549-.Lpost_getpc3690)>>32
	s_setpc_b64 s[14:15]
.LBB1_213:
	s_or_saveexec_b64 s[6:7], s[6:7]
	v_mov_b32_e32 v6, s10
	s_xor_b64 exec, exec, s[6:7]
	s_cbranch_execz .LBB1_214
; %bb.36055:
	s_getpc_b64 s[14:15]
.Lpost_getpc3691:
	s_add_u32 s14, s14, (.LBB1_14552-.Lpost_getpc3691)&4294967295
	s_addc_u32 s15, s15, (.LBB1_14552-.Lpost_getpc3691)>>32
	s_setpc_b64 s[14:15]
.LBB1_214:
	s_or_b64 exec, exec, s[6:7]
	s_and_saveexec_b64 s[6:7], s[4:5]
	s_cbranch_execz .LBB1_216
.LBB1_215:
	v_bfe_u32 v3, v4, 16, 3
	v_ffbh_u32_e32 v12, v3
	v_min_u32_e32 v12, 32, v12
	v_lshrrev_b32_e32 v6, 19, v4
	v_subrev_u32_e32 v13, 28, v12
	v_and_b32_e32 v6, 15, v6
	v_lshlrev_b32_sdwa v13, v13, v4 dst_sel:DWORD dst_unused:UNUSED_PAD src0_sel:DWORD src1_sel:WORD_1
	v_bfe_u32 v7, v4, 19, 4
	v_sub_u32_e32 v12, 29, v12
	v_and_b32_e32 v13, 7, v13
	v_cmp_eq_u16_e32 vcc, 0, v6
	v_cndmask_b32_e32 v3, v3, v13, vcc
	v_cndmask_b32_e32 v6, v7, v12, vcc
	v_lshlrev_b32_e32 v7, 8, v4
	v_mov_b32_e32 v12, 0x3b800000
	v_lshlrev_b32_e32 v3, 20, v3
	v_and_b32_e32 v7, 0x80000000, v7
	v_lshl_add_u32 v6, v6, 23, v12
	v_or3_b32 v6, v7, v6, v3
.LBB1_216:
	s_or_b64 exec, exec, s[6:7]
	s_nop 0
	v_mfma_f32_16x16x4f32 a[0:3], v2, v6, a[0:3]
	s_movk_i32 s4, 0x7f
	v_cmp_gt_i16_sdwa s[6:7], v8, s4 src0_sel:BYTE_3 src1_sel:DWORD
	s_mov_b64 s[4:5], 0
                                        ; implicit-def: $sgpr10
	s_and_saveexec_b64 s[8:9], s[6:7]
	s_xor_b64 s[6:7], exec, s[8:9]
	s_cbranch_execz .LBB1_217
; %bb.36057:
	s_getpc_b64 s[14:15]
.Lpost_getpc3692:
	s_add_u32 s14, s14, (.LBB1_14553-.Lpost_getpc3692)&4294967295
	s_addc_u32 s15, s15, (.LBB1_14553-.Lpost_getpc3692)>>32
	s_setpc_b64 s[14:15]
.LBB1_217:
	s_or_saveexec_b64 s[6:7], s[6:7]
	v_mov_b32_e32 v2, s10
	s_xor_b64 exec, exec, s[6:7]
	s_cbranch_execz .LBB1_218
; %bb.36059:
	s_getpc_b64 s[14:15]
.Lpost_getpc3693:
	s_add_u32 s14, s14, (.LBB1_14556-.Lpost_getpc3693)&4294967295
	s_addc_u32 s15, s15, (.LBB1_14556-.Lpost_getpc3693)>>32
	s_setpc_b64 s[14:15]
.LBB1_218:
	s_or_b64 exec, exec, s[6:7]
	s_and_saveexec_b64 s[6:7], s[4:5]
	s_cbranch_execz .LBB1_220
.LBB1_219:
	v_bfe_u32 v2, v8, 24, 3
	v_ffbh_u32_e32 v12, v2
	v_min_u32_e32 v12, 32, v12
	v_lshrrev_b32_e32 v6, 27, v8
	v_subrev_u32_e32 v13, 28, v12
	v_and_b32_e32 v3, 0x80000000, v8
	v_and_b32_e32 v6, 15, v6
	v_bfe_u32 v7, v8, 27, 4
	v_lshlrev_b32_sdwa v8, v13, v8 dst_sel:DWORD dst_unused:UNUSED_PAD src0_sel:DWORD src1_sel:BYTE_3
	v_sub_u32_e32 v12, 29, v12
	v_and_b32_e32 v8, 7, v8
	v_cmp_eq_u16_e32 vcc, 0, v6
	v_cndmask_b32_e32 v2, v2, v8, vcc
	v_cndmask_b32_e32 v6, v7, v12, vcc
	v_mov_b32_e32 v7, 0x3b800000
	v_lshlrev_b32_e32 v2, 20, v2
	v_lshl_add_u32 v6, v6, 23, v7
	v_or3_b32 v2, v3, v6, v2
.LBB1_220:
	s_or_b64 exec, exec, s[6:7]
	s_movk_i32 s4, 0x7f
	v_cmp_gt_i16_sdwa s[6:7], v4, s4 src0_sel:BYTE_3 src1_sel:DWORD
	s_mov_b64 s[4:5], 0
                                        ; implicit-def: $sgpr10
	s_and_saveexec_b64 s[8:9], s[6:7]
	s_xor_b64 s[6:7], exec, s[8:9]
	s_cbranch_execz .LBB1_221
; %bb.36061:
	s_getpc_b64 s[14:15]
.Lpost_getpc3694:
	s_add_u32 s14, s14, (.LBB1_14557-.Lpost_getpc3694)&4294967295
	s_addc_u32 s15, s15, (.LBB1_14557-.Lpost_getpc3694)>>32
	s_setpc_b64 s[14:15]
.LBB1_221:
	s_or_saveexec_b64 s[6:7], s[6:7]
	v_mov_b32_e32 v3, s10
	s_xor_b64 exec, exec, s[6:7]
	s_cbranch_execz .LBB1_222
; %bb.36063:
	s_getpc_b64 s[14:15]
.Lpost_getpc3695:
	s_add_u32 s14, s14, (.LBB1_14560-.Lpost_getpc3695)&4294967295
	s_addc_u32 s15, s15, (.LBB1_14560-.Lpost_getpc3695)>>32
	s_setpc_b64 s[14:15]
.LBB1_222:
	s_or_b64 exec, exec, s[6:7]
	s_and_saveexec_b64 s[6:7], s[4:5]
	s_cbranch_execz .LBB1_224
.LBB1_223:
	v_bfe_u32 v3, v4, 24, 3
	v_ffbh_u32_e32 v12, v3
	v_min_u32_e32 v12, 32, v12
	v_lshrrev_b32_e32 v7, 27, v4
	v_subrev_u32_e32 v13, 28, v12
	v_and_b32_e32 v6, 0x80000000, v4
	v_and_b32_e32 v7, 15, v7
	v_bfe_u32 v8, v4, 27, 4
	v_lshlrev_b32_sdwa v4, v13, v4 dst_sel:DWORD dst_unused:UNUSED_PAD src0_sel:DWORD src1_sel:BYTE_3
	v_sub_u32_e32 v12, 29, v12
	v_and_b32_e32 v4, 7, v4
	v_cmp_eq_u16_e32 vcc, 0, v7
	v_cndmask_b32_e32 v3, v3, v4, vcc
	v_cndmask_b32_e32 v4, v8, v12, vcc
	v_mov_b32_e32 v7, 0x3b800000
	v_lshlrev_b32_e32 v3, 20, v3
	v_lshl_add_u32 v4, v4, 23, v7
	v_or3_b32 v3, v6, v4, v3
.LBB1_224:
	s_or_b64 exec, exec, s[6:7]
	s_nop 0
	v_mfma_f32_16x16x4f32 a[0:3], v2, v3, a[0:3]
	s_movk_i32 s4, 0x7f
	v_cmp_gt_i16_sdwa s[6:7], v9, s4 src0_sel:BYTE_0 src1_sel:DWORD
	s_mov_b64 s[4:5], 0
                                        ; implicit-def: $sgpr10
	s_and_saveexec_b64 s[8:9], s[6:7]
	s_xor_b64 s[6:7], exec, s[8:9]
	s_cbranch_execz .LBB1_225
; %bb.36065:
	s_getpc_b64 s[14:15]
.Lpost_getpc3696:
	s_add_u32 s14, s14, (.LBB1_14561-.Lpost_getpc3696)&4294967295
	s_addc_u32 s15, s15, (.LBB1_14561-.Lpost_getpc3696)>>32
	s_setpc_b64 s[14:15]
.LBB1_225:
	s_or_saveexec_b64 s[6:7], s[6:7]
	v_mov_b32_e32 v2, s10
	s_xor_b64 exec, exec, s[6:7]
	s_cbranch_execz .LBB1_226
; %bb.36067:
	s_getpc_b64 s[14:15]
.Lpost_getpc3697:
	s_add_u32 s14, s14, (.LBB1_14564-.Lpost_getpc3697)&4294967295
	s_addc_u32 s15, s15, (.LBB1_14564-.Lpost_getpc3697)>>32
	s_setpc_b64 s[14:15]
.LBB1_226:
	s_or_b64 exec, exec, s[6:7]
	s_and_saveexec_b64 s[6:7], s[4:5]
	s_cbranch_execz .LBB1_228
.LBB1_227:
	v_mov_b32_e32 v2, 8
	v_and_b32_e32 v3, 7, v9
	v_lshrrev_b32_sdwa v2, v2, v9 dst_sel:BYTE_1 dst_unused:UNUSED_PAD src0_sel:DWORD src1_sel:DWORD
	v_ffbh_u32_e32 v4, v3
	v_or_b32_sdwa v2, v9, v2 dst_sel:DWORD dst_unused:UNUSED_PAD src0_sel:BYTE_0 src1_sel:DWORD
	v_min_u32_e32 v4, 32, v4
	v_lshrrev_b16_e32 v2, 3, v2
	v_subrev_u32_e32 v6, 28, v4
	v_and_b32_e32 v2, 15, v2
	v_lshlrev_b32_e32 v6, v6, v9
	v_sub_u32_e32 v4, 29, v4
	v_and_b32_e32 v6, 7, v6
	v_cmp_eq_u16_e32 vcc, 0, v2
	v_cndmask_b32_e32 v3, v3, v6, vcc
	v_cndmask_b32_e32 v2, v2, v4, vcc
	v_lshlrev_b32_e32 v4, 24, v9
	v_mov_b32_e32 v6, 0x3b800000
	v_lshlrev_b32_e32 v3, 20, v3
	v_and_b32_e32 v4, 0x80000000, v4
	v_lshl_add_u32 v2, v2, 23, v6
	v_or3_b32 v2, v4, v2, v3
.LBB1_228:
	s_or_b64 exec, exec, s[6:7]
	s_movk_i32 s4, 0x7f
	v_cmp_gt_i16_sdwa s[6:7], v5, s4 src0_sel:BYTE_0 src1_sel:DWORD
	s_mov_b64 s[4:5], 0
                                        ; implicit-def: $sgpr10
	s_and_saveexec_b64 s[8:9], s[6:7]
	s_xor_b64 s[6:7], exec, s[8:9]
	s_cbranch_execz .LBB1_229
; %bb.36069:
	s_getpc_b64 s[14:15]
.Lpost_getpc3698:
	s_add_u32 s14, s14, (.LBB1_14565-.Lpost_getpc3698)&4294967295
	s_addc_u32 s15, s15, (.LBB1_14565-.Lpost_getpc3698)>>32
	s_setpc_b64 s[14:15]
.LBB1_229:
	s_or_saveexec_b64 s[6:7], s[6:7]
	v_mov_b32_e32 v3, s10
	s_xor_b64 exec, exec, s[6:7]
	s_cbranch_execz .LBB1_230
; %bb.36071:
	s_getpc_b64 s[14:15]
.Lpost_getpc3699:
	s_add_u32 s14, s14, (.LBB1_14568-.Lpost_getpc3699)&4294967295
	s_addc_u32 s15, s15, (.LBB1_14568-.Lpost_getpc3699)>>32
	s_setpc_b64 s[14:15]
.LBB1_230:
	s_or_b64 exec, exec, s[6:7]
	s_and_saveexec_b64 s[6:7], s[4:5]
	s_cbranch_execz .LBB1_232
.LBB1_231:
	v_mov_b32_e32 v3, 8
	v_and_b32_e32 v4, 7, v5
	v_lshrrev_b32_sdwa v3, v3, v5 dst_sel:BYTE_1 dst_unused:UNUSED_PAD src0_sel:DWORD src1_sel:DWORD
	v_ffbh_u32_e32 v6, v4
	v_or_b32_sdwa v3, v5, v3 dst_sel:DWORD dst_unused:UNUSED_PAD src0_sel:BYTE_0 src1_sel:DWORD
	v_min_u32_e32 v6, 32, v6
	v_lshrrev_b16_e32 v3, 3, v3
	v_subrev_u32_e32 v7, 28, v6
	v_and_b32_e32 v3, 15, v3
	v_lshlrev_b32_e32 v7, v7, v5
	v_sub_u32_e32 v6, 29, v6
	v_and_b32_e32 v7, 7, v7
	v_cmp_eq_u16_e32 vcc, 0, v3
	v_cndmask_b32_e32 v4, v4, v7, vcc
	v_cndmask_b32_e32 v3, v3, v6, vcc
	v_lshlrev_b32_e32 v6, 24, v5
	v_mov_b32_e32 v7, 0x3b800000
	v_lshlrev_b32_e32 v4, 20, v4
	v_and_b32_e32 v6, 0x80000000, v6
	v_lshl_add_u32 v3, v3, 23, v7
	v_or3_b32 v3, v6, v3, v4
.LBB1_232:
	s_or_b64 exec, exec, s[6:7]
	s_nop 0
	v_mfma_f32_16x16x4f32 a[0:3], v2, v3, a[0:3]
	v_lshrrev_b32_e32 v3, 8, v9
	s_movk_i32 s4, 0x7f
	v_cmp_gt_i16_sdwa s[6:7], v3, s4 src0_sel:BYTE_0 src1_sel:DWORD
	s_mov_b64 s[4:5], 0
                                        ; implicit-def: $sgpr10
	s_and_saveexec_b64 s[8:9], s[6:7]
	s_xor_b64 s[6:7], exec, s[8:9]
	s_cbranch_execz .LBB1_233
; %bb.36073:
	s_getpc_b64 s[14:15]
.Lpost_getpc3700:
	s_add_u32 s14, s14, (.LBB1_14569-.Lpost_getpc3700)&4294967295
	s_addc_u32 s15, s15, (.LBB1_14569-.Lpost_getpc3700)>>32
	s_setpc_b64 s[14:15]
.LBB1_233:
	s_or_saveexec_b64 s[6:7], s[6:7]
	v_mov_b32_e32 v2, s10
	s_xor_b64 exec, exec, s[6:7]
	s_cbranch_execz .LBB1_234
; %bb.36075:
	s_getpc_b64 s[14:15]
.Lpost_getpc3701:
	s_add_u32 s14, s14, (.LBB1_14572-.Lpost_getpc3701)&4294967295
	s_addc_u32 s15, s15, (.LBB1_14572-.Lpost_getpc3701)>>32
	s_setpc_b64 s[14:15]
.LBB1_234:
	s_or_b64 exec, exec, s[6:7]
	s_and_saveexec_b64 s[6:7], s[4:5]
	s_cbranch_execz .LBB1_236
.LBB1_235:
	v_bfe_u32 v2, v9, 8, 3
	v_ffbh_u32_e32 v6, v2
	v_min_u32_e32 v6, 32, v6
	v_lshrrev_b16_e32 v4, 3, v3
	v_subrev_u32_e32 v7, 28, v6
	v_and_b32_e32 v4, 15, v4
	v_lshlrev_b32_e32 v3, v7, v3
	v_sub_u32_e32 v6, 29, v6
	v_and_b32_e32 v3, 7, v3
	v_cmp_eq_u16_e32 vcc, 0, v4
	v_cndmask_b32_e32 v2, v2, v3, vcc
	v_cndmask_b32_e32 v3, v4, v6, vcc
	v_lshlrev_b32_e32 v4, 16, v9
	v_mov_b32_e32 v6, 0x3b800000
	v_lshlrev_b32_e32 v2, 20, v2
	v_and_b32_e32 v4, 0x80000000, v4
	v_lshl_add_u32 v3, v3, 23, v6
	v_or3_b32 v2, v4, v3, v2
.LBB1_236:
	s_or_b64 exec, exec, s[6:7]
	v_lshrrev_b32_e32 v3, 8, v5
	s_movk_i32 s4, 0x7f
	v_cmp_gt_i16_sdwa s[6:7], v3, s4 src0_sel:BYTE_0 src1_sel:DWORD
	s_mov_b64 s[4:5], 0
                                        ; implicit-def: $sgpr10
	s_and_saveexec_b64 s[8:9], s[6:7]
	s_xor_b64 s[6:7], exec, s[8:9]
	s_cbranch_execz .LBB1_237
; %bb.36077:
	s_getpc_b64 s[14:15]
.Lpost_getpc3702:
	s_add_u32 s14, s14, (.LBB1_14573-.Lpost_getpc3702)&4294967295
	s_addc_u32 s15, s15, (.LBB1_14573-.Lpost_getpc3702)>>32
	s_setpc_b64 s[14:15]
.LBB1_237:
	s_or_saveexec_b64 s[6:7], s[6:7]
	v_mov_b32_e32 v4, s10
	s_xor_b64 exec, exec, s[6:7]
	s_cbranch_execz .LBB1_238
; %bb.36079:
	s_getpc_b64 s[14:15]
.Lpost_getpc3703:
	s_add_u32 s14, s14, (.LBB1_14576-.Lpost_getpc3703)&4294967295
	s_addc_u32 s15, s15, (.LBB1_14576-.Lpost_getpc3703)>>32
	s_setpc_b64 s[14:15]
.LBB1_238:
	s_or_b64 exec, exec, s[6:7]
	s_and_saveexec_b64 s[6:7], s[4:5]
	s_cbranch_execz .LBB1_240
.LBB1_239:
	v_bfe_u32 v4, v5, 8, 3
	v_ffbh_u32_e32 v7, v4
	v_min_u32_e32 v7, 32, v7
	v_lshrrev_b16_e32 v6, 3, v3
	v_subrev_u32_e32 v8, 28, v7
	v_and_b32_e32 v6, 15, v6
	v_lshlrev_b32_e32 v3, v8, v3
	v_sub_u32_e32 v7, 29, v7
	v_and_b32_e32 v3, 7, v3
	v_cmp_eq_u16_e32 vcc, 0, v6
	v_cndmask_b32_e32 v3, v4, v3, vcc
	v_cndmask_b32_e32 v4, v6, v7, vcc
	v_lshlrev_b32_e32 v6, 16, v5
	v_mov_b32_e32 v7, 0x3b800000
	v_lshlrev_b32_e32 v3, 20, v3
	v_and_b32_e32 v6, 0x80000000, v6
	v_lshl_add_u32 v4, v4, 23, v7
	v_or3_b32 v4, v6, v4, v3
.LBB1_240:
	s_or_b64 exec, exec, s[6:7]
	s_nop 0
	v_mfma_f32_16x16x4f32 a[0:3], v2, v4, a[0:3]
	s_movk_i32 s4, 0xff
	v_and_b32_sdwa v3, v9, s4 dst_sel:DWORD dst_unused:UNUSED_PAD src0_sel:WORD_1 src1_sel:DWORD
	s_movk_i32 s4, 0x7f
	v_cmp_lt_i16_e32 vcc, s4, v3
	s_mov_b64 s[4:5], 0
                                        ; implicit-def: $sgpr10
	s_and_saveexec_b64 s[6:7], vcc
	s_xor_b64 s[6:7], exec, s[6:7]
	s_cbranch_execz .LBB1_241
; %bb.36081:
	s_getpc_b64 s[14:15]
.Lpost_getpc3704:
	s_add_u32 s14, s14, (.LBB1_14577-.Lpost_getpc3704)&4294967295
	s_addc_u32 s15, s15, (.LBB1_14577-.Lpost_getpc3704)>>32
	s_setpc_b64 s[14:15]
.LBB1_241:
	s_or_saveexec_b64 s[6:7], s[6:7]
	v_mov_b32_e32 v2, s10
	s_xor_b64 exec, exec, s[6:7]
	s_cbranch_execz .LBB1_242
; %bb.36083:
	s_getpc_b64 s[14:15]
.Lpost_getpc3705:
	s_add_u32 s14, s14, (.LBB1_14580-.Lpost_getpc3705)&4294967295
	s_addc_u32 s15, s15, (.LBB1_14580-.Lpost_getpc3705)>>32
	s_setpc_b64 s[14:15]
.LBB1_242:
	s_or_b64 exec, exec, s[6:7]
	s_and_saveexec_b64 s[6:7], s[4:5]
	s_cbranch_execz .LBB1_244
.LBB1_243:
	v_bfe_u32 v2, v9, 16, 3
	v_ffbh_u32_e32 v6, v2
	v_min_u32_e32 v6, 32, v6
	v_lshrrev_b32_e32 v3, 19, v9
	v_subrev_u32_e32 v7, 28, v6
	v_and_b32_e32 v3, 15, v3
	v_lshlrev_b32_sdwa v7, v7, v9 dst_sel:DWORD dst_unused:UNUSED_PAD src0_sel:DWORD src1_sel:WORD_1
	v_bfe_u32 v4, v9, 19, 4
	v_sub_u32_e32 v6, 29, v6
	v_and_b32_e32 v7, 7, v7
	v_cmp_eq_u16_e32 vcc, 0, v3
	v_cndmask_b32_e32 v2, v2, v7, vcc
	v_cndmask_b32_e32 v3, v4, v6, vcc
	v_lshlrev_b32_e32 v4, 8, v9
	v_mov_b32_e32 v6, 0x3b800000
	v_lshlrev_b32_e32 v2, 20, v2
	v_and_b32_e32 v4, 0x80000000, v4
	v_lshl_add_u32 v3, v3, 23, v6
	v_or3_b32 v2, v4, v3, v2
.LBB1_244:
	s_or_b64 exec, exec, s[6:7]
	s_movk_i32 s4, 0xff
	v_and_b32_sdwa v3, v5, s4 dst_sel:DWORD dst_unused:UNUSED_PAD src0_sel:WORD_1 src1_sel:DWORD
	s_movk_i32 s4, 0x7f
	v_cmp_lt_i16_e32 vcc, s4, v3
	s_mov_b64 s[4:5], 0
                                        ; implicit-def: $sgpr10
	s_and_saveexec_b64 s[6:7], vcc
	s_xor_b64 s[6:7], exec, s[6:7]
	s_cbranch_execz .LBB1_245
; %bb.36085:
	s_getpc_b64 s[14:15]
.Lpost_getpc3706:
	s_add_u32 s14, s14, (.LBB1_14581-.Lpost_getpc3706)&4294967295
	s_addc_u32 s15, s15, (.LBB1_14581-.Lpost_getpc3706)>>32
	s_setpc_b64 s[14:15]
.LBB1_245:
	s_or_saveexec_b64 s[6:7], s[6:7]
	v_mov_b32_e32 v4, s10
	s_xor_b64 exec, exec, s[6:7]
	s_cbranch_execz .LBB1_246
; %bb.36087:
	s_getpc_b64 s[14:15]
.Lpost_getpc3707:
	s_add_u32 s14, s14, (.LBB1_14584-.Lpost_getpc3707)&4294967295
	s_addc_u32 s15, s15, (.LBB1_14584-.Lpost_getpc3707)>>32
	s_setpc_b64 s[14:15]
.LBB1_246:
	s_or_b64 exec, exec, s[6:7]
	s_and_saveexec_b64 s[6:7], s[4:5]
	s_cbranch_execz .LBB1_248
.LBB1_247:
	v_bfe_u32 v3, v5, 16, 3
	v_ffbh_u32_e32 v7, v3
	v_min_u32_e32 v7, 32, v7
	v_lshrrev_b32_e32 v4, 19, v5
	v_subrev_u32_e32 v8, 28, v7
	v_and_b32_e32 v4, 15, v4
	v_lshlrev_b32_sdwa v8, v8, v5 dst_sel:DWORD dst_unused:UNUSED_PAD src0_sel:DWORD src1_sel:WORD_1
	v_bfe_u32 v6, v5, 19, 4
	v_sub_u32_e32 v7, 29, v7
	v_and_b32_e32 v8, 7, v8
	v_cmp_eq_u16_e32 vcc, 0, v4
	v_cndmask_b32_e32 v3, v3, v8, vcc
	v_cndmask_b32_e32 v4, v6, v7, vcc
	v_lshlrev_b32_e32 v6, 8, v5
	v_mov_b32_e32 v7, 0x3b800000
	v_lshlrev_b32_e32 v3, 20, v3
	v_and_b32_e32 v6, 0x80000000, v6
	v_lshl_add_u32 v4, v4, 23, v7
	v_or3_b32 v4, v6, v4, v3
.LBB1_248:
	s_or_b64 exec, exec, s[6:7]
	s_nop 0
	v_mfma_f32_16x16x4f32 a[0:3], v2, v4, a[0:3]
	s_movk_i32 s4, 0x7f
	v_cmp_gt_i16_sdwa s[6:7], v9, s4 src0_sel:BYTE_3 src1_sel:DWORD
	s_mov_b64 s[4:5], 0
                                        ; implicit-def: $sgpr10
	s_and_saveexec_b64 s[8:9], s[6:7]
	s_xor_b64 s[6:7], exec, s[8:9]
	s_cbranch_execz .LBB1_249
; %bb.36089:
	s_getpc_b64 s[14:15]
.Lpost_getpc3708:
	s_add_u32 s14, s14, (.LBB1_14585-.Lpost_getpc3708)&4294967295
	s_addc_u32 s15, s15, (.LBB1_14585-.Lpost_getpc3708)>>32
	s_setpc_b64 s[14:15]
.LBB1_249:
	s_or_saveexec_b64 s[6:7], s[6:7]
	v_mov_b32_e32 v2, s10
	s_xor_b64 exec, exec, s[6:7]
	s_cbranch_execz .LBB1_250
; %bb.36091:
	s_getpc_b64 s[14:15]
.Lpost_getpc3709:
	s_add_u32 s14, s14, (.LBB1_14588-.Lpost_getpc3709)&4294967295
	s_addc_u32 s15, s15, (.LBB1_14588-.Lpost_getpc3709)>>32
	s_setpc_b64 s[14:15]
.LBB1_250:
	s_or_b64 exec, exec, s[6:7]
	s_and_saveexec_b64 s[6:7], s[4:5]
	s_cbranch_execz .LBB1_252
.LBB1_251:
	v_bfe_u32 v2, v9, 24, 3
	v_ffbh_u32_e32 v7, v2
	v_min_u32_e32 v7, 32, v7
	v_lshrrev_b32_e32 v4, 27, v9
	v_subrev_u32_e32 v8, 28, v7
	v_and_b32_e32 v4, 15, v4
	v_lshlrev_b32_sdwa v8, v8, v9 dst_sel:DWORD dst_unused:UNUSED_PAD src0_sel:DWORD src1_sel:BYTE_3
	v_bfe_u32 v6, v9, 27, 4
	v_sub_u32_e32 v7, 29, v7
	v_and_b32_e32 v8, 7, v8
	v_cmp_eq_u16_e32 vcc, 0, v4
	v_cndmask_b32_e32 v2, v2, v8, vcc
	v_cndmask_b32_e32 v4, v6, v7, vcc
	v_mov_b32_e32 v6, 0x3b800000
	v_and_b32_e32 v3, 0x80000000, v9
	v_lshlrev_b32_e32 v2, 20, v2
	v_lshl_add_u32 v4, v4, 23, v6
	v_or3_b32 v2, v3, v4, v2
.LBB1_252:
	s_or_b64 exec, exec, s[6:7]
	s_movk_i32 s4, 0x7f
	v_cmp_gt_i16_sdwa s[6:7], v5, s4 src0_sel:BYTE_3 src1_sel:DWORD
	s_mov_b64 s[4:5], 0
                                        ; implicit-def: $sgpr10
	s_and_saveexec_b64 s[8:9], s[6:7]
	s_xor_b64 s[6:7], exec, s[8:9]
	s_cbranch_execz .LBB1_253
; %bb.36093:
	s_getpc_b64 s[14:15]
.Lpost_getpc3710:
	s_add_u32 s14, s14, (.LBB1_14589-.Lpost_getpc3710)&4294967295
	s_addc_u32 s15, s15, (.LBB1_14589-.Lpost_getpc3710)>>32
	s_setpc_b64 s[14:15]
.LBB1_253:
	s_or_saveexec_b64 s[6:7], s[6:7]
	v_mov_b32_e32 v3, s10
	s_xor_b64 exec, exec, s[6:7]
	s_cbranch_execz .LBB1_254
; %bb.36095:
	s_getpc_b64 s[14:15]
.Lpost_getpc3711:
	s_add_u32 s14, s14, (.LBB1_14592-.Lpost_getpc3711)&4294967295
	s_addc_u32 s15, s15, (.LBB1_14592-.Lpost_getpc3711)>>32
	s_setpc_b64 s[14:15]
.LBB1_254:
	s_or_b64 exec, exec, s[6:7]
	s_and_saveexec_b64 s[6:7], s[4:5]
	s_cbranch_execz .LBB1_256
.LBB1_255:
	v_bfe_u32 v3, v5, 24, 3
	v_ffbh_u32_e32 v8, v3
	v_min_u32_e32 v8, 32, v8
	v_lshrrev_b32_e32 v6, 27, v5
	v_subrev_u32_e32 v9, 28, v8
	v_and_b32_e32 v4, 0x80000000, v5
	v_and_b32_e32 v6, 15, v6
	v_bfe_u32 v7, v5, 27, 4
	v_lshlrev_b32_sdwa v5, v9, v5 dst_sel:DWORD dst_unused:UNUSED_PAD src0_sel:DWORD src1_sel:BYTE_3
	v_sub_u32_e32 v8, 29, v8
	v_and_b32_e32 v5, 7, v5
	v_cmp_eq_u16_e32 vcc, 0, v6
	v_cndmask_b32_e32 v3, v3, v5, vcc
	v_cndmask_b32_e32 v5, v7, v8, vcc
	v_mov_b32_e32 v6, 0x3b800000
	v_lshlrev_b32_e32 v3, 20, v3
	v_lshl_add_u32 v5, v5, 23, v6
	v_or3_b32 v3, v4, v5, v3
.LBB1_256:
	s_or_b64 exec, exec, s[6:7]
	s_nop 0
	v_mfma_f32_16x16x4f32 a[0:3], v2, v3, a[0:3]
	s_movk_i32 s4, 0x7f
                                        ; implicit-def: $sgpr10
	s_nop 7
	s_nop 1
	flat_store_dwordx4 v[10:11], a[0:3] offset:16
	flat_load_dwordx4 v[12:15], v[0:1]
	s_nop 0
	flat_load_dwordx2 v[10:11], v[0:1] offset:16
	s_waitcnt vmcnt(0) lgkmcnt(0)
	flat_load_dwordx4 v[6:9], v[12:13]
	flat_load_dwordx4 v[2:5], v[14:15] offset:32
	s_waitcnt vmcnt(0) lgkmcnt(0)
	v_cmp_gt_i16_sdwa s[6:7], v6, s4 src0_sel:BYTE_0 src1_sel:DWORD
	s_mov_b64 s[4:5], 0
	s_and_saveexec_b64 s[8:9], s[6:7]
	s_xor_b64 s[6:7], exec, s[8:9]
	s_cbranch_execz .LBB1_257
; %bb.36097:
	s_getpc_b64 s[14:15]
.Lpost_getpc3712:
	s_add_u32 s14, s14, (.LBB1_14593-.Lpost_getpc3712)&4294967295
	s_addc_u32 s15, s15, (.LBB1_14593-.Lpost_getpc3712)>>32
	s_setpc_b64 s[14:15]
.LBB1_257:
	s_or_saveexec_b64 s[6:7], s[6:7]
	v_mov_b32_e32 v12, s10
	s_xor_b64 exec, exec, s[6:7]
	s_cbranch_execz .LBB1_258
; %bb.36099:
	s_getpc_b64 s[14:15]
.Lpost_getpc3713:
	s_add_u32 s14, s14, (.LBB1_14596-.Lpost_getpc3713)&4294967295
	s_addc_u32 s15, s15, (.LBB1_14596-.Lpost_getpc3713)>>32
	s_setpc_b64 s[14:15]
.LBB1_258:
	s_or_b64 exec, exec, s[6:7]
	s_and_saveexec_b64 s[6:7], s[4:5]
	s_cbranch_execz .LBB1_260
.LBB1_259:
	v_and_b32_e32 v12, 7, v6
	v_ffbh_u32_e32 v14, v12
	v_min_u32_e32 v14, 32, v14
	v_lshrrev_b16_e32 v13, 3, v6
	v_subrev_u32_e32 v15, 28, v14
	v_and_b32_e32 v13, 15, v13
	v_lshlrev_b32_e32 v15, v15, v6
	v_sub_u32_e32 v14, 29, v14
	v_and_b32_e32 v15, 7, v15
	v_cmp_eq_u16_e32 vcc, 0, v13
	v_cndmask_b32_e32 v12, v12, v15, vcc
	v_cndmask_b32_e32 v13, v13, v14, vcc
	v_lshlrev_b32_e32 v14, 24, v6
	v_mov_b32_e32 v15, 0x3b800000
	v_lshlrev_b32_e32 v12, 20, v12
	v_and_b32_e32 v14, 0x80000000, v14
	v_lshl_add_u32 v13, v13, 23, v15
	v_or3_b32 v12, v14, v13, v12
.LBB1_260:
	s_or_b64 exec, exec, s[6:7]
	s_movk_i32 s4, 0x7f
	v_cmp_gt_i16_sdwa s[6:7], v2, s4 src0_sel:BYTE_0 src1_sel:DWORD
	s_mov_b64 s[4:5], 0
                                        ; implicit-def: $sgpr10
	s_and_saveexec_b64 s[8:9], s[6:7]
	s_xor_b64 s[6:7], exec, s[8:9]
	s_cbranch_execz .LBB1_261
; %bb.36101:
	s_getpc_b64 s[14:15]
.Lpost_getpc3714:
	s_add_u32 s14, s14, (.LBB1_14597-.Lpost_getpc3714)&4294967295
	s_addc_u32 s15, s15, (.LBB1_14597-.Lpost_getpc3714)>>32
	s_setpc_b64 s[14:15]
.LBB1_261:
	s_or_saveexec_b64 s[6:7], s[6:7]
	v_mov_b32_e32 v13, s10
	s_xor_b64 exec, exec, s[6:7]
	s_cbranch_execz .LBB1_262
; %bb.36103:
	s_getpc_b64 s[14:15]
.Lpost_getpc3715:
	s_add_u32 s14, s14, (.LBB1_14600-.Lpost_getpc3715)&4294967295
	s_addc_u32 s15, s15, (.LBB1_14600-.Lpost_getpc3715)>>32
	s_setpc_b64 s[14:15]
.LBB1_262:
	s_or_b64 exec, exec, s[6:7]
	s_and_saveexec_b64 s[6:7], s[4:5]
	s_cbranch_execz .LBB1_264
.LBB1_263:
	v_and_b32_e32 v13, 7, v2
	v_ffbh_u32_e32 v15, v13
	v_min_u32_e32 v15, 32, v15
	v_lshrrev_b16_e32 v14, 3, v2
	v_subrev_u32_e32 v16, 28, v15
	v_and_b32_e32 v14, 15, v14
	v_lshlrev_b32_e32 v16, v16, v2
	v_sub_u32_e32 v15, 29, v15
	v_and_b32_e32 v16, 7, v16
	v_cmp_eq_u16_e32 vcc, 0, v14
	v_cndmask_b32_e32 v13, v13, v16, vcc
	v_cndmask_b32_e32 v14, v14, v15, vcc
	v_lshlrev_b32_e32 v15, 24, v2
	v_mov_b32_e32 v16, 0x3b800000
	v_lshlrev_b32_e32 v13, 20, v13
	v_and_b32_e32 v15, 0x80000000, v15
	v_lshl_add_u32 v14, v14, 23, v16
	v_or3_b32 v13, v15, v14, v13
.LBB1_264:
	s_or_b64 exec, exec, s[6:7]
	flat_load_dwordx4 a[0:3], v[10:11] offset:32
	s_movk_i32 s4, 0x7f
                                        ; implicit-def: $sgpr10
	s_waitcnt vmcnt(0) lgkmcnt(0)
	v_mfma_f32_16x16x4f32 a[0:3], v12, v13, a[0:3]
	v_lshrrev_b32_e32 v13, 8, v6
	v_cmp_gt_i16_sdwa s[6:7], v13, s4 src0_sel:BYTE_0 src1_sel:DWORD
	s_mov_b64 s[4:5], 0
	s_and_saveexec_b64 s[8:9], s[6:7]
	s_xor_b64 s[6:7], exec, s[8:9]
	s_cbranch_execz .LBB1_265
; %bb.36105:
	s_getpc_b64 s[14:15]
.Lpost_getpc3716:
	s_add_u32 s14, s14, (.LBB1_14601-.Lpost_getpc3716)&4294967295
	s_addc_u32 s15, s15, (.LBB1_14601-.Lpost_getpc3716)>>32
	s_setpc_b64 s[14:15]
.LBB1_265:
	s_or_saveexec_b64 s[6:7], s[6:7]
	v_mov_b32_e32 v12, s10
	s_xor_b64 exec, exec, s[6:7]
	s_cbranch_execz .LBB1_266
; %bb.36107:
	s_getpc_b64 s[14:15]
.Lpost_getpc3717:
	s_add_u32 s14, s14, (.LBB1_14604-.Lpost_getpc3717)&4294967295
	s_addc_u32 s15, s15, (.LBB1_14604-.Lpost_getpc3717)>>32
	s_setpc_b64 s[14:15]
.LBB1_266:
	s_or_b64 exec, exec, s[6:7]
	s_and_saveexec_b64 s[6:7], s[4:5]
	s_cbranch_execz .LBB1_268
.LBB1_267:
	v_bfe_u32 v12, v6, 8, 3
	v_ffbh_u32_e32 v15, v12
	v_min_u32_e32 v15, 32, v15
	v_lshrrev_b16_e32 v14, 3, v13
	v_subrev_u32_e32 v16, 28, v15
	v_and_b32_e32 v14, 15, v14
	v_lshlrev_b32_e32 v13, v16, v13
	v_sub_u32_e32 v15, 29, v15
	v_and_b32_e32 v13, 7, v13
	v_cmp_eq_u16_e32 vcc, 0, v14
	v_cndmask_b32_e32 v12, v12, v13, vcc
	v_cndmask_b32_e32 v13, v14, v15, vcc
	v_lshlrev_b32_e32 v14, 16, v6
	v_mov_b32_e32 v15, 0x3b800000
	v_lshlrev_b32_e32 v12, 20, v12
	v_and_b32_e32 v14, 0x80000000, v14
	v_lshl_add_u32 v13, v13, 23, v15
	v_or3_b32 v12, v14, v13, v12
.LBB1_268:
	s_or_b64 exec, exec, s[6:7]
	v_lshrrev_b32_e32 v13, 8, v2
	s_movk_i32 s4, 0x7f
	v_cmp_gt_i16_sdwa s[6:7], v13, s4 src0_sel:BYTE_0 src1_sel:DWORD
	s_mov_b64 s[4:5], 0
                                        ; implicit-def: $sgpr10
	s_and_saveexec_b64 s[8:9], s[6:7]
	s_xor_b64 s[6:7], exec, s[8:9]
	s_cbranch_execz .LBB1_269
; %bb.36109:
	s_getpc_b64 s[14:15]
.Lpost_getpc3718:
	s_add_u32 s14, s14, (.LBB1_14605-.Lpost_getpc3718)&4294967295
	s_addc_u32 s15, s15, (.LBB1_14605-.Lpost_getpc3718)>>32
	s_setpc_b64 s[14:15]
.LBB1_269:
	s_or_saveexec_b64 s[6:7], s[6:7]
	v_mov_b32_e32 v14, s10
	s_xor_b64 exec, exec, s[6:7]
	s_cbranch_execz .LBB1_270
; %bb.36111:
	s_getpc_b64 s[14:15]
.Lpost_getpc3719:
	s_add_u32 s14, s14, (.LBB1_14608-.Lpost_getpc3719)&4294967295
	s_addc_u32 s15, s15, (.LBB1_14608-.Lpost_getpc3719)>>32
	s_setpc_b64 s[14:15]
.LBB1_270:
	s_or_b64 exec, exec, s[6:7]
	s_and_saveexec_b64 s[6:7], s[4:5]
	s_cbranch_execz .LBB1_272
.LBB1_271:
	v_bfe_u32 v14, v2, 8, 3
	v_ffbh_u32_e32 v16, v14
	v_min_u32_e32 v16, 32, v16
	v_lshrrev_b16_e32 v15, 3, v13
	v_subrev_u32_e32 v17, 28, v16
	v_and_b32_e32 v15, 15, v15
	v_lshlrev_b32_e32 v13, v17, v13
	v_sub_u32_e32 v16, 29, v16
	v_and_b32_e32 v13, 7, v13
	v_cmp_eq_u16_e32 vcc, 0, v15
	v_cndmask_b32_e32 v13, v14, v13, vcc
	v_cndmask_b32_e32 v14, v15, v16, vcc
	v_lshlrev_b32_e32 v15, 16, v2
	v_mov_b32_e32 v16, 0x3b800000
	v_lshlrev_b32_e32 v13, 20, v13
	v_and_b32_e32 v15, 0x80000000, v15
	v_lshl_add_u32 v14, v14, 23, v16
	v_or3_b32 v14, v15, v14, v13
.LBB1_272:
	s_or_b64 exec, exec, s[6:7]
	s_nop 0
	v_mfma_f32_16x16x4f32 a[0:3], v12, v14, a[0:3]
	s_movk_i32 s4, 0xff
	v_and_b32_sdwa v13, v6, s4 dst_sel:DWORD dst_unused:UNUSED_PAD src0_sel:WORD_1 src1_sel:DWORD
	s_movk_i32 s4, 0x7f
	v_cmp_lt_i16_e32 vcc, s4, v13
	s_mov_b64 s[4:5], 0
                                        ; implicit-def: $sgpr10
	s_and_saveexec_b64 s[6:7], vcc
	s_xor_b64 s[6:7], exec, s[6:7]
	s_cbranch_execz .LBB1_273
; %bb.36113:
	s_getpc_b64 s[14:15]
.Lpost_getpc3720:
	s_add_u32 s14, s14, (.LBB1_14609-.Lpost_getpc3720)&4294967295
	s_addc_u32 s15, s15, (.LBB1_14609-.Lpost_getpc3720)>>32
	s_setpc_b64 s[14:15]
.LBB1_273:
	s_or_saveexec_b64 s[6:7], s[6:7]
	v_mov_b32_e32 v12, s10
	s_xor_b64 exec, exec, s[6:7]
	s_cbranch_execz .LBB1_274
; %bb.36115:
	s_getpc_b64 s[14:15]
.Lpost_getpc3721:
	s_add_u32 s14, s14, (.LBB1_14612-.Lpost_getpc3721)&4294967295
	s_addc_u32 s15, s15, (.LBB1_14612-.Lpost_getpc3721)>>32
	s_setpc_b64 s[14:15]
.LBB1_274:
	s_or_b64 exec, exec, s[6:7]
	s_and_saveexec_b64 s[6:7], s[4:5]
	s_cbranch_execz .LBB1_276
.LBB1_275:
	v_bfe_u32 v12, v6, 16, 3
	v_ffbh_u32_e32 v15, v12
	v_min_u32_e32 v15, 32, v15
	v_lshrrev_b32_e32 v13, 19, v6
	v_subrev_u32_e32 v16, 28, v15
	v_and_b32_e32 v13, 15, v13
	v_lshlrev_b32_sdwa v16, v16, v6 dst_sel:DWORD dst_unused:UNUSED_PAD src0_sel:DWORD src1_sel:WORD_1
	v_bfe_u32 v14, v6, 19, 4
	v_sub_u32_e32 v15, 29, v15
	v_and_b32_e32 v16, 7, v16
	v_cmp_eq_u16_e32 vcc, 0, v13
	v_cndmask_b32_e32 v12, v12, v16, vcc
	v_cndmask_b32_e32 v13, v14, v15, vcc
	v_lshlrev_b32_e32 v14, 8, v6
	v_mov_b32_e32 v15, 0x3b800000
	v_lshlrev_b32_e32 v12, 20, v12
	v_and_b32_e32 v14, 0x80000000, v14
	v_lshl_add_u32 v13, v13, 23, v15
	v_or3_b32 v12, v14, v13, v12
.LBB1_276:
	s_or_b64 exec, exec, s[6:7]
	s_movk_i32 s4, 0xff
	v_and_b32_sdwa v13, v2, s4 dst_sel:DWORD dst_unused:UNUSED_PAD src0_sel:WORD_1 src1_sel:DWORD
	s_movk_i32 s4, 0x7f
	v_cmp_lt_i16_e32 vcc, s4, v13
	s_mov_b64 s[4:5], 0
                                        ; implicit-def: $sgpr10
	s_and_saveexec_b64 s[6:7], vcc
	s_xor_b64 s[6:7], exec, s[6:7]
	s_cbranch_execz .LBB1_277
; %bb.36117:
	s_getpc_b64 s[14:15]
.Lpost_getpc3722:
	s_add_u32 s14, s14, (.LBB1_14613-.Lpost_getpc3722)&4294967295
	s_addc_u32 s15, s15, (.LBB1_14613-.Lpost_getpc3722)>>32
	s_setpc_b64 s[14:15]
.LBB1_277:
	s_or_saveexec_b64 s[6:7], s[6:7]
	v_mov_b32_e32 v14, s10
	s_xor_b64 exec, exec, s[6:7]
	s_cbranch_execz .LBB1_278
; %bb.36119:
	s_getpc_b64 s[14:15]
.Lpost_getpc3723:
	s_add_u32 s14, s14, (.LBB1_14616-.Lpost_getpc3723)&4294967295
	s_addc_u32 s15, s15, (.LBB1_14616-.Lpost_getpc3723)>>32
	s_setpc_b64 s[14:15]
.LBB1_278:
	s_or_b64 exec, exec, s[6:7]
	s_and_saveexec_b64 s[6:7], s[4:5]
	s_cbranch_execz .LBB1_280
.LBB1_279:
	v_bfe_u32 v13, v2, 16, 3
	v_ffbh_u32_e32 v16, v13
	v_min_u32_e32 v16, 32, v16
	v_lshrrev_b32_e32 v14, 19, v2
	v_subrev_u32_e32 v17, 28, v16
	v_and_b32_e32 v14, 15, v14
	v_lshlrev_b32_sdwa v17, v17, v2 dst_sel:DWORD dst_unused:UNUSED_PAD src0_sel:DWORD src1_sel:WORD_1
	v_bfe_u32 v15, v2, 19, 4
	v_sub_u32_e32 v16, 29, v16
	v_and_b32_e32 v17, 7, v17
	v_cmp_eq_u16_e32 vcc, 0, v14
	v_cndmask_b32_e32 v13, v13, v17, vcc
	v_cndmask_b32_e32 v14, v15, v16, vcc
	v_lshlrev_b32_e32 v15, 8, v2
	v_mov_b32_e32 v16, 0x3b800000
	v_lshlrev_b32_e32 v13, 20, v13
	v_and_b32_e32 v15, 0x80000000, v15
	v_lshl_add_u32 v14, v14, 23, v16
	v_or3_b32 v14, v15, v14, v13
.LBB1_280:
	s_or_b64 exec, exec, s[6:7]
	s_nop 0
	v_mfma_f32_16x16x4f32 a[0:3], v12, v14, a[0:3]
	s_movk_i32 s4, 0x7f
	v_cmp_gt_i16_sdwa s[6:7], v6, s4 src0_sel:BYTE_3 src1_sel:DWORD
	s_mov_b64 s[4:5], 0
                                        ; implicit-def: $sgpr10
	s_and_saveexec_b64 s[8:9], s[6:7]
	s_xor_b64 s[6:7], exec, s[8:9]
	s_cbranch_execz .LBB1_281
; %bb.36121:
	s_getpc_b64 s[14:15]
.Lpost_getpc3724:
	s_add_u32 s14, s14, (.LBB1_14617-.Lpost_getpc3724)&4294967295
	s_addc_u32 s15, s15, (.LBB1_14617-.Lpost_getpc3724)>>32
	s_setpc_b64 s[14:15]
.LBB1_281:
	s_or_saveexec_b64 s[6:7], s[6:7]
	v_mov_b32_e32 v12, s10
	s_xor_b64 exec, exec, s[6:7]
	s_cbranch_execz .LBB1_282
; %bb.36123:
	s_getpc_b64 s[14:15]
.Lpost_getpc3725:
	s_add_u32 s14, s14, (.LBB1_14620-.Lpost_getpc3725)&4294967295
	s_addc_u32 s15, s15, (.LBB1_14620-.Lpost_getpc3725)>>32
	s_setpc_b64 s[14:15]
.LBB1_282:
	s_or_b64 exec, exec, s[6:7]
	s_and_saveexec_b64 s[6:7], s[4:5]
	s_cbranch_execz .LBB1_284
.LBB1_283:
	v_bfe_u32 v12, v6, 24, 3
	v_ffbh_u32_e32 v16, v12
	v_min_u32_e32 v16, 32, v16
	v_lshrrev_b32_e32 v14, 27, v6
	v_subrev_u32_e32 v17, 28, v16
	v_and_b32_e32 v13, 0x80000000, v6
	v_and_b32_e32 v14, 15, v14
	v_bfe_u32 v15, v6, 27, 4
	v_lshlrev_b32_sdwa v6, v17, v6 dst_sel:DWORD dst_unused:UNUSED_PAD src0_sel:DWORD src1_sel:BYTE_3
	v_sub_u32_e32 v16, 29, v16
	v_and_b32_e32 v6, 7, v6
	v_cmp_eq_u16_e32 vcc, 0, v14
	v_cndmask_b32_e32 v6, v12, v6, vcc
	v_cndmask_b32_e32 v12, v15, v16, vcc
	v_mov_b32_e32 v14, 0x3b800000
	v_lshlrev_b32_e32 v6, 20, v6
	v_lshl_add_u32 v12, v12, 23, v14
	v_or3_b32 v12, v13, v12, v6
.LBB1_284:
	s_or_b64 exec, exec, s[6:7]
	s_movk_i32 s4, 0x7f
	v_cmp_gt_i16_sdwa s[6:7], v2, s4 src0_sel:BYTE_3 src1_sel:DWORD
	s_mov_b64 s[4:5], 0
                                        ; implicit-def: $sgpr10
	s_and_saveexec_b64 s[8:9], s[6:7]
	s_xor_b64 s[6:7], exec, s[8:9]
	s_cbranch_execz .LBB1_285
; %bb.36125:
	s_getpc_b64 s[14:15]
.Lpost_getpc3726:
	s_add_u32 s14, s14, (.LBB1_14621-.Lpost_getpc3726)&4294967295
	s_addc_u32 s15, s15, (.LBB1_14621-.Lpost_getpc3726)>>32
	s_setpc_b64 s[14:15]
.LBB1_285:
	s_or_saveexec_b64 s[6:7], s[6:7]
	v_mov_b32_e32 v6, s10
	s_xor_b64 exec, exec, s[6:7]
	s_cbranch_execz .LBB1_286
; %bb.36127:
	s_getpc_b64 s[14:15]
.Lpost_getpc3727:
	s_add_u32 s14, s14, (.LBB1_14624-.Lpost_getpc3727)&4294967295
	s_addc_u32 s15, s15, (.LBB1_14624-.Lpost_getpc3727)>>32
	s_setpc_b64 s[14:15]
.LBB1_286:
	s_or_b64 exec, exec, s[6:7]
	s_and_saveexec_b64 s[6:7], s[4:5]
	s_cbranch_execz .LBB1_288
.LBB1_287:
	v_bfe_u32 v6, v2, 24, 3
	v_ffbh_u32_e32 v16, v6
	v_min_u32_e32 v16, 32, v16
	v_lshrrev_b32_e32 v14, 27, v2
	v_subrev_u32_e32 v17, 28, v16
	v_and_b32_e32 v13, 0x80000000, v2
	v_and_b32_e32 v14, 15, v14
	v_bfe_u32 v15, v2, 27, 4
	v_lshlrev_b32_sdwa v2, v17, v2 dst_sel:DWORD dst_unused:UNUSED_PAD src0_sel:DWORD src1_sel:BYTE_3
	v_sub_u32_e32 v16, 29, v16
	v_and_b32_e32 v2, 7, v2
	v_cmp_eq_u16_e32 vcc, 0, v14
	v_cndmask_b32_e32 v2, v6, v2, vcc
	v_cndmask_b32_e32 v6, v15, v16, vcc
	v_mov_b32_e32 v14, 0x3b800000
	v_lshlrev_b32_e32 v2, 20, v2
	v_lshl_add_u32 v6, v6, 23, v14
	v_or3_b32 v6, v13, v6, v2
.LBB1_288:
	s_or_b64 exec, exec, s[6:7]
	s_nop 0
	v_mfma_f32_16x16x4f32 a[0:3], v12, v6, a[0:3]
	s_movk_i32 s4, 0x7f
	v_cmp_gt_i16_sdwa s[6:7], v7, s4 src0_sel:BYTE_0 src1_sel:DWORD
	s_mov_b64 s[4:5], 0
                                        ; implicit-def: $sgpr10
	s_and_saveexec_b64 s[8:9], s[6:7]
	s_xor_b64 s[6:7], exec, s[8:9]
	s_cbranch_execz .LBB1_289
; %bb.36129:
	s_getpc_b64 s[14:15]
.Lpost_getpc3728:
	s_add_u32 s14, s14, (.LBB1_14625-.Lpost_getpc3728)&4294967295
	s_addc_u32 s15, s15, (.LBB1_14625-.Lpost_getpc3728)>>32
	s_setpc_b64 s[14:15]
.LBB1_289:
	s_or_saveexec_b64 s[6:7], s[6:7]
	v_mov_b32_e32 v2, s10
	s_xor_b64 exec, exec, s[6:7]
	s_cbranch_execz .LBB1_290
; %bb.36131:
	s_getpc_b64 s[14:15]
.Lpost_getpc3729:
	s_add_u32 s14, s14, (.LBB1_14628-.Lpost_getpc3729)&4294967295
	s_addc_u32 s15, s15, (.LBB1_14628-.Lpost_getpc3729)>>32
	s_setpc_b64 s[14:15]
.LBB1_290:
	s_or_b64 exec, exec, s[6:7]
	s_and_saveexec_b64 s[6:7], s[4:5]
	s_cbranch_execz .LBB1_292
.LBB1_291:
	v_and_b32_e32 v2, 7, v7
	v_ffbh_u32_e32 v12, v2
	v_min_u32_e32 v12, 32, v12
	v_lshrrev_b16_e32 v6, 3, v7
	v_subrev_u32_e32 v13, 28, v12
	v_and_b32_e32 v6, 15, v6
	v_lshlrev_b32_e32 v13, v13, v7
	v_sub_u32_e32 v12, 29, v12
	v_and_b32_e32 v13, 7, v13
	v_cmp_eq_u16_e32 vcc, 0, v6
	v_cndmask_b32_e32 v2, v2, v13, vcc
	v_cndmask_b32_e32 v6, v6, v12, vcc
	v_lshlrev_b32_e32 v12, 24, v7
	v_mov_b32_e32 v13, 0x3b800000
	v_lshlrev_b32_e32 v2, 20, v2
	v_and_b32_e32 v12, 0x80000000, v12
	v_lshl_add_u32 v6, v6, 23, v13
	v_or3_b32 v2, v12, v6, v2
.LBB1_292:
	s_or_b64 exec, exec, s[6:7]
	s_movk_i32 s4, 0x7f
	v_cmp_gt_i16_sdwa s[6:7], v3, s4 src0_sel:BYTE_0 src1_sel:DWORD
	s_mov_b64 s[4:5], 0
                                        ; implicit-def: $sgpr10
	s_and_saveexec_b64 s[8:9], s[6:7]
	s_xor_b64 s[6:7], exec, s[8:9]
	s_cbranch_execz .LBB1_293
; %bb.36133:
	s_getpc_b64 s[14:15]
.Lpost_getpc3730:
	s_add_u32 s14, s14, (.LBB1_14629-.Lpost_getpc3730)&4294967295
	s_addc_u32 s15, s15, (.LBB1_14629-.Lpost_getpc3730)>>32
	s_setpc_b64 s[14:15]
.LBB1_293:
	s_or_saveexec_b64 s[6:7], s[6:7]
	v_mov_b32_e32 v6, s10
	s_xor_b64 exec, exec, s[6:7]
	s_cbranch_execz .LBB1_294
; %bb.36135:
	s_getpc_b64 s[14:15]
.Lpost_getpc3731:
	s_add_u32 s14, s14, (.LBB1_14632-.Lpost_getpc3731)&4294967295
	s_addc_u32 s15, s15, (.LBB1_14632-.Lpost_getpc3731)>>32
	s_setpc_b64 s[14:15]
.LBB1_294:
	s_or_b64 exec, exec, s[6:7]
	s_and_saveexec_b64 s[6:7], s[4:5]
	s_cbranch_execz .LBB1_296
.LBB1_295:
	v_and_b32_e32 v6, 7, v3
	v_ffbh_u32_e32 v13, v6
	v_min_u32_e32 v13, 32, v13
	v_lshrrev_b16_e32 v12, 3, v3
	v_subrev_u32_e32 v14, 28, v13
	v_and_b32_e32 v12, 15, v12
	v_lshlrev_b32_e32 v14, v14, v3
	v_sub_u32_e32 v13, 29, v13
	v_and_b32_e32 v14, 7, v14
	v_cmp_eq_u16_e32 vcc, 0, v12
	v_cndmask_b32_e32 v6, v6, v14, vcc
	v_cndmask_b32_e32 v12, v12, v13, vcc
	v_lshlrev_b32_e32 v13, 24, v3
	v_mov_b32_e32 v14, 0x3b800000
	v_lshlrev_b32_e32 v6, 20, v6
	v_and_b32_e32 v13, 0x80000000, v13
	v_lshl_add_u32 v12, v12, 23, v14
	v_or3_b32 v6, v13, v12, v6
.LBB1_296:
	s_or_b64 exec, exec, s[6:7]
	s_nop 0
	v_mfma_f32_16x16x4f32 a[0:3], v2, v6, a[0:3]
	v_lshrrev_b32_e32 v6, 8, v7
	s_movk_i32 s4, 0x7f
	v_cmp_gt_i16_sdwa s[6:7], v6, s4 src0_sel:BYTE_0 src1_sel:DWORD
	s_mov_b64 s[4:5], 0
                                        ; implicit-def: $sgpr10
	s_and_saveexec_b64 s[8:9], s[6:7]
	s_xor_b64 s[6:7], exec, s[8:9]
	s_cbranch_execz .LBB1_297
; %bb.36137:
	s_getpc_b64 s[14:15]
.Lpost_getpc3732:
	s_add_u32 s14, s14, (.LBB1_14633-.Lpost_getpc3732)&4294967295
	s_addc_u32 s15, s15, (.LBB1_14633-.Lpost_getpc3732)>>32
	s_setpc_b64 s[14:15]
.LBB1_297:
	s_or_saveexec_b64 s[6:7], s[6:7]
	v_mov_b32_e32 v2, s10
	s_xor_b64 exec, exec, s[6:7]
	s_cbranch_execz .LBB1_298
; %bb.36139:
	s_getpc_b64 s[14:15]
.Lpost_getpc3733:
	s_add_u32 s14, s14, (.LBB1_14636-.Lpost_getpc3733)&4294967295
	s_addc_u32 s15, s15, (.LBB1_14636-.Lpost_getpc3733)>>32
	s_setpc_b64 s[14:15]
.LBB1_298:
	s_or_b64 exec, exec, s[6:7]
	s_and_saveexec_b64 s[6:7], s[4:5]
	s_cbranch_execz .LBB1_300
.LBB1_299:
	v_bfe_u32 v2, v7, 8, 3
	v_ffbh_u32_e32 v13, v2
	v_min_u32_e32 v13, 32, v13
	v_lshrrev_b16_e32 v12, 3, v6
	v_subrev_u32_e32 v14, 28, v13
	v_and_b32_e32 v12, 15, v12
	v_lshlrev_b32_e32 v6, v14, v6
	v_sub_u32_e32 v13, 29, v13
	v_and_b32_e32 v6, 7, v6
	v_cmp_eq_u16_e32 vcc, 0, v12
	v_cndmask_b32_e32 v2, v2, v6, vcc
	v_cndmask_b32_e32 v6, v12, v13, vcc
	v_lshlrev_b32_e32 v12, 16, v7
	v_mov_b32_e32 v13, 0x3b800000
	v_lshlrev_b32_e32 v2, 20, v2
	v_and_b32_e32 v12, 0x80000000, v12
	v_lshl_add_u32 v6, v6, 23, v13
	v_or3_b32 v2, v12, v6, v2
.LBB1_300:
	s_or_b64 exec, exec, s[6:7]
	v_lshrrev_b32_e32 v6, 8, v3
	s_movk_i32 s4, 0x7f
	v_cmp_gt_i16_sdwa s[6:7], v6, s4 src0_sel:BYTE_0 src1_sel:DWORD
	s_mov_b64 s[4:5], 0
                                        ; implicit-def: $sgpr10
	s_and_saveexec_b64 s[8:9], s[6:7]
	s_xor_b64 s[6:7], exec, s[8:9]
	s_cbranch_execz .LBB1_301
; %bb.36141:
	s_getpc_b64 s[14:15]
.Lpost_getpc3734:
	s_add_u32 s14, s14, (.LBB1_14637-.Lpost_getpc3734)&4294967295
	s_addc_u32 s15, s15, (.LBB1_14637-.Lpost_getpc3734)>>32
	s_setpc_b64 s[14:15]
.LBB1_301:
	s_or_saveexec_b64 s[6:7], s[6:7]
	v_mov_b32_e32 v12, s10
	s_xor_b64 exec, exec, s[6:7]
	s_cbranch_execz .LBB1_302
; %bb.36143:
	s_getpc_b64 s[14:15]
.Lpost_getpc3735:
	s_add_u32 s14, s14, (.LBB1_14640-.Lpost_getpc3735)&4294967295
	s_addc_u32 s15, s15, (.LBB1_14640-.Lpost_getpc3735)>>32
	s_setpc_b64 s[14:15]
.LBB1_302:
	s_or_b64 exec, exec, s[6:7]
	s_and_saveexec_b64 s[6:7], s[4:5]
	s_cbranch_execz .LBB1_304
.LBB1_303:
	v_bfe_u32 v12, v3, 8, 3
	v_ffbh_u32_e32 v14, v12
	v_min_u32_e32 v14, 32, v14
	v_lshrrev_b16_e32 v13, 3, v6
	v_subrev_u32_e32 v15, 28, v14
	v_and_b32_e32 v13, 15, v13
	v_lshlrev_b32_e32 v6, v15, v6
	v_sub_u32_e32 v14, 29, v14
	v_and_b32_e32 v6, 7, v6
	v_cmp_eq_u16_e32 vcc, 0, v13
	v_cndmask_b32_e32 v6, v12, v6, vcc
	v_cndmask_b32_e32 v12, v13, v14, vcc
	v_lshlrev_b32_e32 v13, 16, v3
	v_mov_b32_e32 v14, 0x3b800000
	v_lshlrev_b32_e32 v6, 20, v6
	v_and_b32_e32 v13, 0x80000000, v13
	v_lshl_add_u32 v12, v12, 23, v14
	v_or3_b32 v12, v13, v12, v6
.LBB1_304:
	s_or_b64 exec, exec, s[6:7]
	s_nop 0
	v_mfma_f32_16x16x4f32 a[0:3], v2, v12, a[0:3]
	s_movk_i32 s4, 0xff
	v_and_b32_sdwa v6, v7, s4 dst_sel:DWORD dst_unused:UNUSED_PAD src0_sel:WORD_1 src1_sel:DWORD
	s_movk_i32 s4, 0x7f
	v_cmp_lt_i16_e32 vcc, s4, v6
	s_mov_b64 s[4:5], 0
                                        ; implicit-def: $sgpr10
	s_and_saveexec_b64 s[6:7], vcc
	s_xor_b64 s[6:7], exec, s[6:7]
	s_cbranch_execz .LBB1_305
; %bb.36145:
	s_getpc_b64 s[14:15]
.Lpost_getpc3736:
	s_add_u32 s14, s14, (.LBB1_14641-.Lpost_getpc3736)&4294967295
	s_addc_u32 s15, s15, (.LBB1_14641-.Lpost_getpc3736)>>32
	s_setpc_b64 s[14:15]
.LBB1_305:
	s_or_saveexec_b64 s[6:7], s[6:7]
	v_mov_b32_e32 v2, s10
	s_xor_b64 exec, exec, s[6:7]
	s_cbranch_execz .LBB1_306
; %bb.36147:
	s_getpc_b64 s[14:15]
.Lpost_getpc3737:
	s_add_u32 s14, s14, (.LBB1_14644-.Lpost_getpc3737)&4294967295
	s_addc_u32 s15, s15, (.LBB1_14644-.Lpost_getpc3737)>>32
	s_setpc_b64 s[14:15]
.LBB1_306:
	s_or_b64 exec, exec, s[6:7]
	s_and_saveexec_b64 s[6:7], s[4:5]
	s_cbranch_execz .LBB1_308
.LBB1_307:
	v_bfe_u32 v2, v7, 16, 3
	v_ffbh_u32_e32 v13, v2
	v_min_u32_e32 v13, 32, v13
	v_lshrrev_b32_e32 v6, 19, v7
	v_subrev_u32_e32 v14, 28, v13
	v_and_b32_e32 v6, 15, v6
	v_lshlrev_b32_sdwa v14, v14, v7 dst_sel:DWORD dst_unused:UNUSED_PAD src0_sel:DWORD src1_sel:WORD_1
	v_bfe_u32 v12, v7, 19, 4
	v_sub_u32_e32 v13, 29, v13
	v_and_b32_e32 v14, 7, v14
	v_cmp_eq_u16_e32 vcc, 0, v6
	v_cndmask_b32_e32 v2, v2, v14, vcc
	v_cndmask_b32_e32 v6, v12, v13, vcc
	v_lshlrev_b32_e32 v12, 8, v7
	v_mov_b32_e32 v13, 0x3b800000
	v_lshlrev_b32_e32 v2, 20, v2
	v_and_b32_e32 v12, 0x80000000, v12
	v_lshl_add_u32 v6, v6, 23, v13
	v_or3_b32 v2, v12, v6, v2
.LBB1_308:
	s_or_b64 exec, exec, s[6:7]
	s_movk_i32 s4, 0xff
	v_and_b32_sdwa v6, v3, s4 dst_sel:DWORD dst_unused:UNUSED_PAD src0_sel:WORD_1 src1_sel:DWORD
	s_movk_i32 s4, 0x7f
	v_cmp_lt_i16_e32 vcc, s4, v6
	s_mov_b64 s[4:5], 0
                                        ; implicit-def: $sgpr10
	s_and_saveexec_b64 s[6:7], vcc
	s_xor_b64 s[6:7], exec, s[6:7]
	s_cbranch_execz .LBB1_309
; %bb.36149:
	s_getpc_b64 s[14:15]
.Lpost_getpc3738:
	s_add_u32 s14, s14, (.LBB1_14645-.Lpost_getpc3738)&4294967295
	s_addc_u32 s15, s15, (.LBB1_14645-.Lpost_getpc3738)>>32
	s_setpc_b64 s[14:15]
.LBB1_309:
	s_or_saveexec_b64 s[6:7], s[6:7]
	v_mov_b32_e32 v12, s10
	s_xor_b64 exec, exec, s[6:7]
	s_cbranch_execz .LBB1_310
; %bb.36151:
	s_getpc_b64 s[14:15]
.Lpost_getpc3739:
	s_add_u32 s14, s14, (.LBB1_14648-.Lpost_getpc3739)&4294967295
	s_addc_u32 s15, s15, (.LBB1_14648-.Lpost_getpc3739)>>32
	s_setpc_b64 s[14:15]
.LBB1_310:
	s_or_b64 exec, exec, s[6:7]
	s_and_saveexec_b64 s[6:7], s[4:5]
	s_cbranch_execz .LBB1_312
.LBB1_311:
	v_bfe_u32 v6, v3, 16, 3
	v_ffbh_u32_e32 v14, v6
	v_min_u32_e32 v14, 32, v14
	v_lshrrev_b32_e32 v12, 19, v3
	v_subrev_u32_e32 v15, 28, v14
	v_and_b32_e32 v12, 15, v12
	v_lshlrev_b32_sdwa v15, v15, v3 dst_sel:DWORD dst_unused:UNUSED_PAD src0_sel:DWORD src1_sel:WORD_1
	v_bfe_u32 v13, v3, 19, 4
	v_sub_u32_e32 v14, 29, v14
	v_and_b32_e32 v15, 7, v15
	v_cmp_eq_u16_e32 vcc, 0, v12
	v_cndmask_b32_e32 v6, v6, v15, vcc
	v_cndmask_b32_e32 v12, v13, v14, vcc
	v_lshlrev_b32_e32 v13, 8, v3
	v_mov_b32_e32 v14, 0x3b800000
	v_lshlrev_b32_e32 v6, 20, v6
	v_and_b32_e32 v13, 0x80000000, v13
	v_lshl_add_u32 v12, v12, 23, v14
	v_or3_b32 v12, v13, v12, v6
.LBB1_312:
	s_or_b64 exec, exec, s[6:7]
	s_nop 0
	v_mfma_f32_16x16x4f32 a[0:3], v2, v12, a[0:3]
	s_movk_i32 s4, 0x7f
	v_cmp_gt_i16_sdwa s[6:7], v7, s4 src0_sel:BYTE_3 src1_sel:DWORD
	s_mov_b64 s[4:5], 0
                                        ; implicit-def: $sgpr10
	s_and_saveexec_b64 s[8:9], s[6:7]
	s_xor_b64 s[6:7], exec, s[8:9]
	s_cbranch_execz .LBB1_313
; %bb.36153:
	s_getpc_b64 s[14:15]
.Lpost_getpc3740:
	s_add_u32 s14, s14, (.LBB1_14649-.Lpost_getpc3740)&4294967295
	s_addc_u32 s15, s15, (.LBB1_14649-.Lpost_getpc3740)>>32
	s_setpc_b64 s[14:15]
.LBB1_313:
	s_or_saveexec_b64 s[6:7], s[6:7]
	v_mov_b32_e32 v2, s10
	s_xor_b64 exec, exec, s[6:7]
	s_cbranch_execz .LBB1_314
; %bb.36155:
	s_getpc_b64 s[14:15]
.Lpost_getpc3741:
	s_add_u32 s14, s14, (.LBB1_14652-.Lpost_getpc3741)&4294967295
	s_addc_u32 s15, s15, (.LBB1_14652-.Lpost_getpc3741)>>32
	s_setpc_b64 s[14:15]
.LBB1_314:
	s_or_b64 exec, exec, s[6:7]
	s_and_saveexec_b64 s[6:7], s[4:5]
	s_cbranch_execz .LBB1_316
.LBB1_315:
	v_bfe_u32 v2, v7, 24, 3
	v_ffbh_u32_e32 v14, v2
	v_min_u32_e32 v14, 32, v14
	v_lshrrev_b32_e32 v12, 27, v7
	v_subrev_u32_e32 v15, 28, v14
	v_and_b32_e32 v6, 0x80000000, v7
	v_and_b32_e32 v12, 15, v12
	v_bfe_u32 v13, v7, 27, 4
	v_lshlrev_b32_sdwa v7, v15, v7 dst_sel:DWORD dst_unused:UNUSED_PAD src0_sel:DWORD src1_sel:BYTE_3
	v_sub_u32_e32 v14, 29, v14
	v_and_b32_e32 v7, 7, v7
	v_cmp_eq_u16_e32 vcc, 0, v12
	v_cndmask_b32_e32 v2, v2, v7, vcc
	v_cndmask_b32_e32 v7, v13, v14, vcc
	v_mov_b32_e32 v12, 0x3b800000
	v_lshlrev_b32_e32 v2, 20, v2
	v_lshl_add_u32 v7, v7, 23, v12
	v_or3_b32 v2, v6, v7, v2
.LBB1_316:
	s_or_b64 exec, exec, s[6:7]
	s_movk_i32 s4, 0x7f
	v_cmp_gt_i16_sdwa s[6:7], v3, s4 src0_sel:BYTE_3 src1_sel:DWORD
	s_mov_b64 s[4:5], 0
                                        ; implicit-def: $sgpr10
	s_and_saveexec_b64 s[8:9], s[6:7]
	s_xor_b64 s[6:7], exec, s[8:9]
	s_cbranch_execz .LBB1_317
; %bb.36157:
	s_getpc_b64 s[14:15]
.Lpost_getpc3742:
	s_add_u32 s14, s14, (.LBB1_14653-.Lpost_getpc3742)&4294967295
	s_addc_u32 s15, s15, (.LBB1_14653-.Lpost_getpc3742)>>32
	s_setpc_b64 s[14:15]
.LBB1_317:
	s_or_saveexec_b64 s[6:7], s[6:7]
	v_mov_b32_e32 v6, s10
	s_xor_b64 exec, exec, s[6:7]
	s_cbranch_execz .LBB1_318
; %bb.36159:
	s_getpc_b64 s[14:15]
.Lpost_getpc3743:
	s_add_u32 s14, s14, (.LBB1_14656-.Lpost_getpc3743)&4294967295
	s_addc_u32 s15, s15, (.LBB1_14656-.Lpost_getpc3743)>>32
	s_setpc_b64 s[14:15]
.LBB1_318:
	s_or_b64 exec, exec, s[6:7]
	s_and_saveexec_b64 s[6:7], s[4:5]
	s_cbranch_execz .LBB1_320
.LBB1_319:
	v_bfe_u32 v6, v3, 24, 3
	v_ffbh_u32_e32 v14, v6
	v_min_u32_e32 v14, 32, v14
	v_lshrrev_b32_e32 v12, 27, v3
	v_subrev_u32_e32 v15, 28, v14
	v_and_b32_e32 v7, 0x80000000, v3
	v_and_b32_e32 v12, 15, v12
	v_bfe_u32 v13, v3, 27, 4
	v_lshlrev_b32_sdwa v3, v15, v3 dst_sel:DWORD dst_unused:UNUSED_PAD src0_sel:DWORD src1_sel:BYTE_3
	v_sub_u32_e32 v14, 29, v14
	v_and_b32_e32 v3, 7, v3
	v_cmp_eq_u16_e32 vcc, 0, v12
	v_cndmask_b32_e32 v3, v6, v3, vcc
	v_cndmask_b32_e32 v6, v13, v14, vcc
	v_mov_b32_e32 v12, 0x3b800000
	v_lshlrev_b32_e32 v3, 20, v3
	v_lshl_add_u32 v6, v6, 23, v12
	v_or3_b32 v6, v7, v6, v3
.LBB1_320:
	s_or_b64 exec, exec, s[6:7]
	s_nop 0
	v_mfma_f32_16x16x4f32 a[0:3], v2, v6, a[0:3]
	s_movk_i32 s4, 0x7f
	v_cmp_gt_i16_sdwa s[6:7], v8, s4 src0_sel:BYTE_0 src1_sel:DWORD
	s_mov_b64 s[4:5], 0
                                        ; implicit-def: $sgpr10
	s_and_saveexec_b64 s[8:9], s[6:7]
	s_xor_b64 s[6:7], exec, s[8:9]
	s_cbranch_execz .LBB1_321
; %bb.36161:
	s_getpc_b64 s[14:15]
.Lpost_getpc3744:
	s_add_u32 s14, s14, (.LBB1_14657-.Lpost_getpc3744)&4294967295
	s_addc_u32 s15, s15, (.LBB1_14657-.Lpost_getpc3744)>>32
	s_setpc_b64 s[14:15]
.LBB1_321:
	s_or_saveexec_b64 s[6:7], s[6:7]
	v_mov_b32_e32 v2, s10
	s_xor_b64 exec, exec, s[6:7]
	s_cbranch_execz .LBB1_322
; %bb.36163:
	s_getpc_b64 s[14:15]
.Lpost_getpc3745:
	s_add_u32 s14, s14, (.LBB1_14660-.Lpost_getpc3745)&4294967295
	s_addc_u32 s15, s15, (.LBB1_14660-.Lpost_getpc3745)>>32
	s_setpc_b64 s[14:15]
.LBB1_322:
	s_or_b64 exec, exec, s[6:7]
	s_and_saveexec_b64 s[6:7], s[4:5]
	s_cbranch_execz .LBB1_324
.LBB1_323:
	v_and_b32_e32 v2, 7, v8
	v_ffbh_u32_e32 v6, v2
	v_min_u32_e32 v6, 32, v6
	v_lshrrev_b16_e32 v3, 3, v8
	v_subrev_u32_e32 v7, 28, v6
	v_and_b32_e32 v3, 15, v3
	v_lshlrev_b32_e32 v7, v7, v8
	v_sub_u32_e32 v6, 29, v6
	v_and_b32_e32 v7, 7, v7
	v_cmp_eq_u16_e32 vcc, 0, v3
	v_cndmask_b32_e32 v2, v2, v7, vcc
	v_cndmask_b32_e32 v3, v3, v6, vcc
	v_lshlrev_b32_e32 v6, 24, v8
	v_mov_b32_e32 v7, 0x3b800000
	v_lshlrev_b32_e32 v2, 20, v2
	v_and_b32_e32 v6, 0x80000000, v6
	v_lshl_add_u32 v3, v3, 23, v7
	v_or3_b32 v2, v6, v3, v2
.LBB1_324:
	s_or_b64 exec, exec, s[6:7]
	s_movk_i32 s4, 0x7f
	v_cmp_gt_i16_sdwa s[6:7], v4, s4 src0_sel:BYTE_0 src1_sel:DWORD
	s_mov_b64 s[4:5], 0
                                        ; implicit-def: $sgpr10
	s_and_saveexec_b64 s[8:9], s[6:7]
	s_xor_b64 s[6:7], exec, s[8:9]
	s_cbranch_execz .LBB1_325
; %bb.36165:
	s_getpc_b64 s[14:15]
.Lpost_getpc3746:
	s_add_u32 s14, s14, (.LBB1_14661-.Lpost_getpc3746)&4294967295
	s_addc_u32 s15, s15, (.LBB1_14661-.Lpost_getpc3746)>>32
	s_setpc_b64 s[14:15]
.LBB1_325:
	s_or_saveexec_b64 s[6:7], s[6:7]
	v_mov_b32_e32 v3, s10
	s_xor_b64 exec, exec, s[6:7]
	s_cbranch_execz .LBB1_326
; %bb.36167:
	s_getpc_b64 s[14:15]
.Lpost_getpc3747:
	s_add_u32 s14, s14, (.LBB1_14664-.Lpost_getpc3747)&4294967295
	s_addc_u32 s15, s15, (.LBB1_14664-.Lpost_getpc3747)>>32
	s_setpc_b64 s[14:15]
.LBB1_326:
	s_or_b64 exec, exec, s[6:7]
	s_and_saveexec_b64 s[6:7], s[4:5]
	s_cbranch_execz .LBB1_328
.LBB1_327:
	v_and_b32_e32 v3, 7, v4
	v_ffbh_u32_e32 v7, v3
	v_min_u32_e32 v7, 32, v7
	v_lshrrev_b16_e32 v6, 3, v4
	v_subrev_u32_e32 v12, 28, v7
	v_and_b32_e32 v6, 15, v6
	v_lshlrev_b32_e32 v12, v12, v4
	v_sub_u32_e32 v7, 29, v7
	v_and_b32_e32 v12, 7, v12
	v_cmp_eq_u16_e32 vcc, 0, v6
	v_cndmask_b32_e32 v3, v3, v12, vcc
	v_cndmask_b32_e32 v6, v6, v7, vcc
	v_lshlrev_b32_e32 v7, 24, v4
	v_mov_b32_e32 v12, 0x3b800000
	v_lshlrev_b32_e32 v3, 20, v3
	v_and_b32_e32 v7, 0x80000000, v7
	v_lshl_add_u32 v6, v6, 23, v12
	v_or3_b32 v3, v7, v6, v3
.LBB1_328:
	s_or_b64 exec, exec, s[6:7]
	s_nop 0
	v_mfma_f32_16x16x4f32 a[0:3], v2, v3, a[0:3]
	v_lshrrev_b32_e32 v3, 8, v8
	s_movk_i32 s4, 0x7f
	v_cmp_gt_i16_sdwa s[6:7], v3, s4 src0_sel:BYTE_0 src1_sel:DWORD
	s_mov_b64 s[4:5], 0
                                        ; implicit-def: $sgpr10
	s_and_saveexec_b64 s[8:9], s[6:7]
	s_xor_b64 s[6:7], exec, s[8:9]
	s_cbranch_execz .LBB1_329
; %bb.36169:
	s_getpc_b64 s[14:15]
.Lpost_getpc3748:
	s_add_u32 s14, s14, (.LBB1_14665-.Lpost_getpc3748)&4294967295
	s_addc_u32 s15, s15, (.LBB1_14665-.Lpost_getpc3748)>>32
	s_setpc_b64 s[14:15]
.LBB1_329:
	s_or_saveexec_b64 s[6:7], s[6:7]
	v_mov_b32_e32 v2, s10
	s_xor_b64 exec, exec, s[6:7]
	s_cbranch_execz .LBB1_330
; %bb.36171:
	s_getpc_b64 s[14:15]
.Lpost_getpc3749:
	s_add_u32 s14, s14, (.LBB1_14668-.Lpost_getpc3749)&4294967295
	s_addc_u32 s15, s15, (.LBB1_14668-.Lpost_getpc3749)>>32
	s_setpc_b64 s[14:15]
.LBB1_330:
	s_or_b64 exec, exec, s[6:7]
	s_and_saveexec_b64 s[6:7], s[4:5]
	s_cbranch_execz .LBB1_332
.LBB1_331:
	v_bfe_u32 v2, v8, 8, 3
	v_ffbh_u32_e32 v7, v2
	v_min_u32_e32 v7, 32, v7
	v_lshrrev_b16_e32 v6, 3, v3
	v_subrev_u32_e32 v12, 28, v7
	v_and_b32_e32 v6, 15, v6
	v_lshlrev_b32_e32 v3, v12, v3
	v_sub_u32_e32 v7, 29, v7
	v_and_b32_e32 v3, 7, v3
	v_cmp_eq_u16_e32 vcc, 0, v6
	v_cndmask_b32_e32 v2, v2, v3, vcc
	v_cndmask_b32_e32 v3, v6, v7, vcc
	v_lshlrev_b32_e32 v6, 16, v8
	v_mov_b32_e32 v7, 0x3b800000
	v_lshlrev_b32_e32 v2, 20, v2
	v_and_b32_e32 v6, 0x80000000, v6
	v_lshl_add_u32 v3, v3, 23, v7
	v_or3_b32 v2, v6, v3, v2
.LBB1_332:
	s_or_b64 exec, exec, s[6:7]
	v_lshrrev_b32_e32 v3, 8, v4
	s_movk_i32 s4, 0x7f
	v_cmp_gt_i16_sdwa s[6:7], v3, s4 src0_sel:BYTE_0 src1_sel:DWORD
	s_mov_b64 s[4:5], 0
                                        ; implicit-def: $sgpr10
	s_and_saveexec_b64 s[8:9], s[6:7]
	s_xor_b64 s[6:7], exec, s[8:9]
	s_cbranch_execz .LBB1_333
; %bb.36173:
	s_getpc_b64 s[14:15]
.Lpost_getpc3750:
	s_add_u32 s14, s14, (.LBB1_14669-.Lpost_getpc3750)&4294967295
	s_addc_u32 s15, s15, (.LBB1_14669-.Lpost_getpc3750)>>32
	s_setpc_b64 s[14:15]
.LBB1_333:
	s_or_saveexec_b64 s[6:7], s[6:7]
	v_mov_b32_e32 v6, s10
	s_xor_b64 exec, exec, s[6:7]
	s_cbranch_execz .LBB1_334
; %bb.36175:
	s_getpc_b64 s[14:15]
.Lpost_getpc3751:
	s_add_u32 s14, s14, (.LBB1_14672-.Lpost_getpc3751)&4294967295
	s_addc_u32 s15, s15, (.LBB1_14672-.Lpost_getpc3751)>>32
	s_setpc_b64 s[14:15]
.LBB1_334:
	s_or_b64 exec, exec, s[6:7]
	s_and_saveexec_b64 s[6:7], s[4:5]
	s_cbranch_execz .LBB1_336
.LBB1_335:
	v_bfe_u32 v6, v4, 8, 3
	v_ffbh_u32_e32 v12, v6
	v_min_u32_e32 v12, 32, v12
	v_lshrrev_b16_e32 v7, 3, v3
	v_subrev_u32_e32 v13, 28, v12
	v_and_b32_e32 v7, 15, v7
	v_lshlrev_b32_e32 v3, v13, v3
	v_sub_u32_e32 v12, 29, v12
	v_and_b32_e32 v3, 7, v3
	v_cmp_eq_u16_e32 vcc, 0, v7
	v_cndmask_b32_e32 v3, v6, v3, vcc
	v_cndmask_b32_e32 v6, v7, v12, vcc
	v_lshlrev_b32_e32 v7, 16, v4
	v_mov_b32_e32 v12, 0x3b800000
	v_lshlrev_b32_e32 v3, 20, v3
	v_and_b32_e32 v7, 0x80000000, v7
	v_lshl_add_u32 v6, v6, 23, v12
	v_or3_b32 v6, v7, v6, v3
.LBB1_336:
	s_or_b64 exec, exec, s[6:7]
	s_nop 0
	v_mfma_f32_16x16x4f32 a[0:3], v2, v6, a[0:3]
	s_movk_i32 s4, 0xff
	v_and_b32_sdwa v3, v8, s4 dst_sel:DWORD dst_unused:UNUSED_PAD src0_sel:WORD_1 src1_sel:DWORD
	s_movk_i32 s4, 0x7f
	v_cmp_lt_i16_e32 vcc, s4, v3
	s_mov_b64 s[4:5], 0
                                        ; implicit-def: $sgpr10
	s_and_saveexec_b64 s[6:7], vcc
	s_xor_b64 s[6:7], exec, s[6:7]
	s_cbranch_execz .LBB1_337
; %bb.36177:
	s_getpc_b64 s[14:15]
.Lpost_getpc3752:
	s_add_u32 s14, s14, (.LBB1_14673-.Lpost_getpc3752)&4294967295
	s_addc_u32 s15, s15, (.LBB1_14673-.Lpost_getpc3752)>>32
	s_setpc_b64 s[14:15]
.LBB1_337:
	s_or_saveexec_b64 s[6:7], s[6:7]
	v_mov_b32_e32 v2, s10
	s_xor_b64 exec, exec, s[6:7]
	s_cbranch_execz .LBB1_338
; %bb.36179:
	s_getpc_b64 s[14:15]
.Lpost_getpc3753:
	s_add_u32 s14, s14, (.LBB1_14676-.Lpost_getpc3753)&4294967295
	s_addc_u32 s15, s15, (.LBB1_14676-.Lpost_getpc3753)>>32
	s_setpc_b64 s[14:15]
.LBB1_338:
	s_or_b64 exec, exec, s[6:7]
	s_and_saveexec_b64 s[6:7], s[4:5]
	s_cbranch_execz .LBB1_340
.LBB1_339:
	v_bfe_u32 v2, v8, 16, 3
	v_ffbh_u32_e32 v7, v2
	v_min_u32_e32 v7, 32, v7
	v_lshrrev_b32_e32 v3, 19, v8
	v_subrev_u32_e32 v12, 28, v7
	v_and_b32_e32 v3, 15, v3
	v_lshlrev_b32_sdwa v12, v12, v8 dst_sel:DWORD dst_unused:UNUSED_PAD src0_sel:DWORD src1_sel:WORD_1
	v_bfe_u32 v6, v8, 19, 4
	v_sub_u32_e32 v7, 29, v7
	v_and_b32_e32 v12, 7, v12
	v_cmp_eq_u16_e32 vcc, 0, v3
	v_cndmask_b32_e32 v2, v2, v12, vcc
	v_cndmask_b32_e32 v3, v6, v7, vcc
	v_lshlrev_b32_e32 v6, 8, v8
	v_mov_b32_e32 v7, 0x3b800000
	v_lshlrev_b32_e32 v2, 20, v2
	v_and_b32_e32 v6, 0x80000000, v6
	v_lshl_add_u32 v3, v3, 23, v7
	v_or3_b32 v2, v6, v3, v2
.LBB1_340:
	s_or_b64 exec, exec, s[6:7]
	s_movk_i32 s4, 0xff
	v_and_b32_sdwa v3, v4, s4 dst_sel:DWORD dst_unused:UNUSED_PAD src0_sel:WORD_1 src1_sel:DWORD
	s_movk_i32 s4, 0x7f
	v_cmp_lt_i16_e32 vcc, s4, v3
	s_mov_b64 s[4:5], 0
                                        ; implicit-def: $sgpr10
	s_and_saveexec_b64 s[6:7], vcc
	s_xor_b64 s[6:7], exec, s[6:7]
	s_cbranch_execz .LBB1_341
; %bb.36181:
	s_getpc_b64 s[14:15]
.Lpost_getpc3754:
	s_add_u32 s14, s14, (.LBB1_14677-.Lpost_getpc3754)&4294967295
	s_addc_u32 s15, s15, (.LBB1_14677-.Lpost_getpc3754)>>32
	s_setpc_b64 s[14:15]
.LBB1_341:
	s_or_saveexec_b64 s[6:7], s[6:7]
	v_mov_b32_e32 v6, s10
	s_xor_b64 exec, exec, s[6:7]
	s_cbranch_execz .LBB1_342
; %bb.36183:
	s_getpc_b64 s[14:15]
.Lpost_getpc3755:
	s_add_u32 s14, s14, (.LBB1_14680-.Lpost_getpc3755)&4294967295
	s_addc_u32 s15, s15, (.LBB1_14680-.Lpost_getpc3755)>>32
	s_setpc_b64 s[14:15]
.LBB1_342:
	s_or_b64 exec, exec, s[6:7]
	s_and_saveexec_b64 s[6:7], s[4:5]
	s_cbranch_execz .LBB1_344
.LBB1_343:
	v_bfe_u32 v3, v4, 16, 3
	v_ffbh_u32_e32 v12, v3
	v_min_u32_e32 v12, 32, v12
	v_lshrrev_b32_e32 v6, 19, v4
	v_subrev_u32_e32 v13, 28, v12
	v_and_b32_e32 v6, 15, v6
	v_lshlrev_b32_sdwa v13, v13, v4 dst_sel:DWORD dst_unused:UNUSED_PAD src0_sel:DWORD src1_sel:WORD_1
	v_bfe_u32 v7, v4, 19, 4
	v_sub_u32_e32 v12, 29, v12
	v_and_b32_e32 v13, 7, v13
	v_cmp_eq_u16_e32 vcc, 0, v6
	v_cndmask_b32_e32 v3, v3, v13, vcc
	v_cndmask_b32_e32 v6, v7, v12, vcc
	v_lshlrev_b32_e32 v7, 8, v4
	v_mov_b32_e32 v12, 0x3b800000
	v_lshlrev_b32_e32 v3, 20, v3
	v_and_b32_e32 v7, 0x80000000, v7
	v_lshl_add_u32 v6, v6, 23, v12
	v_or3_b32 v6, v7, v6, v3
.LBB1_344:
	s_or_b64 exec, exec, s[6:7]
	s_nop 0
	v_mfma_f32_16x16x4f32 a[0:3], v2, v6, a[0:3]
	s_movk_i32 s4, 0x7f
	v_cmp_gt_i16_sdwa s[6:7], v8, s4 src0_sel:BYTE_3 src1_sel:DWORD
	s_mov_b64 s[4:5], 0
                                        ; implicit-def: $sgpr10
	s_and_saveexec_b64 s[8:9], s[6:7]
	s_xor_b64 s[6:7], exec, s[8:9]
	s_cbranch_execz .LBB1_345
; %bb.36185:
	s_getpc_b64 s[14:15]
.Lpost_getpc3756:
	s_add_u32 s14, s14, (.LBB1_14681-.Lpost_getpc3756)&4294967295
	s_addc_u32 s15, s15, (.LBB1_14681-.Lpost_getpc3756)>>32
	s_setpc_b64 s[14:15]
.LBB1_345:
	s_or_saveexec_b64 s[6:7], s[6:7]
	v_mov_b32_e32 v2, s10
	s_xor_b64 exec, exec, s[6:7]
	s_cbranch_execz .LBB1_346
; %bb.36187:
	s_getpc_b64 s[14:15]
.Lpost_getpc3757:
	s_add_u32 s14, s14, (.LBB1_14684-.Lpost_getpc3757)&4294967295
	s_addc_u32 s15, s15, (.LBB1_14684-.Lpost_getpc3757)>>32
	s_setpc_b64 s[14:15]
.LBB1_346:
	s_or_b64 exec, exec, s[6:7]
	s_and_saveexec_b64 s[6:7], s[4:5]
	s_cbranch_execz .LBB1_348
.LBB1_347:
	v_bfe_u32 v2, v8, 24, 3
	v_ffbh_u32_e32 v12, v2
	v_min_u32_e32 v12, 32, v12
	v_lshrrev_b32_e32 v6, 27, v8
	v_subrev_u32_e32 v13, 28, v12
	v_and_b32_e32 v3, 0x80000000, v8
	v_and_b32_e32 v6, 15, v6
	v_bfe_u32 v7, v8, 27, 4
	v_lshlrev_b32_sdwa v8, v13, v8 dst_sel:DWORD dst_unused:UNUSED_PAD src0_sel:DWORD src1_sel:BYTE_3
	v_sub_u32_e32 v12, 29, v12
	v_and_b32_e32 v8, 7, v8
	v_cmp_eq_u16_e32 vcc, 0, v6
	v_cndmask_b32_e32 v2, v2, v8, vcc
	v_cndmask_b32_e32 v6, v7, v12, vcc
	v_mov_b32_e32 v7, 0x3b800000
	v_lshlrev_b32_e32 v2, 20, v2
	v_lshl_add_u32 v6, v6, 23, v7
	v_or3_b32 v2, v3, v6, v2
.LBB1_348:
	s_or_b64 exec, exec, s[6:7]
	s_movk_i32 s4, 0x7f
	v_cmp_gt_i16_sdwa s[6:7], v4, s4 src0_sel:BYTE_3 src1_sel:DWORD
	s_mov_b64 s[4:5], 0
                                        ; implicit-def: $sgpr10
	s_and_saveexec_b64 s[8:9], s[6:7]
	s_xor_b64 s[6:7], exec, s[8:9]
	s_cbranch_execz .LBB1_349
; %bb.36189:
	s_getpc_b64 s[14:15]
.Lpost_getpc3758:
	s_add_u32 s14, s14, (.LBB1_14685-.Lpost_getpc3758)&4294967295
	s_addc_u32 s15, s15, (.LBB1_14685-.Lpost_getpc3758)>>32
	s_setpc_b64 s[14:15]
.LBB1_349:
	s_or_saveexec_b64 s[6:7], s[6:7]
	v_mov_b32_e32 v3, s10
	s_xor_b64 exec, exec, s[6:7]
	s_cbranch_execz .LBB1_350
; %bb.36191:
	s_getpc_b64 s[14:15]
.Lpost_getpc3759:
	s_add_u32 s14, s14, (.LBB1_14688-.Lpost_getpc3759)&4294967295
	s_addc_u32 s15, s15, (.LBB1_14688-.Lpost_getpc3759)>>32
	s_setpc_b64 s[14:15]
.LBB1_350:
	s_or_b64 exec, exec, s[6:7]
	s_and_saveexec_b64 s[6:7], s[4:5]
	s_cbranch_execz .LBB1_352
.LBB1_351:
	v_bfe_u32 v3, v4, 24, 3
	v_ffbh_u32_e32 v12, v3
	v_min_u32_e32 v12, 32, v12
	v_lshrrev_b32_e32 v7, 27, v4
	v_subrev_u32_e32 v13, 28, v12
	v_and_b32_e32 v6, 0x80000000, v4
	v_and_b32_e32 v7, 15, v7
	v_bfe_u32 v8, v4, 27, 4
	v_lshlrev_b32_sdwa v4, v13, v4 dst_sel:DWORD dst_unused:UNUSED_PAD src0_sel:DWORD src1_sel:BYTE_3
	v_sub_u32_e32 v12, 29, v12
	v_and_b32_e32 v4, 7, v4
	v_cmp_eq_u16_e32 vcc, 0, v7
	v_cndmask_b32_e32 v3, v3, v4, vcc
	v_cndmask_b32_e32 v4, v8, v12, vcc
	v_mov_b32_e32 v7, 0x3b800000
	v_lshlrev_b32_e32 v3, 20, v3
	v_lshl_add_u32 v4, v4, 23, v7
	v_or3_b32 v3, v6, v4, v3
.LBB1_352:
	s_or_b64 exec, exec, s[6:7]
	s_nop 0
	v_mfma_f32_16x16x4f32 a[0:3], v2, v3, a[0:3]
	s_movk_i32 s4, 0x7f
	v_cmp_gt_i16_sdwa s[6:7], v9, s4 src0_sel:BYTE_0 src1_sel:DWORD
	s_mov_b64 s[4:5], 0
                                        ; implicit-def: $sgpr10
	s_and_saveexec_b64 s[8:9], s[6:7]
	s_xor_b64 s[6:7], exec, s[8:9]
	s_cbranch_execz .LBB1_353
; %bb.36193:
	s_getpc_b64 s[14:15]
.Lpost_getpc3760:
	s_add_u32 s14, s14, (.LBB1_14689-.Lpost_getpc3760)&4294967295
	s_addc_u32 s15, s15, (.LBB1_14689-.Lpost_getpc3760)>>32
	s_setpc_b64 s[14:15]
.LBB1_353:
	s_or_saveexec_b64 s[6:7], s[6:7]
	v_mov_b32_e32 v2, s10
	s_xor_b64 exec, exec, s[6:7]
	s_cbranch_execz .LBB1_354
; %bb.36195:
	s_getpc_b64 s[14:15]
.Lpost_getpc3761:
	s_add_u32 s14, s14, (.LBB1_14692-.Lpost_getpc3761)&4294967295
	s_addc_u32 s15, s15, (.LBB1_14692-.Lpost_getpc3761)>>32
	s_setpc_b64 s[14:15]
.LBB1_354:
	s_or_b64 exec, exec, s[6:7]
	s_and_saveexec_b64 s[6:7], s[4:5]
	s_cbranch_execz .LBB1_356
.LBB1_355:
	v_mov_b32_e32 v2, 8
	v_and_b32_e32 v3, 7, v9
	v_lshrrev_b32_sdwa v2, v2, v9 dst_sel:BYTE_1 dst_unused:UNUSED_PAD src0_sel:DWORD src1_sel:DWORD
	v_ffbh_u32_e32 v4, v3
	v_or_b32_sdwa v2, v9, v2 dst_sel:DWORD dst_unused:UNUSED_PAD src0_sel:BYTE_0 src1_sel:DWORD
	v_min_u32_e32 v4, 32, v4
	v_lshrrev_b16_e32 v2, 3, v2
	v_subrev_u32_e32 v6, 28, v4
	v_and_b32_e32 v2, 15, v2
	v_lshlrev_b32_e32 v6, v6, v9
	v_sub_u32_e32 v4, 29, v4
	v_and_b32_e32 v6, 7, v6
	v_cmp_eq_u16_e32 vcc, 0, v2
	v_cndmask_b32_e32 v3, v3, v6, vcc
	v_cndmask_b32_e32 v2, v2, v4, vcc
	v_lshlrev_b32_e32 v4, 24, v9
	v_mov_b32_e32 v6, 0x3b800000
	v_lshlrev_b32_e32 v3, 20, v3
	v_and_b32_e32 v4, 0x80000000, v4
	v_lshl_add_u32 v2, v2, 23, v6
	v_or3_b32 v2, v4, v2, v3
.LBB1_356:
	s_or_b64 exec, exec, s[6:7]
	s_movk_i32 s4, 0x7f
	v_cmp_gt_i16_sdwa s[6:7], v5, s4 src0_sel:BYTE_0 src1_sel:DWORD
	s_mov_b64 s[4:5], 0
                                        ; implicit-def: $sgpr10
	s_and_saveexec_b64 s[8:9], s[6:7]
	s_xor_b64 s[6:7], exec, s[8:9]
	s_cbranch_execz .LBB1_357
; %bb.36197:
	s_getpc_b64 s[14:15]
.Lpost_getpc3762:
	s_add_u32 s14, s14, (.LBB1_14693-.Lpost_getpc3762)&4294967295
	s_addc_u32 s15, s15, (.LBB1_14693-.Lpost_getpc3762)>>32
	s_setpc_b64 s[14:15]
.LBB1_357:
	s_or_saveexec_b64 s[6:7], s[6:7]
	v_mov_b32_e32 v3, s10
	s_xor_b64 exec, exec, s[6:7]
	s_cbranch_execz .LBB1_358
; %bb.36199:
	s_getpc_b64 s[14:15]
.Lpost_getpc3763:
	s_add_u32 s14, s14, (.LBB1_14696-.Lpost_getpc3763)&4294967295
	s_addc_u32 s15, s15, (.LBB1_14696-.Lpost_getpc3763)>>32
	s_setpc_b64 s[14:15]
.LBB1_358:
	s_or_b64 exec, exec, s[6:7]
	s_and_saveexec_b64 s[6:7], s[4:5]
	s_cbranch_execz .LBB1_360
.LBB1_359:
	v_mov_b32_e32 v3, 8
	v_and_b32_e32 v4, 7, v5
	v_lshrrev_b32_sdwa v3, v3, v5 dst_sel:BYTE_1 dst_unused:UNUSED_PAD src0_sel:DWORD src1_sel:DWORD
	v_ffbh_u32_e32 v6, v4
	v_or_b32_sdwa v3, v5, v3 dst_sel:DWORD dst_unused:UNUSED_PAD src0_sel:BYTE_0 src1_sel:DWORD
	v_min_u32_e32 v6, 32, v6
	v_lshrrev_b16_e32 v3, 3, v3
	v_subrev_u32_e32 v7, 28, v6
	v_and_b32_e32 v3, 15, v3
	v_lshlrev_b32_e32 v7, v7, v5
	v_sub_u32_e32 v6, 29, v6
	v_and_b32_e32 v7, 7, v7
	v_cmp_eq_u16_e32 vcc, 0, v3
	v_cndmask_b32_e32 v4, v4, v7, vcc
	v_cndmask_b32_e32 v3, v3, v6, vcc
	v_lshlrev_b32_e32 v6, 24, v5
	v_mov_b32_e32 v7, 0x3b800000
	v_lshlrev_b32_e32 v4, 20, v4
	v_and_b32_e32 v6, 0x80000000, v6
	v_lshl_add_u32 v3, v3, 23, v7
	v_or3_b32 v3, v6, v3, v4
.LBB1_360:
	s_or_b64 exec, exec, s[6:7]
	s_nop 0
	v_mfma_f32_16x16x4f32 a[0:3], v2, v3, a[0:3]
	v_lshrrev_b32_e32 v3, 8, v9
	s_movk_i32 s4, 0x7f
	v_cmp_gt_i16_sdwa s[6:7], v3, s4 src0_sel:BYTE_0 src1_sel:DWORD
	s_mov_b64 s[4:5], 0
                                        ; implicit-def: $sgpr10
	s_and_saveexec_b64 s[8:9], s[6:7]
	s_xor_b64 s[6:7], exec, s[8:9]
	s_cbranch_execz .LBB1_361
; %bb.36201:
	s_getpc_b64 s[14:15]
.Lpost_getpc3764:
	s_add_u32 s14, s14, (.LBB1_14697-.Lpost_getpc3764)&4294967295
	s_addc_u32 s15, s15, (.LBB1_14697-.Lpost_getpc3764)>>32
	s_setpc_b64 s[14:15]
.LBB1_361:
	s_or_saveexec_b64 s[6:7], s[6:7]
	v_mov_b32_e32 v2, s10
	s_xor_b64 exec, exec, s[6:7]
	s_cbranch_execz .LBB1_362
; %bb.36203:
	s_getpc_b64 s[14:15]
.Lpost_getpc3765:
	s_add_u32 s14, s14, (.LBB1_14700-.Lpost_getpc3765)&4294967295
	s_addc_u32 s15, s15, (.LBB1_14700-.Lpost_getpc3765)>>32
	s_setpc_b64 s[14:15]
.LBB1_362:
	s_or_b64 exec, exec, s[6:7]
	s_and_saveexec_b64 s[6:7], s[4:5]
	s_cbranch_execz .LBB1_364
.LBB1_363:
	v_bfe_u32 v2, v9, 8, 3
	v_ffbh_u32_e32 v6, v2
	v_min_u32_e32 v6, 32, v6
	v_lshrrev_b16_e32 v4, 3, v3
	v_subrev_u32_e32 v7, 28, v6
	v_and_b32_e32 v4, 15, v4
	v_lshlrev_b32_e32 v3, v7, v3
	v_sub_u32_e32 v6, 29, v6
	v_and_b32_e32 v3, 7, v3
	v_cmp_eq_u16_e32 vcc, 0, v4
	v_cndmask_b32_e32 v2, v2, v3, vcc
	v_cndmask_b32_e32 v3, v4, v6, vcc
	v_lshlrev_b32_e32 v4, 16, v9
	v_mov_b32_e32 v6, 0x3b800000
	v_lshlrev_b32_e32 v2, 20, v2
	v_and_b32_e32 v4, 0x80000000, v4
	v_lshl_add_u32 v3, v3, 23, v6
	v_or3_b32 v2, v4, v3, v2
.LBB1_364:
	s_or_b64 exec, exec, s[6:7]
	v_lshrrev_b32_e32 v3, 8, v5
	s_movk_i32 s4, 0x7f
	v_cmp_gt_i16_sdwa s[6:7], v3, s4 src0_sel:BYTE_0 src1_sel:DWORD
	s_mov_b64 s[4:5], 0
                                        ; implicit-def: $sgpr10
	s_and_saveexec_b64 s[8:9], s[6:7]
	s_xor_b64 s[6:7], exec, s[8:9]
	s_cbranch_execz .LBB1_365
; %bb.36205:
	s_getpc_b64 s[14:15]
.Lpost_getpc3766:
	s_add_u32 s14, s14, (.LBB1_14701-.Lpost_getpc3766)&4294967295
	s_addc_u32 s15, s15, (.LBB1_14701-.Lpost_getpc3766)>>32
	s_setpc_b64 s[14:15]
.LBB1_365:
	s_or_saveexec_b64 s[6:7], s[6:7]
	v_mov_b32_e32 v4, s10
	s_xor_b64 exec, exec, s[6:7]
	s_cbranch_execz .LBB1_366
; %bb.36207:
	s_getpc_b64 s[14:15]
.Lpost_getpc3767:
	s_add_u32 s14, s14, (.LBB1_14704-.Lpost_getpc3767)&4294967295
	s_addc_u32 s15, s15, (.LBB1_14704-.Lpost_getpc3767)>>32
	s_setpc_b64 s[14:15]
.LBB1_366:
	s_or_b64 exec, exec, s[6:7]
	s_and_saveexec_b64 s[6:7], s[4:5]
	s_cbranch_execz .LBB1_368
.LBB1_367:
	v_bfe_u32 v4, v5, 8, 3
	v_ffbh_u32_e32 v7, v4
	v_min_u32_e32 v7, 32, v7
	v_lshrrev_b16_e32 v6, 3, v3
	v_subrev_u32_e32 v8, 28, v7
	v_and_b32_e32 v6, 15, v6
	v_lshlrev_b32_e32 v3, v8, v3
	v_sub_u32_e32 v7, 29, v7
	v_and_b32_e32 v3, 7, v3
	v_cmp_eq_u16_e32 vcc, 0, v6
	v_cndmask_b32_e32 v3, v4, v3, vcc
	v_cndmask_b32_e32 v4, v6, v7, vcc
	v_lshlrev_b32_e32 v6, 16, v5
	v_mov_b32_e32 v7, 0x3b800000
	v_lshlrev_b32_e32 v3, 20, v3
	v_and_b32_e32 v6, 0x80000000, v6
	v_lshl_add_u32 v4, v4, 23, v7
	v_or3_b32 v4, v6, v4, v3
.LBB1_368:
	s_or_b64 exec, exec, s[6:7]
	s_nop 0
	v_mfma_f32_16x16x4f32 a[0:3], v2, v4, a[0:3]
	s_movk_i32 s4, 0xff
	v_and_b32_sdwa v3, v9, s4 dst_sel:DWORD dst_unused:UNUSED_PAD src0_sel:WORD_1 src1_sel:DWORD
	s_movk_i32 s4, 0x7f
	v_cmp_lt_i16_e32 vcc, s4, v3
	s_mov_b64 s[4:5], 0
                                        ; implicit-def: $sgpr10
	s_and_saveexec_b64 s[6:7], vcc
	s_xor_b64 s[6:7], exec, s[6:7]
	s_cbranch_execz .LBB1_369
; %bb.36209:
	s_getpc_b64 s[14:15]
.Lpost_getpc3768:
	s_add_u32 s14, s14, (.LBB1_14705-.Lpost_getpc3768)&4294967295
	s_addc_u32 s15, s15, (.LBB1_14705-.Lpost_getpc3768)>>32
	s_setpc_b64 s[14:15]
.LBB1_369:
	s_or_saveexec_b64 s[6:7], s[6:7]
	v_mov_b32_e32 v2, s10
	s_xor_b64 exec, exec, s[6:7]
	s_cbranch_execz .LBB1_370
; %bb.36211:
	s_getpc_b64 s[14:15]
.Lpost_getpc3769:
	s_add_u32 s14, s14, (.LBB1_14708-.Lpost_getpc3769)&4294967295
	s_addc_u32 s15, s15, (.LBB1_14708-.Lpost_getpc3769)>>32
	s_setpc_b64 s[14:15]
.LBB1_370:
	s_or_b64 exec, exec, s[6:7]
	s_and_saveexec_b64 s[6:7], s[4:5]
	s_cbranch_execz .LBB1_372
.LBB1_371:
	v_bfe_u32 v2, v9, 16, 3
	v_ffbh_u32_e32 v6, v2
	v_min_u32_e32 v6, 32, v6
	v_lshrrev_b32_e32 v3, 19, v9
	v_subrev_u32_e32 v7, 28, v6
	v_and_b32_e32 v3, 15, v3
	v_lshlrev_b32_sdwa v7, v7, v9 dst_sel:DWORD dst_unused:UNUSED_PAD src0_sel:DWORD src1_sel:WORD_1
	v_bfe_u32 v4, v9, 19, 4
	v_sub_u32_e32 v6, 29, v6
	v_and_b32_e32 v7, 7, v7
	v_cmp_eq_u16_e32 vcc, 0, v3
	v_cndmask_b32_e32 v2, v2, v7, vcc
	v_cndmask_b32_e32 v3, v4, v6, vcc
	v_lshlrev_b32_e32 v4, 8, v9
	v_mov_b32_e32 v6, 0x3b800000
	v_lshlrev_b32_e32 v2, 20, v2
	v_and_b32_e32 v4, 0x80000000, v4
	v_lshl_add_u32 v3, v3, 23, v6
	v_or3_b32 v2, v4, v3, v2
.LBB1_372:
	s_or_b64 exec, exec, s[6:7]
	s_movk_i32 s4, 0xff
	v_and_b32_sdwa v3, v5, s4 dst_sel:DWORD dst_unused:UNUSED_PAD src0_sel:WORD_1 src1_sel:DWORD
	s_movk_i32 s4, 0x7f
	v_cmp_lt_i16_e32 vcc, s4, v3
	s_mov_b64 s[4:5], 0
                                        ; implicit-def: $sgpr10
	s_and_saveexec_b64 s[6:7], vcc
	s_xor_b64 s[6:7], exec, s[6:7]
	s_cbranch_execz .LBB1_373
; %bb.36213:
	s_getpc_b64 s[14:15]
.Lpost_getpc3770:
	s_add_u32 s14, s14, (.LBB1_14709-.Lpost_getpc3770)&4294967295
	s_addc_u32 s15, s15, (.LBB1_14709-.Lpost_getpc3770)>>32
	s_setpc_b64 s[14:15]
.LBB1_373:
	s_or_saveexec_b64 s[6:7], s[6:7]
	v_mov_b32_e32 v4, s10
	s_xor_b64 exec, exec, s[6:7]
	s_cbranch_execz .LBB1_374
; %bb.36215:
	s_getpc_b64 s[14:15]
.Lpost_getpc3771:
	s_add_u32 s14, s14, (.LBB1_14712-.Lpost_getpc3771)&4294967295
	s_addc_u32 s15, s15, (.LBB1_14712-.Lpost_getpc3771)>>32
	s_setpc_b64 s[14:15]
.LBB1_374:
	s_or_b64 exec, exec, s[6:7]
	s_and_saveexec_b64 s[6:7], s[4:5]
	s_cbranch_execz .LBB1_376
.LBB1_375:
	v_bfe_u32 v3, v5, 16, 3
	v_ffbh_u32_e32 v7, v3
	v_min_u32_e32 v7, 32, v7
	v_lshrrev_b32_e32 v4, 19, v5
	v_subrev_u32_e32 v8, 28, v7
	v_and_b32_e32 v4, 15, v4
	v_lshlrev_b32_sdwa v8, v8, v5 dst_sel:DWORD dst_unused:UNUSED_PAD src0_sel:DWORD src1_sel:WORD_1
	v_bfe_u32 v6, v5, 19, 4
	v_sub_u32_e32 v7, 29, v7
	v_and_b32_e32 v8, 7, v8
	v_cmp_eq_u16_e32 vcc, 0, v4
	v_cndmask_b32_e32 v3, v3, v8, vcc
	v_cndmask_b32_e32 v4, v6, v7, vcc
	v_lshlrev_b32_e32 v6, 8, v5
	v_mov_b32_e32 v7, 0x3b800000
	v_lshlrev_b32_e32 v3, 20, v3
	v_and_b32_e32 v6, 0x80000000, v6
	v_lshl_add_u32 v4, v4, 23, v7
	v_or3_b32 v4, v6, v4, v3
.LBB1_376:
	s_or_b64 exec, exec, s[6:7]
	s_nop 0
	v_mfma_f32_16x16x4f32 a[0:3], v2, v4, a[0:3]
	s_movk_i32 s4, 0x7f
	v_cmp_gt_i16_sdwa s[6:7], v9, s4 src0_sel:BYTE_3 src1_sel:DWORD
	s_mov_b64 s[4:5], 0
                                        ; implicit-def: $sgpr10
	s_and_saveexec_b64 s[8:9], s[6:7]
	s_xor_b64 s[6:7], exec, s[8:9]
	s_cbranch_execz .LBB1_377
; %bb.36217:
	s_getpc_b64 s[14:15]
.Lpost_getpc3772:
	s_add_u32 s14, s14, (.LBB1_14713-.Lpost_getpc3772)&4294967295
	s_addc_u32 s15, s15, (.LBB1_14713-.Lpost_getpc3772)>>32
	s_setpc_b64 s[14:15]
.LBB1_377:
	s_or_saveexec_b64 s[6:7], s[6:7]
	v_mov_b32_e32 v2, s10
	s_xor_b64 exec, exec, s[6:7]
	s_cbranch_execz .LBB1_378
; %bb.36219:
	s_getpc_b64 s[14:15]
.Lpost_getpc3773:
	s_add_u32 s14, s14, (.LBB1_14716-.Lpost_getpc3773)&4294967295
	s_addc_u32 s15, s15, (.LBB1_14716-.Lpost_getpc3773)>>32
	s_setpc_b64 s[14:15]
.LBB1_378:
	s_or_b64 exec, exec, s[6:7]
	s_and_saveexec_b64 s[6:7], s[4:5]
	s_cbranch_execz .LBB1_380
.LBB1_379:
	v_bfe_u32 v2, v9, 24, 3
	v_ffbh_u32_e32 v7, v2
	v_min_u32_e32 v7, 32, v7
	v_lshrrev_b32_e32 v4, 27, v9
	v_subrev_u32_e32 v8, 28, v7
	v_and_b32_e32 v4, 15, v4
	v_lshlrev_b32_sdwa v8, v8, v9 dst_sel:DWORD dst_unused:UNUSED_PAD src0_sel:DWORD src1_sel:BYTE_3
	v_bfe_u32 v6, v9, 27, 4
	v_sub_u32_e32 v7, 29, v7
	v_and_b32_e32 v8, 7, v8
	v_cmp_eq_u16_e32 vcc, 0, v4
	v_cndmask_b32_e32 v2, v2, v8, vcc
	v_cndmask_b32_e32 v4, v6, v7, vcc
	v_mov_b32_e32 v6, 0x3b800000
	v_and_b32_e32 v3, 0x80000000, v9
	v_lshlrev_b32_e32 v2, 20, v2
	v_lshl_add_u32 v4, v4, 23, v6
	v_or3_b32 v2, v3, v4, v2
.LBB1_380:
	s_or_b64 exec, exec, s[6:7]
	s_movk_i32 s4, 0x7f
	v_cmp_gt_i16_sdwa s[6:7], v5, s4 src0_sel:BYTE_3 src1_sel:DWORD
	s_mov_b64 s[4:5], 0
                                        ; implicit-def: $sgpr10
	s_and_saveexec_b64 s[8:9], s[6:7]
	s_xor_b64 s[6:7], exec, s[8:9]
	s_cbranch_execz .LBB1_381
; %bb.36221:
	s_getpc_b64 s[14:15]
.Lpost_getpc3774:
	s_add_u32 s14, s14, (.LBB1_14717-.Lpost_getpc3774)&4294967295
	s_addc_u32 s15, s15, (.LBB1_14717-.Lpost_getpc3774)>>32
	s_setpc_b64 s[14:15]
.LBB1_381:
	s_or_saveexec_b64 s[6:7], s[6:7]
	v_mov_b32_e32 v3, s10
	s_xor_b64 exec, exec, s[6:7]
	s_cbranch_execz .LBB1_382
; %bb.36223:
	s_getpc_b64 s[14:15]
.Lpost_getpc3775:
	s_add_u32 s14, s14, (.LBB1_14720-.Lpost_getpc3775)&4294967295
	s_addc_u32 s15, s15, (.LBB1_14720-.Lpost_getpc3775)>>32
	s_setpc_b64 s[14:15]
.LBB1_382:
	s_or_b64 exec, exec, s[6:7]
	s_and_saveexec_b64 s[6:7], s[4:5]
	s_cbranch_execz .LBB1_384
.LBB1_383:
	v_bfe_u32 v3, v5, 24, 3
	v_ffbh_u32_e32 v8, v3
	v_min_u32_e32 v8, 32, v8
	v_lshrrev_b32_e32 v6, 27, v5
	v_subrev_u32_e32 v9, 28, v8
	v_and_b32_e32 v4, 0x80000000, v5
	v_and_b32_e32 v6, 15, v6
	v_bfe_u32 v7, v5, 27, 4
	v_lshlrev_b32_sdwa v5, v9, v5 dst_sel:DWORD dst_unused:UNUSED_PAD src0_sel:DWORD src1_sel:BYTE_3
	v_sub_u32_e32 v8, 29, v8
	v_and_b32_e32 v5, 7, v5
	v_cmp_eq_u16_e32 vcc, 0, v6
	v_cndmask_b32_e32 v3, v3, v5, vcc
	v_cndmask_b32_e32 v5, v7, v8, vcc
	v_mov_b32_e32 v6, 0x3b800000
	v_lshlrev_b32_e32 v3, 20, v3
	v_lshl_add_u32 v5, v5, 23, v6
	v_or3_b32 v3, v4, v5, v3
.LBB1_384:
	s_or_b64 exec, exec, s[6:7]
	s_nop 0
	v_mfma_f32_16x16x4f32 a[0:3], v2, v3, a[0:3]
	s_movk_i32 s4, 0x7f
                                        ; implicit-def: $sgpr10
	s_nop 7
	s_nop 1
	flat_store_dwordx4 v[10:11], a[0:3] offset:32
	flat_load_dwordx4 v[12:15], v[0:1]
	s_nop 0
	flat_load_dwordx2 v[10:11], v[0:1] offset:16
	s_waitcnt vmcnt(0) lgkmcnt(0)
	flat_load_dwordx4 v[6:9], v[12:13]
	flat_load_dwordx4 v[2:5], v[14:15] offset:48
	s_waitcnt vmcnt(0) lgkmcnt(0)
	v_cmp_gt_i16_sdwa s[6:7], v6, s4 src0_sel:BYTE_0 src1_sel:DWORD
	s_mov_b64 s[4:5], 0
	s_and_saveexec_b64 s[8:9], s[6:7]
	s_xor_b64 s[6:7], exec, s[8:9]
	s_cbranch_execz .LBB1_385
; %bb.36225:
	s_getpc_b64 s[14:15]
.Lpost_getpc3776:
	s_add_u32 s14, s14, (.LBB1_14721-.Lpost_getpc3776)&4294967295
	s_addc_u32 s15, s15, (.LBB1_14721-.Lpost_getpc3776)>>32
	s_setpc_b64 s[14:15]
.LBB1_385:
	s_or_saveexec_b64 s[6:7], s[6:7]
	v_mov_b32_e32 v12, s10
	s_xor_b64 exec, exec, s[6:7]
	s_cbranch_execz .LBB1_386
; %bb.36227:
	s_getpc_b64 s[14:15]
.Lpost_getpc3777:
	s_add_u32 s14, s14, (.LBB1_14724-.Lpost_getpc3777)&4294967295
	s_addc_u32 s15, s15, (.LBB1_14724-.Lpost_getpc3777)>>32
	s_setpc_b64 s[14:15]
.LBB1_386:
	s_or_b64 exec, exec, s[6:7]
	s_and_saveexec_b64 s[6:7], s[4:5]
	s_cbranch_execz .LBB1_388
.LBB1_387:
	v_and_b32_e32 v12, 7, v6
	v_ffbh_u32_e32 v14, v12
	v_min_u32_e32 v14, 32, v14
	v_lshrrev_b16_e32 v13, 3, v6
	v_subrev_u32_e32 v15, 28, v14
	v_and_b32_e32 v13, 15, v13
	v_lshlrev_b32_e32 v15, v15, v6
	v_sub_u32_e32 v14, 29, v14
	v_and_b32_e32 v15, 7, v15
	v_cmp_eq_u16_e32 vcc, 0, v13
	v_cndmask_b32_e32 v12, v12, v15, vcc
	v_cndmask_b32_e32 v13, v13, v14, vcc
	v_lshlrev_b32_e32 v14, 24, v6
	v_mov_b32_e32 v15, 0x3b800000
	v_lshlrev_b32_e32 v12, 20, v12
	v_and_b32_e32 v14, 0x80000000, v14
	v_lshl_add_u32 v13, v13, 23, v15
	v_or3_b32 v12, v14, v13, v12
.LBB1_388:
	s_or_b64 exec, exec, s[6:7]
	s_movk_i32 s4, 0x7f
	v_cmp_gt_i16_sdwa s[6:7], v2, s4 src0_sel:BYTE_0 src1_sel:DWORD
	s_mov_b64 s[4:5], 0
                                        ; implicit-def: $sgpr10
	s_and_saveexec_b64 s[8:9], s[6:7]
	s_xor_b64 s[6:7], exec, s[8:9]
	s_cbranch_execz .LBB1_389
; %bb.36229:
	s_getpc_b64 s[14:15]
.Lpost_getpc3778:
	s_add_u32 s14, s14, (.LBB1_14725-.Lpost_getpc3778)&4294967295
	s_addc_u32 s15, s15, (.LBB1_14725-.Lpost_getpc3778)>>32
	s_setpc_b64 s[14:15]
.LBB1_389:
	s_or_saveexec_b64 s[6:7], s[6:7]
	v_mov_b32_e32 v13, s10
	s_xor_b64 exec, exec, s[6:7]
	s_cbranch_execz .LBB1_390
; %bb.36231:
	s_getpc_b64 s[14:15]
.Lpost_getpc3779:
	s_add_u32 s14, s14, (.LBB1_14728-.Lpost_getpc3779)&4294967295
	s_addc_u32 s15, s15, (.LBB1_14728-.Lpost_getpc3779)>>32
	s_setpc_b64 s[14:15]
.LBB1_390:
	s_or_b64 exec, exec, s[6:7]
	s_and_saveexec_b64 s[6:7], s[4:5]
	s_cbranch_execz .LBB1_392
.LBB1_391:
	v_and_b32_e32 v13, 7, v2
	v_ffbh_u32_e32 v15, v13
	v_min_u32_e32 v15, 32, v15
	v_lshrrev_b16_e32 v14, 3, v2
	v_subrev_u32_e32 v16, 28, v15
	v_and_b32_e32 v14, 15, v14
	v_lshlrev_b32_e32 v16, v16, v2
	v_sub_u32_e32 v15, 29, v15
	v_and_b32_e32 v16, 7, v16
	v_cmp_eq_u16_e32 vcc, 0, v14
	v_cndmask_b32_e32 v13, v13, v16, vcc
	v_cndmask_b32_e32 v14, v14, v15, vcc
	v_lshlrev_b32_e32 v15, 24, v2
	v_mov_b32_e32 v16, 0x3b800000
	v_lshlrev_b32_e32 v13, 20, v13
	v_and_b32_e32 v15, 0x80000000, v15
	v_lshl_add_u32 v14, v14, 23, v16
	v_or3_b32 v13, v15, v14, v13
.LBB1_392:
	s_or_b64 exec, exec, s[6:7]
	flat_load_dwordx4 a[0:3], v[10:11] offset:48
	s_movk_i32 s4, 0x7f
                                        ; implicit-def: $sgpr10
	s_waitcnt vmcnt(0) lgkmcnt(0)
	v_mfma_f32_16x16x4f32 a[0:3], v12, v13, a[0:3]
	v_lshrrev_b32_e32 v13, 8, v6
	v_cmp_gt_i16_sdwa s[6:7], v13, s4 src0_sel:BYTE_0 src1_sel:DWORD
	s_mov_b64 s[4:5], 0
	s_and_saveexec_b64 s[8:9], s[6:7]
	s_xor_b64 s[6:7], exec, s[8:9]
	s_cbranch_execz .LBB1_393
; %bb.36233:
	s_getpc_b64 s[14:15]
.Lpost_getpc3780:
	s_add_u32 s14, s14, (.LBB1_14729-.Lpost_getpc3780)&4294967295
	s_addc_u32 s15, s15, (.LBB1_14729-.Lpost_getpc3780)>>32
	s_setpc_b64 s[14:15]
.LBB1_393:
	s_or_saveexec_b64 s[6:7], s[6:7]
	v_mov_b32_e32 v12, s10
	s_xor_b64 exec, exec, s[6:7]
	s_cbranch_execz .LBB1_394
; %bb.36235:
	s_getpc_b64 s[14:15]
.Lpost_getpc3781:
	s_add_u32 s14, s14, (.LBB1_14732-.Lpost_getpc3781)&4294967295
	s_addc_u32 s15, s15, (.LBB1_14732-.Lpost_getpc3781)>>32
	s_setpc_b64 s[14:15]
.LBB1_394:
	s_or_b64 exec, exec, s[6:7]
	s_and_saveexec_b64 s[6:7], s[4:5]
	s_cbranch_execz .LBB1_396
.LBB1_395:
	v_bfe_u32 v12, v6, 8, 3
	v_ffbh_u32_e32 v15, v12
	v_min_u32_e32 v15, 32, v15
	v_lshrrev_b16_e32 v14, 3, v13
	v_subrev_u32_e32 v16, 28, v15
	v_and_b32_e32 v14, 15, v14
	v_lshlrev_b32_e32 v13, v16, v13
	v_sub_u32_e32 v15, 29, v15
	v_and_b32_e32 v13, 7, v13
	v_cmp_eq_u16_e32 vcc, 0, v14
	v_cndmask_b32_e32 v12, v12, v13, vcc
	v_cndmask_b32_e32 v13, v14, v15, vcc
	v_lshlrev_b32_e32 v14, 16, v6
	v_mov_b32_e32 v15, 0x3b800000
	v_lshlrev_b32_e32 v12, 20, v12
	v_and_b32_e32 v14, 0x80000000, v14
	v_lshl_add_u32 v13, v13, 23, v15
	v_or3_b32 v12, v14, v13, v12
.LBB1_396:
	s_or_b64 exec, exec, s[6:7]
	v_lshrrev_b32_e32 v13, 8, v2
	s_movk_i32 s4, 0x7f
	v_cmp_gt_i16_sdwa s[6:7], v13, s4 src0_sel:BYTE_0 src1_sel:DWORD
	s_mov_b64 s[4:5], 0
                                        ; implicit-def: $sgpr10
	s_and_saveexec_b64 s[8:9], s[6:7]
	s_xor_b64 s[6:7], exec, s[8:9]
	s_cbranch_execz .LBB1_397
; %bb.36237:
	s_getpc_b64 s[14:15]
.Lpost_getpc3782:
	s_add_u32 s14, s14, (.LBB1_14733-.Lpost_getpc3782)&4294967295
	s_addc_u32 s15, s15, (.LBB1_14733-.Lpost_getpc3782)>>32
	s_setpc_b64 s[14:15]
.LBB1_397:
	s_or_saveexec_b64 s[6:7], s[6:7]
	v_mov_b32_e32 v14, s10
	s_xor_b64 exec, exec, s[6:7]
	s_cbranch_execz .LBB1_398
; %bb.36239:
	s_getpc_b64 s[14:15]
.Lpost_getpc3783:
	s_add_u32 s14, s14, (.LBB1_14736-.Lpost_getpc3783)&4294967295
	s_addc_u32 s15, s15, (.LBB1_14736-.Lpost_getpc3783)>>32
	s_setpc_b64 s[14:15]
.LBB1_398:
	s_or_b64 exec, exec, s[6:7]
	s_and_saveexec_b64 s[6:7], s[4:5]
	s_cbranch_execz .LBB1_400
.LBB1_399:
	v_bfe_u32 v14, v2, 8, 3
	v_ffbh_u32_e32 v16, v14
	v_min_u32_e32 v16, 32, v16
	v_lshrrev_b16_e32 v15, 3, v13
	v_subrev_u32_e32 v17, 28, v16
	v_and_b32_e32 v15, 15, v15
	v_lshlrev_b32_e32 v13, v17, v13
	v_sub_u32_e32 v16, 29, v16
	v_and_b32_e32 v13, 7, v13
	v_cmp_eq_u16_e32 vcc, 0, v15
	v_cndmask_b32_e32 v13, v14, v13, vcc
	v_cndmask_b32_e32 v14, v15, v16, vcc
	v_lshlrev_b32_e32 v15, 16, v2
	v_mov_b32_e32 v16, 0x3b800000
	v_lshlrev_b32_e32 v13, 20, v13
	v_and_b32_e32 v15, 0x80000000, v15
	v_lshl_add_u32 v14, v14, 23, v16
	v_or3_b32 v14, v15, v14, v13
.LBB1_400:
	s_or_b64 exec, exec, s[6:7]
	s_nop 0
	v_mfma_f32_16x16x4f32 a[0:3], v12, v14, a[0:3]
	s_movk_i32 s4, 0xff
	v_and_b32_sdwa v13, v6, s4 dst_sel:DWORD dst_unused:UNUSED_PAD src0_sel:WORD_1 src1_sel:DWORD
	s_movk_i32 s4, 0x7f
	v_cmp_lt_i16_e32 vcc, s4, v13
	s_mov_b64 s[4:5], 0
                                        ; implicit-def: $sgpr10
	s_and_saveexec_b64 s[6:7], vcc
	s_xor_b64 s[6:7], exec, s[6:7]
	s_cbranch_execz .LBB1_401
; %bb.36241:
	s_getpc_b64 s[14:15]
.Lpost_getpc3784:
	s_add_u32 s14, s14, (.LBB1_14737-.Lpost_getpc3784)&4294967295
	s_addc_u32 s15, s15, (.LBB1_14737-.Lpost_getpc3784)>>32
	s_setpc_b64 s[14:15]
.LBB1_401:
	s_or_saveexec_b64 s[6:7], s[6:7]
	v_mov_b32_e32 v12, s10
	s_xor_b64 exec, exec, s[6:7]
	s_cbranch_execz .LBB1_402
; %bb.36243:
	s_getpc_b64 s[14:15]
.Lpost_getpc3785:
	s_add_u32 s14, s14, (.LBB1_14740-.Lpost_getpc3785)&4294967295
	s_addc_u32 s15, s15, (.LBB1_14740-.Lpost_getpc3785)>>32
	s_setpc_b64 s[14:15]
.LBB1_402:
	s_or_b64 exec, exec, s[6:7]
	s_and_saveexec_b64 s[6:7], s[4:5]
	s_cbranch_execz .LBB1_404
.LBB1_403:
	v_bfe_u32 v12, v6, 16, 3
	v_ffbh_u32_e32 v15, v12
	v_min_u32_e32 v15, 32, v15
	v_lshrrev_b32_e32 v13, 19, v6
	v_subrev_u32_e32 v16, 28, v15
	v_and_b32_e32 v13, 15, v13
	v_lshlrev_b32_sdwa v16, v16, v6 dst_sel:DWORD dst_unused:UNUSED_PAD src0_sel:DWORD src1_sel:WORD_1
	v_bfe_u32 v14, v6, 19, 4
	v_sub_u32_e32 v15, 29, v15
	v_and_b32_e32 v16, 7, v16
	v_cmp_eq_u16_e32 vcc, 0, v13
	v_cndmask_b32_e32 v12, v12, v16, vcc
	v_cndmask_b32_e32 v13, v14, v15, vcc
	v_lshlrev_b32_e32 v14, 8, v6
	v_mov_b32_e32 v15, 0x3b800000
	v_lshlrev_b32_e32 v12, 20, v12
	v_and_b32_e32 v14, 0x80000000, v14
	v_lshl_add_u32 v13, v13, 23, v15
	v_or3_b32 v12, v14, v13, v12
.LBB1_404:
	s_or_b64 exec, exec, s[6:7]
	s_movk_i32 s4, 0xff
	v_and_b32_sdwa v13, v2, s4 dst_sel:DWORD dst_unused:UNUSED_PAD src0_sel:WORD_1 src1_sel:DWORD
	s_movk_i32 s4, 0x7f
	v_cmp_lt_i16_e32 vcc, s4, v13
	s_mov_b64 s[4:5], 0
                                        ; implicit-def: $sgpr10
	s_and_saveexec_b64 s[6:7], vcc
	s_xor_b64 s[6:7], exec, s[6:7]
	s_cbranch_execz .LBB1_405
; %bb.36245:
	s_getpc_b64 s[14:15]
.Lpost_getpc3786:
	s_add_u32 s14, s14, (.LBB1_14741-.Lpost_getpc3786)&4294967295
	s_addc_u32 s15, s15, (.LBB1_14741-.Lpost_getpc3786)>>32
	s_setpc_b64 s[14:15]
.LBB1_405:
	s_or_saveexec_b64 s[6:7], s[6:7]
	v_mov_b32_e32 v14, s10
	s_xor_b64 exec, exec, s[6:7]
	s_cbranch_execz .LBB1_406
; %bb.36247:
	s_getpc_b64 s[14:15]
.Lpost_getpc3787:
	s_add_u32 s14, s14, (.LBB1_14744-.Lpost_getpc3787)&4294967295
	s_addc_u32 s15, s15, (.LBB1_14744-.Lpost_getpc3787)>>32
	s_setpc_b64 s[14:15]
.LBB1_406:
	s_or_b64 exec, exec, s[6:7]
	s_and_saveexec_b64 s[6:7], s[4:5]
	s_cbranch_execz .LBB1_408
.LBB1_407:
	v_bfe_u32 v13, v2, 16, 3
	v_ffbh_u32_e32 v16, v13
	v_min_u32_e32 v16, 32, v16
	v_lshrrev_b32_e32 v14, 19, v2
	v_subrev_u32_e32 v17, 28, v16
	v_and_b32_e32 v14, 15, v14
	v_lshlrev_b32_sdwa v17, v17, v2 dst_sel:DWORD dst_unused:UNUSED_PAD src0_sel:DWORD src1_sel:WORD_1
	v_bfe_u32 v15, v2, 19, 4
	v_sub_u32_e32 v16, 29, v16
	v_and_b32_e32 v17, 7, v17
	v_cmp_eq_u16_e32 vcc, 0, v14
	v_cndmask_b32_e32 v13, v13, v17, vcc
	v_cndmask_b32_e32 v14, v15, v16, vcc
	v_lshlrev_b32_e32 v15, 8, v2
	v_mov_b32_e32 v16, 0x3b800000
	v_lshlrev_b32_e32 v13, 20, v13
	v_and_b32_e32 v15, 0x80000000, v15
	v_lshl_add_u32 v14, v14, 23, v16
	v_or3_b32 v14, v15, v14, v13
.LBB1_408:
	s_or_b64 exec, exec, s[6:7]
	s_nop 0
	v_mfma_f32_16x16x4f32 a[0:3], v12, v14, a[0:3]
	s_movk_i32 s4, 0x7f
	v_cmp_gt_i16_sdwa s[6:7], v6, s4 src0_sel:BYTE_3 src1_sel:DWORD
	s_mov_b64 s[4:5], 0
                                        ; implicit-def: $sgpr10
	s_and_saveexec_b64 s[8:9], s[6:7]
	s_xor_b64 s[6:7], exec, s[8:9]
	s_cbranch_execz .LBB1_409
; %bb.36249:
	s_getpc_b64 s[14:15]
.Lpost_getpc3788:
	s_add_u32 s14, s14, (.LBB1_14745-.Lpost_getpc3788)&4294967295
	s_addc_u32 s15, s15, (.LBB1_14745-.Lpost_getpc3788)>>32
	s_setpc_b64 s[14:15]
.LBB1_409:
	s_or_saveexec_b64 s[6:7], s[6:7]
	v_mov_b32_e32 v12, s10
	s_xor_b64 exec, exec, s[6:7]
	s_cbranch_execz .LBB1_410
; %bb.36251:
	s_getpc_b64 s[14:15]
.Lpost_getpc3789:
	s_add_u32 s14, s14, (.LBB1_14748-.Lpost_getpc3789)&4294967295
	s_addc_u32 s15, s15, (.LBB1_14748-.Lpost_getpc3789)>>32
	s_setpc_b64 s[14:15]
.LBB1_410:
	s_or_b64 exec, exec, s[6:7]
	s_and_saveexec_b64 s[6:7], s[4:5]
	s_cbranch_execz .LBB1_412
.LBB1_411:
	v_bfe_u32 v12, v6, 24, 3
	v_ffbh_u32_e32 v16, v12
	v_min_u32_e32 v16, 32, v16
	v_lshrrev_b32_e32 v14, 27, v6
	v_subrev_u32_e32 v17, 28, v16
	v_and_b32_e32 v13, 0x80000000, v6
	v_and_b32_e32 v14, 15, v14
	v_bfe_u32 v15, v6, 27, 4
	v_lshlrev_b32_sdwa v6, v17, v6 dst_sel:DWORD dst_unused:UNUSED_PAD src0_sel:DWORD src1_sel:BYTE_3
	v_sub_u32_e32 v16, 29, v16
	v_and_b32_e32 v6, 7, v6
	v_cmp_eq_u16_e32 vcc, 0, v14
	v_cndmask_b32_e32 v6, v12, v6, vcc
	v_cndmask_b32_e32 v12, v15, v16, vcc
	v_mov_b32_e32 v14, 0x3b800000
	v_lshlrev_b32_e32 v6, 20, v6
	v_lshl_add_u32 v12, v12, 23, v14
	v_or3_b32 v12, v13, v12, v6
.LBB1_412:
	s_or_b64 exec, exec, s[6:7]
	s_movk_i32 s4, 0x7f
	v_cmp_gt_i16_sdwa s[6:7], v2, s4 src0_sel:BYTE_3 src1_sel:DWORD
	s_mov_b64 s[4:5], 0
                                        ; implicit-def: $sgpr10
	s_and_saveexec_b64 s[8:9], s[6:7]
	s_xor_b64 s[6:7], exec, s[8:9]
	s_cbranch_execz .LBB1_413
; %bb.36253:
	s_getpc_b64 s[14:15]
.Lpost_getpc3790:
	s_add_u32 s14, s14, (.LBB1_14749-.Lpost_getpc3790)&4294967295
	s_addc_u32 s15, s15, (.LBB1_14749-.Lpost_getpc3790)>>32
	s_setpc_b64 s[14:15]
.LBB1_413:
	s_or_saveexec_b64 s[6:7], s[6:7]
	v_mov_b32_e32 v6, s10
	s_xor_b64 exec, exec, s[6:7]
	s_cbranch_execz .LBB1_414
; %bb.36255:
	s_getpc_b64 s[14:15]
.Lpost_getpc3791:
	s_add_u32 s14, s14, (.LBB1_14752-.Lpost_getpc3791)&4294967295
	s_addc_u32 s15, s15, (.LBB1_14752-.Lpost_getpc3791)>>32
	s_setpc_b64 s[14:15]
.LBB1_414:
	s_or_b64 exec, exec, s[6:7]
	s_and_saveexec_b64 s[6:7], s[4:5]
	s_cbranch_execz .LBB1_416
.LBB1_415:
	v_bfe_u32 v6, v2, 24, 3
	v_ffbh_u32_e32 v16, v6
	v_min_u32_e32 v16, 32, v16
	v_lshrrev_b32_e32 v14, 27, v2
	v_subrev_u32_e32 v17, 28, v16
	v_and_b32_e32 v13, 0x80000000, v2
	v_and_b32_e32 v14, 15, v14
	v_bfe_u32 v15, v2, 27, 4
	v_lshlrev_b32_sdwa v2, v17, v2 dst_sel:DWORD dst_unused:UNUSED_PAD src0_sel:DWORD src1_sel:BYTE_3
	v_sub_u32_e32 v16, 29, v16
	v_and_b32_e32 v2, 7, v2
	v_cmp_eq_u16_e32 vcc, 0, v14
	v_cndmask_b32_e32 v2, v6, v2, vcc
	v_cndmask_b32_e32 v6, v15, v16, vcc
	v_mov_b32_e32 v14, 0x3b800000
	v_lshlrev_b32_e32 v2, 20, v2
	v_lshl_add_u32 v6, v6, 23, v14
	v_or3_b32 v6, v13, v6, v2
.LBB1_416:
	s_or_b64 exec, exec, s[6:7]
	s_nop 0
	v_mfma_f32_16x16x4f32 a[0:3], v12, v6, a[0:3]
	s_movk_i32 s4, 0x7f
	v_cmp_gt_i16_sdwa s[6:7], v7, s4 src0_sel:BYTE_0 src1_sel:DWORD
	s_mov_b64 s[4:5], 0
                                        ; implicit-def: $sgpr10
	s_and_saveexec_b64 s[8:9], s[6:7]
	s_xor_b64 s[6:7], exec, s[8:9]
	s_cbranch_execz .LBB1_417
; %bb.36257:
	s_getpc_b64 s[14:15]
.Lpost_getpc3792:
	s_add_u32 s14, s14, (.LBB1_14753-.Lpost_getpc3792)&4294967295
	s_addc_u32 s15, s15, (.LBB1_14753-.Lpost_getpc3792)>>32
	s_setpc_b64 s[14:15]
.LBB1_417:
	s_or_saveexec_b64 s[6:7], s[6:7]
	v_mov_b32_e32 v2, s10
	s_xor_b64 exec, exec, s[6:7]
	s_cbranch_execz .LBB1_418
; %bb.36259:
	s_getpc_b64 s[14:15]
.Lpost_getpc3793:
	s_add_u32 s14, s14, (.LBB1_14756-.Lpost_getpc3793)&4294967295
	s_addc_u32 s15, s15, (.LBB1_14756-.Lpost_getpc3793)>>32
	s_setpc_b64 s[14:15]
.LBB1_418:
	s_or_b64 exec, exec, s[6:7]
	s_and_saveexec_b64 s[6:7], s[4:5]
	s_cbranch_execz .LBB1_420
.LBB1_419:
	v_and_b32_e32 v2, 7, v7
	v_ffbh_u32_e32 v12, v2
	v_min_u32_e32 v12, 32, v12
	v_lshrrev_b16_e32 v6, 3, v7
	v_subrev_u32_e32 v13, 28, v12
	v_and_b32_e32 v6, 15, v6
	v_lshlrev_b32_e32 v13, v13, v7
	v_sub_u32_e32 v12, 29, v12
	v_and_b32_e32 v13, 7, v13
	v_cmp_eq_u16_e32 vcc, 0, v6
	v_cndmask_b32_e32 v2, v2, v13, vcc
	v_cndmask_b32_e32 v6, v6, v12, vcc
	v_lshlrev_b32_e32 v12, 24, v7
	v_mov_b32_e32 v13, 0x3b800000
	v_lshlrev_b32_e32 v2, 20, v2
	v_and_b32_e32 v12, 0x80000000, v12
	v_lshl_add_u32 v6, v6, 23, v13
	v_or3_b32 v2, v12, v6, v2
.LBB1_420:
	s_or_b64 exec, exec, s[6:7]
	s_movk_i32 s4, 0x7f
	v_cmp_gt_i16_sdwa s[6:7], v3, s4 src0_sel:BYTE_0 src1_sel:DWORD
	s_mov_b64 s[4:5], 0
                                        ; implicit-def: $sgpr10
	s_and_saveexec_b64 s[8:9], s[6:7]
	s_xor_b64 s[6:7], exec, s[8:9]
	s_cbranch_execz .LBB1_421
; %bb.36261:
	s_getpc_b64 s[14:15]
.Lpost_getpc3794:
	s_add_u32 s14, s14, (.LBB1_14757-.Lpost_getpc3794)&4294967295
	s_addc_u32 s15, s15, (.LBB1_14757-.Lpost_getpc3794)>>32
	s_setpc_b64 s[14:15]
.LBB1_421:
	s_or_saveexec_b64 s[6:7], s[6:7]
	v_mov_b32_e32 v6, s10
	s_xor_b64 exec, exec, s[6:7]
	s_cbranch_execz .LBB1_422
; %bb.36263:
	s_getpc_b64 s[14:15]
.Lpost_getpc3795:
	s_add_u32 s14, s14, (.LBB1_14760-.Lpost_getpc3795)&4294967295
	s_addc_u32 s15, s15, (.LBB1_14760-.Lpost_getpc3795)>>32
	s_setpc_b64 s[14:15]
.LBB1_422:
	s_or_b64 exec, exec, s[6:7]
	s_and_saveexec_b64 s[6:7], s[4:5]
	s_cbranch_execz .LBB1_424
.LBB1_423:
	v_and_b32_e32 v6, 7, v3
	v_ffbh_u32_e32 v13, v6
	v_min_u32_e32 v13, 32, v13
	v_lshrrev_b16_e32 v12, 3, v3
	v_subrev_u32_e32 v14, 28, v13
	v_and_b32_e32 v12, 15, v12
	v_lshlrev_b32_e32 v14, v14, v3
	v_sub_u32_e32 v13, 29, v13
	v_and_b32_e32 v14, 7, v14
	v_cmp_eq_u16_e32 vcc, 0, v12
	v_cndmask_b32_e32 v6, v6, v14, vcc
	v_cndmask_b32_e32 v12, v12, v13, vcc
	v_lshlrev_b32_e32 v13, 24, v3
	v_mov_b32_e32 v14, 0x3b800000
	v_lshlrev_b32_e32 v6, 20, v6
	v_and_b32_e32 v13, 0x80000000, v13
	v_lshl_add_u32 v12, v12, 23, v14
	v_or3_b32 v6, v13, v12, v6
.LBB1_424:
	s_or_b64 exec, exec, s[6:7]
	s_nop 0
	v_mfma_f32_16x16x4f32 a[0:3], v2, v6, a[0:3]
	v_lshrrev_b32_e32 v6, 8, v7
	s_movk_i32 s4, 0x7f
	v_cmp_gt_i16_sdwa s[6:7], v6, s4 src0_sel:BYTE_0 src1_sel:DWORD
	s_mov_b64 s[4:5], 0
                                        ; implicit-def: $sgpr10
	s_and_saveexec_b64 s[8:9], s[6:7]
	s_xor_b64 s[6:7], exec, s[8:9]
	s_cbranch_execz .LBB1_425
; %bb.36265:
	s_getpc_b64 s[14:15]
.Lpost_getpc3796:
	s_add_u32 s14, s14, (.LBB1_14761-.Lpost_getpc3796)&4294967295
	s_addc_u32 s15, s15, (.LBB1_14761-.Lpost_getpc3796)>>32
	s_setpc_b64 s[14:15]
.LBB1_425:
	s_or_saveexec_b64 s[6:7], s[6:7]
	v_mov_b32_e32 v2, s10
	s_xor_b64 exec, exec, s[6:7]
	s_cbranch_execz .LBB1_426
; %bb.36267:
	s_getpc_b64 s[14:15]
.Lpost_getpc3797:
	s_add_u32 s14, s14, (.LBB1_14764-.Lpost_getpc3797)&4294967295
	s_addc_u32 s15, s15, (.LBB1_14764-.Lpost_getpc3797)>>32
	s_setpc_b64 s[14:15]
.LBB1_426:
	s_or_b64 exec, exec, s[6:7]
	s_and_saveexec_b64 s[6:7], s[4:5]
	s_cbranch_execz .LBB1_428
.LBB1_427:
	v_bfe_u32 v2, v7, 8, 3
	v_ffbh_u32_e32 v13, v2
	v_min_u32_e32 v13, 32, v13
	v_lshrrev_b16_e32 v12, 3, v6
	v_subrev_u32_e32 v14, 28, v13
	v_and_b32_e32 v12, 15, v12
	v_lshlrev_b32_e32 v6, v14, v6
	v_sub_u32_e32 v13, 29, v13
	v_and_b32_e32 v6, 7, v6
	v_cmp_eq_u16_e32 vcc, 0, v12
	v_cndmask_b32_e32 v2, v2, v6, vcc
	v_cndmask_b32_e32 v6, v12, v13, vcc
	v_lshlrev_b32_e32 v12, 16, v7
	v_mov_b32_e32 v13, 0x3b800000
	v_lshlrev_b32_e32 v2, 20, v2
	v_and_b32_e32 v12, 0x80000000, v12
	v_lshl_add_u32 v6, v6, 23, v13
	v_or3_b32 v2, v12, v6, v2
.LBB1_428:
	s_or_b64 exec, exec, s[6:7]
	v_lshrrev_b32_e32 v6, 8, v3
	s_movk_i32 s4, 0x7f
	v_cmp_gt_i16_sdwa s[6:7], v6, s4 src0_sel:BYTE_0 src1_sel:DWORD
	s_mov_b64 s[4:5], 0
                                        ; implicit-def: $sgpr10
	s_and_saveexec_b64 s[8:9], s[6:7]
	s_xor_b64 s[6:7], exec, s[8:9]
	s_cbranch_execz .LBB1_429
; %bb.36269:
	s_getpc_b64 s[14:15]
.Lpost_getpc3798:
	s_add_u32 s14, s14, (.LBB1_14765-.Lpost_getpc3798)&4294967295
	s_addc_u32 s15, s15, (.LBB1_14765-.Lpost_getpc3798)>>32
	s_setpc_b64 s[14:15]
.LBB1_429:
	s_or_saveexec_b64 s[6:7], s[6:7]
	v_mov_b32_e32 v12, s10
	s_xor_b64 exec, exec, s[6:7]
	s_cbranch_execz .LBB1_430
; %bb.36271:
	s_getpc_b64 s[14:15]
.Lpost_getpc3799:
	s_add_u32 s14, s14, (.LBB1_14768-.Lpost_getpc3799)&4294967295
	s_addc_u32 s15, s15, (.LBB1_14768-.Lpost_getpc3799)>>32
	s_setpc_b64 s[14:15]
.LBB1_430:
	s_or_b64 exec, exec, s[6:7]
	s_and_saveexec_b64 s[6:7], s[4:5]
	s_cbranch_execz .LBB1_432
.LBB1_431:
	v_bfe_u32 v12, v3, 8, 3
	v_ffbh_u32_e32 v14, v12
	v_min_u32_e32 v14, 32, v14
	v_lshrrev_b16_e32 v13, 3, v6
	v_subrev_u32_e32 v15, 28, v14
	v_and_b32_e32 v13, 15, v13
	v_lshlrev_b32_e32 v6, v15, v6
	v_sub_u32_e32 v14, 29, v14
	v_and_b32_e32 v6, 7, v6
	v_cmp_eq_u16_e32 vcc, 0, v13
	v_cndmask_b32_e32 v6, v12, v6, vcc
	v_cndmask_b32_e32 v12, v13, v14, vcc
	v_lshlrev_b32_e32 v13, 16, v3
	v_mov_b32_e32 v14, 0x3b800000
	v_lshlrev_b32_e32 v6, 20, v6
	v_and_b32_e32 v13, 0x80000000, v13
	v_lshl_add_u32 v12, v12, 23, v14
	v_or3_b32 v12, v13, v12, v6
.LBB1_432:
	s_or_b64 exec, exec, s[6:7]
	s_nop 0
	v_mfma_f32_16x16x4f32 a[0:3], v2, v12, a[0:3]
	s_movk_i32 s4, 0xff
	v_and_b32_sdwa v6, v7, s4 dst_sel:DWORD dst_unused:UNUSED_PAD src0_sel:WORD_1 src1_sel:DWORD
	s_movk_i32 s4, 0x7f
	v_cmp_lt_i16_e32 vcc, s4, v6
	s_mov_b64 s[4:5], 0
                                        ; implicit-def: $sgpr10
	s_and_saveexec_b64 s[6:7], vcc
	s_xor_b64 s[6:7], exec, s[6:7]
	s_cbranch_execz .LBB1_433
; %bb.36273:
	s_getpc_b64 s[14:15]
.Lpost_getpc3800:
	s_add_u32 s14, s14, (.LBB1_14769-.Lpost_getpc3800)&4294967295
	s_addc_u32 s15, s15, (.LBB1_14769-.Lpost_getpc3800)>>32
	s_setpc_b64 s[14:15]
.LBB1_433:
	s_or_saveexec_b64 s[6:7], s[6:7]
	v_mov_b32_e32 v2, s10
	s_xor_b64 exec, exec, s[6:7]
	s_cbranch_execz .LBB1_434
; %bb.36275:
	s_getpc_b64 s[14:15]
.Lpost_getpc3801:
	s_add_u32 s14, s14, (.LBB1_14772-.Lpost_getpc3801)&4294967295
	s_addc_u32 s15, s15, (.LBB1_14772-.Lpost_getpc3801)>>32
	s_setpc_b64 s[14:15]
.LBB1_434:
	s_or_b64 exec, exec, s[6:7]
	s_and_saveexec_b64 s[6:7], s[4:5]
	s_cbranch_execz .LBB1_436
.LBB1_435:
	v_bfe_u32 v2, v7, 16, 3
	v_ffbh_u32_e32 v13, v2
	v_min_u32_e32 v13, 32, v13
	v_lshrrev_b32_e32 v6, 19, v7
	v_subrev_u32_e32 v14, 28, v13
	v_and_b32_e32 v6, 15, v6
	v_lshlrev_b32_sdwa v14, v14, v7 dst_sel:DWORD dst_unused:UNUSED_PAD src0_sel:DWORD src1_sel:WORD_1
	v_bfe_u32 v12, v7, 19, 4
	v_sub_u32_e32 v13, 29, v13
	v_and_b32_e32 v14, 7, v14
	v_cmp_eq_u16_e32 vcc, 0, v6
	v_cndmask_b32_e32 v2, v2, v14, vcc
	v_cndmask_b32_e32 v6, v12, v13, vcc
	v_lshlrev_b32_e32 v12, 8, v7
	v_mov_b32_e32 v13, 0x3b800000
	v_lshlrev_b32_e32 v2, 20, v2
	v_and_b32_e32 v12, 0x80000000, v12
	v_lshl_add_u32 v6, v6, 23, v13
	v_or3_b32 v2, v12, v6, v2
.LBB1_436:
	s_or_b64 exec, exec, s[6:7]
	s_movk_i32 s4, 0xff
	v_and_b32_sdwa v6, v3, s4 dst_sel:DWORD dst_unused:UNUSED_PAD src0_sel:WORD_1 src1_sel:DWORD
	s_movk_i32 s4, 0x7f
	v_cmp_lt_i16_e32 vcc, s4, v6
	s_mov_b64 s[4:5], 0
                                        ; implicit-def: $sgpr10
	s_and_saveexec_b64 s[6:7], vcc
	s_xor_b64 s[6:7], exec, s[6:7]
	s_cbranch_execz .LBB1_437
; %bb.36277:
	s_getpc_b64 s[14:15]
.Lpost_getpc3802:
	s_add_u32 s14, s14, (.LBB1_14773-.Lpost_getpc3802)&4294967295
	s_addc_u32 s15, s15, (.LBB1_14773-.Lpost_getpc3802)>>32
	s_setpc_b64 s[14:15]
.LBB1_437:
	s_or_saveexec_b64 s[6:7], s[6:7]
	v_mov_b32_e32 v12, s10
	s_xor_b64 exec, exec, s[6:7]
	s_cbranch_execz .LBB1_438
; %bb.36279:
	s_getpc_b64 s[14:15]
.Lpost_getpc3803:
	s_add_u32 s14, s14, (.LBB1_14776-.Lpost_getpc3803)&4294967295
	s_addc_u32 s15, s15, (.LBB1_14776-.Lpost_getpc3803)>>32
	s_setpc_b64 s[14:15]
.LBB1_438:
	s_or_b64 exec, exec, s[6:7]
	s_and_saveexec_b64 s[6:7], s[4:5]
	s_cbranch_execz .LBB1_440
.LBB1_439:
	v_bfe_u32 v6, v3, 16, 3
	v_ffbh_u32_e32 v14, v6
	v_min_u32_e32 v14, 32, v14
	v_lshrrev_b32_e32 v12, 19, v3
	v_subrev_u32_e32 v15, 28, v14
	v_and_b32_e32 v12, 15, v12
	v_lshlrev_b32_sdwa v15, v15, v3 dst_sel:DWORD dst_unused:UNUSED_PAD src0_sel:DWORD src1_sel:WORD_1
	v_bfe_u32 v13, v3, 19, 4
	v_sub_u32_e32 v14, 29, v14
	v_and_b32_e32 v15, 7, v15
	v_cmp_eq_u16_e32 vcc, 0, v12
	v_cndmask_b32_e32 v6, v6, v15, vcc
	v_cndmask_b32_e32 v12, v13, v14, vcc
	v_lshlrev_b32_e32 v13, 8, v3
	v_mov_b32_e32 v14, 0x3b800000
	v_lshlrev_b32_e32 v6, 20, v6
	v_and_b32_e32 v13, 0x80000000, v13
	v_lshl_add_u32 v12, v12, 23, v14
	v_or3_b32 v12, v13, v12, v6
.LBB1_440:
	s_or_b64 exec, exec, s[6:7]
	s_nop 0
	v_mfma_f32_16x16x4f32 a[0:3], v2, v12, a[0:3]
	s_movk_i32 s4, 0x7f
	v_cmp_gt_i16_sdwa s[6:7], v7, s4 src0_sel:BYTE_3 src1_sel:DWORD
	s_mov_b64 s[4:5], 0
                                        ; implicit-def: $sgpr10
	s_and_saveexec_b64 s[8:9], s[6:7]
	s_xor_b64 s[6:7], exec, s[8:9]
	s_cbranch_execz .LBB1_441
; %bb.36281:
	s_getpc_b64 s[14:15]
.Lpost_getpc3804:
	s_add_u32 s14, s14, (.LBB1_14777-.Lpost_getpc3804)&4294967295
	s_addc_u32 s15, s15, (.LBB1_14777-.Lpost_getpc3804)>>32
	s_setpc_b64 s[14:15]
.LBB1_441:
	s_or_saveexec_b64 s[6:7], s[6:7]
	v_mov_b32_e32 v2, s10
	s_xor_b64 exec, exec, s[6:7]
	s_cbranch_execz .LBB1_442
; %bb.36283:
	s_getpc_b64 s[14:15]
.Lpost_getpc3805:
	s_add_u32 s14, s14, (.LBB1_14780-.Lpost_getpc3805)&4294967295
	s_addc_u32 s15, s15, (.LBB1_14780-.Lpost_getpc3805)>>32
	s_setpc_b64 s[14:15]
.LBB1_442:
	s_or_b64 exec, exec, s[6:7]
	s_and_saveexec_b64 s[6:7], s[4:5]
	s_cbranch_execz .LBB1_444
.LBB1_443:
	v_bfe_u32 v2, v7, 24, 3
	v_ffbh_u32_e32 v14, v2
	v_min_u32_e32 v14, 32, v14
	v_lshrrev_b32_e32 v12, 27, v7
	v_subrev_u32_e32 v15, 28, v14
	v_and_b32_e32 v6, 0x80000000, v7
	v_and_b32_e32 v12, 15, v12
	v_bfe_u32 v13, v7, 27, 4
	v_lshlrev_b32_sdwa v7, v15, v7 dst_sel:DWORD dst_unused:UNUSED_PAD src0_sel:DWORD src1_sel:BYTE_3
	v_sub_u32_e32 v14, 29, v14
	v_and_b32_e32 v7, 7, v7
	v_cmp_eq_u16_e32 vcc, 0, v12
	v_cndmask_b32_e32 v2, v2, v7, vcc
	v_cndmask_b32_e32 v7, v13, v14, vcc
	v_mov_b32_e32 v12, 0x3b800000
	v_lshlrev_b32_e32 v2, 20, v2
	v_lshl_add_u32 v7, v7, 23, v12
	v_or3_b32 v2, v6, v7, v2
.LBB1_444:
	s_or_b64 exec, exec, s[6:7]
	s_movk_i32 s4, 0x7f
	v_cmp_gt_i16_sdwa s[6:7], v3, s4 src0_sel:BYTE_3 src1_sel:DWORD
	s_mov_b64 s[4:5], 0
                                        ; implicit-def: $sgpr10
	s_and_saveexec_b64 s[8:9], s[6:7]
	s_xor_b64 s[6:7], exec, s[8:9]
	s_cbranch_execz .LBB1_445
; %bb.36285:
	s_getpc_b64 s[14:15]
.Lpost_getpc3806:
	s_add_u32 s14, s14, (.LBB1_14781-.Lpost_getpc3806)&4294967295
	s_addc_u32 s15, s15, (.LBB1_14781-.Lpost_getpc3806)>>32
	s_setpc_b64 s[14:15]
.LBB1_445:
	s_or_saveexec_b64 s[6:7], s[6:7]
	v_mov_b32_e32 v6, s10
	s_xor_b64 exec, exec, s[6:7]
	s_cbranch_execz .LBB1_446
; %bb.36287:
	s_getpc_b64 s[14:15]
.Lpost_getpc3807:
	s_add_u32 s14, s14, (.LBB1_14784-.Lpost_getpc3807)&4294967295
	s_addc_u32 s15, s15, (.LBB1_14784-.Lpost_getpc3807)>>32
	s_setpc_b64 s[14:15]
.LBB1_446:
	s_or_b64 exec, exec, s[6:7]
	s_and_saveexec_b64 s[6:7], s[4:5]
	s_cbranch_execz .LBB1_448
.LBB1_447:
	v_bfe_u32 v6, v3, 24, 3
	v_ffbh_u32_e32 v14, v6
	v_min_u32_e32 v14, 32, v14
	v_lshrrev_b32_e32 v12, 27, v3
	v_subrev_u32_e32 v15, 28, v14
	v_and_b32_e32 v7, 0x80000000, v3
	v_and_b32_e32 v12, 15, v12
	v_bfe_u32 v13, v3, 27, 4
	v_lshlrev_b32_sdwa v3, v15, v3 dst_sel:DWORD dst_unused:UNUSED_PAD src0_sel:DWORD src1_sel:BYTE_3
	v_sub_u32_e32 v14, 29, v14
	v_and_b32_e32 v3, 7, v3
	v_cmp_eq_u16_e32 vcc, 0, v12
	v_cndmask_b32_e32 v3, v6, v3, vcc
	v_cndmask_b32_e32 v6, v13, v14, vcc
	v_mov_b32_e32 v12, 0x3b800000
	v_lshlrev_b32_e32 v3, 20, v3
	v_lshl_add_u32 v6, v6, 23, v12
	v_or3_b32 v6, v7, v6, v3
.LBB1_448:
	s_or_b64 exec, exec, s[6:7]
	s_nop 0
	v_mfma_f32_16x16x4f32 a[0:3], v2, v6, a[0:3]
	s_movk_i32 s4, 0x7f
	v_cmp_gt_i16_sdwa s[6:7], v8, s4 src0_sel:BYTE_0 src1_sel:DWORD
	s_mov_b64 s[4:5], 0
                                        ; implicit-def: $sgpr10
	s_and_saveexec_b64 s[8:9], s[6:7]
	s_xor_b64 s[6:7], exec, s[8:9]
	s_cbranch_execz .LBB1_449
; %bb.36289:
	s_getpc_b64 s[14:15]
.Lpost_getpc3808:
	s_add_u32 s14, s14, (.LBB1_14785-.Lpost_getpc3808)&4294967295
	s_addc_u32 s15, s15, (.LBB1_14785-.Lpost_getpc3808)>>32
	s_setpc_b64 s[14:15]
.LBB1_449:
	s_or_saveexec_b64 s[6:7], s[6:7]
	v_mov_b32_e32 v2, s10
	s_xor_b64 exec, exec, s[6:7]
	s_cbranch_execz .LBB1_450
; %bb.36291:
	s_getpc_b64 s[14:15]
.Lpost_getpc3809:
	s_add_u32 s14, s14, (.LBB1_14788-.Lpost_getpc3809)&4294967295
	s_addc_u32 s15, s15, (.LBB1_14788-.Lpost_getpc3809)>>32
	s_setpc_b64 s[14:15]
.LBB1_450:
	s_or_b64 exec, exec, s[6:7]
	s_and_saveexec_b64 s[6:7], s[4:5]
	s_cbranch_execz .LBB1_452
.LBB1_451:
	v_and_b32_e32 v2, 7, v8
	v_ffbh_u32_e32 v6, v2
	v_min_u32_e32 v6, 32, v6
	v_lshrrev_b16_e32 v3, 3, v8
	v_subrev_u32_e32 v7, 28, v6
	v_and_b32_e32 v3, 15, v3
	v_lshlrev_b32_e32 v7, v7, v8
	v_sub_u32_e32 v6, 29, v6
	v_and_b32_e32 v7, 7, v7
	v_cmp_eq_u16_e32 vcc, 0, v3
	v_cndmask_b32_e32 v2, v2, v7, vcc
	v_cndmask_b32_e32 v3, v3, v6, vcc
	v_lshlrev_b32_e32 v6, 24, v8
	v_mov_b32_e32 v7, 0x3b800000
	v_lshlrev_b32_e32 v2, 20, v2
	v_and_b32_e32 v6, 0x80000000, v6
	v_lshl_add_u32 v3, v3, 23, v7
	v_or3_b32 v2, v6, v3, v2
.LBB1_452:
	s_or_b64 exec, exec, s[6:7]
	s_movk_i32 s4, 0x7f
	v_cmp_gt_i16_sdwa s[6:7], v4, s4 src0_sel:BYTE_0 src1_sel:DWORD
	s_mov_b64 s[4:5], 0
                                        ; implicit-def: $sgpr10
	s_and_saveexec_b64 s[8:9], s[6:7]
	s_xor_b64 s[6:7], exec, s[8:9]
	s_cbranch_execz .LBB1_453
; %bb.36293:
	s_getpc_b64 s[14:15]
.Lpost_getpc3810:
	s_add_u32 s14, s14, (.LBB1_14789-.Lpost_getpc3810)&4294967295
	s_addc_u32 s15, s15, (.LBB1_14789-.Lpost_getpc3810)>>32
	s_setpc_b64 s[14:15]
.LBB1_453:
	s_or_saveexec_b64 s[6:7], s[6:7]
	v_mov_b32_e32 v3, s10
	s_xor_b64 exec, exec, s[6:7]
	s_cbranch_execz .LBB1_454
; %bb.36295:
	s_getpc_b64 s[14:15]
.Lpost_getpc3811:
	s_add_u32 s14, s14, (.LBB1_14792-.Lpost_getpc3811)&4294967295
	s_addc_u32 s15, s15, (.LBB1_14792-.Lpost_getpc3811)>>32
	s_setpc_b64 s[14:15]
.LBB1_454:
	s_or_b64 exec, exec, s[6:7]
	s_and_saveexec_b64 s[6:7], s[4:5]
	s_cbranch_execz .LBB1_456
.LBB1_455:
	v_and_b32_e32 v3, 7, v4
	v_ffbh_u32_e32 v7, v3
	v_min_u32_e32 v7, 32, v7
	v_lshrrev_b16_e32 v6, 3, v4
	v_subrev_u32_e32 v12, 28, v7
	v_and_b32_e32 v6, 15, v6
	v_lshlrev_b32_e32 v12, v12, v4
	v_sub_u32_e32 v7, 29, v7
	v_and_b32_e32 v12, 7, v12
	v_cmp_eq_u16_e32 vcc, 0, v6
	v_cndmask_b32_e32 v3, v3, v12, vcc
	v_cndmask_b32_e32 v6, v6, v7, vcc
	v_lshlrev_b32_e32 v7, 24, v4
	v_mov_b32_e32 v12, 0x3b800000
	v_lshlrev_b32_e32 v3, 20, v3
	v_and_b32_e32 v7, 0x80000000, v7
	v_lshl_add_u32 v6, v6, 23, v12
	v_or3_b32 v3, v7, v6, v3
.LBB1_456:
	s_or_b64 exec, exec, s[6:7]
	s_nop 0
	v_mfma_f32_16x16x4f32 a[0:3], v2, v3, a[0:3]
	v_lshrrev_b32_e32 v3, 8, v8
	s_movk_i32 s4, 0x7f
	v_cmp_gt_i16_sdwa s[6:7], v3, s4 src0_sel:BYTE_0 src1_sel:DWORD
	s_mov_b64 s[4:5], 0
                                        ; implicit-def: $sgpr10
	s_and_saveexec_b64 s[8:9], s[6:7]
	s_xor_b64 s[6:7], exec, s[8:9]
	s_cbranch_execz .LBB1_457
; %bb.36297:
	s_getpc_b64 s[14:15]
.Lpost_getpc3812:
	s_add_u32 s14, s14, (.LBB1_14793-.Lpost_getpc3812)&4294967295
	s_addc_u32 s15, s15, (.LBB1_14793-.Lpost_getpc3812)>>32
	s_setpc_b64 s[14:15]
.LBB1_457:
	s_or_saveexec_b64 s[6:7], s[6:7]
	v_mov_b32_e32 v2, s10
	s_xor_b64 exec, exec, s[6:7]
	s_cbranch_execz .LBB1_458
; %bb.36299:
	s_getpc_b64 s[14:15]
.Lpost_getpc3813:
	s_add_u32 s14, s14, (.LBB1_14796-.Lpost_getpc3813)&4294967295
	s_addc_u32 s15, s15, (.LBB1_14796-.Lpost_getpc3813)>>32
	s_setpc_b64 s[14:15]
.LBB1_458:
	s_or_b64 exec, exec, s[6:7]
	s_and_saveexec_b64 s[6:7], s[4:5]
	s_cbranch_execz .LBB1_460
.LBB1_459:
	v_bfe_u32 v2, v8, 8, 3
	v_ffbh_u32_e32 v7, v2
	v_min_u32_e32 v7, 32, v7
	v_lshrrev_b16_e32 v6, 3, v3
	v_subrev_u32_e32 v12, 28, v7
	v_and_b32_e32 v6, 15, v6
	v_lshlrev_b32_e32 v3, v12, v3
	v_sub_u32_e32 v7, 29, v7
	v_and_b32_e32 v3, 7, v3
	v_cmp_eq_u16_e32 vcc, 0, v6
	v_cndmask_b32_e32 v2, v2, v3, vcc
	v_cndmask_b32_e32 v3, v6, v7, vcc
	v_lshlrev_b32_e32 v6, 16, v8
	v_mov_b32_e32 v7, 0x3b800000
	v_lshlrev_b32_e32 v2, 20, v2
	v_and_b32_e32 v6, 0x80000000, v6
	v_lshl_add_u32 v3, v3, 23, v7
	v_or3_b32 v2, v6, v3, v2
.LBB1_460:
	s_or_b64 exec, exec, s[6:7]
	v_lshrrev_b32_e32 v3, 8, v4
	s_movk_i32 s4, 0x7f
	v_cmp_gt_i16_sdwa s[6:7], v3, s4 src0_sel:BYTE_0 src1_sel:DWORD
	s_mov_b64 s[4:5], 0
                                        ; implicit-def: $sgpr10
	s_and_saveexec_b64 s[8:9], s[6:7]
	s_xor_b64 s[6:7], exec, s[8:9]
	s_cbranch_execz .LBB1_461
; %bb.36301:
	s_getpc_b64 s[14:15]
.Lpost_getpc3814:
	s_add_u32 s14, s14, (.LBB1_14797-.Lpost_getpc3814)&4294967295
	s_addc_u32 s15, s15, (.LBB1_14797-.Lpost_getpc3814)>>32
	s_setpc_b64 s[14:15]
.LBB1_461:
	s_or_saveexec_b64 s[6:7], s[6:7]
	v_mov_b32_e32 v6, s10
	s_xor_b64 exec, exec, s[6:7]
	s_cbranch_execz .LBB1_462
; %bb.36303:
	s_getpc_b64 s[14:15]
.Lpost_getpc3815:
	s_add_u32 s14, s14, (.LBB1_14800-.Lpost_getpc3815)&4294967295
	s_addc_u32 s15, s15, (.LBB1_14800-.Lpost_getpc3815)>>32
	s_setpc_b64 s[14:15]
.LBB1_462:
	s_or_b64 exec, exec, s[6:7]
	s_and_saveexec_b64 s[6:7], s[4:5]
	s_cbranch_execz .LBB1_464
.LBB1_463:
	v_bfe_u32 v6, v4, 8, 3
	v_ffbh_u32_e32 v12, v6
	v_min_u32_e32 v12, 32, v12
	v_lshrrev_b16_e32 v7, 3, v3
	v_subrev_u32_e32 v13, 28, v12
	v_and_b32_e32 v7, 15, v7
	v_lshlrev_b32_e32 v3, v13, v3
	v_sub_u32_e32 v12, 29, v12
	v_and_b32_e32 v3, 7, v3
	v_cmp_eq_u16_e32 vcc, 0, v7
	v_cndmask_b32_e32 v3, v6, v3, vcc
	v_cndmask_b32_e32 v6, v7, v12, vcc
	v_lshlrev_b32_e32 v7, 16, v4
	v_mov_b32_e32 v12, 0x3b800000
	v_lshlrev_b32_e32 v3, 20, v3
	v_and_b32_e32 v7, 0x80000000, v7
	v_lshl_add_u32 v6, v6, 23, v12
	v_or3_b32 v6, v7, v6, v3
.LBB1_464:
	s_or_b64 exec, exec, s[6:7]
	s_nop 0
	v_mfma_f32_16x16x4f32 a[0:3], v2, v6, a[0:3]
	s_movk_i32 s4, 0xff
	v_and_b32_sdwa v3, v8, s4 dst_sel:DWORD dst_unused:UNUSED_PAD src0_sel:WORD_1 src1_sel:DWORD
	s_movk_i32 s4, 0x7f
	v_cmp_lt_i16_e32 vcc, s4, v3
	s_mov_b64 s[4:5], 0
                                        ; implicit-def: $sgpr10
	s_and_saveexec_b64 s[6:7], vcc
	s_xor_b64 s[6:7], exec, s[6:7]
	s_cbranch_execz .LBB1_465
; %bb.36305:
	s_getpc_b64 s[14:15]
.Lpost_getpc3816:
	s_add_u32 s14, s14, (.LBB1_14801-.Lpost_getpc3816)&4294967295
	s_addc_u32 s15, s15, (.LBB1_14801-.Lpost_getpc3816)>>32
	s_setpc_b64 s[14:15]
.LBB1_465:
	s_or_saveexec_b64 s[6:7], s[6:7]
	v_mov_b32_e32 v2, s10
	s_xor_b64 exec, exec, s[6:7]
	s_cbranch_execz .LBB1_466
; %bb.36307:
	s_getpc_b64 s[14:15]
.Lpost_getpc3817:
	s_add_u32 s14, s14, (.LBB1_14804-.Lpost_getpc3817)&4294967295
	s_addc_u32 s15, s15, (.LBB1_14804-.Lpost_getpc3817)>>32
	s_setpc_b64 s[14:15]
.LBB1_466:
	s_or_b64 exec, exec, s[6:7]
	s_and_saveexec_b64 s[6:7], s[4:5]
	s_cbranch_execz .LBB1_468
.LBB1_467:
	v_bfe_u32 v2, v8, 16, 3
	v_ffbh_u32_e32 v7, v2
	v_min_u32_e32 v7, 32, v7
	v_lshrrev_b32_e32 v3, 19, v8
	v_subrev_u32_e32 v12, 28, v7
	v_and_b32_e32 v3, 15, v3
	v_lshlrev_b32_sdwa v12, v12, v8 dst_sel:DWORD dst_unused:UNUSED_PAD src0_sel:DWORD src1_sel:WORD_1
	v_bfe_u32 v6, v8, 19, 4
	v_sub_u32_e32 v7, 29, v7
	v_and_b32_e32 v12, 7, v12
	v_cmp_eq_u16_e32 vcc, 0, v3
	v_cndmask_b32_e32 v2, v2, v12, vcc
	v_cndmask_b32_e32 v3, v6, v7, vcc
	v_lshlrev_b32_e32 v6, 8, v8
	v_mov_b32_e32 v7, 0x3b800000
	v_lshlrev_b32_e32 v2, 20, v2
	v_and_b32_e32 v6, 0x80000000, v6
	v_lshl_add_u32 v3, v3, 23, v7
	v_or3_b32 v2, v6, v3, v2
.LBB1_468:
	s_or_b64 exec, exec, s[6:7]
	s_movk_i32 s4, 0xff
	v_and_b32_sdwa v3, v4, s4 dst_sel:DWORD dst_unused:UNUSED_PAD src0_sel:WORD_1 src1_sel:DWORD
	s_movk_i32 s4, 0x7f
	v_cmp_lt_i16_e32 vcc, s4, v3
	s_mov_b64 s[4:5], 0
                                        ; implicit-def: $sgpr10
	s_and_saveexec_b64 s[6:7], vcc
	s_xor_b64 s[6:7], exec, s[6:7]
	s_cbranch_execz .LBB1_469
; %bb.36309:
	s_getpc_b64 s[14:15]
.Lpost_getpc3818:
	s_add_u32 s14, s14, (.LBB1_14805-.Lpost_getpc3818)&4294967295
	s_addc_u32 s15, s15, (.LBB1_14805-.Lpost_getpc3818)>>32
	s_setpc_b64 s[14:15]
.LBB1_469:
	s_or_saveexec_b64 s[6:7], s[6:7]
	v_mov_b32_e32 v6, s10
	s_xor_b64 exec, exec, s[6:7]
	s_cbranch_execz .LBB1_470
; %bb.36311:
	s_getpc_b64 s[14:15]
.Lpost_getpc3819:
	s_add_u32 s14, s14, (.LBB1_14808-.Lpost_getpc3819)&4294967295
	s_addc_u32 s15, s15, (.LBB1_14808-.Lpost_getpc3819)>>32
	s_setpc_b64 s[14:15]
.LBB1_470:
	s_or_b64 exec, exec, s[6:7]
	s_and_saveexec_b64 s[6:7], s[4:5]
	s_cbranch_execz .LBB1_472
.LBB1_471:
	v_bfe_u32 v3, v4, 16, 3
	v_ffbh_u32_e32 v12, v3
	v_min_u32_e32 v12, 32, v12
	v_lshrrev_b32_e32 v6, 19, v4
	v_subrev_u32_e32 v13, 28, v12
	v_and_b32_e32 v6, 15, v6
	v_lshlrev_b32_sdwa v13, v13, v4 dst_sel:DWORD dst_unused:UNUSED_PAD src0_sel:DWORD src1_sel:WORD_1
	v_bfe_u32 v7, v4, 19, 4
	v_sub_u32_e32 v12, 29, v12
	v_and_b32_e32 v13, 7, v13
	v_cmp_eq_u16_e32 vcc, 0, v6
	v_cndmask_b32_e32 v3, v3, v13, vcc
	v_cndmask_b32_e32 v6, v7, v12, vcc
	v_lshlrev_b32_e32 v7, 8, v4
	v_mov_b32_e32 v12, 0x3b800000
	v_lshlrev_b32_e32 v3, 20, v3
	v_and_b32_e32 v7, 0x80000000, v7
	v_lshl_add_u32 v6, v6, 23, v12
	v_or3_b32 v6, v7, v6, v3
.LBB1_472:
	s_or_b64 exec, exec, s[6:7]
	s_nop 0
	v_mfma_f32_16x16x4f32 a[0:3], v2, v6, a[0:3]
	s_movk_i32 s4, 0x7f
	v_cmp_gt_i16_sdwa s[6:7], v8, s4 src0_sel:BYTE_3 src1_sel:DWORD
	s_mov_b64 s[4:5], 0
                                        ; implicit-def: $sgpr10
	s_and_saveexec_b64 s[8:9], s[6:7]
	s_xor_b64 s[6:7], exec, s[8:9]
	s_cbranch_execz .LBB1_473
; %bb.36313:
	s_getpc_b64 s[14:15]
.Lpost_getpc3820:
	s_add_u32 s14, s14, (.LBB1_14809-.Lpost_getpc3820)&4294967295
	s_addc_u32 s15, s15, (.LBB1_14809-.Lpost_getpc3820)>>32
	s_setpc_b64 s[14:15]
.LBB1_473:
	s_or_saveexec_b64 s[6:7], s[6:7]
	v_mov_b32_e32 v2, s10
	s_xor_b64 exec, exec, s[6:7]
	s_cbranch_execz .LBB1_474
; %bb.36315:
	s_getpc_b64 s[14:15]
.Lpost_getpc3821:
	s_add_u32 s14, s14, (.LBB1_14812-.Lpost_getpc3821)&4294967295
	s_addc_u32 s15, s15, (.LBB1_14812-.Lpost_getpc3821)>>32
	s_setpc_b64 s[14:15]
.LBB1_474:
	s_or_b64 exec, exec, s[6:7]
	s_and_saveexec_b64 s[6:7], s[4:5]
	s_cbranch_execz .LBB1_476
.LBB1_475:
	v_bfe_u32 v2, v8, 24, 3
	v_ffbh_u32_e32 v12, v2
	v_min_u32_e32 v12, 32, v12
	v_lshrrev_b32_e32 v6, 27, v8
	v_subrev_u32_e32 v13, 28, v12
	v_and_b32_e32 v3, 0x80000000, v8
	v_and_b32_e32 v6, 15, v6
	v_bfe_u32 v7, v8, 27, 4
	v_lshlrev_b32_sdwa v8, v13, v8 dst_sel:DWORD dst_unused:UNUSED_PAD src0_sel:DWORD src1_sel:BYTE_3
	v_sub_u32_e32 v12, 29, v12
	v_and_b32_e32 v8, 7, v8
	v_cmp_eq_u16_e32 vcc, 0, v6
	v_cndmask_b32_e32 v2, v2, v8, vcc
	v_cndmask_b32_e32 v6, v7, v12, vcc
	v_mov_b32_e32 v7, 0x3b800000
	v_lshlrev_b32_e32 v2, 20, v2
	v_lshl_add_u32 v6, v6, 23, v7
	v_or3_b32 v2, v3, v6, v2
.LBB1_476:
	s_or_b64 exec, exec, s[6:7]
	s_movk_i32 s4, 0x7f
	v_cmp_gt_i16_sdwa s[6:7], v4, s4 src0_sel:BYTE_3 src1_sel:DWORD
	s_mov_b64 s[4:5], 0
                                        ; implicit-def: $sgpr10
	s_and_saveexec_b64 s[8:9], s[6:7]
	s_xor_b64 s[6:7], exec, s[8:9]
	s_cbranch_execz .LBB1_477
; %bb.36317:
	s_getpc_b64 s[14:15]
.Lpost_getpc3822:
	s_add_u32 s14, s14, (.LBB1_14813-.Lpost_getpc3822)&4294967295
	s_addc_u32 s15, s15, (.LBB1_14813-.Lpost_getpc3822)>>32
	s_setpc_b64 s[14:15]
.LBB1_477:
	s_or_saveexec_b64 s[6:7], s[6:7]
	v_mov_b32_e32 v3, s10
	s_xor_b64 exec, exec, s[6:7]
	s_cbranch_execz .LBB1_478
; %bb.36319:
	s_getpc_b64 s[14:15]
.Lpost_getpc3823:
	s_add_u32 s14, s14, (.LBB1_14816-.Lpost_getpc3823)&4294967295
	s_addc_u32 s15, s15, (.LBB1_14816-.Lpost_getpc3823)>>32
	s_setpc_b64 s[14:15]
.LBB1_478:
	s_or_b64 exec, exec, s[6:7]
	s_and_saveexec_b64 s[6:7], s[4:5]
	s_cbranch_execz .LBB1_480
.LBB1_479:
	v_bfe_u32 v3, v4, 24, 3
	v_ffbh_u32_e32 v12, v3
	v_min_u32_e32 v12, 32, v12
	v_lshrrev_b32_e32 v7, 27, v4
	v_subrev_u32_e32 v13, 28, v12
	v_and_b32_e32 v6, 0x80000000, v4
	v_and_b32_e32 v7, 15, v7
	v_bfe_u32 v8, v4, 27, 4
	v_lshlrev_b32_sdwa v4, v13, v4 dst_sel:DWORD dst_unused:UNUSED_PAD src0_sel:DWORD src1_sel:BYTE_3
	v_sub_u32_e32 v12, 29, v12
	v_and_b32_e32 v4, 7, v4
	v_cmp_eq_u16_e32 vcc, 0, v7
	v_cndmask_b32_e32 v3, v3, v4, vcc
	v_cndmask_b32_e32 v4, v8, v12, vcc
	v_mov_b32_e32 v7, 0x3b800000
	v_lshlrev_b32_e32 v3, 20, v3
	v_lshl_add_u32 v4, v4, 23, v7
	v_or3_b32 v3, v6, v4, v3
.LBB1_480:
	s_or_b64 exec, exec, s[6:7]
	s_nop 0
	v_mfma_f32_16x16x4f32 a[0:3], v2, v3, a[0:3]
	s_movk_i32 s4, 0x7f
	v_cmp_gt_i16_sdwa s[6:7], v9, s4 src0_sel:BYTE_0 src1_sel:DWORD
	s_mov_b64 s[4:5], 0
                                        ; implicit-def: $sgpr10
	s_and_saveexec_b64 s[8:9], s[6:7]
	s_xor_b64 s[6:7], exec, s[8:9]
	s_cbranch_execz .LBB1_481
; %bb.36321:
	s_getpc_b64 s[14:15]
.Lpost_getpc3824:
	s_add_u32 s14, s14, (.LBB1_14817-.Lpost_getpc3824)&4294967295
	s_addc_u32 s15, s15, (.LBB1_14817-.Lpost_getpc3824)>>32
	s_setpc_b64 s[14:15]
.LBB1_481:
	s_or_saveexec_b64 s[6:7], s[6:7]
	v_mov_b32_e32 v2, s10
	s_xor_b64 exec, exec, s[6:7]
	s_cbranch_execz .LBB1_482
; %bb.36323:
	s_getpc_b64 s[14:15]
.Lpost_getpc3825:
	s_add_u32 s14, s14, (.LBB1_14820-.Lpost_getpc3825)&4294967295
	s_addc_u32 s15, s15, (.LBB1_14820-.Lpost_getpc3825)>>32
	s_setpc_b64 s[14:15]
.LBB1_482:
	s_or_b64 exec, exec, s[6:7]
	s_and_saveexec_b64 s[6:7], s[4:5]
	s_cbranch_execz .LBB1_484
.LBB1_483:
	v_mov_b32_e32 v2, 8
	v_and_b32_e32 v3, 7, v9
	v_lshrrev_b32_sdwa v2, v2, v9 dst_sel:BYTE_1 dst_unused:UNUSED_PAD src0_sel:DWORD src1_sel:DWORD
	v_ffbh_u32_e32 v4, v3
	v_or_b32_sdwa v2, v9, v2 dst_sel:DWORD dst_unused:UNUSED_PAD src0_sel:BYTE_0 src1_sel:DWORD
	v_min_u32_e32 v4, 32, v4
	v_lshrrev_b16_e32 v2, 3, v2
	v_subrev_u32_e32 v6, 28, v4
	v_and_b32_e32 v2, 15, v2
	v_lshlrev_b32_e32 v6, v6, v9
	v_sub_u32_e32 v4, 29, v4
	v_and_b32_e32 v6, 7, v6
	v_cmp_eq_u16_e32 vcc, 0, v2
	v_cndmask_b32_e32 v3, v3, v6, vcc
	v_cndmask_b32_e32 v2, v2, v4, vcc
	v_lshlrev_b32_e32 v4, 24, v9
	v_mov_b32_e32 v6, 0x3b800000
	v_lshlrev_b32_e32 v3, 20, v3
	v_and_b32_e32 v4, 0x80000000, v4
	v_lshl_add_u32 v2, v2, 23, v6
	v_or3_b32 v2, v4, v2, v3
.LBB1_484:
	s_or_b64 exec, exec, s[6:7]
	s_movk_i32 s4, 0x7f
	v_cmp_gt_i16_sdwa s[6:7], v5, s4 src0_sel:BYTE_0 src1_sel:DWORD
	s_mov_b64 s[4:5], 0
                                        ; implicit-def: $sgpr10
	s_and_saveexec_b64 s[8:9], s[6:7]
	s_xor_b64 s[6:7], exec, s[8:9]
	s_cbranch_execz .LBB1_485
; %bb.36325:
	s_getpc_b64 s[14:15]
.Lpost_getpc3826:
	s_add_u32 s14, s14, (.LBB1_14821-.Lpost_getpc3826)&4294967295
	s_addc_u32 s15, s15, (.LBB1_14821-.Lpost_getpc3826)>>32
	s_setpc_b64 s[14:15]
.LBB1_485:
	s_or_saveexec_b64 s[6:7], s[6:7]
	v_mov_b32_e32 v3, s10
	s_xor_b64 exec, exec, s[6:7]
	s_cbranch_execz .LBB1_486
; %bb.36327:
	s_getpc_b64 s[14:15]
.Lpost_getpc3827:
	s_add_u32 s14, s14, (.LBB1_14824-.Lpost_getpc3827)&4294967295
	s_addc_u32 s15, s15, (.LBB1_14824-.Lpost_getpc3827)>>32
	s_setpc_b64 s[14:15]
.LBB1_486:
	s_or_b64 exec, exec, s[6:7]
	s_and_saveexec_b64 s[6:7], s[4:5]
	s_cbranch_execz .LBB1_488
.LBB1_487:
	v_mov_b32_e32 v3, 8
	v_and_b32_e32 v4, 7, v5
	v_lshrrev_b32_sdwa v3, v3, v5 dst_sel:BYTE_1 dst_unused:UNUSED_PAD src0_sel:DWORD src1_sel:DWORD
	v_ffbh_u32_e32 v6, v4
	v_or_b32_sdwa v3, v5, v3 dst_sel:DWORD dst_unused:UNUSED_PAD src0_sel:BYTE_0 src1_sel:DWORD
	v_min_u32_e32 v6, 32, v6
	v_lshrrev_b16_e32 v3, 3, v3
	v_subrev_u32_e32 v7, 28, v6
	v_and_b32_e32 v3, 15, v3
	v_lshlrev_b32_e32 v7, v7, v5
	v_sub_u32_e32 v6, 29, v6
	v_and_b32_e32 v7, 7, v7
	v_cmp_eq_u16_e32 vcc, 0, v3
	v_cndmask_b32_e32 v4, v4, v7, vcc
	v_cndmask_b32_e32 v3, v3, v6, vcc
	v_lshlrev_b32_e32 v6, 24, v5
	v_mov_b32_e32 v7, 0x3b800000
	v_lshlrev_b32_e32 v4, 20, v4
	v_and_b32_e32 v6, 0x80000000, v6
	v_lshl_add_u32 v3, v3, 23, v7
	v_or3_b32 v3, v6, v3, v4
.LBB1_488:
	s_or_b64 exec, exec, s[6:7]
	s_nop 0
	v_mfma_f32_16x16x4f32 a[0:3], v2, v3, a[0:3]
	v_lshrrev_b32_e32 v3, 8, v9
	s_movk_i32 s4, 0x7f
	v_cmp_gt_i16_sdwa s[6:7], v3, s4 src0_sel:BYTE_0 src1_sel:DWORD
	s_mov_b64 s[4:5], 0
                                        ; implicit-def: $sgpr10
	s_and_saveexec_b64 s[8:9], s[6:7]
	s_xor_b64 s[6:7], exec, s[8:9]
	s_cbranch_execz .LBB1_489
; %bb.36329:
	s_getpc_b64 s[14:15]
.Lpost_getpc3828:
	s_add_u32 s14, s14, (.LBB1_14825-.Lpost_getpc3828)&4294967295
	s_addc_u32 s15, s15, (.LBB1_14825-.Lpost_getpc3828)>>32
	s_setpc_b64 s[14:15]
.LBB1_489:
	s_or_saveexec_b64 s[6:7], s[6:7]
	v_mov_b32_e32 v2, s10
	s_xor_b64 exec, exec, s[6:7]
	s_cbranch_execz .LBB1_490
; %bb.36331:
	s_getpc_b64 s[14:15]
.Lpost_getpc3829:
	s_add_u32 s14, s14, (.LBB1_14828-.Lpost_getpc3829)&4294967295
	s_addc_u32 s15, s15, (.LBB1_14828-.Lpost_getpc3829)>>32
	s_setpc_b64 s[14:15]
.LBB1_490:
	s_or_b64 exec, exec, s[6:7]
	s_and_saveexec_b64 s[6:7], s[4:5]
	s_cbranch_execz .LBB1_492
.LBB1_491:
	v_bfe_u32 v2, v9, 8, 3
	v_ffbh_u32_e32 v6, v2
	v_min_u32_e32 v6, 32, v6
	v_lshrrev_b16_e32 v4, 3, v3
	v_subrev_u32_e32 v7, 28, v6
	v_and_b32_e32 v4, 15, v4
	v_lshlrev_b32_e32 v3, v7, v3
	v_sub_u32_e32 v6, 29, v6
	v_and_b32_e32 v3, 7, v3
	v_cmp_eq_u16_e32 vcc, 0, v4
	v_cndmask_b32_e32 v2, v2, v3, vcc
	v_cndmask_b32_e32 v3, v4, v6, vcc
	v_lshlrev_b32_e32 v4, 16, v9
	v_mov_b32_e32 v6, 0x3b800000
	v_lshlrev_b32_e32 v2, 20, v2
	v_and_b32_e32 v4, 0x80000000, v4
	v_lshl_add_u32 v3, v3, 23, v6
	v_or3_b32 v2, v4, v3, v2
.LBB1_492:
	s_or_b64 exec, exec, s[6:7]
	v_lshrrev_b32_e32 v3, 8, v5
	s_movk_i32 s4, 0x7f
	v_cmp_gt_i16_sdwa s[6:7], v3, s4 src0_sel:BYTE_0 src1_sel:DWORD
	s_mov_b64 s[4:5], 0
                                        ; implicit-def: $sgpr10
	s_and_saveexec_b64 s[8:9], s[6:7]
	s_xor_b64 s[6:7], exec, s[8:9]
	s_cbranch_execz .LBB1_493
; %bb.36333:
	s_getpc_b64 s[14:15]
.Lpost_getpc3830:
	s_add_u32 s14, s14, (.LBB1_14829-.Lpost_getpc3830)&4294967295
	s_addc_u32 s15, s15, (.LBB1_14829-.Lpost_getpc3830)>>32
	s_setpc_b64 s[14:15]
.LBB1_493:
	s_or_saveexec_b64 s[6:7], s[6:7]
	v_mov_b32_e32 v4, s10
	s_xor_b64 exec, exec, s[6:7]
	s_cbranch_execz .LBB1_494
; %bb.36335:
	s_getpc_b64 s[14:15]
.Lpost_getpc3831:
	s_add_u32 s14, s14, (.LBB1_14832-.Lpost_getpc3831)&4294967295
	s_addc_u32 s15, s15, (.LBB1_14832-.Lpost_getpc3831)>>32
	s_setpc_b64 s[14:15]
.LBB1_494:
	s_or_b64 exec, exec, s[6:7]
	s_and_saveexec_b64 s[6:7], s[4:5]
	s_cbranch_execz .LBB1_496
.LBB1_495:
	v_bfe_u32 v4, v5, 8, 3
	v_ffbh_u32_e32 v7, v4
	v_min_u32_e32 v7, 32, v7
	v_lshrrev_b16_e32 v6, 3, v3
	v_subrev_u32_e32 v8, 28, v7
	v_and_b32_e32 v6, 15, v6
	v_lshlrev_b32_e32 v3, v8, v3
	v_sub_u32_e32 v7, 29, v7
	v_and_b32_e32 v3, 7, v3
	v_cmp_eq_u16_e32 vcc, 0, v6
	v_cndmask_b32_e32 v3, v4, v3, vcc
	v_cndmask_b32_e32 v4, v6, v7, vcc
	v_lshlrev_b32_e32 v6, 16, v5
	v_mov_b32_e32 v7, 0x3b800000
	v_lshlrev_b32_e32 v3, 20, v3
	v_and_b32_e32 v6, 0x80000000, v6
	v_lshl_add_u32 v4, v4, 23, v7
	v_or3_b32 v4, v6, v4, v3
.LBB1_496:
	s_or_b64 exec, exec, s[6:7]
	s_nop 0
	v_mfma_f32_16x16x4f32 a[0:3], v2, v4, a[0:3]
	s_movk_i32 s4, 0xff
	v_and_b32_sdwa v3, v9, s4 dst_sel:DWORD dst_unused:UNUSED_PAD src0_sel:WORD_1 src1_sel:DWORD
	s_movk_i32 s4, 0x7f
	v_cmp_lt_i16_e32 vcc, s4, v3
	s_mov_b64 s[4:5], 0
                                        ; implicit-def: $sgpr10
	s_and_saveexec_b64 s[6:7], vcc
	s_xor_b64 s[6:7], exec, s[6:7]
	s_cbranch_execz .LBB1_497
; %bb.36337:
	s_getpc_b64 s[14:15]
.Lpost_getpc3832:
	s_add_u32 s14, s14, (.LBB1_14833-.Lpost_getpc3832)&4294967295
	s_addc_u32 s15, s15, (.LBB1_14833-.Lpost_getpc3832)>>32
	s_setpc_b64 s[14:15]
.LBB1_497:
	s_or_saveexec_b64 s[6:7], s[6:7]
	v_mov_b32_e32 v2, s10
	s_xor_b64 exec, exec, s[6:7]
	s_cbranch_execz .LBB1_498
; %bb.36339:
	s_getpc_b64 s[14:15]
.Lpost_getpc3833:
	s_add_u32 s14, s14, (.LBB1_14836-.Lpost_getpc3833)&4294967295
	s_addc_u32 s15, s15, (.LBB1_14836-.Lpost_getpc3833)>>32
	s_setpc_b64 s[14:15]
.LBB1_498:
	s_or_b64 exec, exec, s[6:7]
	s_and_saveexec_b64 s[6:7], s[4:5]
	s_cbranch_execz .LBB1_500
.LBB1_499:
	v_bfe_u32 v2, v9, 16, 3
	v_ffbh_u32_e32 v6, v2
	v_min_u32_e32 v6, 32, v6
	v_lshrrev_b32_e32 v3, 19, v9
	v_subrev_u32_e32 v7, 28, v6
	v_and_b32_e32 v3, 15, v3
	v_lshlrev_b32_sdwa v7, v7, v9 dst_sel:DWORD dst_unused:UNUSED_PAD src0_sel:DWORD src1_sel:WORD_1
	v_bfe_u32 v4, v9, 19, 4
	v_sub_u32_e32 v6, 29, v6
	v_and_b32_e32 v7, 7, v7
	v_cmp_eq_u16_e32 vcc, 0, v3
	v_cndmask_b32_e32 v2, v2, v7, vcc
	v_cndmask_b32_e32 v3, v4, v6, vcc
	v_lshlrev_b32_e32 v4, 8, v9
	v_mov_b32_e32 v6, 0x3b800000
	v_lshlrev_b32_e32 v2, 20, v2
	v_and_b32_e32 v4, 0x80000000, v4
	v_lshl_add_u32 v3, v3, 23, v6
	v_or3_b32 v2, v4, v3, v2
.LBB1_500:
	s_or_b64 exec, exec, s[6:7]
	s_movk_i32 s4, 0xff
	v_and_b32_sdwa v3, v5, s4 dst_sel:DWORD dst_unused:UNUSED_PAD src0_sel:WORD_1 src1_sel:DWORD
	s_movk_i32 s4, 0x7f
	v_cmp_lt_i16_e32 vcc, s4, v3
	s_mov_b64 s[4:5], 0
                                        ; implicit-def: $sgpr10
	s_and_saveexec_b64 s[6:7], vcc
	s_xor_b64 s[6:7], exec, s[6:7]
	s_cbranch_execz .LBB1_501
; %bb.36341:
	s_getpc_b64 s[14:15]
.Lpost_getpc3834:
	s_add_u32 s14, s14, (.LBB1_14837-.Lpost_getpc3834)&4294967295
	s_addc_u32 s15, s15, (.LBB1_14837-.Lpost_getpc3834)>>32
	s_setpc_b64 s[14:15]
.LBB1_501:
	s_or_saveexec_b64 s[6:7], s[6:7]
	v_mov_b32_e32 v4, s10
	s_xor_b64 exec, exec, s[6:7]
	s_cbranch_execz .LBB1_502
; %bb.36343:
	s_getpc_b64 s[14:15]
.Lpost_getpc3835:
	s_add_u32 s14, s14, (.LBB1_14840-.Lpost_getpc3835)&4294967295
	s_addc_u32 s15, s15, (.LBB1_14840-.Lpost_getpc3835)>>32
	s_setpc_b64 s[14:15]
.LBB1_502:
	s_or_b64 exec, exec, s[6:7]
	s_and_saveexec_b64 s[6:7], s[4:5]
	s_cbranch_execz .LBB1_504
.LBB1_503:
	v_bfe_u32 v3, v5, 16, 3
	v_ffbh_u32_e32 v7, v3
	v_min_u32_e32 v7, 32, v7
	v_lshrrev_b32_e32 v4, 19, v5
	v_subrev_u32_e32 v8, 28, v7
	v_and_b32_e32 v4, 15, v4
	v_lshlrev_b32_sdwa v8, v8, v5 dst_sel:DWORD dst_unused:UNUSED_PAD src0_sel:DWORD src1_sel:WORD_1
	v_bfe_u32 v6, v5, 19, 4
	v_sub_u32_e32 v7, 29, v7
	v_and_b32_e32 v8, 7, v8
	v_cmp_eq_u16_e32 vcc, 0, v4
	v_cndmask_b32_e32 v3, v3, v8, vcc
	v_cndmask_b32_e32 v4, v6, v7, vcc
	v_lshlrev_b32_e32 v6, 8, v5
	v_mov_b32_e32 v7, 0x3b800000
	v_lshlrev_b32_e32 v3, 20, v3
	v_and_b32_e32 v6, 0x80000000, v6
	v_lshl_add_u32 v4, v4, 23, v7
	v_or3_b32 v4, v6, v4, v3
.LBB1_504:
	s_or_b64 exec, exec, s[6:7]
	s_nop 0
	v_mfma_f32_16x16x4f32 a[0:3], v2, v4, a[0:3]
	s_movk_i32 s4, 0x7f
	v_cmp_gt_i16_sdwa s[6:7], v9, s4 src0_sel:BYTE_3 src1_sel:DWORD
	s_mov_b64 s[4:5], 0
                                        ; implicit-def: $sgpr10
	s_and_saveexec_b64 s[8:9], s[6:7]
	s_xor_b64 s[6:7], exec, s[8:9]
	s_cbranch_execz .LBB1_505
; %bb.36345:
	s_getpc_b64 s[14:15]
.Lpost_getpc3836:
	s_add_u32 s14, s14, (.LBB1_14841-.Lpost_getpc3836)&4294967295
	s_addc_u32 s15, s15, (.LBB1_14841-.Lpost_getpc3836)>>32
	s_setpc_b64 s[14:15]
.LBB1_505:
	s_or_saveexec_b64 s[6:7], s[6:7]
	v_mov_b32_e32 v2, s10
	s_xor_b64 exec, exec, s[6:7]
	s_cbranch_execz .LBB1_506
; %bb.36347:
	s_getpc_b64 s[14:15]
.Lpost_getpc3837:
	s_add_u32 s14, s14, (.LBB1_14844-.Lpost_getpc3837)&4294967295
	s_addc_u32 s15, s15, (.LBB1_14844-.Lpost_getpc3837)>>32
	s_setpc_b64 s[14:15]
.LBB1_506:
	s_or_b64 exec, exec, s[6:7]
	s_and_saveexec_b64 s[6:7], s[4:5]
	s_cbranch_execz .LBB1_508
.LBB1_507:
	v_bfe_u32 v2, v9, 24, 3
	v_ffbh_u32_e32 v7, v2
	v_min_u32_e32 v7, 32, v7
	v_lshrrev_b32_e32 v4, 27, v9
	v_subrev_u32_e32 v8, 28, v7
	v_and_b32_e32 v4, 15, v4
	v_lshlrev_b32_sdwa v8, v8, v9 dst_sel:DWORD dst_unused:UNUSED_PAD src0_sel:DWORD src1_sel:BYTE_3
	v_bfe_u32 v6, v9, 27, 4
	v_sub_u32_e32 v7, 29, v7
	v_and_b32_e32 v8, 7, v8
	v_cmp_eq_u16_e32 vcc, 0, v4
	v_cndmask_b32_e32 v2, v2, v8, vcc
	v_cndmask_b32_e32 v4, v6, v7, vcc
	v_mov_b32_e32 v6, 0x3b800000
	v_and_b32_e32 v3, 0x80000000, v9
	v_lshlrev_b32_e32 v2, 20, v2
	v_lshl_add_u32 v4, v4, 23, v6
	v_or3_b32 v2, v3, v4, v2
.LBB1_508:
	s_or_b64 exec, exec, s[6:7]
	s_movk_i32 s4, 0x7f
	v_cmp_gt_i16_sdwa s[6:7], v5, s4 src0_sel:BYTE_3 src1_sel:DWORD
	s_mov_b64 s[4:5], 0
                                        ; implicit-def: $sgpr10
	s_and_saveexec_b64 s[8:9], s[6:7]
	s_xor_b64 s[6:7], exec, s[8:9]
	s_cbranch_execz .LBB1_509
; %bb.36349:
	s_getpc_b64 s[14:15]
.Lpost_getpc3838:
	s_add_u32 s14, s14, (.LBB1_14845-.Lpost_getpc3838)&4294967295
	s_addc_u32 s15, s15, (.LBB1_14845-.Lpost_getpc3838)>>32
	s_setpc_b64 s[14:15]
.LBB1_509:
	s_or_saveexec_b64 s[6:7], s[6:7]
	v_mov_b32_e32 v3, s10
	s_xor_b64 exec, exec, s[6:7]
	s_cbranch_execz .LBB1_510
; %bb.36351:
	s_getpc_b64 s[14:15]
.Lpost_getpc3839:
	s_add_u32 s14, s14, (.LBB1_14848-.Lpost_getpc3839)&4294967295
	s_addc_u32 s15, s15, (.LBB1_14848-.Lpost_getpc3839)>>32
	s_setpc_b64 s[14:15]
.LBB1_510:
	s_or_b64 exec, exec, s[6:7]
	s_and_saveexec_b64 s[6:7], s[4:5]
	s_cbranch_execz .LBB1_512
.LBB1_511:
	v_bfe_u32 v3, v5, 24, 3
	v_ffbh_u32_e32 v8, v3
	v_min_u32_e32 v8, 32, v8
	v_lshrrev_b32_e32 v6, 27, v5
	v_subrev_u32_e32 v9, 28, v8
	v_and_b32_e32 v4, 0x80000000, v5
	v_and_b32_e32 v6, 15, v6
	v_bfe_u32 v7, v5, 27, 4
	v_lshlrev_b32_sdwa v5, v9, v5 dst_sel:DWORD dst_unused:UNUSED_PAD src0_sel:DWORD src1_sel:BYTE_3
	v_sub_u32_e32 v8, 29, v8
	v_and_b32_e32 v5, 7, v5
	v_cmp_eq_u16_e32 vcc, 0, v6
	v_cndmask_b32_e32 v3, v3, v5, vcc
	v_cndmask_b32_e32 v5, v7, v8, vcc
	v_mov_b32_e32 v6, 0x3b800000
	v_lshlrev_b32_e32 v3, 20, v3
	v_lshl_add_u32 v5, v5, 23, v6
	v_or3_b32 v3, v4, v5, v3
.LBB1_512:
	s_or_b64 exec, exec, s[6:7]
	s_nop 0
	v_mfma_f32_16x16x4f32 a[0:3], v2, v3, a[0:3]
	s_movk_i32 s4, 0x7f
                                        ; implicit-def: $sgpr10
	s_nop 7
	s_nop 1
	flat_store_dwordx4 v[10:11], a[0:3] offset:48
	flat_load_dwordx4 v[12:15], v[0:1]
	s_nop 0
	flat_load_dwordx2 v[10:11], v[0:1] offset:16
	s_waitcnt vmcnt(0) lgkmcnt(0)
	flat_load_dwordx4 v[6:9], v[12:13]
	flat_load_dwordx4 v[2:5], v[14:15] offset:64
	s_waitcnt vmcnt(0) lgkmcnt(0)
	v_cmp_gt_i16_sdwa s[6:7], v6, s4 src0_sel:BYTE_0 src1_sel:DWORD
	s_mov_b64 s[4:5], 0
	s_and_saveexec_b64 s[8:9], s[6:7]
	s_xor_b64 s[6:7], exec, s[8:9]
	s_cbranch_execz .LBB1_513
; %bb.36353:
	s_getpc_b64 s[14:15]
.Lpost_getpc3840:
	s_add_u32 s14, s14, (.LBB1_14849-.Lpost_getpc3840)&4294967295
	s_addc_u32 s15, s15, (.LBB1_14849-.Lpost_getpc3840)>>32
	s_setpc_b64 s[14:15]
.LBB1_513:
	s_or_saveexec_b64 s[6:7], s[6:7]
	v_mov_b32_e32 v12, s10
	s_xor_b64 exec, exec, s[6:7]
	s_cbranch_execz .LBB1_514
; %bb.36355:
	s_getpc_b64 s[14:15]
.Lpost_getpc3841:
	s_add_u32 s14, s14, (.LBB1_14852-.Lpost_getpc3841)&4294967295
	s_addc_u32 s15, s15, (.LBB1_14852-.Lpost_getpc3841)>>32
	s_setpc_b64 s[14:15]
.LBB1_514:
	s_or_b64 exec, exec, s[6:7]
	s_and_saveexec_b64 s[6:7], s[4:5]
	s_cbranch_execz .LBB1_516
.LBB1_515:
	v_and_b32_e32 v12, 7, v6
	v_ffbh_u32_e32 v14, v12
	v_min_u32_e32 v14, 32, v14
	v_lshrrev_b16_e32 v13, 3, v6
	v_subrev_u32_e32 v15, 28, v14
	v_and_b32_e32 v13, 15, v13
	v_lshlrev_b32_e32 v15, v15, v6
	v_sub_u32_e32 v14, 29, v14
	v_and_b32_e32 v15, 7, v15
	v_cmp_eq_u16_e32 vcc, 0, v13
	v_cndmask_b32_e32 v12, v12, v15, vcc
	v_cndmask_b32_e32 v13, v13, v14, vcc
	v_lshlrev_b32_e32 v14, 24, v6
	v_mov_b32_e32 v15, 0x3b800000
	v_lshlrev_b32_e32 v12, 20, v12
	v_and_b32_e32 v14, 0x80000000, v14
	v_lshl_add_u32 v13, v13, 23, v15
	v_or3_b32 v12, v14, v13, v12
.LBB1_516:
	s_or_b64 exec, exec, s[6:7]
	s_movk_i32 s4, 0x7f
	v_cmp_gt_i16_sdwa s[6:7], v2, s4 src0_sel:BYTE_0 src1_sel:DWORD
	s_mov_b64 s[4:5], 0
                                        ; implicit-def: $sgpr10
	s_and_saveexec_b64 s[8:9], s[6:7]
	s_xor_b64 s[6:7], exec, s[8:9]
	s_cbranch_execz .LBB1_517
; %bb.36357:
	s_getpc_b64 s[14:15]
.Lpost_getpc3842:
	s_add_u32 s14, s14, (.LBB1_14853-.Lpost_getpc3842)&4294967295
	s_addc_u32 s15, s15, (.LBB1_14853-.Lpost_getpc3842)>>32
	s_setpc_b64 s[14:15]
.LBB1_517:
	s_or_saveexec_b64 s[6:7], s[6:7]
	v_mov_b32_e32 v13, s10
	s_xor_b64 exec, exec, s[6:7]
	s_cbranch_execz .LBB1_518
; %bb.36359:
	s_getpc_b64 s[14:15]
.Lpost_getpc3843:
	s_add_u32 s14, s14, (.LBB1_14856-.Lpost_getpc3843)&4294967295
	s_addc_u32 s15, s15, (.LBB1_14856-.Lpost_getpc3843)>>32
	s_setpc_b64 s[14:15]
.LBB1_518:
	s_or_b64 exec, exec, s[6:7]
	s_and_saveexec_b64 s[6:7], s[4:5]
	s_cbranch_execz .LBB1_520
.LBB1_519:
	v_and_b32_e32 v13, 7, v2
	v_ffbh_u32_e32 v15, v13
	v_min_u32_e32 v15, 32, v15
	v_lshrrev_b16_e32 v14, 3, v2
	v_subrev_u32_e32 v16, 28, v15
	v_and_b32_e32 v14, 15, v14
	v_lshlrev_b32_e32 v16, v16, v2
	v_sub_u32_e32 v15, 29, v15
	v_and_b32_e32 v16, 7, v16
	v_cmp_eq_u16_e32 vcc, 0, v14
	v_cndmask_b32_e32 v13, v13, v16, vcc
	v_cndmask_b32_e32 v14, v14, v15, vcc
	v_lshlrev_b32_e32 v15, 24, v2
	v_mov_b32_e32 v16, 0x3b800000
	v_lshlrev_b32_e32 v13, 20, v13
	v_and_b32_e32 v15, 0x80000000, v15
	v_lshl_add_u32 v14, v14, 23, v16
	v_or3_b32 v13, v15, v14, v13
.LBB1_520:
	s_or_b64 exec, exec, s[6:7]
	flat_load_dwordx4 a[0:3], v[10:11] offset:64
	s_movk_i32 s4, 0x7f
                                        ; implicit-def: $sgpr10
	s_waitcnt vmcnt(0) lgkmcnt(0)
	v_mfma_f32_16x16x4f32 a[0:3], v12, v13, a[0:3]
	v_lshrrev_b32_e32 v13, 8, v6
	v_cmp_gt_i16_sdwa s[6:7], v13, s4 src0_sel:BYTE_0 src1_sel:DWORD
	s_mov_b64 s[4:5], 0
	s_and_saveexec_b64 s[8:9], s[6:7]
	s_xor_b64 s[6:7], exec, s[8:9]
	s_cbranch_execz .LBB1_521
; %bb.36361:
	s_getpc_b64 s[14:15]
.Lpost_getpc3844:
	s_add_u32 s14, s14, (.LBB1_14857-.Lpost_getpc3844)&4294967295
	s_addc_u32 s15, s15, (.LBB1_14857-.Lpost_getpc3844)>>32
	s_setpc_b64 s[14:15]
.LBB1_521:
	s_or_saveexec_b64 s[6:7], s[6:7]
	v_mov_b32_e32 v12, s10
	s_xor_b64 exec, exec, s[6:7]
	s_cbranch_execz .LBB1_522
; %bb.36363:
	s_getpc_b64 s[14:15]
.Lpost_getpc3845:
	s_add_u32 s14, s14, (.LBB1_14860-.Lpost_getpc3845)&4294967295
	s_addc_u32 s15, s15, (.LBB1_14860-.Lpost_getpc3845)>>32
	s_setpc_b64 s[14:15]
.LBB1_522:
	s_or_b64 exec, exec, s[6:7]
	s_and_saveexec_b64 s[6:7], s[4:5]
	s_cbranch_execz .LBB1_524
.LBB1_523:
	v_bfe_u32 v12, v6, 8, 3
	v_ffbh_u32_e32 v15, v12
	v_min_u32_e32 v15, 32, v15
	v_lshrrev_b16_e32 v14, 3, v13
	v_subrev_u32_e32 v16, 28, v15
	v_and_b32_e32 v14, 15, v14
	v_lshlrev_b32_e32 v13, v16, v13
	v_sub_u32_e32 v15, 29, v15
	v_and_b32_e32 v13, 7, v13
	v_cmp_eq_u16_e32 vcc, 0, v14
	v_cndmask_b32_e32 v12, v12, v13, vcc
	v_cndmask_b32_e32 v13, v14, v15, vcc
	v_lshlrev_b32_e32 v14, 16, v6
	v_mov_b32_e32 v15, 0x3b800000
	v_lshlrev_b32_e32 v12, 20, v12
	v_and_b32_e32 v14, 0x80000000, v14
	v_lshl_add_u32 v13, v13, 23, v15
	v_or3_b32 v12, v14, v13, v12
.LBB1_524:
	s_or_b64 exec, exec, s[6:7]
	v_lshrrev_b32_e32 v13, 8, v2
	s_movk_i32 s4, 0x7f
	v_cmp_gt_i16_sdwa s[6:7], v13, s4 src0_sel:BYTE_0 src1_sel:DWORD
	s_mov_b64 s[4:5], 0
                                        ; implicit-def: $sgpr10
	s_and_saveexec_b64 s[8:9], s[6:7]
	s_xor_b64 s[6:7], exec, s[8:9]
	s_cbranch_execz .LBB1_525
; %bb.36365:
	s_getpc_b64 s[14:15]
.Lpost_getpc3846:
	s_add_u32 s14, s14, (.LBB1_14861-.Lpost_getpc3846)&4294967295
	s_addc_u32 s15, s15, (.LBB1_14861-.Lpost_getpc3846)>>32
	s_setpc_b64 s[14:15]
.LBB1_525:
	s_or_saveexec_b64 s[6:7], s[6:7]
	v_mov_b32_e32 v14, s10
	s_xor_b64 exec, exec, s[6:7]
	s_cbranch_execz .LBB1_526
; %bb.36367:
	s_getpc_b64 s[14:15]
.Lpost_getpc3847:
	s_add_u32 s14, s14, (.LBB1_14864-.Lpost_getpc3847)&4294967295
	s_addc_u32 s15, s15, (.LBB1_14864-.Lpost_getpc3847)>>32
	s_setpc_b64 s[14:15]
.LBB1_526:
	s_or_b64 exec, exec, s[6:7]
	s_and_saveexec_b64 s[6:7], s[4:5]
	s_cbranch_execz .LBB1_528
.LBB1_527:
	v_bfe_u32 v14, v2, 8, 3
	v_ffbh_u32_e32 v16, v14
	v_min_u32_e32 v16, 32, v16
	v_lshrrev_b16_e32 v15, 3, v13
	v_subrev_u32_e32 v17, 28, v16
	v_and_b32_e32 v15, 15, v15
	v_lshlrev_b32_e32 v13, v17, v13
	v_sub_u32_e32 v16, 29, v16
	v_and_b32_e32 v13, 7, v13
	v_cmp_eq_u16_e32 vcc, 0, v15
	v_cndmask_b32_e32 v13, v14, v13, vcc
	v_cndmask_b32_e32 v14, v15, v16, vcc
	v_lshlrev_b32_e32 v15, 16, v2
	v_mov_b32_e32 v16, 0x3b800000
	v_lshlrev_b32_e32 v13, 20, v13
	v_and_b32_e32 v15, 0x80000000, v15
	v_lshl_add_u32 v14, v14, 23, v16
	v_or3_b32 v14, v15, v14, v13
.LBB1_528:
	s_or_b64 exec, exec, s[6:7]
	s_nop 0
	v_mfma_f32_16x16x4f32 a[0:3], v12, v14, a[0:3]
	s_movk_i32 s4, 0xff
	v_and_b32_sdwa v13, v6, s4 dst_sel:DWORD dst_unused:UNUSED_PAD src0_sel:WORD_1 src1_sel:DWORD
	s_movk_i32 s4, 0x7f
	v_cmp_lt_i16_e32 vcc, s4, v13
	s_mov_b64 s[4:5], 0
                                        ; implicit-def: $sgpr10
	s_and_saveexec_b64 s[6:7], vcc
	s_xor_b64 s[6:7], exec, s[6:7]
	s_cbranch_execz .LBB1_529
; %bb.36369:
	s_getpc_b64 s[14:15]
.Lpost_getpc3848:
	s_add_u32 s14, s14, (.LBB1_14865-.Lpost_getpc3848)&4294967295
	s_addc_u32 s15, s15, (.LBB1_14865-.Lpost_getpc3848)>>32
	s_setpc_b64 s[14:15]
.LBB1_529:
	s_or_saveexec_b64 s[6:7], s[6:7]
	v_mov_b32_e32 v12, s10
	s_xor_b64 exec, exec, s[6:7]
	s_cbranch_execz .LBB1_530
; %bb.36371:
	s_getpc_b64 s[14:15]
.Lpost_getpc3849:
	s_add_u32 s14, s14, (.LBB1_14868-.Lpost_getpc3849)&4294967295
	s_addc_u32 s15, s15, (.LBB1_14868-.Lpost_getpc3849)>>32
	s_setpc_b64 s[14:15]
.LBB1_530:
	s_or_b64 exec, exec, s[6:7]
	s_and_saveexec_b64 s[6:7], s[4:5]
	s_cbranch_execz .LBB1_532
.LBB1_531:
	v_bfe_u32 v12, v6, 16, 3
	v_ffbh_u32_e32 v15, v12
	v_min_u32_e32 v15, 32, v15
	v_lshrrev_b32_e32 v13, 19, v6
	v_subrev_u32_e32 v16, 28, v15
	v_and_b32_e32 v13, 15, v13
	v_lshlrev_b32_sdwa v16, v16, v6 dst_sel:DWORD dst_unused:UNUSED_PAD src0_sel:DWORD src1_sel:WORD_1
	v_bfe_u32 v14, v6, 19, 4
	v_sub_u32_e32 v15, 29, v15
	v_and_b32_e32 v16, 7, v16
	v_cmp_eq_u16_e32 vcc, 0, v13
	v_cndmask_b32_e32 v12, v12, v16, vcc
	v_cndmask_b32_e32 v13, v14, v15, vcc
	v_lshlrev_b32_e32 v14, 8, v6
	v_mov_b32_e32 v15, 0x3b800000
	v_lshlrev_b32_e32 v12, 20, v12
	v_and_b32_e32 v14, 0x80000000, v14
	v_lshl_add_u32 v13, v13, 23, v15
	v_or3_b32 v12, v14, v13, v12
.LBB1_532:
	s_or_b64 exec, exec, s[6:7]
	s_movk_i32 s4, 0xff
	v_and_b32_sdwa v13, v2, s4 dst_sel:DWORD dst_unused:UNUSED_PAD src0_sel:WORD_1 src1_sel:DWORD
	s_movk_i32 s4, 0x7f
	v_cmp_lt_i16_e32 vcc, s4, v13
	s_mov_b64 s[4:5], 0
                                        ; implicit-def: $sgpr10
	s_and_saveexec_b64 s[6:7], vcc
	s_xor_b64 s[6:7], exec, s[6:7]
	s_cbranch_execz .LBB1_533
; %bb.36373:
	s_getpc_b64 s[14:15]
.Lpost_getpc3850:
	s_add_u32 s14, s14, (.LBB1_14869-.Lpost_getpc3850)&4294967295
	s_addc_u32 s15, s15, (.LBB1_14869-.Lpost_getpc3850)>>32
	s_setpc_b64 s[14:15]
.LBB1_533:
	s_or_saveexec_b64 s[6:7], s[6:7]
	v_mov_b32_e32 v14, s10
	s_xor_b64 exec, exec, s[6:7]
	s_cbranch_execz .LBB1_534
; %bb.36375:
	s_getpc_b64 s[14:15]
.Lpost_getpc3851:
	s_add_u32 s14, s14, (.LBB1_14872-.Lpost_getpc3851)&4294967295
	s_addc_u32 s15, s15, (.LBB1_14872-.Lpost_getpc3851)>>32
	s_setpc_b64 s[14:15]
.LBB1_534:
	s_or_b64 exec, exec, s[6:7]
	s_and_saveexec_b64 s[6:7], s[4:5]
	s_cbranch_execz .LBB1_536
.LBB1_535:
	v_bfe_u32 v13, v2, 16, 3
	v_ffbh_u32_e32 v16, v13
	v_min_u32_e32 v16, 32, v16
	v_lshrrev_b32_e32 v14, 19, v2
	v_subrev_u32_e32 v17, 28, v16
	v_and_b32_e32 v14, 15, v14
	v_lshlrev_b32_sdwa v17, v17, v2 dst_sel:DWORD dst_unused:UNUSED_PAD src0_sel:DWORD src1_sel:WORD_1
	v_bfe_u32 v15, v2, 19, 4
	v_sub_u32_e32 v16, 29, v16
	v_and_b32_e32 v17, 7, v17
	v_cmp_eq_u16_e32 vcc, 0, v14
	v_cndmask_b32_e32 v13, v13, v17, vcc
	v_cndmask_b32_e32 v14, v15, v16, vcc
	v_lshlrev_b32_e32 v15, 8, v2
	v_mov_b32_e32 v16, 0x3b800000
	v_lshlrev_b32_e32 v13, 20, v13
	v_and_b32_e32 v15, 0x80000000, v15
	v_lshl_add_u32 v14, v14, 23, v16
	v_or3_b32 v14, v15, v14, v13
.LBB1_536:
	s_or_b64 exec, exec, s[6:7]
	s_nop 0
	v_mfma_f32_16x16x4f32 a[0:3], v12, v14, a[0:3]
	s_movk_i32 s4, 0x7f
	v_cmp_gt_i16_sdwa s[6:7], v6, s4 src0_sel:BYTE_3 src1_sel:DWORD
	s_mov_b64 s[4:5], 0
                                        ; implicit-def: $sgpr10
	s_and_saveexec_b64 s[8:9], s[6:7]
	s_xor_b64 s[6:7], exec, s[8:9]
	s_cbranch_execz .LBB1_537
; %bb.36377:
	s_getpc_b64 s[14:15]
.Lpost_getpc3852:
	s_add_u32 s14, s14, (.LBB1_14873-.Lpost_getpc3852)&4294967295
	s_addc_u32 s15, s15, (.LBB1_14873-.Lpost_getpc3852)>>32
	s_setpc_b64 s[14:15]
.LBB1_537:
	s_or_saveexec_b64 s[6:7], s[6:7]
	v_mov_b32_e32 v12, s10
	s_xor_b64 exec, exec, s[6:7]
	s_cbranch_execz .LBB1_538
; %bb.36379:
	s_getpc_b64 s[14:15]
.Lpost_getpc3853:
	s_add_u32 s14, s14, (.LBB1_14876-.Lpost_getpc3853)&4294967295
	s_addc_u32 s15, s15, (.LBB1_14876-.Lpost_getpc3853)>>32
	s_setpc_b64 s[14:15]
.LBB1_538:
	s_or_b64 exec, exec, s[6:7]
	s_and_saveexec_b64 s[6:7], s[4:5]
	s_cbranch_execz .LBB1_540
.LBB1_539:
	v_bfe_u32 v12, v6, 24, 3
	v_ffbh_u32_e32 v16, v12
	v_min_u32_e32 v16, 32, v16
	v_lshrrev_b32_e32 v14, 27, v6
	v_subrev_u32_e32 v17, 28, v16
	v_and_b32_e32 v13, 0x80000000, v6
	v_and_b32_e32 v14, 15, v14
	v_bfe_u32 v15, v6, 27, 4
	v_lshlrev_b32_sdwa v6, v17, v6 dst_sel:DWORD dst_unused:UNUSED_PAD src0_sel:DWORD src1_sel:BYTE_3
	v_sub_u32_e32 v16, 29, v16
	v_and_b32_e32 v6, 7, v6
	v_cmp_eq_u16_e32 vcc, 0, v14
	v_cndmask_b32_e32 v6, v12, v6, vcc
	v_cndmask_b32_e32 v12, v15, v16, vcc
	v_mov_b32_e32 v14, 0x3b800000
	v_lshlrev_b32_e32 v6, 20, v6
	v_lshl_add_u32 v12, v12, 23, v14
	v_or3_b32 v12, v13, v12, v6
.LBB1_540:
	s_or_b64 exec, exec, s[6:7]
	s_movk_i32 s4, 0x7f
	v_cmp_gt_i16_sdwa s[6:7], v2, s4 src0_sel:BYTE_3 src1_sel:DWORD
	s_mov_b64 s[4:5], 0
                                        ; implicit-def: $sgpr10
	s_and_saveexec_b64 s[8:9], s[6:7]
	s_xor_b64 s[6:7], exec, s[8:9]
	s_cbranch_execz .LBB1_541
; %bb.36381:
	s_getpc_b64 s[14:15]
.Lpost_getpc3854:
	s_add_u32 s14, s14, (.LBB1_14877-.Lpost_getpc3854)&4294967295
	s_addc_u32 s15, s15, (.LBB1_14877-.Lpost_getpc3854)>>32
	s_setpc_b64 s[14:15]
.LBB1_541:
	s_or_saveexec_b64 s[6:7], s[6:7]
	v_mov_b32_e32 v6, s10
	s_xor_b64 exec, exec, s[6:7]
	s_cbranch_execz .LBB1_542
; %bb.36383:
	s_getpc_b64 s[14:15]
.Lpost_getpc3855:
	s_add_u32 s14, s14, (.LBB1_14880-.Lpost_getpc3855)&4294967295
	s_addc_u32 s15, s15, (.LBB1_14880-.Lpost_getpc3855)>>32
	s_setpc_b64 s[14:15]
.LBB1_542:
	s_or_b64 exec, exec, s[6:7]
	s_and_saveexec_b64 s[6:7], s[4:5]
	s_cbranch_execz .LBB1_544
.LBB1_543:
	v_bfe_u32 v6, v2, 24, 3
	v_ffbh_u32_e32 v16, v6
	v_min_u32_e32 v16, 32, v16
	v_lshrrev_b32_e32 v14, 27, v2
	v_subrev_u32_e32 v17, 28, v16
	v_and_b32_e32 v13, 0x80000000, v2
	v_and_b32_e32 v14, 15, v14
	v_bfe_u32 v15, v2, 27, 4
	v_lshlrev_b32_sdwa v2, v17, v2 dst_sel:DWORD dst_unused:UNUSED_PAD src0_sel:DWORD src1_sel:BYTE_3
	v_sub_u32_e32 v16, 29, v16
	v_and_b32_e32 v2, 7, v2
	v_cmp_eq_u16_e32 vcc, 0, v14
	v_cndmask_b32_e32 v2, v6, v2, vcc
	v_cndmask_b32_e32 v6, v15, v16, vcc
	v_mov_b32_e32 v14, 0x3b800000
	v_lshlrev_b32_e32 v2, 20, v2
	v_lshl_add_u32 v6, v6, 23, v14
	v_or3_b32 v6, v13, v6, v2
.LBB1_544:
	s_or_b64 exec, exec, s[6:7]
	s_nop 0
	v_mfma_f32_16x16x4f32 a[0:3], v12, v6, a[0:3]
	s_movk_i32 s4, 0x7f
	v_cmp_gt_i16_sdwa s[6:7], v7, s4 src0_sel:BYTE_0 src1_sel:DWORD
	s_mov_b64 s[4:5], 0
                                        ; implicit-def: $sgpr10
	s_and_saveexec_b64 s[8:9], s[6:7]
	s_xor_b64 s[6:7], exec, s[8:9]
	s_cbranch_execz .LBB1_545
; %bb.36385:
	s_getpc_b64 s[14:15]
.Lpost_getpc3856:
	s_add_u32 s14, s14, (.LBB1_14881-.Lpost_getpc3856)&4294967295
	s_addc_u32 s15, s15, (.LBB1_14881-.Lpost_getpc3856)>>32
	s_setpc_b64 s[14:15]
.LBB1_545:
	s_or_saveexec_b64 s[6:7], s[6:7]
	v_mov_b32_e32 v2, s10
	s_xor_b64 exec, exec, s[6:7]
	s_cbranch_execz .LBB1_546
; %bb.36387:
	s_getpc_b64 s[14:15]
.Lpost_getpc3857:
	s_add_u32 s14, s14, (.LBB1_14884-.Lpost_getpc3857)&4294967295
	s_addc_u32 s15, s15, (.LBB1_14884-.Lpost_getpc3857)>>32
	s_setpc_b64 s[14:15]
.LBB1_546:
	s_or_b64 exec, exec, s[6:7]
	s_and_saveexec_b64 s[6:7], s[4:5]
	s_cbranch_execz .LBB1_548
.LBB1_547:
	v_and_b32_e32 v2, 7, v7
	v_ffbh_u32_e32 v12, v2
	v_min_u32_e32 v12, 32, v12
	v_lshrrev_b16_e32 v6, 3, v7
	v_subrev_u32_e32 v13, 28, v12
	v_and_b32_e32 v6, 15, v6
	v_lshlrev_b32_e32 v13, v13, v7
	v_sub_u32_e32 v12, 29, v12
	v_and_b32_e32 v13, 7, v13
	v_cmp_eq_u16_e32 vcc, 0, v6
	v_cndmask_b32_e32 v2, v2, v13, vcc
	v_cndmask_b32_e32 v6, v6, v12, vcc
	v_lshlrev_b32_e32 v12, 24, v7
	v_mov_b32_e32 v13, 0x3b800000
	v_lshlrev_b32_e32 v2, 20, v2
	v_and_b32_e32 v12, 0x80000000, v12
	v_lshl_add_u32 v6, v6, 23, v13
	v_or3_b32 v2, v12, v6, v2
.LBB1_548:
	s_or_b64 exec, exec, s[6:7]
	s_movk_i32 s4, 0x7f
	v_cmp_gt_i16_sdwa s[6:7], v3, s4 src0_sel:BYTE_0 src1_sel:DWORD
	s_mov_b64 s[4:5], 0
                                        ; implicit-def: $sgpr10
	s_and_saveexec_b64 s[8:9], s[6:7]
	s_xor_b64 s[6:7], exec, s[8:9]
	s_cbranch_execz .LBB1_549
; %bb.36389:
	s_getpc_b64 s[14:15]
.Lpost_getpc3858:
	s_add_u32 s14, s14, (.LBB1_14885-.Lpost_getpc3858)&4294967295
	s_addc_u32 s15, s15, (.LBB1_14885-.Lpost_getpc3858)>>32
	s_setpc_b64 s[14:15]
.LBB1_549:
	s_or_saveexec_b64 s[6:7], s[6:7]
	v_mov_b32_e32 v6, s10
	s_xor_b64 exec, exec, s[6:7]
	s_cbranch_execz .LBB1_550
; %bb.36391:
	s_getpc_b64 s[14:15]
.Lpost_getpc3859:
	s_add_u32 s14, s14, (.LBB1_14888-.Lpost_getpc3859)&4294967295
	s_addc_u32 s15, s15, (.LBB1_14888-.Lpost_getpc3859)>>32
	s_setpc_b64 s[14:15]
.LBB1_550:
	s_or_b64 exec, exec, s[6:7]
	s_and_saveexec_b64 s[6:7], s[4:5]
	s_cbranch_execz .LBB1_552
.LBB1_551:
	v_and_b32_e32 v6, 7, v3
	v_ffbh_u32_e32 v13, v6
	v_min_u32_e32 v13, 32, v13
	v_lshrrev_b16_e32 v12, 3, v3
	v_subrev_u32_e32 v14, 28, v13
	v_and_b32_e32 v12, 15, v12
	v_lshlrev_b32_e32 v14, v14, v3
	v_sub_u32_e32 v13, 29, v13
	v_and_b32_e32 v14, 7, v14
	v_cmp_eq_u16_e32 vcc, 0, v12
	v_cndmask_b32_e32 v6, v6, v14, vcc
	v_cndmask_b32_e32 v12, v12, v13, vcc
	v_lshlrev_b32_e32 v13, 24, v3
	v_mov_b32_e32 v14, 0x3b800000
	v_lshlrev_b32_e32 v6, 20, v6
	v_and_b32_e32 v13, 0x80000000, v13
	v_lshl_add_u32 v12, v12, 23, v14
	v_or3_b32 v6, v13, v12, v6
.LBB1_552:
	s_or_b64 exec, exec, s[6:7]
	s_nop 0
	v_mfma_f32_16x16x4f32 a[0:3], v2, v6, a[0:3]
	v_lshrrev_b32_e32 v6, 8, v7
	s_movk_i32 s4, 0x7f
	v_cmp_gt_i16_sdwa s[6:7], v6, s4 src0_sel:BYTE_0 src1_sel:DWORD
	s_mov_b64 s[4:5], 0
                                        ; implicit-def: $sgpr10
	s_and_saveexec_b64 s[8:9], s[6:7]
	s_xor_b64 s[6:7], exec, s[8:9]
	s_cbranch_execz .LBB1_553
; %bb.36393:
	s_getpc_b64 s[14:15]
.Lpost_getpc3860:
	s_add_u32 s14, s14, (.LBB1_14889-.Lpost_getpc3860)&4294967295
	s_addc_u32 s15, s15, (.LBB1_14889-.Lpost_getpc3860)>>32
	s_setpc_b64 s[14:15]
.LBB1_553:
	s_or_saveexec_b64 s[6:7], s[6:7]
	v_mov_b32_e32 v2, s10
	s_xor_b64 exec, exec, s[6:7]
	s_cbranch_execz .LBB1_554
; %bb.36395:
	s_getpc_b64 s[14:15]
.Lpost_getpc3861:
	s_add_u32 s14, s14, (.LBB1_14892-.Lpost_getpc3861)&4294967295
	s_addc_u32 s15, s15, (.LBB1_14892-.Lpost_getpc3861)>>32
	s_setpc_b64 s[14:15]
.LBB1_554:
	s_or_b64 exec, exec, s[6:7]
	s_and_saveexec_b64 s[6:7], s[4:5]
	s_cbranch_execz .LBB1_556
.LBB1_555:
	v_bfe_u32 v2, v7, 8, 3
	v_ffbh_u32_e32 v13, v2
	v_min_u32_e32 v13, 32, v13
	v_lshrrev_b16_e32 v12, 3, v6
	v_subrev_u32_e32 v14, 28, v13
	v_and_b32_e32 v12, 15, v12
	v_lshlrev_b32_e32 v6, v14, v6
	v_sub_u32_e32 v13, 29, v13
	v_and_b32_e32 v6, 7, v6
	v_cmp_eq_u16_e32 vcc, 0, v12
	v_cndmask_b32_e32 v2, v2, v6, vcc
	v_cndmask_b32_e32 v6, v12, v13, vcc
	v_lshlrev_b32_e32 v12, 16, v7
	v_mov_b32_e32 v13, 0x3b800000
	v_lshlrev_b32_e32 v2, 20, v2
	v_and_b32_e32 v12, 0x80000000, v12
	v_lshl_add_u32 v6, v6, 23, v13
	v_or3_b32 v2, v12, v6, v2
.LBB1_556:
	s_or_b64 exec, exec, s[6:7]
	v_lshrrev_b32_e32 v6, 8, v3
	s_movk_i32 s4, 0x7f
	v_cmp_gt_i16_sdwa s[6:7], v6, s4 src0_sel:BYTE_0 src1_sel:DWORD
	s_mov_b64 s[4:5], 0
                                        ; implicit-def: $sgpr10
	s_and_saveexec_b64 s[8:9], s[6:7]
	s_xor_b64 s[6:7], exec, s[8:9]
	s_cbranch_execz .LBB1_557
; %bb.36397:
	s_getpc_b64 s[14:15]
.Lpost_getpc3862:
	s_add_u32 s14, s14, (.LBB1_14893-.Lpost_getpc3862)&4294967295
	s_addc_u32 s15, s15, (.LBB1_14893-.Lpost_getpc3862)>>32
	s_setpc_b64 s[14:15]
.LBB1_557:
	s_or_saveexec_b64 s[6:7], s[6:7]
	v_mov_b32_e32 v12, s10
	s_xor_b64 exec, exec, s[6:7]
	s_cbranch_execz .LBB1_558
; %bb.36399:
	s_getpc_b64 s[14:15]
.Lpost_getpc3863:
	s_add_u32 s14, s14, (.LBB1_14896-.Lpost_getpc3863)&4294967295
	s_addc_u32 s15, s15, (.LBB1_14896-.Lpost_getpc3863)>>32
	s_setpc_b64 s[14:15]
.LBB1_558:
	s_or_b64 exec, exec, s[6:7]
	s_and_saveexec_b64 s[6:7], s[4:5]
	s_cbranch_execz .LBB1_560
.LBB1_559:
	v_bfe_u32 v12, v3, 8, 3
	v_ffbh_u32_e32 v14, v12
	v_min_u32_e32 v14, 32, v14
	v_lshrrev_b16_e32 v13, 3, v6
	v_subrev_u32_e32 v15, 28, v14
	v_and_b32_e32 v13, 15, v13
	v_lshlrev_b32_e32 v6, v15, v6
	v_sub_u32_e32 v14, 29, v14
	v_and_b32_e32 v6, 7, v6
	v_cmp_eq_u16_e32 vcc, 0, v13
	v_cndmask_b32_e32 v6, v12, v6, vcc
	v_cndmask_b32_e32 v12, v13, v14, vcc
	v_lshlrev_b32_e32 v13, 16, v3
	v_mov_b32_e32 v14, 0x3b800000
	v_lshlrev_b32_e32 v6, 20, v6
	v_and_b32_e32 v13, 0x80000000, v13
	v_lshl_add_u32 v12, v12, 23, v14
	v_or3_b32 v12, v13, v12, v6
.LBB1_560:
	s_or_b64 exec, exec, s[6:7]
	s_nop 0
	v_mfma_f32_16x16x4f32 a[0:3], v2, v12, a[0:3]
	s_movk_i32 s4, 0xff
	v_and_b32_sdwa v6, v7, s4 dst_sel:DWORD dst_unused:UNUSED_PAD src0_sel:WORD_1 src1_sel:DWORD
	s_movk_i32 s4, 0x7f
	v_cmp_lt_i16_e32 vcc, s4, v6
	s_mov_b64 s[4:5], 0
                                        ; implicit-def: $sgpr10
	s_and_saveexec_b64 s[6:7], vcc
	s_xor_b64 s[6:7], exec, s[6:7]
	s_cbranch_execz .LBB1_561
; %bb.36401:
	s_getpc_b64 s[14:15]
.Lpost_getpc3864:
	s_add_u32 s14, s14, (.LBB1_14897-.Lpost_getpc3864)&4294967295
	s_addc_u32 s15, s15, (.LBB1_14897-.Lpost_getpc3864)>>32
	s_setpc_b64 s[14:15]
.LBB1_561:
	s_or_saveexec_b64 s[6:7], s[6:7]
	v_mov_b32_e32 v2, s10
	s_xor_b64 exec, exec, s[6:7]
	s_cbranch_execz .LBB1_562
; %bb.36403:
	s_getpc_b64 s[14:15]
.Lpost_getpc3865:
	s_add_u32 s14, s14, (.LBB1_14900-.Lpost_getpc3865)&4294967295
	s_addc_u32 s15, s15, (.LBB1_14900-.Lpost_getpc3865)>>32
	s_setpc_b64 s[14:15]
.LBB1_562:
	s_or_b64 exec, exec, s[6:7]
	s_and_saveexec_b64 s[6:7], s[4:5]
	s_cbranch_execz .LBB1_564
.LBB1_563:
	v_bfe_u32 v2, v7, 16, 3
	v_ffbh_u32_e32 v13, v2
	v_min_u32_e32 v13, 32, v13
	v_lshrrev_b32_e32 v6, 19, v7
	v_subrev_u32_e32 v14, 28, v13
	v_and_b32_e32 v6, 15, v6
	v_lshlrev_b32_sdwa v14, v14, v7 dst_sel:DWORD dst_unused:UNUSED_PAD src0_sel:DWORD src1_sel:WORD_1
	v_bfe_u32 v12, v7, 19, 4
	v_sub_u32_e32 v13, 29, v13
	v_and_b32_e32 v14, 7, v14
	v_cmp_eq_u16_e32 vcc, 0, v6
	v_cndmask_b32_e32 v2, v2, v14, vcc
	v_cndmask_b32_e32 v6, v12, v13, vcc
	v_lshlrev_b32_e32 v12, 8, v7
	v_mov_b32_e32 v13, 0x3b800000
	v_lshlrev_b32_e32 v2, 20, v2
	v_and_b32_e32 v12, 0x80000000, v12
	v_lshl_add_u32 v6, v6, 23, v13
	v_or3_b32 v2, v12, v6, v2
.LBB1_564:
	s_or_b64 exec, exec, s[6:7]
	s_movk_i32 s4, 0xff
	v_and_b32_sdwa v6, v3, s4 dst_sel:DWORD dst_unused:UNUSED_PAD src0_sel:WORD_1 src1_sel:DWORD
	s_movk_i32 s4, 0x7f
	v_cmp_lt_i16_e32 vcc, s4, v6
	s_mov_b64 s[4:5], 0
                                        ; implicit-def: $sgpr10
	s_and_saveexec_b64 s[6:7], vcc
	s_xor_b64 s[6:7], exec, s[6:7]
	s_cbranch_execz .LBB1_565
; %bb.36405:
	s_getpc_b64 s[14:15]
.Lpost_getpc3866:
	s_add_u32 s14, s14, (.LBB1_14901-.Lpost_getpc3866)&4294967295
	s_addc_u32 s15, s15, (.LBB1_14901-.Lpost_getpc3866)>>32
	s_setpc_b64 s[14:15]
.LBB1_565:
	s_or_saveexec_b64 s[6:7], s[6:7]
	v_mov_b32_e32 v12, s10
	s_xor_b64 exec, exec, s[6:7]
	s_cbranch_execz .LBB1_566
; %bb.36407:
	s_getpc_b64 s[14:15]
.Lpost_getpc3867:
	s_add_u32 s14, s14, (.LBB1_14904-.Lpost_getpc3867)&4294967295
	s_addc_u32 s15, s15, (.LBB1_14904-.Lpost_getpc3867)>>32
	s_setpc_b64 s[14:15]
.LBB1_566:
	s_or_b64 exec, exec, s[6:7]
	s_and_saveexec_b64 s[6:7], s[4:5]
	s_cbranch_execz .LBB1_568
.LBB1_567:
	v_bfe_u32 v6, v3, 16, 3
	v_ffbh_u32_e32 v14, v6
	v_min_u32_e32 v14, 32, v14
	v_lshrrev_b32_e32 v12, 19, v3
	v_subrev_u32_e32 v15, 28, v14
	v_and_b32_e32 v12, 15, v12
	v_lshlrev_b32_sdwa v15, v15, v3 dst_sel:DWORD dst_unused:UNUSED_PAD src0_sel:DWORD src1_sel:WORD_1
	v_bfe_u32 v13, v3, 19, 4
	v_sub_u32_e32 v14, 29, v14
	v_and_b32_e32 v15, 7, v15
	v_cmp_eq_u16_e32 vcc, 0, v12
	v_cndmask_b32_e32 v6, v6, v15, vcc
	v_cndmask_b32_e32 v12, v13, v14, vcc
	v_lshlrev_b32_e32 v13, 8, v3
	v_mov_b32_e32 v14, 0x3b800000
	v_lshlrev_b32_e32 v6, 20, v6
	v_and_b32_e32 v13, 0x80000000, v13
	v_lshl_add_u32 v12, v12, 23, v14
	v_or3_b32 v12, v13, v12, v6
.LBB1_568:
	s_or_b64 exec, exec, s[6:7]
	s_nop 0
	v_mfma_f32_16x16x4f32 a[0:3], v2, v12, a[0:3]
	s_movk_i32 s4, 0x7f
	v_cmp_gt_i16_sdwa s[6:7], v7, s4 src0_sel:BYTE_3 src1_sel:DWORD
	s_mov_b64 s[4:5], 0
                                        ; implicit-def: $sgpr10
	s_and_saveexec_b64 s[8:9], s[6:7]
	s_xor_b64 s[6:7], exec, s[8:9]
	s_cbranch_execz .LBB1_569
; %bb.36409:
	s_getpc_b64 s[14:15]
.Lpost_getpc3868:
	s_add_u32 s14, s14, (.LBB1_14905-.Lpost_getpc3868)&4294967295
	s_addc_u32 s15, s15, (.LBB1_14905-.Lpost_getpc3868)>>32
	s_setpc_b64 s[14:15]
.LBB1_569:
	s_or_saveexec_b64 s[6:7], s[6:7]
	v_mov_b32_e32 v2, s10
	s_xor_b64 exec, exec, s[6:7]
	s_cbranch_execz .LBB1_570
; %bb.36411:
	s_getpc_b64 s[14:15]
.Lpost_getpc3869:
	s_add_u32 s14, s14, (.LBB1_14908-.Lpost_getpc3869)&4294967295
	s_addc_u32 s15, s15, (.LBB1_14908-.Lpost_getpc3869)>>32
	s_setpc_b64 s[14:15]
.LBB1_570:
	s_or_b64 exec, exec, s[6:7]
	s_and_saveexec_b64 s[6:7], s[4:5]
	s_cbranch_execz .LBB1_572
.LBB1_571:
	v_bfe_u32 v2, v7, 24, 3
	v_ffbh_u32_e32 v14, v2
	v_min_u32_e32 v14, 32, v14
	v_lshrrev_b32_e32 v12, 27, v7
	v_subrev_u32_e32 v15, 28, v14
	v_and_b32_e32 v6, 0x80000000, v7
	v_and_b32_e32 v12, 15, v12
	v_bfe_u32 v13, v7, 27, 4
	v_lshlrev_b32_sdwa v7, v15, v7 dst_sel:DWORD dst_unused:UNUSED_PAD src0_sel:DWORD src1_sel:BYTE_3
	v_sub_u32_e32 v14, 29, v14
	v_and_b32_e32 v7, 7, v7
	v_cmp_eq_u16_e32 vcc, 0, v12
	v_cndmask_b32_e32 v2, v2, v7, vcc
	v_cndmask_b32_e32 v7, v13, v14, vcc
	v_mov_b32_e32 v12, 0x3b800000
	v_lshlrev_b32_e32 v2, 20, v2
	v_lshl_add_u32 v7, v7, 23, v12
	v_or3_b32 v2, v6, v7, v2
.LBB1_572:
	s_or_b64 exec, exec, s[6:7]
	s_movk_i32 s4, 0x7f
	v_cmp_gt_i16_sdwa s[6:7], v3, s4 src0_sel:BYTE_3 src1_sel:DWORD
	s_mov_b64 s[4:5], 0
                                        ; implicit-def: $sgpr10
	s_and_saveexec_b64 s[8:9], s[6:7]
	s_xor_b64 s[6:7], exec, s[8:9]
	s_cbranch_execz .LBB1_573
; %bb.36413:
	s_getpc_b64 s[14:15]
.Lpost_getpc3870:
	s_add_u32 s14, s14, (.LBB1_14909-.Lpost_getpc3870)&4294967295
	s_addc_u32 s15, s15, (.LBB1_14909-.Lpost_getpc3870)>>32
	s_setpc_b64 s[14:15]
.LBB1_573:
	s_or_saveexec_b64 s[6:7], s[6:7]
	v_mov_b32_e32 v6, s10
	s_xor_b64 exec, exec, s[6:7]
	s_cbranch_execz .LBB1_574
; %bb.36415:
	s_getpc_b64 s[14:15]
.Lpost_getpc3871:
	s_add_u32 s14, s14, (.LBB1_14912-.Lpost_getpc3871)&4294967295
	s_addc_u32 s15, s15, (.LBB1_14912-.Lpost_getpc3871)>>32
	s_setpc_b64 s[14:15]
.LBB1_574:
	s_or_b64 exec, exec, s[6:7]
	s_and_saveexec_b64 s[6:7], s[4:5]
	s_cbranch_execz .LBB1_576
.LBB1_575:
	v_bfe_u32 v6, v3, 24, 3
	v_ffbh_u32_e32 v14, v6
	v_min_u32_e32 v14, 32, v14
	v_lshrrev_b32_e32 v12, 27, v3
	v_subrev_u32_e32 v15, 28, v14
	v_and_b32_e32 v7, 0x80000000, v3
	v_and_b32_e32 v12, 15, v12
	v_bfe_u32 v13, v3, 27, 4
	v_lshlrev_b32_sdwa v3, v15, v3 dst_sel:DWORD dst_unused:UNUSED_PAD src0_sel:DWORD src1_sel:BYTE_3
	v_sub_u32_e32 v14, 29, v14
	v_and_b32_e32 v3, 7, v3
	v_cmp_eq_u16_e32 vcc, 0, v12
	v_cndmask_b32_e32 v3, v6, v3, vcc
	v_cndmask_b32_e32 v6, v13, v14, vcc
	v_mov_b32_e32 v12, 0x3b800000
	v_lshlrev_b32_e32 v3, 20, v3
	v_lshl_add_u32 v6, v6, 23, v12
	v_or3_b32 v6, v7, v6, v3
.LBB1_576:
	s_or_b64 exec, exec, s[6:7]
	s_nop 0
	v_mfma_f32_16x16x4f32 a[0:3], v2, v6, a[0:3]
	s_movk_i32 s4, 0x7f
	v_cmp_gt_i16_sdwa s[6:7], v8, s4 src0_sel:BYTE_0 src1_sel:DWORD
	s_mov_b64 s[4:5], 0
                                        ; implicit-def: $sgpr10
	s_and_saveexec_b64 s[8:9], s[6:7]
	s_xor_b64 s[6:7], exec, s[8:9]
	s_cbranch_execz .LBB1_577
; %bb.36417:
	s_getpc_b64 s[14:15]
.Lpost_getpc3872:
	s_add_u32 s14, s14, (.LBB1_14913-.Lpost_getpc3872)&4294967295
	s_addc_u32 s15, s15, (.LBB1_14913-.Lpost_getpc3872)>>32
	s_setpc_b64 s[14:15]
.LBB1_577:
	s_or_saveexec_b64 s[6:7], s[6:7]
	v_mov_b32_e32 v2, s10
	s_xor_b64 exec, exec, s[6:7]
	s_cbranch_execz .LBB1_578
; %bb.36419:
	s_getpc_b64 s[14:15]
.Lpost_getpc3873:
	s_add_u32 s14, s14, (.LBB1_14916-.Lpost_getpc3873)&4294967295
	s_addc_u32 s15, s15, (.LBB1_14916-.Lpost_getpc3873)>>32
	s_setpc_b64 s[14:15]
.LBB1_578:
	s_or_b64 exec, exec, s[6:7]
	s_and_saveexec_b64 s[6:7], s[4:5]
	s_cbranch_execz .LBB1_580
.LBB1_579:
	v_and_b32_e32 v2, 7, v8
	v_ffbh_u32_e32 v6, v2
	v_min_u32_e32 v6, 32, v6
	v_lshrrev_b16_e32 v3, 3, v8
	v_subrev_u32_e32 v7, 28, v6
	v_and_b32_e32 v3, 15, v3
	v_lshlrev_b32_e32 v7, v7, v8
	v_sub_u32_e32 v6, 29, v6
	v_and_b32_e32 v7, 7, v7
	v_cmp_eq_u16_e32 vcc, 0, v3
	v_cndmask_b32_e32 v2, v2, v7, vcc
	v_cndmask_b32_e32 v3, v3, v6, vcc
	v_lshlrev_b32_e32 v6, 24, v8
	v_mov_b32_e32 v7, 0x3b800000
	v_lshlrev_b32_e32 v2, 20, v2
	v_and_b32_e32 v6, 0x80000000, v6
	v_lshl_add_u32 v3, v3, 23, v7
	v_or3_b32 v2, v6, v3, v2
.LBB1_580:
	s_or_b64 exec, exec, s[6:7]
	s_movk_i32 s4, 0x7f
	v_cmp_gt_i16_sdwa s[6:7], v4, s4 src0_sel:BYTE_0 src1_sel:DWORD
	s_mov_b64 s[4:5], 0
                                        ; implicit-def: $sgpr10
	s_and_saveexec_b64 s[8:9], s[6:7]
	s_xor_b64 s[6:7], exec, s[8:9]
	s_cbranch_execz .LBB1_581
; %bb.36421:
	s_getpc_b64 s[14:15]
.Lpost_getpc3874:
	s_add_u32 s14, s14, (.LBB1_14917-.Lpost_getpc3874)&4294967295
	s_addc_u32 s15, s15, (.LBB1_14917-.Lpost_getpc3874)>>32
	s_setpc_b64 s[14:15]
.LBB1_581:
	s_or_saveexec_b64 s[6:7], s[6:7]
	v_mov_b32_e32 v3, s10
	s_xor_b64 exec, exec, s[6:7]
	s_cbranch_execz .LBB1_582
; %bb.36423:
	s_getpc_b64 s[14:15]
.Lpost_getpc3875:
	s_add_u32 s14, s14, (.LBB1_14920-.Lpost_getpc3875)&4294967295
	s_addc_u32 s15, s15, (.LBB1_14920-.Lpost_getpc3875)>>32
	s_setpc_b64 s[14:15]
.LBB1_582:
	s_or_b64 exec, exec, s[6:7]
	s_and_saveexec_b64 s[6:7], s[4:5]
	s_cbranch_execz .LBB1_584
.LBB1_583:
	v_and_b32_e32 v3, 7, v4
	v_ffbh_u32_e32 v7, v3
	v_min_u32_e32 v7, 32, v7
	v_lshrrev_b16_e32 v6, 3, v4
	v_subrev_u32_e32 v12, 28, v7
	v_and_b32_e32 v6, 15, v6
	v_lshlrev_b32_e32 v12, v12, v4
	v_sub_u32_e32 v7, 29, v7
	v_and_b32_e32 v12, 7, v12
	v_cmp_eq_u16_e32 vcc, 0, v6
	v_cndmask_b32_e32 v3, v3, v12, vcc
	v_cndmask_b32_e32 v6, v6, v7, vcc
	v_lshlrev_b32_e32 v7, 24, v4
	v_mov_b32_e32 v12, 0x3b800000
	v_lshlrev_b32_e32 v3, 20, v3
	v_and_b32_e32 v7, 0x80000000, v7
	v_lshl_add_u32 v6, v6, 23, v12
	v_or3_b32 v3, v7, v6, v3
.LBB1_584:
	s_or_b64 exec, exec, s[6:7]
	s_nop 0
	v_mfma_f32_16x16x4f32 a[0:3], v2, v3, a[0:3]
	v_lshrrev_b32_e32 v3, 8, v8
	s_movk_i32 s4, 0x7f
	v_cmp_gt_i16_sdwa s[6:7], v3, s4 src0_sel:BYTE_0 src1_sel:DWORD
	s_mov_b64 s[4:5], 0
                                        ; implicit-def: $sgpr10
	s_and_saveexec_b64 s[8:9], s[6:7]
	s_xor_b64 s[6:7], exec, s[8:9]
	s_cbranch_execz .LBB1_585
; %bb.36425:
	s_getpc_b64 s[14:15]
.Lpost_getpc3876:
	s_add_u32 s14, s14, (.LBB1_14921-.Lpost_getpc3876)&4294967295
	s_addc_u32 s15, s15, (.LBB1_14921-.Lpost_getpc3876)>>32
	s_setpc_b64 s[14:15]
.LBB1_585:
	s_or_saveexec_b64 s[6:7], s[6:7]
	v_mov_b32_e32 v2, s10
	s_xor_b64 exec, exec, s[6:7]
	s_cbranch_execz .LBB1_586
; %bb.36427:
	s_getpc_b64 s[14:15]
.Lpost_getpc3877:
	s_add_u32 s14, s14, (.LBB1_14924-.Lpost_getpc3877)&4294967295
	s_addc_u32 s15, s15, (.LBB1_14924-.Lpost_getpc3877)>>32
	s_setpc_b64 s[14:15]
.LBB1_586:
	s_or_b64 exec, exec, s[6:7]
	s_and_saveexec_b64 s[6:7], s[4:5]
	s_cbranch_execz .LBB1_588
.LBB1_587:
	v_bfe_u32 v2, v8, 8, 3
	v_ffbh_u32_e32 v7, v2
	v_min_u32_e32 v7, 32, v7
	v_lshrrev_b16_e32 v6, 3, v3
	v_subrev_u32_e32 v12, 28, v7
	v_and_b32_e32 v6, 15, v6
	v_lshlrev_b32_e32 v3, v12, v3
	v_sub_u32_e32 v7, 29, v7
	v_and_b32_e32 v3, 7, v3
	v_cmp_eq_u16_e32 vcc, 0, v6
	v_cndmask_b32_e32 v2, v2, v3, vcc
	v_cndmask_b32_e32 v3, v6, v7, vcc
	v_lshlrev_b32_e32 v6, 16, v8
	v_mov_b32_e32 v7, 0x3b800000
	v_lshlrev_b32_e32 v2, 20, v2
	v_and_b32_e32 v6, 0x80000000, v6
	v_lshl_add_u32 v3, v3, 23, v7
	v_or3_b32 v2, v6, v3, v2
.LBB1_588:
	s_or_b64 exec, exec, s[6:7]
	v_lshrrev_b32_e32 v3, 8, v4
	s_movk_i32 s4, 0x7f
	v_cmp_gt_i16_sdwa s[6:7], v3, s4 src0_sel:BYTE_0 src1_sel:DWORD
	s_mov_b64 s[4:5], 0
                                        ; implicit-def: $sgpr10
	s_and_saveexec_b64 s[8:9], s[6:7]
	s_xor_b64 s[6:7], exec, s[8:9]
	s_cbranch_execz .LBB1_589
; %bb.36429:
	s_getpc_b64 s[14:15]
.Lpost_getpc3878:
	s_add_u32 s14, s14, (.LBB1_14925-.Lpost_getpc3878)&4294967295
	s_addc_u32 s15, s15, (.LBB1_14925-.Lpost_getpc3878)>>32
	s_setpc_b64 s[14:15]
.LBB1_589:
	s_or_saveexec_b64 s[6:7], s[6:7]
	v_mov_b32_e32 v6, s10
	s_xor_b64 exec, exec, s[6:7]
	s_cbranch_execz .LBB1_590
; %bb.36431:
	s_getpc_b64 s[14:15]
.Lpost_getpc3879:
	s_add_u32 s14, s14, (.LBB1_14928-.Lpost_getpc3879)&4294967295
	s_addc_u32 s15, s15, (.LBB1_14928-.Lpost_getpc3879)>>32
	s_setpc_b64 s[14:15]
.LBB1_590:
	s_or_b64 exec, exec, s[6:7]
	s_and_saveexec_b64 s[6:7], s[4:5]
	s_cbranch_execz .LBB1_592
.LBB1_591:
	v_bfe_u32 v6, v4, 8, 3
	v_ffbh_u32_e32 v12, v6
	v_min_u32_e32 v12, 32, v12
	v_lshrrev_b16_e32 v7, 3, v3
	v_subrev_u32_e32 v13, 28, v12
	v_and_b32_e32 v7, 15, v7
	v_lshlrev_b32_e32 v3, v13, v3
	v_sub_u32_e32 v12, 29, v12
	v_and_b32_e32 v3, 7, v3
	v_cmp_eq_u16_e32 vcc, 0, v7
	v_cndmask_b32_e32 v3, v6, v3, vcc
	v_cndmask_b32_e32 v6, v7, v12, vcc
	v_lshlrev_b32_e32 v7, 16, v4
	v_mov_b32_e32 v12, 0x3b800000
	v_lshlrev_b32_e32 v3, 20, v3
	v_and_b32_e32 v7, 0x80000000, v7
	v_lshl_add_u32 v6, v6, 23, v12
	v_or3_b32 v6, v7, v6, v3
.LBB1_592:
	s_or_b64 exec, exec, s[6:7]
	s_nop 0
	v_mfma_f32_16x16x4f32 a[0:3], v2, v6, a[0:3]
	s_movk_i32 s4, 0xff
	v_and_b32_sdwa v3, v8, s4 dst_sel:DWORD dst_unused:UNUSED_PAD src0_sel:WORD_1 src1_sel:DWORD
	s_movk_i32 s4, 0x7f
	v_cmp_lt_i16_e32 vcc, s4, v3
	s_mov_b64 s[4:5], 0
                                        ; implicit-def: $sgpr10
	s_and_saveexec_b64 s[6:7], vcc
	s_xor_b64 s[6:7], exec, s[6:7]
	s_cbranch_execz .LBB1_593
; %bb.36433:
	s_getpc_b64 s[14:15]
.Lpost_getpc3880:
	s_add_u32 s14, s14, (.LBB1_14929-.Lpost_getpc3880)&4294967295
	s_addc_u32 s15, s15, (.LBB1_14929-.Lpost_getpc3880)>>32
	s_setpc_b64 s[14:15]
.LBB1_593:
	s_or_saveexec_b64 s[6:7], s[6:7]
	v_mov_b32_e32 v2, s10
	s_xor_b64 exec, exec, s[6:7]
	s_cbranch_execz .LBB1_594
; %bb.36435:
	s_getpc_b64 s[14:15]
.Lpost_getpc3881:
	s_add_u32 s14, s14, (.LBB1_14932-.Lpost_getpc3881)&4294967295
	s_addc_u32 s15, s15, (.LBB1_14932-.Lpost_getpc3881)>>32
	s_setpc_b64 s[14:15]
.LBB1_594:
	s_or_b64 exec, exec, s[6:7]
	s_and_saveexec_b64 s[6:7], s[4:5]
	s_cbranch_execz .LBB1_596
.LBB1_595:
	v_bfe_u32 v2, v8, 16, 3
	v_ffbh_u32_e32 v7, v2
	v_min_u32_e32 v7, 32, v7
	v_lshrrev_b32_e32 v3, 19, v8
	v_subrev_u32_e32 v12, 28, v7
	v_and_b32_e32 v3, 15, v3
	v_lshlrev_b32_sdwa v12, v12, v8 dst_sel:DWORD dst_unused:UNUSED_PAD src0_sel:DWORD src1_sel:WORD_1
	v_bfe_u32 v6, v8, 19, 4
	v_sub_u32_e32 v7, 29, v7
	v_and_b32_e32 v12, 7, v12
	v_cmp_eq_u16_e32 vcc, 0, v3
	v_cndmask_b32_e32 v2, v2, v12, vcc
	v_cndmask_b32_e32 v3, v6, v7, vcc
	v_lshlrev_b32_e32 v6, 8, v8
	v_mov_b32_e32 v7, 0x3b800000
	v_lshlrev_b32_e32 v2, 20, v2
	v_and_b32_e32 v6, 0x80000000, v6
	v_lshl_add_u32 v3, v3, 23, v7
	v_or3_b32 v2, v6, v3, v2
.LBB1_596:
	s_or_b64 exec, exec, s[6:7]
	s_movk_i32 s4, 0xff
	v_and_b32_sdwa v3, v4, s4 dst_sel:DWORD dst_unused:UNUSED_PAD src0_sel:WORD_1 src1_sel:DWORD
	s_movk_i32 s4, 0x7f
	v_cmp_lt_i16_e32 vcc, s4, v3
	s_mov_b64 s[4:5], 0
                                        ; implicit-def: $sgpr10
	s_and_saveexec_b64 s[6:7], vcc
	s_xor_b64 s[6:7], exec, s[6:7]
	s_cbranch_execz .LBB1_597
; %bb.36437:
	s_getpc_b64 s[14:15]
.Lpost_getpc3882:
	s_add_u32 s14, s14, (.LBB1_14933-.Lpost_getpc3882)&4294967295
	s_addc_u32 s15, s15, (.LBB1_14933-.Lpost_getpc3882)>>32
	s_setpc_b64 s[14:15]
.LBB1_597:
	s_or_saveexec_b64 s[6:7], s[6:7]
	v_mov_b32_e32 v6, s10
	s_xor_b64 exec, exec, s[6:7]
	s_cbranch_execz .LBB1_598
; %bb.36439:
	s_getpc_b64 s[14:15]
.Lpost_getpc3883:
	s_add_u32 s14, s14, (.LBB1_14936-.Lpost_getpc3883)&4294967295
	s_addc_u32 s15, s15, (.LBB1_14936-.Lpost_getpc3883)>>32
	s_setpc_b64 s[14:15]
.LBB1_598:
	s_or_b64 exec, exec, s[6:7]
	s_and_saveexec_b64 s[6:7], s[4:5]
	s_cbranch_execz .LBB1_600
.LBB1_599:
	v_bfe_u32 v3, v4, 16, 3
	v_ffbh_u32_e32 v12, v3
	v_min_u32_e32 v12, 32, v12
	v_lshrrev_b32_e32 v6, 19, v4
	v_subrev_u32_e32 v13, 28, v12
	v_and_b32_e32 v6, 15, v6
	v_lshlrev_b32_sdwa v13, v13, v4 dst_sel:DWORD dst_unused:UNUSED_PAD src0_sel:DWORD src1_sel:WORD_1
	v_bfe_u32 v7, v4, 19, 4
	v_sub_u32_e32 v12, 29, v12
	v_and_b32_e32 v13, 7, v13
	v_cmp_eq_u16_e32 vcc, 0, v6
	v_cndmask_b32_e32 v3, v3, v13, vcc
	v_cndmask_b32_e32 v6, v7, v12, vcc
	v_lshlrev_b32_e32 v7, 8, v4
	v_mov_b32_e32 v12, 0x3b800000
	v_lshlrev_b32_e32 v3, 20, v3
	v_and_b32_e32 v7, 0x80000000, v7
	v_lshl_add_u32 v6, v6, 23, v12
	v_or3_b32 v6, v7, v6, v3
.LBB1_600:
	s_or_b64 exec, exec, s[6:7]
	s_nop 0
	v_mfma_f32_16x16x4f32 a[0:3], v2, v6, a[0:3]
	s_movk_i32 s4, 0x7f
	v_cmp_gt_i16_sdwa s[6:7], v8, s4 src0_sel:BYTE_3 src1_sel:DWORD
	s_mov_b64 s[4:5], 0
                                        ; implicit-def: $sgpr10
	s_and_saveexec_b64 s[8:9], s[6:7]
	s_xor_b64 s[6:7], exec, s[8:9]
	s_cbranch_execz .LBB1_601
; %bb.36441:
	s_getpc_b64 s[14:15]
.Lpost_getpc3884:
	s_add_u32 s14, s14, (.LBB1_14937-.Lpost_getpc3884)&4294967295
	s_addc_u32 s15, s15, (.LBB1_14937-.Lpost_getpc3884)>>32
	s_setpc_b64 s[14:15]
.LBB1_601:
	s_or_saveexec_b64 s[6:7], s[6:7]
	v_mov_b32_e32 v2, s10
	s_xor_b64 exec, exec, s[6:7]
	s_cbranch_execz .LBB1_602
; %bb.36443:
	s_getpc_b64 s[14:15]
.Lpost_getpc3885:
	s_add_u32 s14, s14, (.LBB1_14940-.Lpost_getpc3885)&4294967295
	s_addc_u32 s15, s15, (.LBB1_14940-.Lpost_getpc3885)>>32
	s_setpc_b64 s[14:15]
.LBB1_602:
	s_or_b64 exec, exec, s[6:7]
	s_and_saveexec_b64 s[6:7], s[4:5]
	s_cbranch_execz .LBB1_604
.LBB1_603:
	v_bfe_u32 v2, v8, 24, 3
	v_ffbh_u32_e32 v12, v2
	v_min_u32_e32 v12, 32, v12
	v_lshrrev_b32_e32 v6, 27, v8
	v_subrev_u32_e32 v13, 28, v12
	v_and_b32_e32 v3, 0x80000000, v8
	v_and_b32_e32 v6, 15, v6
	v_bfe_u32 v7, v8, 27, 4
	v_lshlrev_b32_sdwa v8, v13, v8 dst_sel:DWORD dst_unused:UNUSED_PAD src0_sel:DWORD src1_sel:BYTE_3
	v_sub_u32_e32 v12, 29, v12
	v_and_b32_e32 v8, 7, v8
	v_cmp_eq_u16_e32 vcc, 0, v6
	v_cndmask_b32_e32 v2, v2, v8, vcc
	v_cndmask_b32_e32 v6, v7, v12, vcc
	v_mov_b32_e32 v7, 0x3b800000
	v_lshlrev_b32_e32 v2, 20, v2
	v_lshl_add_u32 v6, v6, 23, v7
	v_or3_b32 v2, v3, v6, v2
.LBB1_604:
	s_or_b64 exec, exec, s[6:7]
	s_movk_i32 s4, 0x7f
	v_cmp_gt_i16_sdwa s[6:7], v4, s4 src0_sel:BYTE_3 src1_sel:DWORD
	s_mov_b64 s[4:5], 0
                                        ; implicit-def: $sgpr10
	s_and_saveexec_b64 s[8:9], s[6:7]
	s_xor_b64 s[6:7], exec, s[8:9]
	s_cbranch_execz .LBB1_605
; %bb.36445:
	s_getpc_b64 s[14:15]
.Lpost_getpc3886:
	s_add_u32 s14, s14, (.LBB1_14941-.Lpost_getpc3886)&4294967295
	s_addc_u32 s15, s15, (.LBB1_14941-.Lpost_getpc3886)>>32
	s_setpc_b64 s[14:15]
.LBB1_605:
	s_or_saveexec_b64 s[6:7], s[6:7]
	v_mov_b32_e32 v3, s10
	s_xor_b64 exec, exec, s[6:7]
	s_cbranch_execz .LBB1_606
; %bb.36447:
	s_getpc_b64 s[14:15]
.Lpost_getpc3887:
	s_add_u32 s14, s14, (.LBB1_14944-.Lpost_getpc3887)&4294967295
	s_addc_u32 s15, s15, (.LBB1_14944-.Lpost_getpc3887)>>32
	s_setpc_b64 s[14:15]
.LBB1_606:
	s_or_b64 exec, exec, s[6:7]
	s_and_saveexec_b64 s[6:7], s[4:5]
	s_cbranch_execz .LBB1_608
.LBB1_607:
	v_bfe_u32 v3, v4, 24, 3
	v_ffbh_u32_e32 v12, v3
	v_min_u32_e32 v12, 32, v12
	v_lshrrev_b32_e32 v7, 27, v4
	v_subrev_u32_e32 v13, 28, v12
	v_and_b32_e32 v6, 0x80000000, v4
	v_and_b32_e32 v7, 15, v7
	v_bfe_u32 v8, v4, 27, 4
	v_lshlrev_b32_sdwa v4, v13, v4 dst_sel:DWORD dst_unused:UNUSED_PAD src0_sel:DWORD src1_sel:BYTE_3
	v_sub_u32_e32 v12, 29, v12
	v_and_b32_e32 v4, 7, v4
	v_cmp_eq_u16_e32 vcc, 0, v7
	v_cndmask_b32_e32 v3, v3, v4, vcc
	v_cndmask_b32_e32 v4, v8, v12, vcc
	v_mov_b32_e32 v7, 0x3b800000
	v_lshlrev_b32_e32 v3, 20, v3
	v_lshl_add_u32 v4, v4, 23, v7
	v_or3_b32 v3, v6, v4, v3
.LBB1_608:
	s_or_b64 exec, exec, s[6:7]
	s_nop 0
	v_mfma_f32_16x16x4f32 a[0:3], v2, v3, a[0:3]
	s_movk_i32 s4, 0x7f
	v_cmp_gt_i16_sdwa s[6:7], v9, s4 src0_sel:BYTE_0 src1_sel:DWORD
	s_mov_b64 s[4:5], 0
                                        ; implicit-def: $sgpr10
	s_and_saveexec_b64 s[8:9], s[6:7]
	s_xor_b64 s[6:7], exec, s[8:9]
	s_cbranch_execz .LBB1_609
; %bb.36449:
	s_getpc_b64 s[14:15]
.Lpost_getpc3888:
	s_add_u32 s14, s14, (.LBB1_14945-.Lpost_getpc3888)&4294967295
	s_addc_u32 s15, s15, (.LBB1_14945-.Lpost_getpc3888)>>32
	s_setpc_b64 s[14:15]
.LBB1_609:
	s_or_saveexec_b64 s[6:7], s[6:7]
	v_mov_b32_e32 v2, s10
	s_xor_b64 exec, exec, s[6:7]
	s_cbranch_execz .LBB1_610
; %bb.36451:
	s_getpc_b64 s[14:15]
.Lpost_getpc3889:
	s_add_u32 s14, s14, (.LBB1_14948-.Lpost_getpc3889)&4294967295
	s_addc_u32 s15, s15, (.LBB1_14948-.Lpost_getpc3889)>>32
	s_setpc_b64 s[14:15]
.LBB1_610:
	s_or_b64 exec, exec, s[6:7]
	s_and_saveexec_b64 s[6:7], s[4:5]
	s_cbranch_execz .LBB1_612
.LBB1_611:
	v_mov_b32_e32 v2, 8
	v_and_b32_e32 v3, 7, v9
	v_lshrrev_b32_sdwa v2, v2, v9 dst_sel:BYTE_1 dst_unused:UNUSED_PAD src0_sel:DWORD src1_sel:DWORD
	v_ffbh_u32_e32 v4, v3
	v_or_b32_sdwa v2, v9, v2 dst_sel:DWORD dst_unused:UNUSED_PAD src0_sel:BYTE_0 src1_sel:DWORD
	v_min_u32_e32 v4, 32, v4
	v_lshrrev_b16_e32 v2, 3, v2
	v_subrev_u32_e32 v6, 28, v4
	v_and_b32_e32 v2, 15, v2
	v_lshlrev_b32_e32 v6, v6, v9
	v_sub_u32_e32 v4, 29, v4
	v_and_b32_e32 v6, 7, v6
	v_cmp_eq_u16_e32 vcc, 0, v2
	v_cndmask_b32_e32 v3, v3, v6, vcc
	v_cndmask_b32_e32 v2, v2, v4, vcc
	v_lshlrev_b32_e32 v4, 24, v9
	v_mov_b32_e32 v6, 0x3b800000
	v_lshlrev_b32_e32 v3, 20, v3
	v_and_b32_e32 v4, 0x80000000, v4
	v_lshl_add_u32 v2, v2, 23, v6
	v_or3_b32 v2, v4, v2, v3
.LBB1_612:
	s_or_b64 exec, exec, s[6:7]
	s_movk_i32 s4, 0x7f
	v_cmp_gt_i16_sdwa s[6:7], v5, s4 src0_sel:BYTE_0 src1_sel:DWORD
	s_mov_b64 s[4:5], 0
                                        ; implicit-def: $sgpr10
	s_and_saveexec_b64 s[8:9], s[6:7]
	s_xor_b64 s[6:7], exec, s[8:9]
	s_cbranch_execz .LBB1_613
; %bb.36453:
	s_getpc_b64 s[14:15]
.Lpost_getpc3890:
	s_add_u32 s14, s14, (.LBB1_14949-.Lpost_getpc3890)&4294967295
	s_addc_u32 s15, s15, (.LBB1_14949-.Lpost_getpc3890)>>32
	s_setpc_b64 s[14:15]
.LBB1_613:
	s_or_saveexec_b64 s[6:7], s[6:7]
	v_mov_b32_e32 v3, s10
	s_xor_b64 exec, exec, s[6:7]
	s_cbranch_execz .LBB1_614
; %bb.36455:
	s_getpc_b64 s[14:15]
.Lpost_getpc3891:
	s_add_u32 s14, s14, (.LBB1_14952-.Lpost_getpc3891)&4294967295
	s_addc_u32 s15, s15, (.LBB1_14952-.Lpost_getpc3891)>>32
	s_setpc_b64 s[14:15]
.LBB1_614:
	s_or_b64 exec, exec, s[6:7]
	s_and_saveexec_b64 s[6:7], s[4:5]
	s_cbranch_execz .LBB1_616
.LBB1_615:
	v_mov_b32_e32 v3, 8
	v_and_b32_e32 v4, 7, v5
	v_lshrrev_b32_sdwa v3, v3, v5 dst_sel:BYTE_1 dst_unused:UNUSED_PAD src0_sel:DWORD src1_sel:DWORD
	v_ffbh_u32_e32 v6, v4
	v_or_b32_sdwa v3, v5, v3 dst_sel:DWORD dst_unused:UNUSED_PAD src0_sel:BYTE_0 src1_sel:DWORD
	v_min_u32_e32 v6, 32, v6
	v_lshrrev_b16_e32 v3, 3, v3
	v_subrev_u32_e32 v7, 28, v6
	v_and_b32_e32 v3, 15, v3
	v_lshlrev_b32_e32 v7, v7, v5
	v_sub_u32_e32 v6, 29, v6
	v_and_b32_e32 v7, 7, v7
	v_cmp_eq_u16_e32 vcc, 0, v3
	v_cndmask_b32_e32 v4, v4, v7, vcc
	v_cndmask_b32_e32 v3, v3, v6, vcc
	v_lshlrev_b32_e32 v6, 24, v5
	v_mov_b32_e32 v7, 0x3b800000
	v_lshlrev_b32_e32 v4, 20, v4
	v_and_b32_e32 v6, 0x80000000, v6
	v_lshl_add_u32 v3, v3, 23, v7
	v_or3_b32 v3, v6, v3, v4
.LBB1_616:
	s_or_b64 exec, exec, s[6:7]
	s_nop 0
	v_mfma_f32_16x16x4f32 a[0:3], v2, v3, a[0:3]
	v_lshrrev_b32_e32 v3, 8, v9
	s_movk_i32 s4, 0x7f
	v_cmp_gt_i16_sdwa s[6:7], v3, s4 src0_sel:BYTE_0 src1_sel:DWORD
	s_mov_b64 s[4:5], 0
                                        ; implicit-def: $sgpr10
	s_and_saveexec_b64 s[8:9], s[6:7]
	s_xor_b64 s[6:7], exec, s[8:9]
	s_cbranch_execz .LBB1_617
; %bb.36457:
	s_getpc_b64 s[14:15]
.Lpost_getpc3892:
	s_add_u32 s14, s14, (.LBB1_14953-.Lpost_getpc3892)&4294967295
	s_addc_u32 s15, s15, (.LBB1_14953-.Lpost_getpc3892)>>32
	s_setpc_b64 s[14:15]
.LBB1_617:
	s_or_saveexec_b64 s[6:7], s[6:7]
	v_mov_b32_e32 v2, s10
	s_xor_b64 exec, exec, s[6:7]
	s_cbranch_execz .LBB1_618
; %bb.36459:
	s_getpc_b64 s[14:15]
.Lpost_getpc3893:
	s_add_u32 s14, s14, (.LBB1_14956-.Lpost_getpc3893)&4294967295
	s_addc_u32 s15, s15, (.LBB1_14956-.Lpost_getpc3893)>>32
	s_setpc_b64 s[14:15]
.LBB1_618:
	s_or_b64 exec, exec, s[6:7]
	s_and_saveexec_b64 s[6:7], s[4:5]
	s_cbranch_execz .LBB1_620
.LBB1_619:
	v_bfe_u32 v2, v9, 8, 3
	v_ffbh_u32_e32 v6, v2
	v_min_u32_e32 v6, 32, v6
	v_lshrrev_b16_e32 v4, 3, v3
	v_subrev_u32_e32 v7, 28, v6
	v_and_b32_e32 v4, 15, v4
	v_lshlrev_b32_e32 v3, v7, v3
	v_sub_u32_e32 v6, 29, v6
	v_and_b32_e32 v3, 7, v3
	v_cmp_eq_u16_e32 vcc, 0, v4
	v_cndmask_b32_e32 v2, v2, v3, vcc
	v_cndmask_b32_e32 v3, v4, v6, vcc
	v_lshlrev_b32_e32 v4, 16, v9
	v_mov_b32_e32 v6, 0x3b800000
	v_lshlrev_b32_e32 v2, 20, v2
	v_and_b32_e32 v4, 0x80000000, v4
	v_lshl_add_u32 v3, v3, 23, v6
	v_or3_b32 v2, v4, v3, v2
.LBB1_620:
	s_or_b64 exec, exec, s[6:7]
	v_lshrrev_b32_e32 v3, 8, v5
	s_movk_i32 s4, 0x7f
	v_cmp_gt_i16_sdwa s[6:7], v3, s4 src0_sel:BYTE_0 src1_sel:DWORD
	s_mov_b64 s[4:5], 0
                                        ; implicit-def: $sgpr10
	s_and_saveexec_b64 s[8:9], s[6:7]
	s_xor_b64 s[6:7], exec, s[8:9]
	s_cbranch_execz .LBB1_621
; %bb.36461:
	s_getpc_b64 s[14:15]
.Lpost_getpc3894:
	s_add_u32 s14, s14, (.LBB1_14957-.Lpost_getpc3894)&4294967295
	s_addc_u32 s15, s15, (.LBB1_14957-.Lpost_getpc3894)>>32
	s_setpc_b64 s[14:15]
.LBB1_621:
	s_or_saveexec_b64 s[6:7], s[6:7]
	v_mov_b32_e32 v4, s10
	s_xor_b64 exec, exec, s[6:7]
	s_cbranch_execz .LBB1_622
; %bb.36463:
	s_getpc_b64 s[14:15]
.Lpost_getpc3895:
	s_add_u32 s14, s14, (.LBB1_14960-.Lpost_getpc3895)&4294967295
	s_addc_u32 s15, s15, (.LBB1_14960-.Lpost_getpc3895)>>32
	s_setpc_b64 s[14:15]
.LBB1_622:
	s_or_b64 exec, exec, s[6:7]
	s_and_saveexec_b64 s[6:7], s[4:5]
	s_cbranch_execz .LBB1_624
.LBB1_623:
	v_bfe_u32 v4, v5, 8, 3
	v_ffbh_u32_e32 v7, v4
	v_min_u32_e32 v7, 32, v7
	v_lshrrev_b16_e32 v6, 3, v3
	v_subrev_u32_e32 v8, 28, v7
	v_and_b32_e32 v6, 15, v6
	v_lshlrev_b32_e32 v3, v8, v3
	v_sub_u32_e32 v7, 29, v7
	v_and_b32_e32 v3, 7, v3
	v_cmp_eq_u16_e32 vcc, 0, v6
	v_cndmask_b32_e32 v3, v4, v3, vcc
	v_cndmask_b32_e32 v4, v6, v7, vcc
	v_lshlrev_b32_e32 v6, 16, v5
	v_mov_b32_e32 v7, 0x3b800000
	v_lshlrev_b32_e32 v3, 20, v3
	v_and_b32_e32 v6, 0x80000000, v6
	v_lshl_add_u32 v4, v4, 23, v7
	v_or3_b32 v4, v6, v4, v3
.LBB1_624:
	s_or_b64 exec, exec, s[6:7]
	s_nop 0
	v_mfma_f32_16x16x4f32 a[0:3], v2, v4, a[0:3]
	s_movk_i32 s4, 0xff
	v_and_b32_sdwa v3, v9, s4 dst_sel:DWORD dst_unused:UNUSED_PAD src0_sel:WORD_1 src1_sel:DWORD
	s_movk_i32 s4, 0x7f
	v_cmp_lt_i16_e32 vcc, s4, v3
	s_mov_b64 s[4:5], 0
                                        ; implicit-def: $sgpr10
	s_and_saveexec_b64 s[6:7], vcc
	s_xor_b64 s[6:7], exec, s[6:7]
	s_cbranch_execz .LBB1_625
; %bb.36465:
	s_getpc_b64 s[14:15]
.Lpost_getpc3896:
	s_add_u32 s14, s14, (.LBB1_14961-.Lpost_getpc3896)&4294967295
	s_addc_u32 s15, s15, (.LBB1_14961-.Lpost_getpc3896)>>32
	s_setpc_b64 s[14:15]
.LBB1_625:
	s_or_saveexec_b64 s[6:7], s[6:7]
	v_mov_b32_e32 v2, s10
	s_xor_b64 exec, exec, s[6:7]
	s_cbranch_execz .LBB1_626
; %bb.36467:
	s_getpc_b64 s[14:15]
.Lpost_getpc3897:
	s_add_u32 s14, s14, (.LBB1_14964-.Lpost_getpc3897)&4294967295
	s_addc_u32 s15, s15, (.LBB1_14964-.Lpost_getpc3897)>>32
	s_setpc_b64 s[14:15]
.LBB1_626:
	s_or_b64 exec, exec, s[6:7]
	s_and_saveexec_b64 s[6:7], s[4:5]
	s_cbranch_execz .LBB1_628
.LBB1_627:
	v_bfe_u32 v2, v9, 16, 3
	v_ffbh_u32_e32 v6, v2
	v_min_u32_e32 v6, 32, v6
	v_lshrrev_b32_e32 v3, 19, v9
	v_subrev_u32_e32 v7, 28, v6
	v_and_b32_e32 v3, 15, v3
	v_lshlrev_b32_sdwa v7, v7, v9 dst_sel:DWORD dst_unused:UNUSED_PAD src0_sel:DWORD src1_sel:WORD_1
	v_bfe_u32 v4, v9, 19, 4
	v_sub_u32_e32 v6, 29, v6
	v_and_b32_e32 v7, 7, v7
	v_cmp_eq_u16_e32 vcc, 0, v3
	v_cndmask_b32_e32 v2, v2, v7, vcc
	v_cndmask_b32_e32 v3, v4, v6, vcc
	v_lshlrev_b32_e32 v4, 8, v9
	v_mov_b32_e32 v6, 0x3b800000
	v_lshlrev_b32_e32 v2, 20, v2
	v_and_b32_e32 v4, 0x80000000, v4
	v_lshl_add_u32 v3, v3, 23, v6
	v_or3_b32 v2, v4, v3, v2
.LBB1_628:
	s_or_b64 exec, exec, s[6:7]
	s_movk_i32 s4, 0xff
	v_and_b32_sdwa v3, v5, s4 dst_sel:DWORD dst_unused:UNUSED_PAD src0_sel:WORD_1 src1_sel:DWORD
	s_movk_i32 s4, 0x7f
	v_cmp_lt_i16_e32 vcc, s4, v3
	s_mov_b64 s[4:5], 0
                                        ; implicit-def: $sgpr10
	s_and_saveexec_b64 s[6:7], vcc
	s_xor_b64 s[6:7], exec, s[6:7]
	s_cbranch_execz .LBB1_629
; %bb.36469:
	s_getpc_b64 s[14:15]
.Lpost_getpc3898:
	s_add_u32 s14, s14, (.LBB1_14965-.Lpost_getpc3898)&4294967295
	s_addc_u32 s15, s15, (.LBB1_14965-.Lpost_getpc3898)>>32
	s_setpc_b64 s[14:15]
.LBB1_629:
	s_or_saveexec_b64 s[6:7], s[6:7]
	v_mov_b32_e32 v4, s10
	s_xor_b64 exec, exec, s[6:7]
	s_cbranch_execz .LBB1_630
; %bb.36471:
	s_getpc_b64 s[14:15]
.Lpost_getpc3899:
	s_add_u32 s14, s14, (.LBB1_14968-.Lpost_getpc3899)&4294967295
	s_addc_u32 s15, s15, (.LBB1_14968-.Lpost_getpc3899)>>32
	s_setpc_b64 s[14:15]
.LBB1_630:
	s_or_b64 exec, exec, s[6:7]
	s_and_saveexec_b64 s[6:7], s[4:5]
	s_cbranch_execz .LBB1_632
.LBB1_631:
	v_bfe_u32 v3, v5, 16, 3
	v_ffbh_u32_e32 v7, v3
	v_min_u32_e32 v7, 32, v7
	v_lshrrev_b32_e32 v4, 19, v5
	v_subrev_u32_e32 v8, 28, v7
	v_and_b32_e32 v4, 15, v4
	v_lshlrev_b32_sdwa v8, v8, v5 dst_sel:DWORD dst_unused:UNUSED_PAD src0_sel:DWORD src1_sel:WORD_1
	v_bfe_u32 v6, v5, 19, 4
	v_sub_u32_e32 v7, 29, v7
	v_and_b32_e32 v8, 7, v8
	v_cmp_eq_u16_e32 vcc, 0, v4
	v_cndmask_b32_e32 v3, v3, v8, vcc
	v_cndmask_b32_e32 v4, v6, v7, vcc
	v_lshlrev_b32_e32 v6, 8, v5
	v_mov_b32_e32 v7, 0x3b800000
	v_lshlrev_b32_e32 v3, 20, v3
	v_and_b32_e32 v6, 0x80000000, v6
	v_lshl_add_u32 v4, v4, 23, v7
	v_or3_b32 v4, v6, v4, v3
.LBB1_632:
	s_or_b64 exec, exec, s[6:7]
	s_nop 0
	v_mfma_f32_16x16x4f32 a[0:3], v2, v4, a[0:3]
	s_movk_i32 s4, 0x7f
	v_cmp_gt_i16_sdwa s[6:7], v9, s4 src0_sel:BYTE_3 src1_sel:DWORD
	s_mov_b64 s[4:5], 0
                                        ; implicit-def: $sgpr10
	s_and_saveexec_b64 s[8:9], s[6:7]
	s_xor_b64 s[6:7], exec, s[8:9]
	s_cbranch_execz .LBB1_633
; %bb.36473:
	s_getpc_b64 s[14:15]
.Lpost_getpc3900:
	s_add_u32 s14, s14, (.LBB1_14969-.Lpost_getpc3900)&4294967295
	s_addc_u32 s15, s15, (.LBB1_14969-.Lpost_getpc3900)>>32
	s_setpc_b64 s[14:15]
.LBB1_633:
	s_or_saveexec_b64 s[6:7], s[6:7]
	v_mov_b32_e32 v2, s10
	s_xor_b64 exec, exec, s[6:7]
	s_cbranch_execz .LBB1_634
; %bb.36475:
	s_getpc_b64 s[14:15]
.Lpost_getpc3901:
	s_add_u32 s14, s14, (.LBB1_14972-.Lpost_getpc3901)&4294967295
	s_addc_u32 s15, s15, (.LBB1_14972-.Lpost_getpc3901)>>32
	s_setpc_b64 s[14:15]
.LBB1_634:
	s_or_b64 exec, exec, s[6:7]
	s_and_saveexec_b64 s[6:7], s[4:5]
	s_cbranch_execz .LBB1_636
.LBB1_635:
	v_bfe_u32 v2, v9, 24, 3
	v_ffbh_u32_e32 v7, v2
	v_min_u32_e32 v7, 32, v7
	v_lshrrev_b32_e32 v4, 27, v9
	v_subrev_u32_e32 v8, 28, v7
	v_and_b32_e32 v4, 15, v4
	v_lshlrev_b32_sdwa v8, v8, v9 dst_sel:DWORD dst_unused:UNUSED_PAD src0_sel:DWORD src1_sel:BYTE_3
	v_bfe_u32 v6, v9, 27, 4
	v_sub_u32_e32 v7, 29, v7
	v_and_b32_e32 v8, 7, v8
	v_cmp_eq_u16_e32 vcc, 0, v4
	v_cndmask_b32_e32 v2, v2, v8, vcc
	v_cndmask_b32_e32 v4, v6, v7, vcc
	v_mov_b32_e32 v6, 0x3b800000
	v_and_b32_e32 v3, 0x80000000, v9
	v_lshlrev_b32_e32 v2, 20, v2
	v_lshl_add_u32 v4, v4, 23, v6
	v_or3_b32 v2, v3, v4, v2
.LBB1_636:
	s_or_b64 exec, exec, s[6:7]
	s_movk_i32 s4, 0x7f
	v_cmp_gt_i16_sdwa s[6:7], v5, s4 src0_sel:BYTE_3 src1_sel:DWORD
	s_mov_b64 s[4:5], 0
                                        ; implicit-def: $sgpr10
	s_and_saveexec_b64 s[8:9], s[6:7]
	s_xor_b64 s[6:7], exec, s[8:9]
	s_cbranch_execz .LBB1_637
; %bb.36477:
	s_getpc_b64 s[14:15]
.Lpost_getpc3902:
	s_add_u32 s14, s14, (.LBB1_14973-.Lpost_getpc3902)&4294967295
	s_addc_u32 s15, s15, (.LBB1_14973-.Lpost_getpc3902)>>32
	s_setpc_b64 s[14:15]
.LBB1_637:
	s_or_saveexec_b64 s[6:7], s[6:7]
	v_mov_b32_e32 v3, s10
	s_xor_b64 exec, exec, s[6:7]
	s_cbranch_execz .LBB1_638
; %bb.36479:
	s_getpc_b64 s[14:15]
.Lpost_getpc3903:
	s_add_u32 s14, s14, (.LBB1_14976-.Lpost_getpc3903)&4294967295
	s_addc_u32 s15, s15, (.LBB1_14976-.Lpost_getpc3903)>>32
	s_setpc_b64 s[14:15]
.LBB1_638:
	s_or_b64 exec, exec, s[6:7]
	s_and_saveexec_b64 s[6:7], s[4:5]
	s_cbranch_execz .LBB1_640
.LBB1_639:
	v_bfe_u32 v3, v5, 24, 3
	v_ffbh_u32_e32 v8, v3
	v_min_u32_e32 v8, 32, v8
	v_lshrrev_b32_e32 v6, 27, v5
	v_subrev_u32_e32 v9, 28, v8
	v_and_b32_e32 v4, 0x80000000, v5
	v_and_b32_e32 v6, 15, v6
	v_bfe_u32 v7, v5, 27, 4
	v_lshlrev_b32_sdwa v5, v9, v5 dst_sel:DWORD dst_unused:UNUSED_PAD src0_sel:DWORD src1_sel:BYTE_3
	v_sub_u32_e32 v8, 29, v8
	v_and_b32_e32 v5, 7, v5
	v_cmp_eq_u16_e32 vcc, 0, v6
	v_cndmask_b32_e32 v3, v3, v5, vcc
	v_cndmask_b32_e32 v5, v7, v8, vcc
	v_mov_b32_e32 v6, 0x3b800000
	v_lshlrev_b32_e32 v3, 20, v3
	v_lshl_add_u32 v5, v5, 23, v6
	v_or3_b32 v3, v4, v5, v3
.LBB1_640:
	s_or_b64 exec, exec, s[6:7]
	s_nop 0
	v_mfma_f32_16x16x4f32 a[0:3], v2, v3, a[0:3]
	s_movk_i32 s4, 0x7f
                                        ; implicit-def: $sgpr10
	s_nop 7
	s_nop 1
	flat_store_dwordx4 v[10:11], a[0:3] offset:64
	flat_load_dwordx4 v[12:15], v[0:1]
	s_nop 0
	flat_load_dwordx2 v[10:11], v[0:1] offset:16
	s_waitcnt vmcnt(0) lgkmcnt(0)
	flat_load_dwordx4 v[6:9], v[12:13]
	flat_load_dwordx4 v[2:5], v[14:15] offset:80
	s_waitcnt vmcnt(0) lgkmcnt(0)
	v_cmp_gt_i16_sdwa s[6:7], v6, s4 src0_sel:BYTE_0 src1_sel:DWORD
	s_mov_b64 s[4:5], 0
	s_and_saveexec_b64 s[8:9], s[6:7]
	s_xor_b64 s[6:7], exec, s[8:9]
	s_cbranch_execz .LBB1_641
; %bb.36481:
	s_getpc_b64 s[14:15]
.Lpost_getpc3904:
	s_add_u32 s14, s14, (.LBB1_14977-.Lpost_getpc3904)&4294967295
	s_addc_u32 s15, s15, (.LBB1_14977-.Lpost_getpc3904)>>32
	s_setpc_b64 s[14:15]
.LBB1_641:
	s_or_saveexec_b64 s[6:7], s[6:7]
	v_mov_b32_e32 v12, s10
	s_xor_b64 exec, exec, s[6:7]
	s_cbranch_execz .LBB1_642
; %bb.36483:
	s_getpc_b64 s[14:15]
.Lpost_getpc3905:
	s_add_u32 s14, s14, (.LBB1_14980-.Lpost_getpc3905)&4294967295
	s_addc_u32 s15, s15, (.LBB1_14980-.Lpost_getpc3905)>>32
	s_setpc_b64 s[14:15]
.LBB1_642:
	s_or_b64 exec, exec, s[6:7]
	s_and_saveexec_b64 s[6:7], s[4:5]
	s_cbranch_execz .LBB1_644
.LBB1_643:
	v_and_b32_e32 v12, 7, v6
	v_ffbh_u32_e32 v14, v12
	v_min_u32_e32 v14, 32, v14
	v_lshrrev_b16_e32 v13, 3, v6
	v_subrev_u32_e32 v15, 28, v14
	v_and_b32_e32 v13, 15, v13
	v_lshlrev_b32_e32 v15, v15, v6
	v_sub_u32_e32 v14, 29, v14
	v_and_b32_e32 v15, 7, v15
	v_cmp_eq_u16_e32 vcc, 0, v13
	v_cndmask_b32_e32 v12, v12, v15, vcc
	v_cndmask_b32_e32 v13, v13, v14, vcc
	v_lshlrev_b32_e32 v14, 24, v6
	v_mov_b32_e32 v15, 0x3b800000
	v_lshlrev_b32_e32 v12, 20, v12
	v_and_b32_e32 v14, 0x80000000, v14
	v_lshl_add_u32 v13, v13, 23, v15
	v_or3_b32 v12, v14, v13, v12
.LBB1_644:
	s_or_b64 exec, exec, s[6:7]
	s_movk_i32 s4, 0x7f
	v_cmp_gt_i16_sdwa s[6:7], v2, s4 src0_sel:BYTE_0 src1_sel:DWORD
	s_mov_b64 s[4:5], 0
                                        ; implicit-def: $sgpr10
	s_and_saveexec_b64 s[8:9], s[6:7]
	s_xor_b64 s[6:7], exec, s[8:9]
	s_cbranch_execz .LBB1_645
; %bb.36485:
	s_getpc_b64 s[14:15]
.Lpost_getpc3906:
	s_add_u32 s14, s14, (.LBB1_14981-.Lpost_getpc3906)&4294967295
	s_addc_u32 s15, s15, (.LBB1_14981-.Lpost_getpc3906)>>32
	s_setpc_b64 s[14:15]
.LBB1_645:
	s_or_saveexec_b64 s[6:7], s[6:7]
	v_mov_b32_e32 v13, s10
	s_xor_b64 exec, exec, s[6:7]
	s_cbranch_execz .LBB1_646
; %bb.36487:
	s_getpc_b64 s[14:15]
.Lpost_getpc3907:
	s_add_u32 s14, s14, (.LBB1_14984-.Lpost_getpc3907)&4294967295
	s_addc_u32 s15, s15, (.LBB1_14984-.Lpost_getpc3907)>>32
	s_setpc_b64 s[14:15]
.LBB1_646:
	s_or_b64 exec, exec, s[6:7]
	s_and_saveexec_b64 s[6:7], s[4:5]
	s_cbranch_execz .LBB1_648
.LBB1_647:
	v_and_b32_e32 v13, 7, v2
	v_ffbh_u32_e32 v15, v13
	v_min_u32_e32 v15, 32, v15
	v_lshrrev_b16_e32 v14, 3, v2
	v_subrev_u32_e32 v16, 28, v15
	v_and_b32_e32 v14, 15, v14
	v_lshlrev_b32_e32 v16, v16, v2
	v_sub_u32_e32 v15, 29, v15
	v_and_b32_e32 v16, 7, v16
	v_cmp_eq_u16_e32 vcc, 0, v14
	v_cndmask_b32_e32 v13, v13, v16, vcc
	v_cndmask_b32_e32 v14, v14, v15, vcc
	v_lshlrev_b32_e32 v15, 24, v2
	v_mov_b32_e32 v16, 0x3b800000
	v_lshlrev_b32_e32 v13, 20, v13
	v_and_b32_e32 v15, 0x80000000, v15
	v_lshl_add_u32 v14, v14, 23, v16
	v_or3_b32 v13, v15, v14, v13
.LBB1_648:
	s_or_b64 exec, exec, s[6:7]
	flat_load_dwordx4 a[0:3], v[10:11] offset:80
	s_movk_i32 s4, 0x7f
                                        ; implicit-def: $sgpr10
	s_waitcnt vmcnt(0) lgkmcnt(0)
	v_mfma_f32_16x16x4f32 a[0:3], v12, v13, a[0:3]
	v_lshrrev_b32_e32 v13, 8, v6
	v_cmp_gt_i16_sdwa s[6:7], v13, s4 src0_sel:BYTE_0 src1_sel:DWORD
	s_mov_b64 s[4:5], 0
	s_and_saveexec_b64 s[8:9], s[6:7]
	s_xor_b64 s[6:7], exec, s[8:9]
	s_cbranch_execz .LBB1_649
; %bb.36489:
	s_getpc_b64 s[14:15]
.Lpost_getpc3908:
	s_add_u32 s14, s14, (.LBB1_14985-.Lpost_getpc3908)&4294967295
	s_addc_u32 s15, s15, (.LBB1_14985-.Lpost_getpc3908)>>32
	s_setpc_b64 s[14:15]
.LBB1_649:
	s_or_saveexec_b64 s[6:7], s[6:7]
	v_mov_b32_e32 v12, s10
	s_xor_b64 exec, exec, s[6:7]
	s_cbranch_execz .LBB1_650
; %bb.36491:
	s_getpc_b64 s[14:15]
.Lpost_getpc3909:
	s_add_u32 s14, s14, (.LBB1_14988-.Lpost_getpc3909)&4294967295
	s_addc_u32 s15, s15, (.LBB1_14988-.Lpost_getpc3909)>>32
	s_setpc_b64 s[14:15]
.LBB1_650:
	s_or_b64 exec, exec, s[6:7]
	s_and_saveexec_b64 s[6:7], s[4:5]
	s_cbranch_execz .LBB1_652
.LBB1_651:
	v_bfe_u32 v12, v6, 8, 3
	v_ffbh_u32_e32 v15, v12
	v_min_u32_e32 v15, 32, v15
	v_lshrrev_b16_e32 v14, 3, v13
	v_subrev_u32_e32 v16, 28, v15
	v_and_b32_e32 v14, 15, v14
	v_lshlrev_b32_e32 v13, v16, v13
	v_sub_u32_e32 v15, 29, v15
	v_and_b32_e32 v13, 7, v13
	v_cmp_eq_u16_e32 vcc, 0, v14
	v_cndmask_b32_e32 v12, v12, v13, vcc
	v_cndmask_b32_e32 v13, v14, v15, vcc
	v_lshlrev_b32_e32 v14, 16, v6
	v_mov_b32_e32 v15, 0x3b800000
	v_lshlrev_b32_e32 v12, 20, v12
	v_and_b32_e32 v14, 0x80000000, v14
	v_lshl_add_u32 v13, v13, 23, v15
	v_or3_b32 v12, v14, v13, v12
.LBB1_652:
	s_or_b64 exec, exec, s[6:7]
	v_lshrrev_b32_e32 v13, 8, v2
	s_movk_i32 s4, 0x7f
	v_cmp_gt_i16_sdwa s[6:7], v13, s4 src0_sel:BYTE_0 src1_sel:DWORD
	s_mov_b64 s[4:5], 0
                                        ; implicit-def: $sgpr10
	s_and_saveexec_b64 s[8:9], s[6:7]
	s_xor_b64 s[6:7], exec, s[8:9]
	s_cbranch_execz .LBB1_653
; %bb.36493:
	s_getpc_b64 s[14:15]
.Lpost_getpc3910:
	s_add_u32 s14, s14, (.LBB1_14989-.Lpost_getpc3910)&4294967295
	s_addc_u32 s15, s15, (.LBB1_14989-.Lpost_getpc3910)>>32
	s_setpc_b64 s[14:15]
.LBB1_653:
	s_or_saveexec_b64 s[6:7], s[6:7]
	v_mov_b32_e32 v14, s10
	s_xor_b64 exec, exec, s[6:7]
	s_cbranch_execz .LBB1_654
; %bb.36495:
	s_getpc_b64 s[14:15]
.Lpost_getpc3911:
	s_add_u32 s14, s14, (.LBB1_14992-.Lpost_getpc3911)&4294967295
	s_addc_u32 s15, s15, (.LBB1_14992-.Lpost_getpc3911)>>32
	s_setpc_b64 s[14:15]
.LBB1_654:
	s_or_b64 exec, exec, s[6:7]
	s_and_saveexec_b64 s[6:7], s[4:5]
	s_cbranch_execz .LBB1_656
.LBB1_655:
	v_bfe_u32 v14, v2, 8, 3
	v_ffbh_u32_e32 v16, v14
	v_min_u32_e32 v16, 32, v16
	v_lshrrev_b16_e32 v15, 3, v13
	v_subrev_u32_e32 v17, 28, v16
	v_and_b32_e32 v15, 15, v15
	v_lshlrev_b32_e32 v13, v17, v13
	v_sub_u32_e32 v16, 29, v16
	v_and_b32_e32 v13, 7, v13
	v_cmp_eq_u16_e32 vcc, 0, v15
	v_cndmask_b32_e32 v13, v14, v13, vcc
	v_cndmask_b32_e32 v14, v15, v16, vcc
	v_lshlrev_b32_e32 v15, 16, v2
	v_mov_b32_e32 v16, 0x3b800000
	v_lshlrev_b32_e32 v13, 20, v13
	v_and_b32_e32 v15, 0x80000000, v15
	v_lshl_add_u32 v14, v14, 23, v16
	v_or3_b32 v14, v15, v14, v13
.LBB1_656:
	s_or_b64 exec, exec, s[6:7]
	s_nop 0
	v_mfma_f32_16x16x4f32 a[0:3], v12, v14, a[0:3]
	s_movk_i32 s4, 0xff
	v_and_b32_sdwa v13, v6, s4 dst_sel:DWORD dst_unused:UNUSED_PAD src0_sel:WORD_1 src1_sel:DWORD
	s_movk_i32 s4, 0x7f
	v_cmp_lt_i16_e32 vcc, s4, v13
	s_mov_b64 s[4:5], 0
                                        ; implicit-def: $sgpr10
	s_and_saveexec_b64 s[6:7], vcc
	s_xor_b64 s[6:7], exec, s[6:7]
	s_cbranch_execz .LBB1_657
; %bb.36497:
	s_getpc_b64 s[14:15]
.Lpost_getpc3912:
	s_add_u32 s14, s14, (.LBB1_14993-.Lpost_getpc3912)&4294967295
	s_addc_u32 s15, s15, (.LBB1_14993-.Lpost_getpc3912)>>32
	s_setpc_b64 s[14:15]
.LBB1_657:
	s_or_saveexec_b64 s[6:7], s[6:7]
	v_mov_b32_e32 v12, s10
	s_xor_b64 exec, exec, s[6:7]
	s_cbranch_execz .LBB1_658
; %bb.36499:
	s_getpc_b64 s[14:15]
.Lpost_getpc3913:
	s_add_u32 s14, s14, (.LBB1_14996-.Lpost_getpc3913)&4294967295
	s_addc_u32 s15, s15, (.LBB1_14996-.Lpost_getpc3913)>>32
	s_setpc_b64 s[14:15]
.LBB1_658:
	s_or_b64 exec, exec, s[6:7]
	s_and_saveexec_b64 s[6:7], s[4:5]
	s_cbranch_execz .LBB1_660
.LBB1_659:
	v_bfe_u32 v12, v6, 16, 3
	v_ffbh_u32_e32 v15, v12
	v_min_u32_e32 v15, 32, v15
	v_lshrrev_b32_e32 v13, 19, v6
	v_subrev_u32_e32 v16, 28, v15
	v_and_b32_e32 v13, 15, v13
	v_lshlrev_b32_sdwa v16, v16, v6 dst_sel:DWORD dst_unused:UNUSED_PAD src0_sel:DWORD src1_sel:WORD_1
	v_bfe_u32 v14, v6, 19, 4
	v_sub_u32_e32 v15, 29, v15
	v_and_b32_e32 v16, 7, v16
	v_cmp_eq_u16_e32 vcc, 0, v13
	v_cndmask_b32_e32 v12, v12, v16, vcc
	v_cndmask_b32_e32 v13, v14, v15, vcc
	v_lshlrev_b32_e32 v14, 8, v6
	v_mov_b32_e32 v15, 0x3b800000
	v_lshlrev_b32_e32 v12, 20, v12
	v_and_b32_e32 v14, 0x80000000, v14
	v_lshl_add_u32 v13, v13, 23, v15
	v_or3_b32 v12, v14, v13, v12
.LBB1_660:
	s_or_b64 exec, exec, s[6:7]
	s_movk_i32 s4, 0xff
	v_and_b32_sdwa v13, v2, s4 dst_sel:DWORD dst_unused:UNUSED_PAD src0_sel:WORD_1 src1_sel:DWORD
	s_movk_i32 s4, 0x7f
	v_cmp_lt_i16_e32 vcc, s4, v13
	s_mov_b64 s[4:5], 0
                                        ; implicit-def: $sgpr10
	s_and_saveexec_b64 s[6:7], vcc
	s_xor_b64 s[6:7], exec, s[6:7]
	s_cbranch_execz .LBB1_661
; %bb.36501:
	s_getpc_b64 s[14:15]
.Lpost_getpc3914:
	s_add_u32 s14, s14, (.LBB1_14997-.Lpost_getpc3914)&4294967295
	s_addc_u32 s15, s15, (.LBB1_14997-.Lpost_getpc3914)>>32
	s_setpc_b64 s[14:15]
.LBB1_661:
	s_or_saveexec_b64 s[6:7], s[6:7]
	v_mov_b32_e32 v14, s10
	s_xor_b64 exec, exec, s[6:7]
	s_cbranch_execz .LBB1_662
; %bb.36503:
	s_getpc_b64 s[14:15]
.Lpost_getpc3915:
	s_add_u32 s14, s14, (.LBB1_15000-.Lpost_getpc3915)&4294967295
	s_addc_u32 s15, s15, (.LBB1_15000-.Lpost_getpc3915)>>32
	s_setpc_b64 s[14:15]
.LBB1_662:
	s_or_b64 exec, exec, s[6:7]
	s_and_saveexec_b64 s[6:7], s[4:5]
	s_cbranch_execz .LBB1_664
.LBB1_663:
	v_bfe_u32 v13, v2, 16, 3
	v_ffbh_u32_e32 v16, v13
	v_min_u32_e32 v16, 32, v16
	v_lshrrev_b32_e32 v14, 19, v2
	v_subrev_u32_e32 v17, 28, v16
	v_and_b32_e32 v14, 15, v14
	v_lshlrev_b32_sdwa v17, v17, v2 dst_sel:DWORD dst_unused:UNUSED_PAD src0_sel:DWORD src1_sel:WORD_1
	v_bfe_u32 v15, v2, 19, 4
	v_sub_u32_e32 v16, 29, v16
	v_and_b32_e32 v17, 7, v17
	v_cmp_eq_u16_e32 vcc, 0, v14
	v_cndmask_b32_e32 v13, v13, v17, vcc
	v_cndmask_b32_e32 v14, v15, v16, vcc
	v_lshlrev_b32_e32 v15, 8, v2
	v_mov_b32_e32 v16, 0x3b800000
	v_lshlrev_b32_e32 v13, 20, v13
	v_and_b32_e32 v15, 0x80000000, v15
	v_lshl_add_u32 v14, v14, 23, v16
	v_or3_b32 v14, v15, v14, v13
.LBB1_664:
	s_or_b64 exec, exec, s[6:7]
	s_nop 0
	v_mfma_f32_16x16x4f32 a[0:3], v12, v14, a[0:3]
	s_movk_i32 s4, 0x7f
	v_cmp_gt_i16_sdwa s[6:7], v6, s4 src0_sel:BYTE_3 src1_sel:DWORD
	s_mov_b64 s[4:5], 0
                                        ; implicit-def: $sgpr10
	s_and_saveexec_b64 s[8:9], s[6:7]
	s_xor_b64 s[6:7], exec, s[8:9]
	s_cbranch_execz .LBB1_665
; %bb.36505:
	s_getpc_b64 s[14:15]
.Lpost_getpc3916:
	s_add_u32 s14, s14, (.LBB1_15001-.Lpost_getpc3916)&4294967295
	s_addc_u32 s15, s15, (.LBB1_15001-.Lpost_getpc3916)>>32
	s_setpc_b64 s[14:15]
.LBB1_665:
	s_or_saveexec_b64 s[6:7], s[6:7]
	v_mov_b32_e32 v12, s10
	s_xor_b64 exec, exec, s[6:7]
	s_cbranch_execz .LBB1_666
; %bb.36507:
	s_getpc_b64 s[14:15]
.Lpost_getpc3917:
	s_add_u32 s14, s14, (.LBB1_15004-.Lpost_getpc3917)&4294967295
	s_addc_u32 s15, s15, (.LBB1_15004-.Lpost_getpc3917)>>32
	s_setpc_b64 s[14:15]
.LBB1_666:
	s_or_b64 exec, exec, s[6:7]
	s_and_saveexec_b64 s[6:7], s[4:5]
	s_cbranch_execz .LBB1_668
.LBB1_667:
	v_bfe_u32 v12, v6, 24, 3
	v_ffbh_u32_e32 v16, v12
	v_min_u32_e32 v16, 32, v16
	v_lshrrev_b32_e32 v14, 27, v6
	v_subrev_u32_e32 v17, 28, v16
	v_and_b32_e32 v13, 0x80000000, v6
	v_and_b32_e32 v14, 15, v14
	v_bfe_u32 v15, v6, 27, 4
	v_lshlrev_b32_sdwa v6, v17, v6 dst_sel:DWORD dst_unused:UNUSED_PAD src0_sel:DWORD src1_sel:BYTE_3
	v_sub_u32_e32 v16, 29, v16
	v_and_b32_e32 v6, 7, v6
	v_cmp_eq_u16_e32 vcc, 0, v14
	v_cndmask_b32_e32 v6, v12, v6, vcc
	v_cndmask_b32_e32 v12, v15, v16, vcc
	v_mov_b32_e32 v14, 0x3b800000
	v_lshlrev_b32_e32 v6, 20, v6
	v_lshl_add_u32 v12, v12, 23, v14
	v_or3_b32 v12, v13, v12, v6
.LBB1_668:
	s_or_b64 exec, exec, s[6:7]
	s_movk_i32 s4, 0x7f
	v_cmp_gt_i16_sdwa s[6:7], v2, s4 src0_sel:BYTE_3 src1_sel:DWORD
	s_mov_b64 s[4:5], 0
                                        ; implicit-def: $sgpr10
	s_and_saveexec_b64 s[8:9], s[6:7]
	s_xor_b64 s[6:7], exec, s[8:9]
	s_cbranch_execz .LBB1_669
; %bb.36509:
	s_getpc_b64 s[14:15]
.Lpost_getpc3918:
	s_add_u32 s14, s14, (.LBB1_15005-.Lpost_getpc3918)&4294967295
	s_addc_u32 s15, s15, (.LBB1_15005-.Lpost_getpc3918)>>32
	s_setpc_b64 s[14:15]
.LBB1_669:
	s_or_saveexec_b64 s[6:7], s[6:7]
	v_mov_b32_e32 v6, s10
	s_xor_b64 exec, exec, s[6:7]
	s_cbranch_execz .LBB1_670
; %bb.36511:
	s_getpc_b64 s[14:15]
.Lpost_getpc3919:
	s_add_u32 s14, s14, (.LBB1_15008-.Lpost_getpc3919)&4294967295
	s_addc_u32 s15, s15, (.LBB1_15008-.Lpost_getpc3919)>>32
	s_setpc_b64 s[14:15]
.LBB1_670:
	s_or_b64 exec, exec, s[6:7]
	s_and_saveexec_b64 s[6:7], s[4:5]
	s_cbranch_execz .LBB1_672
.LBB1_671:
	v_bfe_u32 v6, v2, 24, 3
	v_ffbh_u32_e32 v16, v6
	v_min_u32_e32 v16, 32, v16
	v_lshrrev_b32_e32 v14, 27, v2
	v_subrev_u32_e32 v17, 28, v16
	v_and_b32_e32 v13, 0x80000000, v2
	v_and_b32_e32 v14, 15, v14
	v_bfe_u32 v15, v2, 27, 4
	v_lshlrev_b32_sdwa v2, v17, v2 dst_sel:DWORD dst_unused:UNUSED_PAD src0_sel:DWORD src1_sel:BYTE_3
	v_sub_u32_e32 v16, 29, v16
	v_and_b32_e32 v2, 7, v2
	v_cmp_eq_u16_e32 vcc, 0, v14
	v_cndmask_b32_e32 v2, v6, v2, vcc
	v_cndmask_b32_e32 v6, v15, v16, vcc
	v_mov_b32_e32 v14, 0x3b800000
	v_lshlrev_b32_e32 v2, 20, v2
	v_lshl_add_u32 v6, v6, 23, v14
	v_or3_b32 v6, v13, v6, v2
.LBB1_672:
	s_or_b64 exec, exec, s[6:7]
	s_nop 0
	v_mfma_f32_16x16x4f32 a[0:3], v12, v6, a[0:3]
	s_movk_i32 s4, 0x7f
	v_cmp_gt_i16_sdwa s[6:7], v7, s4 src0_sel:BYTE_0 src1_sel:DWORD
	s_mov_b64 s[4:5], 0
                                        ; implicit-def: $sgpr10
	s_and_saveexec_b64 s[8:9], s[6:7]
	s_xor_b64 s[6:7], exec, s[8:9]
	s_cbranch_execz .LBB1_673
; %bb.36513:
	s_getpc_b64 s[14:15]
.Lpost_getpc3920:
	s_add_u32 s14, s14, (.LBB1_15009-.Lpost_getpc3920)&4294967295
	s_addc_u32 s15, s15, (.LBB1_15009-.Lpost_getpc3920)>>32
	s_setpc_b64 s[14:15]
.LBB1_673:
	s_or_saveexec_b64 s[6:7], s[6:7]
	v_mov_b32_e32 v2, s10
	s_xor_b64 exec, exec, s[6:7]
	s_cbranch_execz .LBB1_674
; %bb.36515:
	s_getpc_b64 s[14:15]
.Lpost_getpc3921:
	s_add_u32 s14, s14, (.LBB1_15012-.Lpost_getpc3921)&4294967295
	s_addc_u32 s15, s15, (.LBB1_15012-.Lpost_getpc3921)>>32
	s_setpc_b64 s[14:15]
.LBB1_674:
	s_or_b64 exec, exec, s[6:7]
	s_and_saveexec_b64 s[6:7], s[4:5]
	s_cbranch_execz .LBB1_676
.LBB1_675:
	v_and_b32_e32 v2, 7, v7
	v_ffbh_u32_e32 v12, v2
	v_min_u32_e32 v12, 32, v12
	v_lshrrev_b16_e32 v6, 3, v7
	v_subrev_u32_e32 v13, 28, v12
	v_and_b32_e32 v6, 15, v6
	v_lshlrev_b32_e32 v13, v13, v7
	v_sub_u32_e32 v12, 29, v12
	v_and_b32_e32 v13, 7, v13
	v_cmp_eq_u16_e32 vcc, 0, v6
	v_cndmask_b32_e32 v2, v2, v13, vcc
	v_cndmask_b32_e32 v6, v6, v12, vcc
	v_lshlrev_b32_e32 v12, 24, v7
	v_mov_b32_e32 v13, 0x3b800000
	v_lshlrev_b32_e32 v2, 20, v2
	v_and_b32_e32 v12, 0x80000000, v12
	v_lshl_add_u32 v6, v6, 23, v13
	v_or3_b32 v2, v12, v6, v2
.LBB1_676:
	s_or_b64 exec, exec, s[6:7]
	s_movk_i32 s4, 0x7f
	v_cmp_gt_i16_sdwa s[6:7], v3, s4 src0_sel:BYTE_0 src1_sel:DWORD
	s_mov_b64 s[4:5], 0
                                        ; implicit-def: $sgpr10
	s_and_saveexec_b64 s[8:9], s[6:7]
	s_xor_b64 s[6:7], exec, s[8:9]
	s_cbranch_execz .LBB1_677
; %bb.36517:
	s_getpc_b64 s[14:15]
.Lpost_getpc3922:
	s_add_u32 s14, s14, (.LBB1_15013-.Lpost_getpc3922)&4294967295
	s_addc_u32 s15, s15, (.LBB1_15013-.Lpost_getpc3922)>>32
	s_setpc_b64 s[14:15]
.LBB1_677:
	s_or_saveexec_b64 s[6:7], s[6:7]
	v_mov_b32_e32 v6, s10
	s_xor_b64 exec, exec, s[6:7]
	s_cbranch_execz .LBB1_678
; %bb.36519:
	s_getpc_b64 s[14:15]
.Lpost_getpc3923:
	s_add_u32 s14, s14, (.LBB1_15016-.Lpost_getpc3923)&4294967295
	s_addc_u32 s15, s15, (.LBB1_15016-.Lpost_getpc3923)>>32
	s_setpc_b64 s[14:15]
.LBB1_678:
	s_or_b64 exec, exec, s[6:7]
	s_and_saveexec_b64 s[6:7], s[4:5]
	s_cbranch_execz .LBB1_680
.LBB1_679:
	v_and_b32_e32 v6, 7, v3
	v_ffbh_u32_e32 v13, v6
	v_min_u32_e32 v13, 32, v13
	v_lshrrev_b16_e32 v12, 3, v3
	v_subrev_u32_e32 v14, 28, v13
	v_and_b32_e32 v12, 15, v12
	v_lshlrev_b32_e32 v14, v14, v3
	v_sub_u32_e32 v13, 29, v13
	v_and_b32_e32 v14, 7, v14
	v_cmp_eq_u16_e32 vcc, 0, v12
	v_cndmask_b32_e32 v6, v6, v14, vcc
	v_cndmask_b32_e32 v12, v12, v13, vcc
	v_lshlrev_b32_e32 v13, 24, v3
	v_mov_b32_e32 v14, 0x3b800000
	v_lshlrev_b32_e32 v6, 20, v6
	v_and_b32_e32 v13, 0x80000000, v13
	v_lshl_add_u32 v12, v12, 23, v14
	v_or3_b32 v6, v13, v12, v6
.LBB1_680:
	s_or_b64 exec, exec, s[6:7]
	s_nop 0
	v_mfma_f32_16x16x4f32 a[0:3], v2, v6, a[0:3]
	v_lshrrev_b32_e32 v6, 8, v7
	s_movk_i32 s4, 0x7f
	v_cmp_gt_i16_sdwa s[6:7], v6, s4 src0_sel:BYTE_0 src1_sel:DWORD
	s_mov_b64 s[4:5], 0
                                        ; implicit-def: $sgpr10
	s_and_saveexec_b64 s[8:9], s[6:7]
	s_xor_b64 s[6:7], exec, s[8:9]
	s_cbranch_execz .LBB1_681
; %bb.36521:
	s_getpc_b64 s[14:15]
.Lpost_getpc3924:
	s_add_u32 s14, s14, (.LBB1_15017-.Lpost_getpc3924)&4294967295
	s_addc_u32 s15, s15, (.LBB1_15017-.Lpost_getpc3924)>>32
	s_setpc_b64 s[14:15]
.LBB1_681:
	s_or_saveexec_b64 s[6:7], s[6:7]
	v_mov_b32_e32 v2, s10
	s_xor_b64 exec, exec, s[6:7]
	s_cbranch_execz .LBB1_682
; %bb.36523:
	s_getpc_b64 s[14:15]
.Lpost_getpc3925:
	s_add_u32 s14, s14, (.LBB1_15020-.Lpost_getpc3925)&4294967295
	s_addc_u32 s15, s15, (.LBB1_15020-.Lpost_getpc3925)>>32
	s_setpc_b64 s[14:15]
.LBB1_682:
	s_or_b64 exec, exec, s[6:7]
	s_and_saveexec_b64 s[6:7], s[4:5]
	s_cbranch_execz .LBB1_684
.LBB1_683:
	v_bfe_u32 v2, v7, 8, 3
	v_ffbh_u32_e32 v13, v2
	v_min_u32_e32 v13, 32, v13
	v_lshrrev_b16_e32 v12, 3, v6
	v_subrev_u32_e32 v14, 28, v13
	v_and_b32_e32 v12, 15, v12
	v_lshlrev_b32_e32 v6, v14, v6
	v_sub_u32_e32 v13, 29, v13
	v_and_b32_e32 v6, 7, v6
	v_cmp_eq_u16_e32 vcc, 0, v12
	v_cndmask_b32_e32 v2, v2, v6, vcc
	v_cndmask_b32_e32 v6, v12, v13, vcc
	v_lshlrev_b32_e32 v12, 16, v7
	v_mov_b32_e32 v13, 0x3b800000
	v_lshlrev_b32_e32 v2, 20, v2
	v_and_b32_e32 v12, 0x80000000, v12
	v_lshl_add_u32 v6, v6, 23, v13
	v_or3_b32 v2, v12, v6, v2
.LBB1_684:
	s_or_b64 exec, exec, s[6:7]
	v_lshrrev_b32_e32 v6, 8, v3
	s_movk_i32 s4, 0x7f
	v_cmp_gt_i16_sdwa s[6:7], v6, s4 src0_sel:BYTE_0 src1_sel:DWORD
	s_mov_b64 s[4:5], 0
                                        ; implicit-def: $sgpr10
	s_and_saveexec_b64 s[8:9], s[6:7]
	s_xor_b64 s[6:7], exec, s[8:9]
	s_cbranch_execz .LBB1_685
; %bb.36525:
	s_getpc_b64 s[14:15]
.Lpost_getpc3926:
	s_add_u32 s14, s14, (.LBB1_15021-.Lpost_getpc3926)&4294967295
	s_addc_u32 s15, s15, (.LBB1_15021-.Lpost_getpc3926)>>32
	s_setpc_b64 s[14:15]
.LBB1_685:
	s_or_saveexec_b64 s[6:7], s[6:7]
	v_mov_b32_e32 v12, s10
	s_xor_b64 exec, exec, s[6:7]
	s_cbranch_execz .LBB1_686
; %bb.36527:
	s_getpc_b64 s[14:15]
.Lpost_getpc3927:
	s_add_u32 s14, s14, (.LBB1_15024-.Lpost_getpc3927)&4294967295
	s_addc_u32 s15, s15, (.LBB1_15024-.Lpost_getpc3927)>>32
	s_setpc_b64 s[14:15]
.LBB1_686:
	s_or_b64 exec, exec, s[6:7]
	s_and_saveexec_b64 s[6:7], s[4:5]
	s_cbranch_execz .LBB1_688
.LBB1_687:
	v_bfe_u32 v12, v3, 8, 3
	v_ffbh_u32_e32 v14, v12
	v_min_u32_e32 v14, 32, v14
	v_lshrrev_b16_e32 v13, 3, v6
	v_subrev_u32_e32 v15, 28, v14
	v_and_b32_e32 v13, 15, v13
	v_lshlrev_b32_e32 v6, v15, v6
	v_sub_u32_e32 v14, 29, v14
	v_and_b32_e32 v6, 7, v6
	v_cmp_eq_u16_e32 vcc, 0, v13
	v_cndmask_b32_e32 v6, v12, v6, vcc
	v_cndmask_b32_e32 v12, v13, v14, vcc
	v_lshlrev_b32_e32 v13, 16, v3
	v_mov_b32_e32 v14, 0x3b800000
	v_lshlrev_b32_e32 v6, 20, v6
	v_and_b32_e32 v13, 0x80000000, v13
	v_lshl_add_u32 v12, v12, 23, v14
	v_or3_b32 v12, v13, v12, v6
.LBB1_688:
	s_or_b64 exec, exec, s[6:7]
	s_nop 0
	v_mfma_f32_16x16x4f32 a[0:3], v2, v12, a[0:3]
	s_movk_i32 s4, 0xff
	v_and_b32_sdwa v6, v7, s4 dst_sel:DWORD dst_unused:UNUSED_PAD src0_sel:WORD_1 src1_sel:DWORD
	s_movk_i32 s4, 0x7f
	v_cmp_lt_i16_e32 vcc, s4, v6
	s_mov_b64 s[4:5], 0
                                        ; implicit-def: $sgpr10
	s_and_saveexec_b64 s[6:7], vcc
	s_xor_b64 s[6:7], exec, s[6:7]
	s_cbranch_execz .LBB1_689
; %bb.36529:
	s_getpc_b64 s[14:15]
.Lpost_getpc3928:
	s_add_u32 s14, s14, (.LBB1_15025-.Lpost_getpc3928)&4294967295
	s_addc_u32 s15, s15, (.LBB1_15025-.Lpost_getpc3928)>>32
	s_setpc_b64 s[14:15]
.LBB1_689:
	s_or_saveexec_b64 s[6:7], s[6:7]
	v_mov_b32_e32 v2, s10
	s_xor_b64 exec, exec, s[6:7]
	s_cbranch_execz .LBB1_690
; %bb.36531:
	s_getpc_b64 s[14:15]
.Lpost_getpc3929:
	s_add_u32 s14, s14, (.LBB1_15028-.Lpost_getpc3929)&4294967295
	s_addc_u32 s15, s15, (.LBB1_15028-.Lpost_getpc3929)>>32
	s_setpc_b64 s[14:15]
.LBB1_690:
	s_or_b64 exec, exec, s[6:7]
	s_and_saveexec_b64 s[6:7], s[4:5]
	s_cbranch_execz .LBB1_692
.LBB1_691:
	v_bfe_u32 v2, v7, 16, 3
	v_ffbh_u32_e32 v13, v2
	v_min_u32_e32 v13, 32, v13
	v_lshrrev_b32_e32 v6, 19, v7
	v_subrev_u32_e32 v14, 28, v13
	v_and_b32_e32 v6, 15, v6
	v_lshlrev_b32_sdwa v14, v14, v7 dst_sel:DWORD dst_unused:UNUSED_PAD src0_sel:DWORD src1_sel:WORD_1
	v_bfe_u32 v12, v7, 19, 4
	v_sub_u32_e32 v13, 29, v13
	v_and_b32_e32 v14, 7, v14
	v_cmp_eq_u16_e32 vcc, 0, v6
	v_cndmask_b32_e32 v2, v2, v14, vcc
	v_cndmask_b32_e32 v6, v12, v13, vcc
	v_lshlrev_b32_e32 v12, 8, v7
	v_mov_b32_e32 v13, 0x3b800000
	v_lshlrev_b32_e32 v2, 20, v2
	v_and_b32_e32 v12, 0x80000000, v12
	v_lshl_add_u32 v6, v6, 23, v13
	v_or3_b32 v2, v12, v6, v2
.LBB1_692:
	s_or_b64 exec, exec, s[6:7]
	s_movk_i32 s4, 0xff
	v_and_b32_sdwa v6, v3, s4 dst_sel:DWORD dst_unused:UNUSED_PAD src0_sel:WORD_1 src1_sel:DWORD
	s_movk_i32 s4, 0x7f
	v_cmp_lt_i16_e32 vcc, s4, v6
	s_mov_b64 s[4:5], 0
                                        ; implicit-def: $sgpr10
	s_and_saveexec_b64 s[6:7], vcc
	s_xor_b64 s[6:7], exec, s[6:7]
	s_cbranch_execz .LBB1_693
; %bb.36533:
	s_getpc_b64 s[14:15]
.Lpost_getpc3930:
	s_add_u32 s14, s14, (.LBB1_15029-.Lpost_getpc3930)&4294967295
	s_addc_u32 s15, s15, (.LBB1_15029-.Lpost_getpc3930)>>32
	s_setpc_b64 s[14:15]
.LBB1_693:
	s_or_saveexec_b64 s[6:7], s[6:7]
	v_mov_b32_e32 v12, s10
	s_xor_b64 exec, exec, s[6:7]
	s_cbranch_execz .LBB1_694
; %bb.36535:
	s_getpc_b64 s[14:15]
.Lpost_getpc3931:
	s_add_u32 s14, s14, (.LBB1_15032-.Lpost_getpc3931)&4294967295
	s_addc_u32 s15, s15, (.LBB1_15032-.Lpost_getpc3931)>>32
	s_setpc_b64 s[14:15]
.LBB1_694:
	s_or_b64 exec, exec, s[6:7]
	s_and_saveexec_b64 s[6:7], s[4:5]
	s_cbranch_execz .LBB1_696
.LBB1_695:
	v_bfe_u32 v6, v3, 16, 3
	v_ffbh_u32_e32 v14, v6
	v_min_u32_e32 v14, 32, v14
	v_lshrrev_b32_e32 v12, 19, v3
	v_subrev_u32_e32 v15, 28, v14
	v_and_b32_e32 v12, 15, v12
	v_lshlrev_b32_sdwa v15, v15, v3 dst_sel:DWORD dst_unused:UNUSED_PAD src0_sel:DWORD src1_sel:WORD_1
	v_bfe_u32 v13, v3, 19, 4
	v_sub_u32_e32 v14, 29, v14
	v_and_b32_e32 v15, 7, v15
	v_cmp_eq_u16_e32 vcc, 0, v12
	v_cndmask_b32_e32 v6, v6, v15, vcc
	v_cndmask_b32_e32 v12, v13, v14, vcc
	v_lshlrev_b32_e32 v13, 8, v3
	v_mov_b32_e32 v14, 0x3b800000
	v_lshlrev_b32_e32 v6, 20, v6
	v_and_b32_e32 v13, 0x80000000, v13
	v_lshl_add_u32 v12, v12, 23, v14
	v_or3_b32 v12, v13, v12, v6
.LBB1_696:
	s_or_b64 exec, exec, s[6:7]
	s_nop 0
	v_mfma_f32_16x16x4f32 a[0:3], v2, v12, a[0:3]
	s_movk_i32 s4, 0x7f
	v_cmp_gt_i16_sdwa s[6:7], v7, s4 src0_sel:BYTE_3 src1_sel:DWORD
	s_mov_b64 s[4:5], 0
                                        ; implicit-def: $sgpr10
	s_and_saveexec_b64 s[8:9], s[6:7]
	s_xor_b64 s[6:7], exec, s[8:9]
	s_cbranch_execz .LBB1_697
; %bb.36537:
	s_getpc_b64 s[14:15]
.Lpost_getpc3932:
	s_add_u32 s14, s14, (.LBB1_15033-.Lpost_getpc3932)&4294967295
	s_addc_u32 s15, s15, (.LBB1_15033-.Lpost_getpc3932)>>32
	s_setpc_b64 s[14:15]
.LBB1_697:
	s_or_saveexec_b64 s[6:7], s[6:7]
	v_mov_b32_e32 v2, s10
	s_xor_b64 exec, exec, s[6:7]
	s_cbranch_execz .LBB1_698
; %bb.36539:
	s_getpc_b64 s[14:15]
.Lpost_getpc3933:
	s_add_u32 s14, s14, (.LBB1_15036-.Lpost_getpc3933)&4294967295
	s_addc_u32 s15, s15, (.LBB1_15036-.Lpost_getpc3933)>>32
	s_setpc_b64 s[14:15]
.LBB1_698:
	s_or_b64 exec, exec, s[6:7]
	s_and_saveexec_b64 s[6:7], s[4:5]
	s_cbranch_execz .LBB1_700
.LBB1_699:
	v_bfe_u32 v2, v7, 24, 3
	v_ffbh_u32_e32 v14, v2
	v_min_u32_e32 v14, 32, v14
	v_lshrrev_b32_e32 v12, 27, v7
	v_subrev_u32_e32 v15, 28, v14
	v_and_b32_e32 v6, 0x80000000, v7
	v_and_b32_e32 v12, 15, v12
	v_bfe_u32 v13, v7, 27, 4
	v_lshlrev_b32_sdwa v7, v15, v7 dst_sel:DWORD dst_unused:UNUSED_PAD src0_sel:DWORD src1_sel:BYTE_3
	v_sub_u32_e32 v14, 29, v14
	v_and_b32_e32 v7, 7, v7
	v_cmp_eq_u16_e32 vcc, 0, v12
	v_cndmask_b32_e32 v2, v2, v7, vcc
	v_cndmask_b32_e32 v7, v13, v14, vcc
	v_mov_b32_e32 v12, 0x3b800000
	v_lshlrev_b32_e32 v2, 20, v2
	v_lshl_add_u32 v7, v7, 23, v12
	v_or3_b32 v2, v6, v7, v2
.LBB1_700:
	s_or_b64 exec, exec, s[6:7]
	s_movk_i32 s4, 0x7f
	v_cmp_gt_i16_sdwa s[6:7], v3, s4 src0_sel:BYTE_3 src1_sel:DWORD
	s_mov_b64 s[4:5], 0
                                        ; implicit-def: $sgpr10
	s_and_saveexec_b64 s[8:9], s[6:7]
	s_xor_b64 s[6:7], exec, s[8:9]
	s_cbranch_execz .LBB1_701
; %bb.36541:
	s_getpc_b64 s[14:15]
.Lpost_getpc3934:
	s_add_u32 s14, s14, (.LBB1_15037-.Lpost_getpc3934)&4294967295
	s_addc_u32 s15, s15, (.LBB1_15037-.Lpost_getpc3934)>>32
	s_setpc_b64 s[14:15]
.LBB1_701:
	s_or_saveexec_b64 s[6:7], s[6:7]
	v_mov_b32_e32 v6, s10
	s_xor_b64 exec, exec, s[6:7]
	s_cbranch_execz .LBB1_702
; %bb.36543:
	s_getpc_b64 s[14:15]
.Lpost_getpc3935:
	s_add_u32 s14, s14, (.LBB1_15040-.Lpost_getpc3935)&4294967295
	s_addc_u32 s15, s15, (.LBB1_15040-.Lpost_getpc3935)>>32
	s_setpc_b64 s[14:15]
.LBB1_702:
	s_or_b64 exec, exec, s[6:7]
	s_and_saveexec_b64 s[6:7], s[4:5]
	s_cbranch_execz .LBB1_704
.LBB1_703:
	v_bfe_u32 v6, v3, 24, 3
	v_ffbh_u32_e32 v14, v6
	v_min_u32_e32 v14, 32, v14
	v_lshrrev_b32_e32 v12, 27, v3
	v_subrev_u32_e32 v15, 28, v14
	v_and_b32_e32 v7, 0x80000000, v3
	v_and_b32_e32 v12, 15, v12
	v_bfe_u32 v13, v3, 27, 4
	v_lshlrev_b32_sdwa v3, v15, v3 dst_sel:DWORD dst_unused:UNUSED_PAD src0_sel:DWORD src1_sel:BYTE_3
	v_sub_u32_e32 v14, 29, v14
	v_and_b32_e32 v3, 7, v3
	v_cmp_eq_u16_e32 vcc, 0, v12
	v_cndmask_b32_e32 v3, v6, v3, vcc
	v_cndmask_b32_e32 v6, v13, v14, vcc
	v_mov_b32_e32 v12, 0x3b800000
	v_lshlrev_b32_e32 v3, 20, v3
	v_lshl_add_u32 v6, v6, 23, v12
	v_or3_b32 v6, v7, v6, v3
.LBB1_704:
	s_or_b64 exec, exec, s[6:7]
	s_nop 0
	v_mfma_f32_16x16x4f32 a[0:3], v2, v6, a[0:3]
	s_movk_i32 s4, 0x7f
	v_cmp_gt_i16_sdwa s[6:7], v8, s4 src0_sel:BYTE_0 src1_sel:DWORD
	s_mov_b64 s[4:5], 0
                                        ; implicit-def: $sgpr10
	s_and_saveexec_b64 s[8:9], s[6:7]
	s_xor_b64 s[6:7], exec, s[8:9]
	s_cbranch_execz .LBB1_705
; %bb.36545:
	s_getpc_b64 s[14:15]
.Lpost_getpc3936:
	s_add_u32 s14, s14, (.LBB1_15041-.Lpost_getpc3936)&4294967295
	s_addc_u32 s15, s15, (.LBB1_15041-.Lpost_getpc3936)>>32
	s_setpc_b64 s[14:15]
.LBB1_705:
	s_or_saveexec_b64 s[6:7], s[6:7]
	v_mov_b32_e32 v2, s10
	s_xor_b64 exec, exec, s[6:7]
	s_cbranch_execz .LBB1_706
; %bb.36547:
	s_getpc_b64 s[14:15]
.Lpost_getpc3937:
	s_add_u32 s14, s14, (.LBB1_15044-.Lpost_getpc3937)&4294967295
	s_addc_u32 s15, s15, (.LBB1_15044-.Lpost_getpc3937)>>32
	s_setpc_b64 s[14:15]
.LBB1_706:
	s_or_b64 exec, exec, s[6:7]
	s_and_saveexec_b64 s[6:7], s[4:5]
	s_cbranch_execz .LBB1_708
.LBB1_707:
	v_and_b32_e32 v2, 7, v8
	v_ffbh_u32_e32 v6, v2
	v_min_u32_e32 v6, 32, v6
	v_lshrrev_b16_e32 v3, 3, v8
	v_subrev_u32_e32 v7, 28, v6
	v_and_b32_e32 v3, 15, v3
	v_lshlrev_b32_e32 v7, v7, v8
	v_sub_u32_e32 v6, 29, v6
	v_and_b32_e32 v7, 7, v7
	v_cmp_eq_u16_e32 vcc, 0, v3
	v_cndmask_b32_e32 v2, v2, v7, vcc
	v_cndmask_b32_e32 v3, v3, v6, vcc
	v_lshlrev_b32_e32 v6, 24, v8
	v_mov_b32_e32 v7, 0x3b800000
	v_lshlrev_b32_e32 v2, 20, v2
	v_and_b32_e32 v6, 0x80000000, v6
	v_lshl_add_u32 v3, v3, 23, v7
	v_or3_b32 v2, v6, v3, v2
.LBB1_708:
	s_or_b64 exec, exec, s[6:7]
	s_movk_i32 s4, 0x7f
	v_cmp_gt_i16_sdwa s[6:7], v4, s4 src0_sel:BYTE_0 src1_sel:DWORD
	s_mov_b64 s[4:5], 0
                                        ; implicit-def: $sgpr10
	s_and_saveexec_b64 s[8:9], s[6:7]
	s_xor_b64 s[6:7], exec, s[8:9]
	s_cbranch_execz .LBB1_709
; %bb.36549:
	s_getpc_b64 s[14:15]
.Lpost_getpc3938:
	s_add_u32 s14, s14, (.LBB1_15045-.Lpost_getpc3938)&4294967295
	s_addc_u32 s15, s15, (.LBB1_15045-.Lpost_getpc3938)>>32
	s_setpc_b64 s[14:15]
.LBB1_709:
	s_or_saveexec_b64 s[6:7], s[6:7]
	v_mov_b32_e32 v3, s10
	s_xor_b64 exec, exec, s[6:7]
	s_cbranch_execz .LBB1_710
; %bb.36551:
	s_getpc_b64 s[14:15]
.Lpost_getpc3939:
	s_add_u32 s14, s14, (.LBB1_15048-.Lpost_getpc3939)&4294967295
	s_addc_u32 s15, s15, (.LBB1_15048-.Lpost_getpc3939)>>32
	s_setpc_b64 s[14:15]
.LBB1_710:
	s_or_b64 exec, exec, s[6:7]
	s_and_saveexec_b64 s[6:7], s[4:5]
	s_cbranch_execz .LBB1_712
.LBB1_711:
	v_and_b32_e32 v3, 7, v4
	v_ffbh_u32_e32 v7, v3
	v_min_u32_e32 v7, 32, v7
	v_lshrrev_b16_e32 v6, 3, v4
	v_subrev_u32_e32 v12, 28, v7
	v_and_b32_e32 v6, 15, v6
	v_lshlrev_b32_e32 v12, v12, v4
	v_sub_u32_e32 v7, 29, v7
	v_and_b32_e32 v12, 7, v12
	v_cmp_eq_u16_e32 vcc, 0, v6
	v_cndmask_b32_e32 v3, v3, v12, vcc
	v_cndmask_b32_e32 v6, v6, v7, vcc
	v_lshlrev_b32_e32 v7, 24, v4
	v_mov_b32_e32 v12, 0x3b800000
	v_lshlrev_b32_e32 v3, 20, v3
	v_and_b32_e32 v7, 0x80000000, v7
	v_lshl_add_u32 v6, v6, 23, v12
	v_or3_b32 v3, v7, v6, v3
.LBB1_712:
	s_or_b64 exec, exec, s[6:7]
	s_nop 0
	v_mfma_f32_16x16x4f32 a[0:3], v2, v3, a[0:3]
	v_lshrrev_b32_e32 v3, 8, v8
	s_movk_i32 s4, 0x7f
	v_cmp_gt_i16_sdwa s[6:7], v3, s4 src0_sel:BYTE_0 src1_sel:DWORD
	s_mov_b64 s[4:5], 0
                                        ; implicit-def: $sgpr10
	s_and_saveexec_b64 s[8:9], s[6:7]
	s_xor_b64 s[6:7], exec, s[8:9]
	s_cbranch_execz .LBB1_713
; %bb.36553:
	s_getpc_b64 s[14:15]
.Lpost_getpc3940:
	s_add_u32 s14, s14, (.LBB1_15049-.Lpost_getpc3940)&4294967295
	s_addc_u32 s15, s15, (.LBB1_15049-.Lpost_getpc3940)>>32
	s_setpc_b64 s[14:15]
.LBB1_713:
	s_or_saveexec_b64 s[6:7], s[6:7]
	v_mov_b32_e32 v2, s10
	s_xor_b64 exec, exec, s[6:7]
	s_cbranch_execz .LBB1_714
; %bb.36555:
	s_getpc_b64 s[14:15]
.Lpost_getpc3941:
	s_add_u32 s14, s14, (.LBB1_15052-.Lpost_getpc3941)&4294967295
	s_addc_u32 s15, s15, (.LBB1_15052-.Lpost_getpc3941)>>32
	s_setpc_b64 s[14:15]
.LBB1_714:
	s_or_b64 exec, exec, s[6:7]
	s_and_saveexec_b64 s[6:7], s[4:5]
	s_cbranch_execz .LBB1_716
.LBB1_715:
	v_bfe_u32 v2, v8, 8, 3
	v_ffbh_u32_e32 v7, v2
	v_min_u32_e32 v7, 32, v7
	v_lshrrev_b16_e32 v6, 3, v3
	v_subrev_u32_e32 v12, 28, v7
	v_and_b32_e32 v6, 15, v6
	v_lshlrev_b32_e32 v3, v12, v3
	v_sub_u32_e32 v7, 29, v7
	v_and_b32_e32 v3, 7, v3
	v_cmp_eq_u16_e32 vcc, 0, v6
	v_cndmask_b32_e32 v2, v2, v3, vcc
	v_cndmask_b32_e32 v3, v6, v7, vcc
	v_lshlrev_b32_e32 v6, 16, v8
	v_mov_b32_e32 v7, 0x3b800000
	v_lshlrev_b32_e32 v2, 20, v2
	v_and_b32_e32 v6, 0x80000000, v6
	v_lshl_add_u32 v3, v3, 23, v7
	v_or3_b32 v2, v6, v3, v2
.LBB1_716:
	s_or_b64 exec, exec, s[6:7]
	v_lshrrev_b32_e32 v3, 8, v4
	s_movk_i32 s4, 0x7f
	v_cmp_gt_i16_sdwa s[6:7], v3, s4 src0_sel:BYTE_0 src1_sel:DWORD
	s_mov_b64 s[4:5], 0
                                        ; implicit-def: $sgpr10
	s_and_saveexec_b64 s[8:9], s[6:7]
	s_xor_b64 s[6:7], exec, s[8:9]
	s_cbranch_execz .LBB1_717
; %bb.36557:
	s_getpc_b64 s[14:15]
.Lpost_getpc3942:
	s_add_u32 s14, s14, (.LBB1_15053-.Lpost_getpc3942)&4294967295
	s_addc_u32 s15, s15, (.LBB1_15053-.Lpost_getpc3942)>>32
	s_setpc_b64 s[14:15]
.LBB1_717:
	s_or_saveexec_b64 s[6:7], s[6:7]
	v_mov_b32_e32 v6, s10
	s_xor_b64 exec, exec, s[6:7]
	s_cbranch_execz .LBB1_718
; %bb.36559:
	s_getpc_b64 s[14:15]
.Lpost_getpc3943:
	s_add_u32 s14, s14, (.LBB1_15056-.Lpost_getpc3943)&4294967295
	s_addc_u32 s15, s15, (.LBB1_15056-.Lpost_getpc3943)>>32
	s_setpc_b64 s[14:15]
.LBB1_718:
	s_or_b64 exec, exec, s[6:7]
	s_and_saveexec_b64 s[6:7], s[4:5]
	s_cbranch_execz .LBB1_720
.LBB1_719:
	v_bfe_u32 v6, v4, 8, 3
	v_ffbh_u32_e32 v12, v6
	v_min_u32_e32 v12, 32, v12
	v_lshrrev_b16_e32 v7, 3, v3
	v_subrev_u32_e32 v13, 28, v12
	v_and_b32_e32 v7, 15, v7
	v_lshlrev_b32_e32 v3, v13, v3
	v_sub_u32_e32 v12, 29, v12
	v_and_b32_e32 v3, 7, v3
	v_cmp_eq_u16_e32 vcc, 0, v7
	v_cndmask_b32_e32 v3, v6, v3, vcc
	v_cndmask_b32_e32 v6, v7, v12, vcc
	v_lshlrev_b32_e32 v7, 16, v4
	v_mov_b32_e32 v12, 0x3b800000
	v_lshlrev_b32_e32 v3, 20, v3
	v_and_b32_e32 v7, 0x80000000, v7
	v_lshl_add_u32 v6, v6, 23, v12
	v_or3_b32 v6, v7, v6, v3
.LBB1_720:
	s_or_b64 exec, exec, s[6:7]
	s_nop 0
	v_mfma_f32_16x16x4f32 a[0:3], v2, v6, a[0:3]
	s_movk_i32 s4, 0xff
	v_and_b32_sdwa v3, v8, s4 dst_sel:DWORD dst_unused:UNUSED_PAD src0_sel:WORD_1 src1_sel:DWORD
	s_movk_i32 s4, 0x7f
	v_cmp_lt_i16_e32 vcc, s4, v3
	s_mov_b64 s[4:5], 0
                                        ; implicit-def: $sgpr10
	s_and_saveexec_b64 s[6:7], vcc
	s_xor_b64 s[6:7], exec, s[6:7]
	s_cbranch_execz .LBB1_721
; %bb.36561:
	s_getpc_b64 s[14:15]
.Lpost_getpc3944:
	s_add_u32 s14, s14, (.LBB1_15057-.Lpost_getpc3944)&4294967295
	s_addc_u32 s15, s15, (.LBB1_15057-.Lpost_getpc3944)>>32
	s_setpc_b64 s[14:15]
.LBB1_721:
	s_or_saveexec_b64 s[6:7], s[6:7]
	v_mov_b32_e32 v2, s10
	s_xor_b64 exec, exec, s[6:7]
	s_cbranch_execz .LBB1_722
; %bb.36563:
	s_getpc_b64 s[14:15]
.Lpost_getpc3945:
	s_add_u32 s14, s14, (.LBB1_15060-.Lpost_getpc3945)&4294967295
	s_addc_u32 s15, s15, (.LBB1_15060-.Lpost_getpc3945)>>32
	s_setpc_b64 s[14:15]
.LBB1_722:
	s_or_b64 exec, exec, s[6:7]
	s_and_saveexec_b64 s[6:7], s[4:5]
	s_cbranch_execz .LBB1_724
.LBB1_723:
	v_bfe_u32 v2, v8, 16, 3
	v_ffbh_u32_e32 v7, v2
	v_min_u32_e32 v7, 32, v7
	v_lshrrev_b32_e32 v3, 19, v8
	v_subrev_u32_e32 v12, 28, v7
	v_and_b32_e32 v3, 15, v3
	v_lshlrev_b32_sdwa v12, v12, v8 dst_sel:DWORD dst_unused:UNUSED_PAD src0_sel:DWORD src1_sel:WORD_1
	v_bfe_u32 v6, v8, 19, 4
	v_sub_u32_e32 v7, 29, v7
	v_and_b32_e32 v12, 7, v12
	v_cmp_eq_u16_e32 vcc, 0, v3
	v_cndmask_b32_e32 v2, v2, v12, vcc
	v_cndmask_b32_e32 v3, v6, v7, vcc
	v_lshlrev_b32_e32 v6, 8, v8
	v_mov_b32_e32 v7, 0x3b800000
	v_lshlrev_b32_e32 v2, 20, v2
	v_and_b32_e32 v6, 0x80000000, v6
	v_lshl_add_u32 v3, v3, 23, v7
	v_or3_b32 v2, v6, v3, v2
.LBB1_724:
	s_or_b64 exec, exec, s[6:7]
	s_movk_i32 s4, 0xff
	v_and_b32_sdwa v3, v4, s4 dst_sel:DWORD dst_unused:UNUSED_PAD src0_sel:WORD_1 src1_sel:DWORD
	s_movk_i32 s4, 0x7f
	v_cmp_lt_i16_e32 vcc, s4, v3
	s_mov_b64 s[4:5], 0
                                        ; implicit-def: $sgpr10
	s_and_saveexec_b64 s[6:7], vcc
	s_xor_b64 s[6:7], exec, s[6:7]
	s_cbranch_execz .LBB1_725
; %bb.36565:
	s_getpc_b64 s[14:15]
.Lpost_getpc3946:
	s_add_u32 s14, s14, (.LBB1_15061-.Lpost_getpc3946)&4294967295
	s_addc_u32 s15, s15, (.LBB1_15061-.Lpost_getpc3946)>>32
	s_setpc_b64 s[14:15]
.LBB1_725:
	s_or_saveexec_b64 s[6:7], s[6:7]
	v_mov_b32_e32 v6, s10
	s_xor_b64 exec, exec, s[6:7]
	s_cbranch_execz .LBB1_726
; %bb.36567:
	s_getpc_b64 s[14:15]
.Lpost_getpc3947:
	s_add_u32 s14, s14, (.LBB1_15064-.Lpost_getpc3947)&4294967295
	s_addc_u32 s15, s15, (.LBB1_15064-.Lpost_getpc3947)>>32
	s_setpc_b64 s[14:15]
.LBB1_726:
	s_or_b64 exec, exec, s[6:7]
	s_and_saveexec_b64 s[6:7], s[4:5]
	s_cbranch_execz .LBB1_728
.LBB1_727:
	v_bfe_u32 v3, v4, 16, 3
	v_ffbh_u32_e32 v12, v3
	v_min_u32_e32 v12, 32, v12
	v_lshrrev_b32_e32 v6, 19, v4
	v_subrev_u32_e32 v13, 28, v12
	v_and_b32_e32 v6, 15, v6
	v_lshlrev_b32_sdwa v13, v13, v4 dst_sel:DWORD dst_unused:UNUSED_PAD src0_sel:DWORD src1_sel:WORD_1
	v_bfe_u32 v7, v4, 19, 4
	v_sub_u32_e32 v12, 29, v12
	v_and_b32_e32 v13, 7, v13
	v_cmp_eq_u16_e32 vcc, 0, v6
	v_cndmask_b32_e32 v3, v3, v13, vcc
	v_cndmask_b32_e32 v6, v7, v12, vcc
	v_lshlrev_b32_e32 v7, 8, v4
	v_mov_b32_e32 v12, 0x3b800000
	v_lshlrev_b32_e32 v3, 20, v3
	v_and_b32_e32 v7, 0x80000000, v7
	v_lshl_add_u32 v6, v6, 23, v12
	v_or3_b32 v6, v7, v6, v3
.LBB1_728:
	s_or_b64 exec, exec, s[6:7]
	s_nop 0
	v_mfma_f32_16x16x4f32 a[0:3], v2, v6, a[0:3]
	s_movk_i32 s4, 0x7f
	v_cmp_gt_i16_sdwa s[6:7], v8, s4 src0_sel:BYTE_3 src1_sel:DWORD
	s_mov_b64 s[4:5], 0
                                        ; implicit-def: $sgpr10
	s_and_saveexec_b64 s[8:9], s[6:7]
	s_xor_b64 s[6:7], exec, s[8:9]
	s_cbranch_execz .LBB1_729
; %bb.36569:
	s_getpc_b64 s[14:15]
.Lpost_getpc3948:
	s_add_u32 s14, s14, (.LBB1_15065-.Lpost_getpc3948)&4294967295
	s_addc_u32 s15, s15, (.LBB1_15065-.Lpost_getpc3948)>>32
	s_setpc_b64 s[14:15]
.LBB1_729:
	s_or_saveexec_b64 s[6:7], s[6:7]
	v_mov_b32_e32 v2, s10
	s_xor_b64 exec, exec, s[6:7]
	s_cbranch_execz .LBB1_730
; %bb.36571:
	s_getpc_b64 s[14:15]
.Lpost_getpc3949:
	s_add_u32 s14, s14, (.LBB1_15068-.Lpost_getpc3949)&4294967295
	s_addc_u32 s15, s15, (.LBB1_15068-.Lpost_getpc3949)>>32
	s_setpc_b64 s[14:15]
.LBB1_730:
	s_or_b64 exec, exec, s[6:7]
	s_and_saveexec_b64 s[6:7], s[4:5]
	s_cbranch_execz .LBB1_732
.LBB1_731:
	v_bfe_u32 v2, v8, 24, 3
	v_ffbh_u32_e32 v12, v2
	v_min_u32_e32 v12, 32, v12
	v_lshrrev_b32_e32 v6, 27, v8
	v_subrev_u32_e32 v13, 28, v12
	v_and_b32_e32 v3, 0x80000000, v8
	v_and_b32_e32 v6, 15, v6
	v_bfe_u32 v7, v8, 27, 4
	v_lshlrev_b32_sdwa v8, v13, v8 dst_sel:DWORD dst_unused:UNUSED_PAD src0_sel:DWORD src1_sel:BYTE_3
	v_sub_u32_e32 v12, 29, v12
	v_and_b32_e32 v8, 7, v8
	v_cmp_eq_u16_e32 vcc, 0, v6
	v_cndmask_b32_e32 v2, v2, v8, vcc
	v_cndmask_b32_e32 v6, v7, v12, vcc
	v_mov_b32_e32 v7, 0x3b800000
	v_lshlrev_b32_e32 v2, 20, v2
	v_lshl_add_u32 v6, v6, 23, v7
	v_or3_b32 v2, v3, v6, v2
.LBB1_732:
	s_or_b64 exec, exec, s[6:7]
	s_movk_i32 s4, 0x7f
	v_cmp_gt_i16_sdwa s[6:7], v4, s4 src0_sel:BYTE_3 src1_sel:DWORD
	s_mov_b64 s[4:5], 0
                                        ; implicit-def: $sgpr10
	s_and_saveexec_b64 s[8:9], s[6:7]
	s_xor_b64 s[6:7], exec, s[8:9]
	s_cbranch_execz .LBB1_733
; %bb.36573:
	s_getpc_b64 s[14:15]
.Lpost_getpc3950:
	s_add_u32 s14, s14, (.LBB1_15069-.Lpost_getpc3950)&4294967295
	s_addc_u32 s15, s15, (.LBB1_15069-.Lpost_getpc3950)>>32
	s_setpc_b64 s[14:15]
.LBB1_733:
	s_or_saveexec_b64 s[6:7], s[6:7]
	v_mov_b32_e32 v3, s10
	s_xor_b64 exec, exec, s[6:7]
	s_cbranch_execz .LBB1_734
; %bb.36575:
	s_getpc_b64 s[14:15]
.Lpost_getpc3951:
	s_add_u32 s14, s14, (.LBB1_15072-.Lpost_getpc3951)&4294967295
	s_addc_u32 s15, s15, (.LBB1_15072-.Lpost_getpc3951)>>32
	s_setpc_b64 s[14:15]
.LBB1_734:
	s_or_b64 exec, exec, s[6:7]
	s_and_saveexec_b64 s[6:7], s[4:5]
	s_cbranch_execz .LBB1_736
.LBB1_735:
	v_bfe_u32 v3, v4, 24, 3
	v_ffbh_u32_e32 v12, v3
	v_min_u32_e32 v12, 32, v12
	v_lshrrev_b32_e32 v7, 27, v4
	v_subrev_u32_e32 v13, 28, v12
	v_and_b32_e32 v6, 0x80000000, v4
	v_and_b32_e32 v7, 15, v7
	v_bfe_u32 v8, v4, 27, 4
	v_lshlrev_b32_sdwa v4, v13, v4 dst_sel:DWORD dst_unused:UNUSED_PAD src0_sel:DWORD src1_sel:BYTE_3
	v_sub_u32_e32 v12, 29, v12
	v_and_b32_e32 v4, 7, v4
	v_cmp_eq_u16_e32 vcc, 0, v7
	v_cndmask_b32_e32 v3, v3, v4, vcc
	v_cndmask_b32_e32 v4, v8, v12, vcc
	v_mov_b32_e32 v7, 0x3b800000
	v_lshlrev_b32_e32 v3, 20, v3
	v_lshl_add_u32 v4, v4, 23, v7
	v_or3_b32 v3, v6, v4, v3
.LBB1_736:
	s_or_b64 exec, exec, s[6:7]
	s_nop 0
	v_mfma_f32_16x16x4f32 a[0:3], v2, v3, a[0:3]
	s_movk_i32 s4, 0x7f
	v_cmp_gt_i16_sdwa s[6:7], v9, s4 src0_sel:BYTE_0 src1_sel:DWORD
	s_mov_b64 s[4:5], 0
                                        ; implicit-def: $sgpr10
	s_and_saveexec_b64 s[8:9], s[6:7]
	s_xor_b64 s[6:7], exec, s[8:9]
	s_cbranch_execz .LBB1_737
; %bb.36577:
	s_getpc_b64 s[14:15]
.Lpost_getpc3952:
	s_add_u32 s14, s14, (.LBB1_15073-.Lpost_getpc3952)&4294967295
	s_addc_u32 s15, s15, (.LBB1_15073-.Lpost_getpc3952)>>32
	s_setpc_b64 s[14:15]
.LBB1_737:
	s_or_saveexec_b64 s[6:7], s[6:7]
	v_mov_b32_e32 v2, s10
	s_xor_b64 exec, exec, s[6:7]
	s_cbranch_execz .LBB1_738
; %bb.36579:
	s_getpc_b64 s[14:15]
.Lpost_getpc3953:
	s_add_u32 s14, s14, (.LBB1_15076-.Lpost_getpc3953)&4294967295
	s_addc_u32 s15, s15, (.LBB1_15076-.Lpost_getpc3953)>>32
	s_setpc_b64 s[14:15]
.LBB1_738:
	s_or_b64 exec, exec, s[6:7]
	s_and_saveexec_b64 s[6:7], s[4:5]
	s_cbranch_execz .LBB1_740
.LBB1_739:
	v_mov_b32_e32 v2, 8
	v_and_b32_e32 v3, 7, v9
	v_lshrrev_b32_sdwa v2, v2, v9 dst_sel:BYTE_1 dst_unused:UNUSED_PAD src0_sel:DWORD src1_sel:DWORD
	v_ffbh_u32_e32 v4, v3
	v_or_b32_sdwa v2, v9, v2 dst_sel:DWORD dst_unused:UNUSED_PAD src0_sel:BYTE_0 src1_sel:DWORD
	v_min_u32_e32 v4, 32, v4
	v_lshrrev_b16_e32 v2, 3, v2
	v_subrev_u32_e32 v6, 28, v4
	v_and_b32_e32 v2, 15, v2
	v_lshlrev_b32_e32 v6, v6, v9
	v_sub_u32_e32 v4, 29, v4
	v_and_b32_e32 v6, 7, v6
	v_cmp_eq_u16_e32 vcc, 0, v2
	v_cndmask_b32_e32 v3, v3, v6, vcc
	v_cndmask_b32_e32 v2, v2, v4, vcc
	v_lshlrev_b32_e32 v4, 24, v9
	v_mov_b32_e32 v6, 0x3b800000
	v_lshlrev_b32_e32 v3, 20, v3
	v_and_b32_e32 v4, 0x80000000, v4
	v_lshl_add_u32 v2, v2, 23, v6
	v_or3_b32 v2, v4, v2, v3
.LBB1_740:
	s_or_b64 exec, exec, s[6:7]
	s_movk_i32 s4, 0x7f
	v_cmp_gt_i16_sdwa s[6:7], v5, s4 src0_sel:BYTE_0 src1_sel:DWORD
	s_mov_b64 s[4:5], 0
                                        ; implicit-def: $sgpr10
	s_and_saveexec_b64 s[8:9], s[6:7]
	s_xor_b64 s[6:7], exec, s[8:9]
	s_cbranch_execz .LBB1_741
; %bb.36581:
	s_getpc_b64 s[14:15]
.Lpost_getpc3954:
	s_add_u32 s14, s14, (.LBB1_15077-.Lpost_getpc3954)&4294967295
	s_addc_u32 s15, s15, (.LBB1_15077-.Lpost_getpc3954)>>32
	s_setpc_b64 s[14:15]
.LBB1_741:
	s_or_saveexec_b64 s[6:7], s[6:7]
	v_mov_b32_e32 v3, s10
	s_xor_b64 exec, exec, s[6:7]
	s_cbranch_execz .LBB1_742
; %bb.36583:
	s_getpc_b64 s[14:15]
.Lpost_getpc3955:
	s_add_u32 s14, s14, (.LBB1_15080-.Lpost_getpc3955)&4294967295
	s_addc_u32 s15, s15, (.LBB1_15080-.Lpost_getpc3955)>>32
	s_setpc_b64 s[14:15]
.LBB1_742:
	s_or_b64 exec, exec, s[6:7]
	s_and_saveexec_b64 s[6:7], s[4:5]
	s_cbranch_execz .LBB1_744
.LBB1_743:
	v_mov_b32_e32 v3, 8
	v_and_b32_e32 v4, 7, v5
	v_lshrrev_b32_sdwa v3, v3, v5 dst_sel:BYTE_1 dst_unused:UNUSED_PAD src0_sel:DWORD src1_sel:DWORD
	v_ffbh_u32_e32 v6, v4
	v_or_b32_sdwa v3, v5, v3 dst_sel:DWORD dst_unused:UNUSED_PAD src0_sel:BYTE_0 src1_sel:DWORD
	v_min_u32_e32 v6, 32, v6
	v_lshrrev_b16_e32 v3, 3, v3
	v_subrev_u32_e32 v7, 28, v6
	v_and_b32_e32 v3, 15, v3
	v_lshlrev_b32_e32 v7, v7, v5
	v_sub_u32_e32 v6, 29, v6
	v_and_b32_e32 v7, 7, v7
	v_cmp_eq_u16_e32 vcc, 0, v3
	v_cndmask_b32_e32 v4, v4, v7, vcc
	v_cndmask_b32_e32 v3, v3, v6, vcc
	v_lshlrev_b32_e32 v6, 24, v5
	v_mov_b32_e32 v7, 0x3b800000
	v_lshlrev_b32_e32 v4, 20, v4
	v_and_b32_e32 v6, 0x80000000, v6
	v_lshl_add_u32 v3, v3, 23, v7
	v_or3_b32 v3, v6, v3, v4
.LBB1_744:
	s_or_b64 exec, exec, s[6:7]
	s_nop 0
	v_mfma_f32_16x16x4f32 a[0:3], v2, v3, a[0:3]
	v_lshrrev_b32_e32 v3, 8, v9
	s_movk_i32 s4, 0x7f
	v_cmp_gt_i16_sdwa s[6:7], v3, s4 src0_sel:BYTE_0 src1_sel:DWORD
	s_mov_b64 s[4:5], 0
                                        ; implicit-def: $sgpr10
	s_and_saveexec_b64 s[8:9], s[6:7]
	s_xor_b64 s[6:7], exec, s[8:9]
	s_cbranch_execz .LBB1_745
; %bb.36585:
	s_getpc_b64 s[14:15]
.Lpost_getpc3956:
	s_add_u32 s14, s14, (.LBB1_15081-.Lpost_getpc3956)&4294967295
	s_addc_u32 s15, s15, (.LBB1_15081-.Lpost_getpc3956)>>32
	s_setpc_b64 s[14:15]
.LBB1_745:
	s_or_saveexec_b64 s[6:7], s[6:7]
	v_mov_b32_e32 v2, s10
	s_xor_b64 exec, exec, s[6:7]
	s_cbranch_execz .LBB1_746
; %bb.36587:
	s_getpc_b64 s[14:15]
.Lpost_getpc3957:
	s_add_u32 s14, s14, (.LBB1_15084-.Lpost_getpc3957)&4294967295
	s_addc_u32 s15, s15, (.LBB1_15084-.Lpost_getpc3957)>>32
	s_setpc_b64 s[14:15]
.LBB1_746:
	s_or_b64 exec, exec, s[6:7]
	s_and_saveexec_b64 s[6:7], s[4:5]
	s_cbranch_execz .LBB1_748
.LBB1_747:
	v_bfe_u32 v2, v9, 8, 3
	v_ffbh_u32_e32 v6, v2
	v_min_u32_e32 v6, 32, v6
	v_lshrrev_b16_e32 v4, 3, v3
	v_subrev_u32_e32 v7, 28, v6
	v_and_b32_e32 v4, 15, v4
	v_lshlrev_b32_e32 v3, v7, v3
	v_sub_u32_e32 v6, 29, v6
	v_and_b32_e32 v3, 7, v3
	v_cmp_eq_u16_e32 vcc, 0, v4
	v_cndmask_b32_e32 v2, v2, v3, vcc
	v_cndmask_b32_e32 v3, v4, v6, vcc
	v_lshlrev_b32_e32 v4, 16, v9
	v_mov_b32_e32 v6, 0x3b800000
	v_lshlrev_b32_e32 v2, 20, v2
	v_and_b32_e32 v4, 0x80000000, v4
	v_lshl_add_u32 v3, v3, 23, v6
	v_or3_b32 v2, v4, v3, v2
.LBB1_748:
	s_or_b64 exec, exec, s[6:7]
	v_lshrrev_b32_e32 v3, 8, v5
	s_movk_i32 s4, 0x7f
	v_cmp_gt_i16_sdwa s[6:7], v3, s4 src0_sel:BYTE_0 src1_sel:DWORD
	s_mov_b64 s[4:5], 0
                                        ; implicit-def: $sgpr10
	s_and_saveexec_b64 s[8:9], s[6:7]
	s_xor_b64 s[6:7], exec, s[8:9]
	s_cbranch_execz .LBB1_749
; %bb.36589:
	s_getpc_b64 s[14:15]
.Lpost_getpc3958:
	s_add_u32 s14, s14, (.LBB1_15085-.Lpost_getpc3958)&4294967295
	s_addc_u32 s15, s15, (.LBB1_15085-.Lpost_getpc3958)>>32
	s_setpc_b64 s[14:15]
.LBB1_749:
	s_or_saveexec_b64 s[6:7], s[6:7]
	v_mov_b32_e32 v4, s10
	s_xor_b64 exec, exec, s[6:7]
	s_cbranch_execz .LBB1_750
; %bb.36591:
	s_getpc_b64 s[14:15]
.Lpost_getpc3959:
	s_add_u32 s14, s14, (.LBB1_15088-.Lpost_getpc3959)&4294967295
	s_addc_u32 s15, s15, (.LBB1_15088-.Lpost_getpc3959)>>32
	s_setpc_b64 s[14:15]
.LBB1_750:
	s_or_b64 exec, exec, s[6:7]
	s_and_saveexec_b64 s[6:7], s[4:5]
	s_cbranch_execz .LBB1_752
.LBB1_751:
	v_bfe_u32 v4, v5, 8, 3
	v_ffbh_u32_e32 v7, v4
	v_min_u32_e32 v7, 32, v7
	v_lshrrev_b16_e32 v6, 3, v3
	v_subrev_u32_e32 v8, 28, v7
	v_and_b32_e32 v6, 15, v6
	v_lshlrev_b32_e32 v3, v8, v3
	v_sub_u32_e32 v7, 29, v7
	v_and_b32_e32 v3, 7, v3
	v_cmp_eq_u16_e32 vcc, 0, v6
	v_cndmask_b32_e32 v3, v4, v3, vcc
	v_cndmask_b32_e32 v4, v6, v7, vcc
	v_lshlrev_b32_e32 v6, 16, v5
	v_mov_b32_e32 v7, 0x3b800000
	v_lshlrev_b32_e32 v3, 20, v3
	v_and_b32_e32 v6, 0x80000000, v6
	v_lshl_add_u32 v4, v4, 23, v7
	v_or3_b32 v4, v6, v4, v3
.LBB1_752:
	s_or_b64 exec, exec, s[6:7]
	s_nop 0
	v_mfma_f32_16x16x4f32 a[0:3], v2, v4, a[0:3]
	s_movk_i32 s4, 0xff
	v_and_b32_sdwa v3, v9, s4 dst_sel:DWORD dst_unused:UNUSED_PAD src0_sel:WORD_1 src1_sel:DWORD
	s_movk_i32 s4, 0x7f
	v_cmp_lt_i16_e32 vcc, s4, v3
	s_mov_b64 s[4:5], 0
                                        ; implicit-def: $sgpr10
	s_and_saveexec_b64 s[6:7], vcc
	s_xor_b64 s[6:7], exec, s[6:7]
	s_cbranch_execz .LBB1_753
; %bb.36593:
	s_getpc_b64 s[14:15]
.Lpost_getpc3960:
	s_add_u32 s14, s14, (.LBB1_15089-.Lpost_getpc3960)&4294967295
	s_addc_u32 s15, s15, (.LBB1_15089-.Lpost_getpc3960)>>32
	s_setpc_b64 s[14:15]
.LBB1_753:
	s_or_saveexec_b64 s[6:7], s[6:7]
	v_mov_b32_e32 v2, s10
	s_xor_b64 exec, exec, s[6:7]
	s_cbranch_execz .LBB1_754
; %bb.36595:
	s_getpc_b64 s[14:15]
.Lpost_getpc3961:
	s_add_u32 s14, s14, (.LBB1_15092-.Lpost_getpc3961)&4294967295
	s_addc_u32 s15, s15, (.LBB1_15092-.Lpost_getpc3961)>>32
	s_setpc_b64 s[14:15]
.LBB1_754:
	s_or_b64 exec, exec, s[6:7]
	s_and_saveexec_b64 s[6:7], s[4:5]
	s_cbranch_execz .LBB1_756
.LBB1_755:
	v_bfe_u32 v2, v9, 16, 3
	v_ffbh_u32_e32 v6, v2
	v_min_u32_e32 v6, 32, v6
	v_lshrrev_b32_e32 v3, 19, v9
	v_subrev_u32_e32 v7, 28, v6
	v_and_b32_e32 v3, 15, v3
	v_lshlrev_b32_sdwa v7, v7, v9 dst_sel:DWORD dst_unused:UNUSED_PAD src0_sel:DWORD src1_sel:WORD_1
	v_bfe_u32 v4, v9, 19, 4
	v_sub_u32_e32 v6, 29, v6
	v_and_b32_e32 v7, 7, v7
	v_cmp_eq_u16_e32 vcc, 0, v3
	v_cndmask_b32_e32 v2, v2, v7, vcc
	v_cndmask_b32_e32 v3, v4, v6, vcc
	v_lshlrev_b32_e32 v4, 8, v9
	v_mov_b32_e32 v6, 0x3b800000
	v_lshlrev_b32_e32 v2, 20, v2
	v_and_b32_e32 v4, 0x80000000, v4
	v_lshl_add_u32 v3, v3, 23, v6
	v_or3_b32 v2, v4, v3, v2
.LBB1_756:
	s_or_b64 exec, exec, s[6:7]
	s_movk_i32 s4, 0xff
	v_and_b32_sdwa v3, v5, s4 dst_sel:DWORD dst_unused:UNUSED_PAD src0_sel:WORD_1 src1_sel:DWORD
	s_movk_i32 s4, 0x7f
	v_cmp_lt_i16_e32 vcc, s4, v3
	s_mov_b64 s[4:5], 0
                                        ; implicit-def: $sgpr10
	s_and_saveexec_b64 s[6:7], vcc
	s_xor_b64 s[6:7], exec, s[6:7]
	s_cbranch_execz .LBB1_757
; %bb.36597:
	s_getpc_b64 s[14:15]
.Lpost_getpc3962:
	s_add_u32 s14, s14, (.LBB1_15093-.Lpost_getpc3962)&4294967295
	s_addc_u32 s15, s15, (.LBB1_15093-.Lpost_getpc3962)>>32
	s_setpc_b64 s[14:15]
.LBB1_757:
	s_or_saveexec_b64 s[6:7], s[6:7]
	v_mov_b32_e32 v4, s10
	s_xor_b64 exec, exec, s[6:7]
	s_cbranch_execz .LBB1_758
; %bb.36599:
	s_getpc_b64 s[14:15]
.Lpost_getpc3963:
	s_add_u32 s14, s14, (.LBB1_15096-.Lpost_getpc3963)&4294967295
	s_addc_u32 s15, s15, (.LBB1_15096-.Lpost_getpc3963)>>32
	s_setpc_b64 s[14:15]
.LBB1_758:
	s_or_b64 exec, exec, s[6:7]
	s_and_saveexec_b64 s[6:7], s[4:5]
	s_cbranch_execz .LBB1_760
.LBB1_759:
	v_bfe_u32 v3, v5, 16, 3
	v_ffbh_u32_e32 v7, v3
	v_min_u32_e32 v7, 32, v7
	v_lshrrev_b32_e32 v4, 19, v5
	v_subrev_u32_e32 v8, 28, v7
	v_and_b32_e32 v4, 15, v4
	v_lshlrev_b32_sdwa v8, v8, v5 dst_sel:DWORD dst_unused:UNUSED_PAD src0_sel:DWORD src1_sel:WORD_1
	v_bfe_u32 v6, v5, 19, 4
	v_sub_u32_e32 v7, 29, v7
	v_and_b32_e32 v8, 7, v8
	v_cmp_eq_u16_e32 vcc, 0, v4
	v_cndmask_b32_e32 v3, v3, v8, vcc
	v_cndmask_b32_e32 v4, v6, v7, vcc
	v_lshlrev_b32_e32 v6, 8, v5
	v_mov_b32_e32 v7, 0x3b800000
	v_lshlrev_b32_e32 v3, 20, v3
	v_and_b32_e32 v6, 0x80000000, v6
	v_lshl_add_u32 v4, v4, 23, v7
	v_or3_b32 v4, v6, v4, v3
.LBB1_760:
	s_or_b64 exec, exec, s[6:7]
	s_nop 0
	v_mfma_f32_16x16x4f32 a[0:3], v2, v4, a[0:3]
	s_movk_i32 s4, 0x7f
	v_cmp_gt_i16_sdwa s[6:7], v9, s4 src0_sel:BYTE_3 src1_sel:DWORD
	s_mov_b64 s[4:5], 0
                                        ; implicit-def: $sgpr10
	s_and_saveexec_b64 s[8:9], s[6:7]
	s_xor_b64 s[6:7], exec, s[8:9]
	s_cbranch_execz .LBB1_761
; %bb.36601:
	s_getpc_b64 s[14:15]
.Lpost_getpc3964:
	s_add_u32 s14, s14, (.LBB1_15097-.Lpost_getpc3964)&4294967295
	s_addc_u32 s15, s15, (.LBB1_15097-.Lpost_getpc3964)>>32
	s_setpc_b64 s[14:15]
.LBB1_761:
	s_or_saveexec_b64 s[6:7], s[6:7]
	v_mov_b32_e32 v2, s10
	s_xor_b64 exec, exec, s[6:7]
	s_cbranch_execz .LBB1_762
; %bb.36603:
	s_getpc_b64 s[14:15]
.Lpost_getpc3965:
	s_add_u32 s14, s14, (.LBB1_15100-.Lpost_getpc3965)&4294967295
	s_addc_u32 s15, s15, (.LBB1_15100-.Lpost_getpc3965)>>32
	s_setpc_b64 s[14:15]
.LBB1_762:
	s_or_b64 exec, exec, s[6:7]
	s_and_saveexec_b64 s[6:7], s[4:5]
	s_cbranch_execz .LBB1_764
.LBB1_763:
	v_bfe_u32 v2, v9, 24, 3
	v_ffbh_u32_e32 v7, v2
	v_min_u32_e32 v7, 32, v7
	v_lshrrev_b32_e32 v4, 27, v9
	v_subrev_u32_e32 v8, 28, v7
	v_and_b32_e32 v4, 15, v4
	v_lshlrev_b32_sdwa v8, v8, v9 dst_sel:DWORD dst_unused:UNUSED_PAD src0_sel:DWORD src1_sel:BYTE_3
	v_bfe_u32 v6, v9, 27, 4
	v_sub_u32_e32 v7, 29, v7
	v_and_b32_e32 v8, 7, v8
	v_cmp_eq_u16_e32 vcc, 0, v4
	v_cndmask_b32_e32 v2, v2, v8, vcc
	v_cndmask_b32_e32 v4, v6, v7, vcc
	v_mov_b32_e32 v6, 0x3b800000
	v_and_b32_e32 v3, 0x80000000, v9
	v_lshlrev_b32_e32 v2, 20, v2
	v_lshl_add_u32 v4, v4, 23, v6
	v_or3_b32 v2, v3, v4, v2
.LBB1_764:
	s_or_b64 exec, exec, s[6:7]
	s_movk_i32 s4, 0x7f
	v_cmp_gt_i16_sdwa s[6:7], v5, s4 src0_sel:BYTE_3 src1_sel:DWORD
	s_mov_b64 s[4:5], 0
                                        ; implicit-def: $sgpr10
	s_and_saveexec_b64 s[8:9], s[6:7]
	s_xor_b64 s[6:7], exec, s[8:9]
	s_cbranch_execz .LBB1_765
; %bb.36605:
	s_getpc_b64 s[14:15]
.Lpost_getpc3966:
	s_add_u32 s14, s14, (.LBB1_15101-.Lpost_getpc3966)&4294967295
	s_addc_u32 s15, s15, (.LBB1_15101-.Lpost_getpc3966)>>32
	s_setpc_b64 s[14:15]
.LBB1_765:
	s_or_saveexec_b64 s[6:7], s[6:7]
	v_mov_b32_e32 v3, s10
	s_xor_b64 exec, exec, s[6:7]
	s_cbranch_execz .LBB1_766
; %bb.36607:
	s_getpc_b64 s[14:15]
.Lpost_getpc3967:
	s_add_u32 s14, s14, (.LBB1_15104-.Lpost_getpc3967)&4294967295
	s_addc_u32 s15, s15, (.LBB1_15104-.Lpost_getpc3967)>>32
	s_setpc_b64 s[14:15]
.LBB1_766:
	s_or_b64 exec, exec, s[6:7]
	s_and_saveexec_b64 s[6:7], s[4:5]
	s_cbranch_execz .LBB1_768
.LBB1_767:
	v_bfe_u32 v3, v5, 24, 3
	v_ffbh_u32_e32 v8, v3
	v_min_u32_e32 v8, 32, v8
	v_lshrrev_b32_e32 v6, 27, v5
	v_subrev_u32_e32 v9, 28, v8
	v_and_b32_e32 v4, 0x80000000, v5
	v_and_b32_e32 v6, 15, v6
	v_bfe_u32 v7, v5, 27, 4
	v_lshlrev_b32_sdwa v5, v9, v5 dst_sel:DWORD dst_unused:UNUSED_PAD src0_sel:DWORD src1_sel:BYTE_3
	v_sub_u32_e32 v8, 29, v8
	v_and_b32_e32 v5, 7, v5
	v_cmp_eq_u16_e32 vcc, 0, v6
	v_cndmask_b32_e32 v3, v3, v5, vcc
	v_cndmask_b32_e32 v5, v7, v8, vcc
	v_mov_b32_e32 v6, 0x3b800000
	v_lshlrev_b32_e32 v3, 20, v3
	v_lshl_add_u32 v5, v5, 23, v6
	v_or3_b32 v3, v4, v5, v3
.LBB1_768:
	s_or_b64 exec, exec, s[6:7]
	s_nop 0
	v_mfma_f32_16x16x4f32 a[0:3], v2, v3, a[0:3]
	s_movk_i32 s4, 0x7f
                                        ; implicit-def: $sgpr10
	s_nop 7
	s_nop 1
	flat_store_dwordx4 v[10:11], a[0:3] offset:80
	flat_load_dwordx4 v[12:15], v[0:1]
	s_nop 0
	flat_load_dwordx2 v[10:11], v[0:1] offset:16
	s_waitcnt vmcnt(0) lgkmcnt(0)
	flat_load_dwordx4 v[6:9], v[12:13]
	flat_load_dwordx4 v[2:5], v[14:15] offset:96
	s_waitcnt vmcnt(0) lgkmcnt(0)
	v_cmp_gt_i16_sdwa s[6:7], v6, s4 src0_sel:BYTE_0 src1_sel:DWORD
	s_mov_b64 s[4:5], 0
	s_and_saveexec_b64 s[8:9], s[6:7]
	s_xor_b64 s[6:7], exec, s[8:9]
	s_cbranch_execz .LBB1_769
; %bb.36609:
	s_getpc_b64 s[14:15]
.Lpost_getpc3968:
	s_add_u32 s14, s14, (.LBB1_15105-.Lpost_getpc3968)&4294967295
	s_addc_u32 s15, s15, (.LBB1_15105-.Lpost_getpc3968)>>32
	s_setpc_b64 s[14:15]
.LBB1_769:
	s_or_saveexec_b64 s[6:7], s[6:7]
	v_mov_b32_e32 v12, s10
	s_xor_b64 exec, exec, s[6:7]
	s_cbranch_execz .LBB1_770
; %bb.36611:
	s_getpc_b64 s[14:15]
.Lpost_getpc3969:
	s_add_u32 s14, s14, (.LBB1_15108-.Lpost_getpc3969)&4294967295
	s_addc_u32 s15, s15, (.LBB1_15108-.Lpost_getpc3969)>>32
	s_setpc_b64 s[14:15]
.LBB1_770:
	s_or_b64 exec, exec, s[6:7]
	s_and_saveexec_b64 s[6:7], s[4:5]
	s_cbranch_execz .LBB1_772
.LBB1_771:
	v_and_b32_e32 v12, 7, v6
	v_ffbh_u32_e32 v14, v12
	v_min_u32_e32 v14, 32, v14
	v_lshrrev_b16_e32 v13, 3, v6
	v_subrev_u32_e32 v15, 28, v14
	v_and_b32_e32 v13, 15, v13
	v_lshlrev_b32_e32 v15, v15, v6
	v_sub_u32_e32 v14, 29, v14
	v_and_b32_e32 v15, 7, v15
	v_cmp_eq_u16_e32 vcc, 0, v13
	v_cndmask_b32_e32 v12, v12, v15, vcc
	v_cndmask_b32_e32 v13, v13, v14, vcc
	v_lshlrev_b32_e32 v14, 24, v6
	v_mov_b32_e32 v15, 0x3b800000
	v_lshlrev_b32_e32 v12, 20, v12
	v_and_b32_e32 v14, 0x80000000, v14
	v_lshl_add_u32 v13, v13, 23, v15
	v_or3_b32 v12, v14, v13, v12
.LBB1_772:
	s_or_b64 exec, exec, s[6:7]
	s_movk_i32 s4, 0x7f
	v_cmp_gt_i16_sdwa s[6:7], v2, s4 src0_sel:BYTE_0 src1_sel:DWORD
	s_mov_b64 s[4:5], 0
                                        ; implicit-def: $sgpr10
	s_and_saveexec_b64 s[8:9], s[6:7]
	s_xor_b64 s[6:7], exec, s[8:9]
	s_cbranch_execz .LBB1_773
; %bb.36613:
	s_getpc_b64 s[14:15]
.Lpost_getpc3970:
	s_add_u32 s14, s14, (.LBB1_15109-.Lpost_getpc3970)&4294967295
	s_addc_u32 s15, s15, (.LBB1_15109-.Lpost_getpc3970)>>32
	s_setpc_b64 s[14:15]
.LBB1_773:
	s_or_saveexec_b64 s[6:7], s[6:7]
	v_mov_b32_e32 v13, s10
	s_xor_b64 exec, exec, s[6:7]
	s_cbranch_execz .LBB1_774
; %bb.36615:
	s_getpc_b64 s[14:15]
.Lpost_getpc3971:
	s_add_u32 s14, s14, (.LBB1_15112-.Lpost_getpc3971)&4294967295
	s_addc_u32 s15, s15, (.LBB1_15112-.Lpost_getpc3971)>>32
	s_setpc_b64 s[14:15]
.LBB1_774:
	s_or_b64 exec, exec, s[6:7]
	s_and_saveexec_b64 s[6:7], s[4:5]
	s_cbranch_execz .LBB1_776
.LBB1_775:
	v_and_b32_e32 v13, 7, v2
	v_ffbh_u32_e32 v15, v13
	v_min_u32_e32 v15, 32, v15
	v_lshrrev_b16_e32 v14, 3, v2
	v_subrev_u32_e32 v16, 28, v15
	v_and_b32_e32 v14, 15, v14
	v_lshlrev_b32_e32 v16, v16, v2
	v_sub_u32_e32 v15, 29, v15
	v_and_b32_e32 v16, 7, v16
	v_cmp_eq_u16_e32 vcc, 0, v14
	v_cndmask_b32_e32 v13, v13, v16, vcc
	v_cndmask_b32_e32 v14, v14, v15, vcc
	v_lshlrev_b32_e32 v15, 24, v2
	v_mov_b32_e32 v16, 0x3b800000
	v_lshlrev_b32_e32 v13, 20, v13
	v_and_b32_e32 v15, 0x80000000, v15
	v_lshl_add_u32 v14, v14, 23, v16
	v_or3_b32 v13, v15, v14, v13
.LBB1_776:
	s_or_b64 exec, exec, s[6:7]
	flat_load_dwordx4 a[0:3], v[10:11] offset:96
	s_movk_i32 s4, 0x7f
                                        ; implicit-def: $sgpr10
	s_waitcnt vmcnt(0) lgkmcnt(0)
	v_mfma_f32_16x16x4f32 a[0:3], v12, v13, a[0:3]
	v_lshrrev_b32_e32 v13, 8, v6
	v_cmp_gt_i16_sdwa s[6:7], v13, s4 src0_sel:BYTE_0 src1_sel:DWORD
	s_mov_b64 s[4:5], 0
	s_and_saveexec_b64 s[8:9], s[6:7]
	s_xor_b64 s[6:7], exec, s[8:9]
	s_cbranch_execz .LBB1_777
; %bb.36617:
	s_getpc_b64 s[14:15]
.Lpost_getpc3972:
	s_add_u32 s14, s14, (.LBB1_15113-.Lpost_getpc3972)&4294967295
	s_addc_u32 s15, s15, (.LBB1_15113-.Lpost_getpc3972)>>32
	s_setpc_b64 s[14:15]
.LBB1_777:
	s_or_saveexec_b64 s[6:7], s[6:7]
	v_mov_b32_e32 v12, s10
	s_xor_b64 exec, exec, s[6:7]
	s_cbranch_execz .LBB1_778
; %bb.36619:
	s_getpc_b64 s[14:15]
.Lpost_getpc3973:
	s_add_u32 s14, s14, (.LBB1_15116-.Lpost_getpc3973)&4294967295
	s_addc_u32 s15, s15, (.LBB1_15116-.Lpost_getpc3973)>>32
	s_setpc_b64 s[14:15]
.LBB1_778:
	s_or_b64 exec, exec, s[6:7]
	s_and_saveexec_b64 s[6:7], s[4:5]
	s_cbranch_execz .LBB1_780
.LBB1_779:
	v_bfe_u32 v12, v6, 8, 3
	v_ffbh_u32_e32 v15, v12
	v_min_u32_e32 v15, 32, v15
	v_lshrrev_b16_e32 v14, 3, v13
	v_subrev_u32_e32 v16, 28, v15
	v_and_b32_e32 v14, 15, v14
	v_lshlrev_b32_e32 v13, v16, v13
	v_sub_u32_e32 v15, 29, v15
	v_and_b32_e32 v13, 7, v13
	v_cmp_eq_u16_e32 vcc, 0, v14
	v_cndmask_b32_e32 v12, v12, v13, vcc
	v_cndmask_b32_e32 v13, v14, v15, vcc
	v_lshlrev_b32_e32 v14, 16, v6
	v_mov_b32_e32 v15, 0x3b800000
	v_lshlrev_b32_e32 v12, 20, v12
	v_and_b32_e32 v14, 0x80000000, v14
	v_lshl_add_u32 v13, v13, 23, v15
	v_or3_b32 v12, v14, v13, v12
.LBB1_780:
	s_or_b64 exec, exec, s[6:7]
	v_lshrrev_b32_e32 v13, 8, v2
	s_movk_i32 s4, 0x7f
	v_cmp_gt_i16_sdwa s[6:7], v13, s4 src0_sel:BYTE_0 src1_sel:DWORD
	s_mov_b64 s[4:5], 0
                                        ; implicit-def: $sgpr10
	s_and_saveexec_b64 s[8:9], s[6:7]
	s_xor_b64 s[6:7], exec, s[8:9]
	s_cbranch_execz .LBB1_781
; %bb.36621:
	s_getpc_b64 s[14:15]
.Lpost_getpc3974:
	s_add_u32 s14, s14, (.LBB1_15117-.Lpost_getpc3974)&4294967295
	s_addc_u32 s15, s15, (.LBB1_15117-.Lpost_getpc3974)>>32
	s_setpc_b64 s[14:15]
.LBB1_781:
	s_or_saveexec_b64 s[6:7], s[6:7]
	v_mov_b32_e32 v14, s10
	s_xor_b64 exec, exec, s[6:7]
	s_cbranch_execz .LBB1_782
; %bb.36623:
	s_getpc_b64 s[14:15]
.Lpost_getpc3975:
	s_add_u32 s14, s14, (.LBB1_15120-.Lpost_getpc3975)&4294967295
	s_addc_u32 s15, s15, (.LBB1_15120-.Lpost_getpc3975)>>32
	s_setpc_b64 s[14:15]
.LBB1_782:
	s_or_b64 exec, exec, s[6:7]
	s_and_saveexec_b64 s[6:7], s[4:5]
	s_cbranch_execz .LBB1_784
.LBB1_783:
	v_bfe_u32 v14, v2, 8, 3
	v_ffbh_u32_e32 v16, v14
	v_min_u32_e32 v16, 32, v16
	v_lshrrev_b16_e32 v15, 3, v13
	v_subrev_u32_e32 v17, 28, v16
	v_and_b32_e32 v15, 15, v15
	v_lshlrev_b32_e32 v13, v17, v13
	v_sub_u32_e32 v16, 29, v16
	v_and_b32_e32 v13, 7, v13
	v_cmp_eq_u16_e32 vcc, 0, v15
	v_cndmask_b32_e32 v13, v14, v13, vcc
	v_cndmask_b32_e32 v14, v15, v16, vcc
	v_lshlrev_b32_e32 v15, 16, v2
	v_mov_b32_e32 v16, 0x3b800000
	v_lshlrev_b32_e32 v13, 20, v13
	v_and_b32_e32 v15, 0x80000000, v15
	v_lshl_add_u32 v14, v14, 23, v16
	v_or3_b32 v14, v15, v14, v13
.LBB1_784:
	s_or_b64 exec, exec, s[6:7]
	s_nop 0
	v_mfma_f32_16x16x4f32 a[0:3], v12, v14, a[0:3]
	s_movk_i32 s4, 0xff
	v_and_b32_sdwa v13, v6, s4 dst_sel:DWORD dst_unused:UNUSED_PAD src0_sel:WORD_1 src1_sel:DWORD
	s_movk_i32 s4, 0x7f
	v_cmp_lt_i16_e32 vcc, s4, v13
	s_mov_b64 s[4:5], 0
                                        ; implicit-def: $sgpr10
	s_and_saveexec_b64 s[6:7], vcc
	s_xor_b64 s[6:7], exec, s[6:7]
	s_cbranch_execz .LBB1_785
; %bb.36625:
	s_getpc_b64 s[14:15]
.Lpost_getpc3976:
	s_add_u32 s14, s14, (.LBB1_15121-.Lpost_getpc3976)&4294967295
	s_addc_u32 s15, s15, (.LBB1_15121-.Lpost_getpc3976)>>32
	s_setpc_b64 s[14:15]
.LBB1_785:
	s_or_saveexec_b64 s[6:7], s[6:7]
	v_mov_b32_e32 v12, s10
	s_xor_b64 exec, exec, s[6:7]
	s_cbranch_execz .LBB1_786
; %bb.36627:
	s_getpc_b64 s[14:15]
.Lpost_getpc3977:
	s_add_u32 s14, s14, (.LBB1_15124-.Lpost_getpc3977)&4294967295
	s_addc_u32 s15, s15, (.LBB1_15124-.Lpost_getpc3977)>>32
	s_setpc_b64 s[14:15]
.LBB1_786:
	s_or_b64 exec, exec, s[6:7]
	s_and_saveexec_b64 s[6:7], s[4:5]
	s_cbranch_execz .LBB1_788
.LBB1_787:
	v_bfe_u32 v12, v6, 16, 3
	v_ffbh_u32_e32 v15, v12
	v_min_u32_e32 v15, 32, v15
	v_lshrrev_b32_e32 v13, 19, v6
	v_subrev_u32_e32 v16, 28, v15
	v_and_b32_e32 v13, 15, v13
	v_lshlrev_b32_sdwa v16, v16, v6 dst_sel:DWORD dst_unused:UNUSED_PAD src0_sel:DWORD src1_sel:WORD_1
	v_bfe_u32 v14, v6, 19, 4
	v_sub_u32_e32 v15, 29, v15
	v_and_b32_e32 v16, 7, v16
	v_cmp_eq_u16_e32 vcc, 0, v13
	v_cndmask_b32_e32 v12, v12, v16, vcc
	v_cndmask_b32_e32 v13, v14, v15, vcc
	v_lshlrev_b32_e32 v14, 8, v6
	v_mov_b32_e32 v15, 0x3b800000
	v_lshlrev_b32_e32 v12, 20, v12
	v_and_b32_e32 v14, 0x80000000, v14
	v_lshl_add_u32 v13, v13, 23, v15
	v_or3_b32 v12, v14, v13, v12
.LBB1_788:
	s_or_b64 exec, exec, s[6:7]
	s_movk_i32 s4, 0xff
	v_and_b32_sdwa v13, v2, s4 dst_sel:DWORD dst_unused:UNUSED_PAD src0_sel:WORD_1 src1_sel:DWORD
	s_movk_i32 s4, 0x7f
	v_cmp_lt_i16_e32 vcc, s4, v13
	s_mov_b64 s[4:5], 0
                                        ; implicit-def: $sgpr10
	s_and_saveexec_b64 s[6:7], vcc
	s_xor_b64 s[6:7], exec, s[6:7]
	s_cbranch_execz .LBB1_789
; %bb.36629:
	s_getpc_b64 s[14:15]
.Lpost_getpc3978:
	s_add_u32 s14, s14, (.LBB1_15125-.Lpost_getpc3978)&4294967295
	s_addc_u32 s15, s15, (.LBB1_15125-.Lpost_getpc3978)>>32
	s_setpc_b64 s[14:15]
.LBB1_789:
	s_or_saveexec_b64 s[6:7], s[6:7]
	v_mov_b32_e32 v14, s10
	s_xor_b64 exec, exec, s[6:7]
	s_cbranch_execz .LBB1_790
; %bb.36631:
	s_getpc_b64 s[14:15]
.Lpost_getpc3979:
	s_add_u32 s14, s14, (.LBB1_15128-.Lpost_getpc3979)&4294967295
	s_addc_u32 s15, s15, (.LBB1_15128-.Lpost_getpc3979)>>32
	s_setpc_b64 s[14:15]
.LBB1_790:
	s_or_b64 exec, exec, s[6:7]
	s_and_saveexec_b64 s[6:7], s[4:5]
	s_cbranch_execz .LBB1_792
.LBB1_791:
	v_bfe_u32 v13, v2, 16, 3
	v_ffbh_u32_e32 v16, v13
	v_min_u32_e32 v16, 32, v16
	v_lshrrev_b32_e32 v14, 19, v2
	v_subrev_u32_e32 v17, 28, v16
	v_and_b32_e32 v14, 15, v14
	v_lshlrev_b32_sdwa v17, v17, v2 dst_sel:DWORD dst_unused:UNUSED_PAD src0_sel:DWORD src1_sel:WORD_1
	v_bfe_u32 v15, v2, 19, 4
	v_sub_u32_e32 v16, 29, v16
	v_and_b32_e32 v17, 7, v17
	v_cmp_eq_u16_e32 vcc, 0, v14
	v_cndmask_b32_e32 v13, v13, v17, vcc
	v_cndmask_b32_e32 v14, v15, v16, vcc
	v_lshlrev_b32_e32 v15, 8, v2
	v_mov_b32_e32 v16, 0x3b800000
	v_lshlrev_b32_e32 v13, 20, v13
	v_and_b32_e32 v15, 0x80000000, v15
	v_lshl_add_u32 v14, v14, 23, v16
	v_or3_b32 v14, v15, v14, v13
.LBB1_792:
	s_or_b64 exec, exec, s[6:7]
	s_nop 0
	v_mfma_f32_16x16x4f32 a[0:3], v12, v14, a[0:3]
	s_movk_i32 s4, 0x7f
	v_cmp_gt_i16_sdwa s[6:7], v6, s4 src0_sel:BYTE_3 src1_sel:DWORD
	s_mov_b64 s[4:5], 0
                                        ; implicit-def: $sgpr10
	s_and_saveexec_b64 s[8:9], s[6:7]
	s_xor_b64 s[6:7], exec, s[8:9]
	s_cbranch_execz .LBB1_793
; %bb.36633:
	s_getpc_b64 s[14:15]
.Lpost_getpc3980:
	s_add_u32 s14, s14, (.LBB1_15129-.Lpost_getpc3980)&4294967295
	s_addc_u32 s15, s15, (.LBB1_15129-.Lpost_getpc3980)>>32
	s_setpc_b64 s[14:15]
.LBB1_793:
	s_or_saveexec_b64 s[6:7], s[6:7]
	v_mov_b32_e32 v12, s10
	s_xor_b64 exec, exec, s[6:7]
	s_cbranch_execz .LBB1_794
; %bb.36635:
	s_getpc_b64 s[14:15]
.Lpost_getpc3981:
	s_add_u32 s14, s14, (.LBB1_15132-.Lpost_getpc3981)&4294967295
	s_addc_u32 s15, s15, (.LBB1_15132-.Lpost_getpc3981)>>32
	s_setpc_b64 s[14:15]
.LBB1_794:
	s_or_b64 exec, exec, s[6:7]
	s_and_saveexec_b64 s[6:7], s[4:5]
	s_cbranch_execz .LBB1_796
.LBB1_795:
	v_bfe_u32 v12, v6, 24, 3
	v_ffbh_u32_e32 v16, v12
	v_min_u32_e32 v16, 32, v16
	v_lshrrev_b32_e32 v14, 27, v6
	v_subrev_u32_e32 v17, 28, v16
	v_and_b32_e32 v13, 0x80000000, v6
	v_and_b32_e32 v14, 15, v14
	v_bfe_u32 v15, v6, 27, 4
	v_lshlrev_b32_sdwa v6, v17, v6 dst_sel:DWORD dst_unused:UNUSED_PAD src0_sel:DWORD src1_sel:BYTE_3
	v_sub_u32_e32 v16, 29, v16
	v_and_b32_e32 v6, 7, v6
	v_cmp_eq_u16_e32 vcc, 0, v14
	v_cndmask_b32_e32 v6, v12, v6, vcc
	v_cndmask_b32_e32 v12, v15, v16, vcc
	v_mov_b32_e32 v14, 0x3b800000
	v_lshlrev_b32_e32 v6, 20, v6
	v_lshl_add_u32 v12, v12, 23, v14
	v_or3_b32 v12, v13, v12, v6
.LBB1_796:
	s_or_b64 exec, exec, s[6:7]
	s_movk_i32 s4, 0x7f
	v_cmp_gt_i16_sdwa s[6:7], v2, s4 src0_sel:BYTE_3 src1_sel:DWORD
	s_mov_b64 s[4:5], 0
                                        ; implicit-def: $sgpr10
	s_and_saveexec_b64 s[8:9], s[6:7]
	s_xor_b64 s[6:7], exec, s[8:9]
	s_cbranch_execz .LBB1_797
; %bb.36637:
	s_getpc_b64 s[14:15]
.Lpost_getpc3982:
	s_add_u32 s14, s14, (.LBB1_15133-.Lpost_getpc3982)&4294967295
	s_addc_u32 s15, s15, (.LBB1_15133-.Lpost_getpc3982)>>32
	s_setpc_b64 s[14:15]
.LBB1_797:
	s_or_saveexec_b64 s[6:7], s[6:7]
	v_mov_b32_e32 v6, s10
	s_xor_b64 exec, exec, s[6:7]
	s_cbranch_execz .LBB1_798
; %bb.36639:
	s_getpc_b64 s[14:15]
.Lpost_getpc3983:
	s_add_u32 s14, s14, (.LBB1_15136-.Lpost_getpc3983)&4294967295
	s_addc_u32 s15, s15, (.LBB1_15136-.Lpost_getpc3983)>>32
	s_setpc_b64 s[14:15]
.LBB1_798:
	s_or_b64 exec, exec, s[6:7]
	s_and_saveexec_b64 s[6:7], s[4:5]
	s_cbranch_execz .LBB1_800
.LBB1_799:
	v_bfe_u32 v6, v2, 24, 3
	v_ffbh_u32_e32 v16, v6
	v_min_u32_e32 v16, 32, v16
	v_lshrrev_b32_e32 v14, 27, v2
	v_subrev_u32_e32 v17, 28, v16
	v_and_b32_e32 v13, 0x80000000, v2
	v_and_b32_e32 v14, 15, v14
	v_bfe_u32 v15, v2, 27, 4
	v_lshlrev_b32_sdwa v2, v17, v2 dst_sel:DWORD dst_unused:UNUSED_PAD src0_sel:DWORD src1_sel:BYTE_3
	v_sub_u32_e32 v16, 29, v16
	v_and_b32_e32 v2, 7, v2
	v_cmp_eq_u16_e32 vcc, 0, v14
	v_cndmask_b32_e32 v2, v6, v2, vcc
	v_cndmask_b32_e32 v6, v15, v16, vcc
	v_mov_b32_e32 v14, 0x3b800000
	v_lshlrev_b32_e32 v2, 20, v2
	v_lshl_add_u32 v6, v6, 23, v14
	v_or3_b32 v6, v13, v6, v2
.LBB1_800:
	s_or_b64 exec, exec, s[6:7]
	s_nop 0
	v_mfma_f32_16x16x4f32 a[0:3], v12, v6, a[0:3]
	s_movk_i32 s4, 0x7f
	v_cmp_gt_i16_sdwa s[6:7], v7, s4 src0_sel:BYTE_0 src1_sel:DWORD
	s_mov_b64 s[4:5], 0
                                        ; implicit-def: $sgpr10
	s_and_saveexec_b64 s[8:9], s[6:7]
	s_xor_b64 s[6:7], exec, s[8:9]
	s_cbranch_execz .LBB1_801
; %bb.36641:
	s_getpc_b64 s[14:15]
.Lpost_getpc3984:
	s_add_u32 s14, s14, (.LBB1_15137-.Lpost_getpc3984)&4294967295
	s_addc_u32 s15, s15, (.LBB1_15137-.Lpost_getpc3984)>>32
	s_setpc_b64 s[14:15]
.LBB1_801:
	s_or_saveexec_b64 s[6:7], s[6:7]
	v_mov_b32_e32 v2, s10
	s_xor_b64 exec, exec, s[6:7]
	s_cbranch_execz .LBB1_802
; %bb.36643:
	s_getpc_b64 s[14:15]
.Lpost_getpc3985:
	s_add_u32 s14, s14, (.LBB1_15140-.Lpost_getpc3985)&4294967295
	s_addc_u32 s15, s15, (.LBB1_15140-.Lpost_getpc3985)>>32
	s_setpc_b64 s[14:15]
.LBB1_802:
	s_or_b64 exec, exec, s[6:7]
	s_and_saveexec_b64 s[6:7], s[4:5]
	s_cbranch_execz .LBB1_804
.LBB1_803:
	v_and_b32_e32 v2, 7, v7
	v_ffbh_u32_e32 v12, v2
	v_min_u32_e32 v12, 32, v12
	v_lshrrev_b16_e32 v6, 3, v7
	v_subrev_u32_e32 v13, 28, v12
	v_and_b32_e32 v6, 15, v6
	v_lshlrev_b32_e32 v13, v13, v7
	v_sub_u32_e32 v12, 29, v12
	v_and_b32_e32 v13, 7, v13
	v_cmp_eq_u16_e32 vcc, 0, v6
	v_cndmask_b32_e32 v2, v2, v13, vcc
	v_cndmask_b32_e32 v6, v6, v12, vcc
	v_lshlrev_b32_e32 v12, 24, v7
	v_mov_b32_e32 v13, 0x3b800000
	v_lshlrev_b32_e32 v2, 20, v2
	v_and_b32_e32 v12, 0x80000000, v12
	v_lshl_add_u32 v6, v6, 23, v13
	v_or3_b32 v2, v12, v6, v2
.LBB1_804:
	s_or_b64 exec, exec, s[6:7]
	s_movk_i32 s4, 0x7f
	v_cmp_gt_i16_sdwa s[6:7], v3, s4 src0_sel:BYTE_0 src1_sel:DWORD
	s_mov_b64 s[4:5], 0
                                        ; implicit-def: $sgpr10
	s_and_saveexec_b64 s[8:9], s[6:7]
	s_xor_b64 s[6:7], exec, s[8:9]
	s_cbranch_execz .LBB1_805
; %bb.36645:
	s_getpc_b64 s[14:15]
.Lpost_getpc3986:
	s_add_u32 s14, s14, (.LBB1_15141-.Lpost_getpc3986)&4294967295
	s_addc_u32 s15, s15, (.LBB1_15141-.Lpost_getpc3986)>>32
	s_setpc_b64 s[14:15]
.LBB1_805:
	s_or_saveexec_b64 s[6:7], s[6:7]
	v_mov_b32_e32 v6, s10
	s_xor_b64 exec, exec, s[6:7]
	s_cbranch_execz .LBB1_806
; %bb.36647:
	s_getpc_b64 s[14:15]
.Lpost_getpc3987:
	s_add_u32 s14, s14, (.LBB1_15144-.Lpost_getpc3987)&4294967295
	s_addc_u32 s15, s15, (.LBB1_15144-.Lpost_getpc3987)>>32
	s_setpc_b64 s[14:15]
.LBB1_806:
	s_or_b64 exec, exec, s[6:7]
	s_and_saveexec_b64 s[6:7], s[4:5]
	s_cbranch_execz .LBB1_808
.LBB1_807:
	v_and_b32_e32 v6, 7, v3
	v_ffbh_u32_e32 v13, v6
	v_min_u32_e32 v13, 32, v13
	v_lshrrev_b16_e32 v12, 3, v3
	v_subrev_u32_e32 v14, 28, v13
	v_and_b32_e32 v12, 15, v12
	v_lshlrev_b32_e32 v14, v14, v3
	v_sub_u32_e32 v13, 29, v13
	v_and_b32_e32 v14, 7, v14
	v_cmp_eq_u16_e32 vcc, 0, v12
	v_cndmask_b32_e32 v6, v6, v14, vcc
	v_cndmask_b32_e32 v12, v12, v13, vcc
	v_lshlrev_b32_e32 v13, 24, v3
	v_mov_b32_e32 v14, 0x3b800000
	v_lshlrev_b32_e32 v6, 20, v6
	v_and_b32_e32 v13, 0x80000000, v13
	v_lshl_add_u32 v12, v12, 23, v14
	v_or3_b32 v6, v13, v12, v6
.LBB1_808:
	s_or_b64 exec, exec, s[6:7]
	s_nop 0
	v_mfma_f32_16x16x4f32 a[0:3], v2, v6, a[0:3]
	v_lshrrev_b32_e32 v6, 8, v7
	s_movk_i32 s4, 0x7f
	v_cmp_gt_i16_sdwa s[6:7], v6, s4 src0_sel:BYTE_0 src1_sel:DWORD
	s_mov_b64 s[4:5], 0
                                        ; implicit-def: $sgpr10
	s_and_saveexec_b64 s[8:9], s[6:7]
	s_xor_b64 s[6:7], exec, s[8:9]
	s_cbranch_execz .LBB1_809
; %bb.36649:
	s_getpc_b64 s[14:15]
.Lpost_getpc3988:
	s_add_u32 s14, s14, (.LBB1_15145-.Lpost_getpc3988)&4294967295
	s_addc_u32 s15, s15, (.LBB1_15145-.Lpost_getpc3988)>>32
	s_setpc_b64 s[14:15]
.LBB1_809:
	s_or_saveexec_b64 s[6:7], s[6:7]
	v_mov_b32_e32 v2, s10
	s_xor_b64 exec, exec, s[6:7]
	s_cbranch_execz .LBB1_810
; %bb.36651:
	s_getpc_b64 s[14:15]
.Lpost_getpc3989:
	s_add_u32 s14, s14, (.LBB1_15148-.Lpost_getpc3989)&4294967295
	s_addc_u32 s15, s15, (.LBB1_15148-.Lpost_getpc3989)>>32
	s_setpc_b64 s[14:15]
.LBB1_810:
	s_or_b64 exec, exec, s[6:7]
	s_and_saveexec_b64 s[6:7], s[4:5]
	s_cbranch_execz .LBB1_812
.LBB1_811:
	v_bfe_u32 v2, v7, 8, 3
	v_ffbh_u32_e32 v13, v2
	v_min_u32_e32 v13, 32, v13
	v_lshrrev_b16_e32 v12, 3, v6
	v_subrev_u32_e32 v14, 28, v13
	v_and_b32_e32 v12, 15, v12
	v_lshlrev_b32_e32 v6, v14, v6
	v_sub_u32_e32 v13, 29, v13
	v_and_b32_e32 v6, 7, v6
	v_cmp_eq_u16_e32 vcc, 0, v12
	v_cndmask_b32_e32 v2, v2, v6, vcc
	v_cndmask_b32_e32 v6, v12, v13, vcc
	v_lshlrev_b32_e32 v12, 16, v7
	v_mov_b32_e32 v13, 0x3b800000
	v_lshlrev_b32_e32 v2, 20, v2
	v_and_b32_e32 v12, 0x80000000, v12
	v_lshl_add_u32 v6, v6, 23, v13
	v_or3_b32 v2, v12, v6, v2
.LBB1_812:
	s_or_b64 exec, exec, s[6:7]
	v_lshrrev_b32_e32 v6, 8, v3
	s_movk_i32 s4, 0x7f
	v_cmp_gt_i16_sdwa s[6:7], v6, s4 src0_sel:BYTE_0 src1_sel:DWORD
	s_mov_b64 s[4:5], 0
                                        ; implicit-def: $sgpr10
	s_and_saveexec_b64 s[8:9], s[6:7]
	s_xor_b64 s[6:7], exec, s[8:9]
	s_cbranch_execz .LBB1_813
; %bb.36653:
	s_getpc_b64 s[14:15]
.Lpost_getpc3990:
	s_add_u32 s14, s14, (.LBB1_15149-.Lpost_getpc3990)&4294967295
	s_addc_u32 s15, s15, (.LBB1_15149-.Lpost_getpc3990)>>32
	s_setpc_b64 s[14:15]
.LBB1_813:
	s_or_saveexec_b64 s[6:7], s[6:7]
	v_mov_b32_e32 v12, s10
	s_xor_b64 exec, exec, s[6:7]
	s_cbranch_execz .LBB1_814
; %bb.36655:
	s_getpc_b64 s[14:15]
.Lpost_getpc3991:
	s_add_u32 s14, s14, (.LBB1_15152-.Lpost_getpc3991)&4294967295
	s_addc_u32 s15, s15, (.LBB1_15152-.Lpost_getpc3991)>>32
	s_setpc_b64 s[14:15]
.LBB1_814:
	s_or_b64 exec, exec, s[6:7]
	s_and_saveexec_b64 s[6:7], s[4:5]
	s_cbranch_execz .LBB1_816
.LBB1_815:
	v_bfe_u32 v12, v3, 8, 3
	v_ffbh_u32_e32 v14, v12
	v_min_u32_e32 v14, 32, v14
	v_lshrrev_b16_e32 v13, 3, v6
	v_subrev_u32_e32 v15, 28, v14
	v_and_b32_e32 v13, 15, v13
	v_lshlrev_b32_e32 v6, v15, v6
	v_sub_u32_e32 v14, 29, v14
	v_and_b32_e32 v6, 7, v6
	v_cmp_eq_u16_e32 vcc, 0, v13
	v_cndmask_b32_e32 v6, v12, v6, vcc
	v_cndmask_b32_e32 v12, v13, v14, vcc
	v_lshlrev_b32_e32 v13, 16, v3
	v_mov_b32_e32 v14, 0x3b800000
	v_lshlrev_b32_e32 v6, 20, v6
	v_and_b32_e32 v13, 0x80000000, v13
	v_lshl_add_u32 v12, v12, 23, v14
	v_or3_b32 v12, v13, v12, v6
.LBB1_816:
	s_or_b64 exec, exec, s[6:7]
	s_nop 0
	v_mfma_f32_16x16x4f32 a[0:3], v2, v12, a[0:3]
	s_movk_i32 s4, 0xff
	v_and_b32_sdwa v6, v7, s4 dst_sel:DWORD dst_unused:UNUSED_PAD src0_sel:WORD_1 src1_sel:DWORD
	s_movk_i32 s4, 0x7f
	v_cmp_lt_i16_e32 vcc, s4, v6
	s_mov_b64 s[4:5], 0
                                        ; implicit-def: $sgpr10
	s_and_saveexec_b64 s[6:7], vcc
	s_xor_b64 s[6:7], exec, s[6:7]
	s_cbranch_execz .LBB1_817
; %bb.36657:
	s_getpc_b64 s[14:15]
.Lpost_getpc3992:
	s_add_u32 s14, s14, (.LBB1_15153-.Lpost_getpc3992)&4294967295
	s_addc_u32 s15, s15, (.LBB1_15153-.Lpost_getpc3992)>>32
	s_setpc_b64 s[14:15]
.LBB1_817:
	s_or_saveexec_b64 s[6:7], s[6:7]
	v_mov_b32_e32 v2, s10
	s_xor_b64 exec, exec, s[6:7]
	s_cbranch_execz .LBB1_818
; %bb.36659:
	s_getpc_b64 s[14:15]
.Lpost_getpc3993:
	s_add_u32 s14, s14, (.LBB1_15156-.Lpost_getpc3993)&4294967295
	s_addc_u32 s15, s15, (.LBB1_15156-.Lpost_getpc3993)>>32
	s_setpc_b64 s[14:15]
.LBB1_818:
	s_or_b64 exec, exec, s[6:7]
	s_and_saveexec_b64 s[6:7], s[4:5]
	s_cbranch_execz .LBB1_820
.LBB1_819:
	v_bfe_u32 v2, v7, 16, 3
	v_ffbh_u32_e32 v13, v2
	v_min_u32_e32 v13, 32, v13
	v_lshrrev_b32_e32 v6, 19, v7
	v_subrev_u32_e32 v14, 28, v13
	v_and_b32_e32 v6, 15, v6
	v_lshlrev_b32_sdwa v14, v14, v7 dst_sel:DWORD dst_unused:UNUSED_PAD src0_sel:DWORD src1_sel:WORD_1
	v_bfe_u32 v12, v7, 19, 4
	v_sub_u32_e32 v13, 29, v13
	v_and_b32_e32 v14, 7, v14
	v_cmp_eq_u16_e32 vcc, 0, v6
	v_cndmask_b32_e32 v2, v2, v14, vcc
	v_cndmask_b32_e32 v6, v12, v13, vcc
	v_lshlrev_b32_e32 v12, 8, v7
	v_mov_b32_e32 v13, 0x3b800000
	v_lshlrev_b32_e32 v2, 20, v2
	v_and_b32_e32 v12, 0x80000000, v12
	v_lshl_add_u32 v6, v6, 23, v13
	v_or3_b32 v2, v12, v6, v2
.LBB1_820:
	s_or_b64 exec, exec, s[6:7]
	s_movk_i32 s4, 0xff
	v_and_b32_sdwa v6, v3, s4 dst_sel:DWORD dst_unused:UNUSED_PAD src0_sel:WORD_1 src1_sel:DWORD
	s_movk_i32 s4, 0x7f
	v_cmp_lt_i16_e32 vcc, s4, v6
	s_mov_b64 s[4:5], 0
                                        ; implicit-def: $sgpr10
	s_and_saveexec_b64 s[6:7], vcc
	s_xor_b64 s[6:7], exec, s[6:7]
	s_cbranch_execz .LBB1_821
; %bb.36661:
	s_getpc_b64 s[14:15]
.Lpost_getpc3994:
	s_add_u32 s14, s14, (.LBB1_15157-.Lpost_getpc3994)&4294967295
	s_addc_u32 s15, s15, (.LBB1_15157-.Lpost_getpc3994)>>32
	s_setpc_b64 s[14:15]
.LBB1_821:
	s_or_saveexec_b64 s[6:7], s[6:7]
	v_mov_b32_e32 v12, s10
	s_xor_b64 exec, exec, s[6:7]
	s_cbranch_execz .LBB1_822
; %bb.36663:
	s_getpc_b64 s[14:15]
.Lpost_getpc3995:
	s_add_u32 s14, s14, (.LBB1_15160-.Lpost_getpc3995)&4294967295
	s_addc_u32 s15, s15, (.LBB1_15160-.Lpost_getpc3995)>>32
	s_setpc_b64 s[14:15]
.LBB1_822:
	s_or_b64 exec, exec, s[6:7]
	s_and_saveexec_b64 s[6:7], s[4:5]
	s_cbranch_execz .LBB1_824
.LBB1_823:
	v_bfe_u32 v6, v3, 16, 3
	v_ffbh_u32_e32 v14, v6
	v_min_u32_e32 v14, 32, v14
	v_lshrrev_b32_e32 v12, 19, v3
	v_subrev_u32_e32 v15, 28, v14
	v_and_b32_e32 v12, 15, v12
	v_lshlrev_b32_sdwa v15, v15, v3 dst_sel:DWORD dst_unused:UNUSED_PAD src0_sel:DWORD src1_sel:WORD_1
	v_bfe_u32 v13, v3, 19, 4
	v_sub_u32_e32 v14, 29, v14
	v_and_b32_e32 v15, 7, v15
	v_cmp_eq_u16_e32 vcc, 0, v12
	v_cndmask_b32_e32 v6, v6, v15, vcc
	v_cndmask_b32_e32 v12, v13, v14, vcc
	v_lshlrev_b32_e32 v13, 8, v3
	v_mov_b32_e32 v14, 0x3b800000
	v_lshlrev_b32_e32 v6, 20, v6
	v_and_b32_e32 v13, 0x80000000, v13
	v_lshl_add_u32 v12, v12, 23, v14
	v_or3_b32 v12, v13, v12, v6
.LBB1_824:
	s_or_b64 exec, exec, s[6:7]
	s_nop 0
	v_mfma_f32_16x16x4f32 a[0:3], v2, v12, a[0:3]
	s_movk_i32 s4, 0x7f
	v_cmp_gt_i16_sdwa s[6:7], v7, s4 src0_sel:BYTE_3 src1_sel:DWORD
	s_mov_b64 s[4:5], 0
                                        ; implicit-def: $sgpr10
	s_and_saveexec_b64 s[8:9], s[6:7]
	s_xor_b64 s[6:7], exec, s[8:9]
	s_cbranch_execz .LBB1_825
; %bb.36665:
	s_getpc_b64 s[14:15]
.Lpost_getpc3996:
	s_add_u32 s14, s14, (.LBB1_15161-.Lpost_getpc3996)&4294967295
	s_addc_u32 s15, s15, (.LBB1_15161-.Lpost_getpc3996)>>32
	s_setpc_b64 s[14:15]
.LBB1_825:
	s_or_saveexec_b64 s[6:7], s[6:7]
	v_mov_b32_e32 v2, s10
	s_xor_b64 exec, exec, s[6:7]
	s_cbranch_execz .LBB1_826
; %bb.36667:
	s_getpc_b64 s[14:15]
.Lpost_getpc3997:
	s_add_u32 s14, s14, (.LBB1_15164-.Lpost_getpc3997)&4294967295
	s_addc_u32 s15, s15, (.LBB1_15164-.Lpost_getpc3997)>>32
	s_setpc_b64 s[14:15]
.LBB1_826:
	s_or_b64 exec, exec, s[6:7]
	s_and_saveexec_b64 s[6:7], s[4:5]
	s_cbranch_execz .LBB1_828
.LBB1_827:
	v_bfe_u32 v2, v7, 24, 3
	v_ffbh_u32_e32 v14, v2
	v_min_u32_e32 v14, 32, v14
	v_lshrrev_b32_e32 v12, 27, v7
	v_subrev_u32_e32 v15, 28, v14
	v_and_b32_e32 v6, 0x80000000, v7
	v_and_b32_e32 v12, 15, v12
	v_bfe_u32 v13, v7, 27, 4
	v_lshlrev_b32_sdwa v7, v15, v7 dst_sel:DWORD dst_unused:UNUSED_PAD src0_sel:DWORD src1_sel:BYTE_3
	v_sub_u32_e32 v14, 29, v14
	v_and_b32_e32 v7, 7, v7
	v_cmp_eq_u16_e32 vcc, 0, v12
	v_cndmask_b32_e32 v2, v2, v7, vcc
	v_cndmask_b32_e32 v7, v13, v14, vcc
	v_mov_b32_e32 v12, 0x3b800000
	v_lshlrev_b32_e32 v2, 20, v2
	v_lshl_add_u32 v7, v7, 23, v12
	v_or3_b32 v2, v6, v7, v2
.LBB1_828:
	s_or_b64 exec, exec, s[6:7]
	s_movk_i32 s4, 0x7f
	v_cmp_gt_i16_sdwa s[6:7], v3, s4 src0_sel:BYTE_3 src1_sel:DWORD
	s_mov_b64 s[4:5], 0
                                        ; implicit-def: $sgpr10
	s_and_saveexec_b64 s[8:9], s[6:7]
	s_xor_b64 s[6:7], exec, s[8:9]
	s_cbranch_execz .LBB1_829
; %bb.36669:
	s_getpc_b64 s[14:15]
.Lpost_getpc3998:
	s_add_u32 s14, s14, (.LBB1_15165-.Lpost_getpc3998)&4294967295
	s_addc_u32 s15, s15, (.LBB1_15165-.Lpost_getpc3998)>>32
	s_setpc_b64 s[14:15]
.LBB1_829:
	s_or_saveexec_b64 s[6:7], s[6:7]
	v_mov_b32_e32 v6, s10
	s_xor_b64 exec, exec, s[6:7]
	s_cbranch_execz .LBB1_830
; %bb.36671:
	s_getpc_b64 s[14:15]
.Lpost_getpc3999:
	s_add_u32 s14, s14, (.LBB1_15168-.Lpost_getpc3999)&4294967295
	s_addc_u32 s15, s15, (.LBB1_15168-.Lpost_getpc3999)>>32
	s_setpc_b64 s[14:15]
.LBB1_830:
	s_or_b64 exec, exec, s[6:7]
	s_and_saveexec_b64 s[6:7], s[4:5]
	s_cbranch_execz .LBB1_832
.LBB1_831:
	v_bfe_u32 v6, v3, 24, 3
	v_ffbh_u32_e32 v14, v6
	v_min_u32_e32 v14, 32, v14
	v_lshrrev_b32_e32 v12, 27, v3
	v_subrev_u32_e32 v15, 28, v14
	v_and_b32_e32 v7, 0x80000000, v3
	v_and_b32_e32 v12, 15, v12
	v_bfe_u32 v13, v3, 27, 4
	v_lshlrev_b32_sdwa v3, v15, v3 dst_sel:DWORD dst_unused:UNUSED_PAD src0_sel:DWORD src1_sel:BYTE_3
	v_sub_u32_e32 v14, 29, v14
	v_and_b32_e32 v3, 7, v3
	v_cmp_eq_u16_e32 vcc, 0, v12
	v_cndmask_b32_e32 v3, v6, v3, vcc
	v_cndmask_b32_e32 v6, v13, v14, vcc
	v_mov_b32_e32 v12, 0x3b800000
	v_lshlrev_b32_e32 v3, 20, v3
	v_lshl_add_u32 v6, v6, 23, v12
	v_or3_b32 v6, v7, v6, v3
.LBB1_832:
	s_or_b64 exec, exec, s[6:7]
	s_nop 0
	v_mfma_f32_16x16x4f32 a[0:3], v2, v6, a[0:3]
	s_movk_i32 s4, 0x7f
	v_cmp_gt_i16_sdwa s[6:7], v8, s4 src0_sel:BYTE_0 src1_sel:DWORD
	s_mov_b64 s[4:5], 0
                                        ; implicit-def: $sgpr10
	s_and_saveexec_b64 s[8:9], s[6:7]
	s_xor_b64 s[6:7], exec, s[8:9]
	s_cbranch_execz .LBB1_833
; %bb.36673:
	s_getpc_b64 s[14:15]
.Lpost_getpc4000:
	s_add_u32 s14, s14, (.LBB1_15169-.Lpost_getpc4000)&4294967295
	s_addc_u32 s15, s15, (.LBB1_15169-.Lpost_getpc4000)>>32
	s_setpc_b64 s[14:15]
.LBB1_833:
	s_or_saveexec_b64 s[6:7], s[6:7]
	v_mov_b32_e32 v2, s10
	s_xor_b64 exec, exec, s[6:7]
	s_cbranch_execz .LBB1_834
; %bb.36675:
	s_getpc_b64 s[14:15]
.Lpost_getpc4001:
	s_add_u32 s14, s14, (.LBB1_15172-.Lpost_getpc4001)&4294967295
	s_addc_u32 s15, s15, (.LBB1_15172-.Lpost_getpc4001)>>32
	s_setpc_b64 s[14:15]
.LBB1_834:
	s_or_b64 exec, exec, s[6:7]
	s_and_saveexec_b64 s[6:7], s[4:5]
	s_cbranch_execz .LBB1_836
.LBB1_835:
	v_and_b32_e32 v2, 7, v8
	v_ffbh_u32_e32 v6, v2
	v_min_u32_e32 v6, 32, v6
	v_lshrrev_b16_e32 v3, 3, v8
	v_subrev_u32_e32 v7, 28, v6
	v_and_b32_e32 v3, 15, v3
	v_lshlrev_b32_e32 v7, v7, v8
	v_sub_u32_e32 v6, 29, v6
	v_and_b32_e32 v7, 7, v7
	v_cmp_eq_u16_e32 vcc, 0, v3
	v_cndmask_b32_e32 v2, v2, v7, vcc
	v_cndmask_b32_e32 v3, v3, v6, vcc
	v_lshlrev_b32_e32 v6, 24, v8
	v_mov_b32_e32 v7, 0x3b800000
	v_lshlrev_b32_e32 v2, 20, v2
	v_and_b32_e32 v6, 0x80000000, v6
	v_lshl_add_u32 v3, v3, 23, v7
	v_or3_b32 v2, v6, v3, v2
.LBB1_836:
	s_or_b64 exec, exec, s[6:7]
	s_movk_i32 s4, 0x7f
	v_cmp_gt_i16_sdwa s[6:7], v4, s4 src0_sel:BYTE_0 src1_sel:DWORD
	s_mov_b64 s[4:5], 0
                                        ; implicit-def: $sgpr10
	s_and_saveexec_b64 s[8:9], s[6:7]
	s_xor_b64 s[6:7], exec, s[8:9]
	s_cbranch_execz .LBB1_837
; %bb.36677:
	s_getpc_b64 s[14:15]
.Lpost_getpc4002:
	s_add_u32 s14, s14, (.LBB1_15173-.Lpost_getpc4002)&4294967295
	s_addc_u32 s15, s15, (.LBB1_15173-.Lpost_getpc4002)>>32
	s_setpc_b64 s[14:15]
.LBB1_837:
	s_or_saveexec_b64 s[6:7], s[6:7]
	v_mov_b32_e32 v3, s10
	s_xor_b64 exec, exec, s[6:7]
	s_cbranch_execz .LBB1_838
; %bb.36679:
	s_getpc_b64 s[14:15]
.Lpost_getpc4003:
	s_add_u32 s14, s14, (.LBB1_15176-.Lpost_getpc4003)&4294967295
	s_addc_u32 s15, s15, (.LBB1_15176-.Lpost_getpc4003)>>32
	s_setpc_b64 s[14:15]
.LBB1_838:
	s_or_b64 exec, exec, s[6:7]
	s_and_saveexec_b64 s[6:7], s[4:5]
	s_cbranch_execz .LBB1_840
.LBB1_839:
	v_and_b32_e32 v3, 7, v4
	v_ffbh_u32_e32 v7, v3
	v_min_u32_e32 v7, 32, v7
	v_lshrrev_b16_e32 v6, 3, v4
	v_subrev_u32_e32 v12, 28, v7
	v_and_b32_e32 v6, 15, v6
	v_lshlrev_b32_e32 v12, v12, v4
	v_sub_u32_e32 v7, 29, v7
	v_and_b32_e32 v12, 7, v12
	v_cmp_eq_u16_e32 vcc, 0, v6
	v_cndmask_b32_e32 v3, v3, v12, vcc
	v_cndmask_b32_e32 v6, v6, v7, vcc
	v_lshlrev_b32_e32 v7, 24, v4
	v_mov_b32_e32 v12, 0x3b800000
	v_lshlrev_b32_e32 v3, 20, v3
	v_and_b32_e32 v7, 0x80000000, v7
	v_lshl_add_u32 v6, v6, 23, v12
	v_or3_b32 v3, v7, v6, v3
.LBB1_840:
	s_or_b64 exec, exec, s[6:7]
	s_nop 0
	v_mfma_f32_16x16x4f32 a[0:3], v2, v3, a[0:3]
	v_lshrrev_b32_e32 v3, 8, v8
	s_movk_i32 s4, 0x7f
	v_cmp_gt_i16_sdwa s[6:7], v3, s4 src0_sel:BYTE_0 src1_sel:DWORD
	s_mov_b64 s[4:5], 0
                                        ; implicit-def: $sgpr10
	s_and_saveexec_b64 s[8:9], s[6:7]
	s_xor_b64 s[6:7], exec, s[8:9]
	s_cbranch_execz .LBB1_841
; %bb.36681:
	s_getpc_b64 s[14:15]
.Lpost_getpc4004:
	s_add_u32 s14, s14, (.LBB1_15177-.Lpost_getpc4004)&4294967295
	s_addc_u32 s15, s15, (.LBB1_15177-.Lpost_getpc4004)>>32
	s_setpc_b64 s[14:15]
.LBB1_841:
	s_or_saveexec_b64 s[6:7], s[6:7]
	v_mov_b32_e32 v2, s10
	s_xor_b64 exec, exec, s[6:7]
	s_cbranch_execz .LBB1_842
; %bb.36683:
	s_getpc_b64 s[14:15]
.Lpost_getpc4005:
	s_add_u32 s14, s14, (.LBB1_15180-.Lpost_getpc4005)&4294967295
	s_addc_u32 s15, s15, (.LBB1_15180-.Lpost_getpc4005)>>32
	s_setpc_b64 s[14:15]
.LBB1_842:
	s_or_b64 exec, exec, s[6:7]
	s_and_saveexec_b64 s[6:7], s[4:5]
	s_cbranch_execz .LBB1_844
.LBB1_843:
	v_bfe_u32 v2, v8, 8, 3
	v_ffbh_u32_e32 v7, v2
	v_min_u32_e32 v7, 32, v7
	v_lshrrev_b16_e32 v6, 3, v3
	v_subrev_u32_e32 v12, 28, v7
	v_and_b32_e32 v6, 15, v6
	v_lshlrev_b32_e32 v3, v12, v3
	v_sub_u32_e32 v7, 29, v7
	v_and_b32_e32 v3, 7, v3
	v_cmp_eq_u16_e32 vcc, 0, v6
	v_cndmask_b32_e32 v2, v2, v3, vcc
	v_cndmask_b32_e32 v3, v6, v7, vcc
	v_lshlrev_b32_e32 v6, 16, v8
	v_mov_b32_e32 v7, 0x3b800000
	v_lshlrev_b32_e32 v2, 20, v2
	v_and_b32_e32 v6, 0x80000000, v6
	v_lshl_add_u32 v3, v3, 23, v7
	v_or3_b32 v2, v6, v3, v2
.LBB1_844:
	s_or_b64 exec, exec, s[6:7]
	v_lshrrev_b32_e32 v3, 8, v4
	s_movk_i32 s4, 0x7f
	v_cmp_gt_i16_sdwa s[6:7], v3, s4 src0_sel:BYTE_0 src1_sel:DWORD
	s_mov_b64 s[4:5], 0
                                        ; implicit-def: $sgpr10
	s_and_saveexec_b64 s[8:9], s[6:7]
	s_xor_b64 s[6:7], exec, s[8:9]
	s_cbranch_execz .LBB1_845
; %bb.36685:
	s_getpc_b64 s[14:15]
.Lpost_getpc4006:
	s_add_u32 s14, s14, (.LBB1_15181-.Lpost_getpc4006)&4294967295
	s_addc_u32 s15, s15, (.LBB1_15181-.Lpost_getpc4006)>>32
	s_setpc_b64 s[14:15]
.LBB1_845:
	s_or_saveexec_b64 s[6:7], s[6:7]
	v_mov_b32_e32 v6, s10
	s_xor_b64 exec, exec, s[6:7]
	s_cbranch_execz .LBB1_846
; %bb.36687:
	s_getpc_b64 s[14:15]
.Lpost_getpc4007:
	s_add_u32 s14, s14, (.LBB1_15184-.Lpost_getpc4007)&4294967295
	s_addc_u32 s15, s15, (.LBB1_15184-.Lpost_getpc4007)>>32
	s_setpc_b64 s[14:15]
.LBB1_846:
	s_or_b64 exec, exec, s[6:7]
	s_and_saveexec_b64 s[6:7], s[4:5]
	s_cbranch_execz .LBB1_848
.LBB1_847:
	v_bfe_u32 v6, v4, 8, 3
	v_ffbh_u32_e32 v12, v6
	v_min_u32_e32 v12, 32, v12
	v_lshrrev_b16_e32 v7, 3, v3
	v_subrev_u32_e32 v13, 28, v12
	v_and_b32_e32 v7, 15, v7
	v_lshlrev_b32_e32 v3, v13, v3
	v_sub_u32_e32 v12, 29, v12
	v_and_b32_e32 v3, 7, v3
	v_cmp_eq_u16_e32 vcc, 0, v7
	v_cndmask_b32_e32 v3, v6, v3, vcc
	v_cndmask_b32_e32 v6, v7, v12, vcc
	v_lshlrev_b32_e32 v7, 16, v4
	v_mov_b32_e32 v12, 0x3b800000
	v_lshlrev_b32_e32 v3, 20, v3
	v_and_b32_e32 v7, 0x80000000, v7
	v_lshl_add_u32 v6, v6, 23, v12
	v_or3_b32 v6, v7, v6, v3
.LBB1_848:
	s_or_b64 exec, exec, s[6:7]
	s_nop 0
	v_mfma_f32_16x16x4f32 a[0:3], v2, v6, a[0:3]
	s_movk_i32 s4, 0xff
	v_and_b32_sdwa v3, v8, s4 dst_sel:DWORD dst_unused:UNUSED_PAD src0_sel:WORD_1 src1_sel:DWORD
	s_movk_i32 s4, 0x7f
	v_cmp_lt_i16_e32 vcc, s4, v3
	s_mov_b64 s[4:5], 0
                                        ; implicit-def: $sgpr10
	s_and_saveexec_b64 s[6:7], vcc
	s_xor_b64 s[6:7], exec, s[6:7]
	s_cbranch_execz .LBB1_849
; %bb.36689:
	s_getpc_b64 s[14:15]
.Lpost_getpc4008:
	s_add_u32 s14, s14, (.LBB1_15185-.Lpost_getpc4008)&4294967295
	s_addc_u32 s15, s15, (.LBB1_15185-.Lpost_getpc4008)>>32
	s_setpc_b64 s[14:15]
.LBB1_849:
	s_or_saveexec_b64 s[6:7], s[6:7]
	v_mov_b32_e32 v2, s10
	s_xor_b64 exec, exec, s[6:7]
	s_cbranch_execz .LBB1_850
; %bb.36691:
	s_getpc_b64 s[14:15]
.Lpost_getpc4009:
	s_add_u32 s14, s14, (.LBB1_15188-.Lpost_getpc4009)&4294967295
	s_addc_u32 s15, s15, (.LBB1_15188-.Lpost_getpc4009)>>32
	s_setpc_b64 s[14:15]
.LBB1_850:
	s_or_b64 exec, exec, s[6:7]
	s_and_saveexec_b64 s[6:7], s[4:5]
	s_cbranch_execz .LBB1_852
.LBB1_851:
	v_bfe_u32 v2, v8, 16, 3
	v_ffbh_u32_e32 v7, v2
	v_min_u32_e32 v7, 32, v7
	v_lshrrev_b32_e32 v3, 19, v8
	v_subrev_u32_e32 v12, 28, v7
	v_and_b32_e32 v3, 15, v3
	v_lshlrev_b32_sdwa v12, v12, v8 dst_sel:DWORD dst_unused:UNUSED_PAD src0_sel:DWORD src1_sel:WORD_1
	v_bfe_u32 v6, v8, 19, 4
	v_sub_u32_e32 v7, 29, v7
	v_and_b32_e32 v12, 7, v12
	v_cmp_eq_u16_e32 vcc, 0, v3
	v_cndmask_b32_e32 v2, v2, v12, vcc
	v_cndmask_b32_e32 v3, v6, v7, vcc
	v_lshlrev_b32_e32 v6, 8, v8
	v_mov_b32_e32 v7, 0x3b800000
	v_lshlrev_b32_e32 v2, 20, v2
	v_and_b32_e32 v6, 0x80000000, v6
	v_lshl_add_u32 v3, v3, 23, v7
	v_or3_b32 v2, v6, v3, v2
.LBB1_852:
	s_or_b64 exec, exec, s[6:7]
	s_movk_i32 s4, 0xff
	v_and_b32_sdwa v3, v4, s4 dst_sel:DWORD dst_unused:UNUSED_PAD src0_sel:WORD_1 src1_sel:DWORD
	s_movk_i32 s4, 0x7f
	v_cmp_lt_i16_e32 vcc, s4, v3
	s_mov_b64 s[4:5], 0
                                        ; implicit-def: $sgpr10
	s_and_saveexec_b64 s[6:7], vcc
	s_xor_b64 s[6:7], exec, s[6:7]
	s_cbranch_execz .LBB1_853
; %bb.36693:
	s_getpc_b64 s[14:15]
.Lpost_getpc4010:
	s_add_u32 s14, s14, (.LBB1_15189-.Lpost_getpc4010)&4294967295
	s_addc_u32 s15, s15, (.LBB1_15189-.Lpost_getpc4010)>>32
	s_setpc_b64 s[14:15]
.LBB1_853:
	s_or_saveexec_b64 s[6:7], s[6:7]
	v_mov_b32_e32 v6, s10
	s_xor_b64 exec, exec, s[6:7]
	s_cbranch_execz .LBB1_854
; %bb.36695:
	s_getpc_b64 s[14:15]
.Lpost_getpc4011:
	s_add_u32 s14, s14, (.LBB1_15192-.Lpost_getpc4011)&4294967295
	s_addc_u32 s15, s15, (.LBB1_15192-.Lpost_getpc4011)>>32
	s_setpc_b64 s[14:15]
.LBB1_854:
	s_or_b64 exec, exec, s[6:7]
	s_and_saveexec_b64 s[6:7], s[4:5]
	s_cbranch_execz .LBB1_856
.LBB1_855:
	v_bfe_u32 v3, v4, 16, 3
	v_ffbh_u32_e32 v12, v3
	v_min_u32_e32 v12, 32, v12
	v_lshrrev_b32_e32 v6, 19, v4
	v_subrev_u32_e32 v13, 28, v12
	v_and_b32_e32 v6, 15, v6
	v_lshlrev_b32_sdwa v13, v13, v4 dst_sel:DWORD dst_unused:UNUSED_PAD src0_sel:DWORD src1_sel:WORD_1
	v_bfe_u32 v7, v4, 19, 4
	v_sub_u32_e32 v12, 29, v12
	v_and_b32_e32 v13, 7, v13
	v_cmp_eq_u16_e32 vcc, 0, v6
	v_cndmask_b32_e32 v3, v3, v13, vcc
	v_cndmask_b32_e32 v6, v7, v12, vcc
	v_lshlrev_b32_e32 v7, 8, v4
	v_mov_b32_e32 v12, 0x3b800000
	v_lshlrev_b32_e32 v3, 20, v3
	v_and_b32_e32 v7, 0x80000000, v7
	v_lshl_add_u32 v6, v6, 23, v12
	v_or3_b32 v6, v7, v6, v3
.LBB1_856:
	s_or_b64 exec, exec, s[6:7]
	s_nop 0
	v_mfma_f32_16x16x4f32 a[0:3], v2, v6, a[0:3]
	s_movk_i32 s4, 0x7f
	v_cmp_gt_i16_sdwa s[6:7], v8, s4 src0_sel:BYTE_3 src1_sel:DWORD
	s_mov_b64 s[4:5], 0
                                        ; implicit-def: $sgpr10
	s_and_saveexec_b64 s[8:9], s[6:7]
	s_xor_b64 s[6:7], exec, s[8:9]
	s_cbranch_execz .LBB1_857
; %bb.36697:
	s_getpc_b64 s[14:15]
.Lpost_getpc4012:
	s_add_u32 s14, s14, (.LBB1_15193-.Lpost_getpc4012)&4294967295
	s_addc_u32 s15, s15, (.LBB1_15193-.Lpost_getpc4012)>>32
	s_setpc_b64 s[14:15]
.LBB1_857:
	s_or_saveexec_b64 s[6:7], s[6:7]
	v_mov_b32_e32 v2, s10
	s_xor_b64 exec, exec, s[6:7]
	s_cbranch_execz .LBB1_858
; %bb.36699:
	s_getpc_b64 s[14:15]
.Lpost_getpc4013:
	s_add_u32 s14, s14, (.LBB1_15196-.Lpost_getpc4013)&4294967295
	s_addc_u32 s15, s15, (.LBB1_15196-.Lpost_getpc4013)>>32
	s_setpc_b64 s[14:15]
.LBB1_858:
	s_or_b64 exec, exec, s[6:7]
	s_and_saveexec_b64 s[6:7], s[4:5]
	s_cbranch_execz .LBB1_860
.LBB1_859:
	v_bfe_u32 v2, v8, 24, 3
	v_ffbh_u32_e32 v12, v2
	v_min_u32_e32 v12, 32, v12
	v_lshrrev_b32_e32 v6, 27, v8
	v_subrev_u32_e32 v13, 28, v12
	v_and_b32_e32 v3, 0x80000000, v8
	v_and_b32_e32 v6, 15, v6
	v_bfe_u32 v7, v8, 27, 4
	v_lshlrev_b32_sdwa v8, v13, v8 dst_sel:DWORD dst_unused:UNUSED_PAD src0_sel:DWORD src1_sel:BYTE_3
	v_sub_u32_e32 v12, 29, v12
	v_and_b32_e32 v8, 7, v8
	v_cmp_eq_u16_e32 vcc, 0, v6
	v_cndmask_b32_e32 v2, v2, v8, vcc
	v_cndmask_b32_e32 v6, v7, v12, vcc
	v_mov_b32_e32 v7, 0x3b800000
	v_lshlrev_b32_e32 v2, 20, v2
	v_lshl_add_u32 v6, v6, 23, v7
	v_or3_b32 v2, v3, v6, v2
.LBB1_860:
	s_or_b64 exec, exec, s[6:7]
	s_movk_i32 s4, 0x7f
	v_cmp_gt_i16_sdwa s[6:7], v4, s4 src0_sel:BYTE_3 src1_sel:DWORD
	s_mov_b64 s[4:5], 0
                                        ; implicit-def: $sgpr10
	s_and_saveexec_b64 s[8:9], s[6:7]
	s_xor_b64 s[6:7], exec, s[8:9]
	s_cbranch_execz .LBB1_861
; %bb.36701:
	s_getpc_b64 s[14:15]
.Lpost_getpc4014:
	s_add_u32 s14, s14, (.LBB1_15197-.Lpost_getpc4014)&4294967295
	s_addc_u32 s15, s15, (.LBB1_15197-.Lpost_getpc4014)>>32
	s_setpc_b64 s[14:15]
.LBB1_861:
	s_or_saveexec_b64 s[6:7], s[6:7]
	v_mov_b32_e32 v3, s10
	s_xor_b64 exec, exec, s[6:7]
	s_cbranch_execz .LBB1_862
; %bb.36703:
	s_getpc_b64 s[14:15]
.Lpost_getpc4015:
	s_add_u32 s14, s14, (.LBB1_15200-.Lpost_getpc4015)&4294967295
	s_addc_u32 s15, s15, (.LBB1_15200-.Lpost_getpc4015)>>32
	s_setpc_b64 s[14:15]
.LBB1_862:
	s_or_b64 exec, exec, s[6:7]
	s_and_saveexec_b64 s[6:7], s[4:5]
	s_cbranch_execz .LBB1_864
.LBB1_863:
	v_bfe_u32 v3, v4, 24, 3
	v_ffbh_u32_e32 v12, v3
	v_min_u32_e32 v12, 32, v12
	v_lshrrev_b32_e32 v7, 27, v4
	v_subrev_u32_e32 v13, 28, v12
	v_and_b32_e32 v6, 0x80000000, v4
	v_and_b32_e32 v7, 15, v7
	v_bfe_u32 v8, v4, 27, 4
	v_lshlrev_b32_sdwa v4, v13, v4 dst_sel:DWORD dst_unused:UNUSED_PAD src0_sel:DWORD src1_sel:BYTE_3
	v_sub_u32_e32 v12, 29, v12
	v_and_b32_e32 v4, 7, v4
	v_cmp_eq_u16_e32 vcc, 0, v7
	v_cndmask_b32_e32 v3, v3, v4, vcc
	v_cndmask_b32_e32 v4, v8, v12, vcc
	v_mov_b32_e32 v7, 0x3b800000
	v_lshlrev_b32_e32 v3, 20, v3
	v_lshl_add_u32 v4, v4, 23, v7
	v_or3_b32 v3, v6, v4, v3
.LBB1_864:
	s_or_b64 exec, exec, s[6:7]
	s_nop 0
	v_mfma_f32_16x16x4f32 a[0:3], v2, v3, a[0:3]
	s_movk_i32 s4, 0x7f
	v_cmp_gt_i16_sdwa s[6:7], v9, s4 src0_sel:BYTE_0 src1_sel:DWORD
	s_mov_b64 s[4:5], 0
                                        ; implicit-def: $sgpr10
	s_and_saveexec_b64 s[8:9], s[6:7]
	s_xor_b64 s[6:7], exec, s[8:9]
	s_cbranch_execz .LBB1_865
; %bb.36705:
	s_getpc_b64 s[14:15]
.Lpost_getpc4016:
	s_add_u32 s14, s14, (.LBB1_15201-.Lpost_getpc4016)&4294967295
	s_addc_u32 s15, s15, (.LBB1_15201-.Lpost_getpc4016)>>32
	s_setpc_b64 s[14:15]
.LBB1_865:
	s_or_saveexec_b64 s[6:7], s[6:7]
	v_mov_b32_e32 v2, s10
	s_xor_b64 exec, exec, s[6:7]
	s_cbranch_execz .LBB1_866
; %bb.36707:
	s_getpc_b64 s[14:15]
.Lpost_getpc4017:
	s_add_u32 s14, s14, (.LBB1_15204-.Lpost_getpc4017)&4294967295
	s_addc_u32 s15, s15, (.LBB1_15204-.Lpost_getpc4017)>>32
	s_setpc_b64 s[14:15]
.LBB1_866:
	s_or_b64 exec, exec, s[6:7]
	s_and_saveexec_b64 s[6:7], s[4:5]
	s_cbranch_execz .LBB1_868
.LBB1_867:
	v_mov_b32_e32 v2, 8
	v_and_b32_e32 v3, 7, v9
	v_lshrrev_b32_sdwa v2, v2, v9 dst_sel:BYTE_1 dst_unused:UNUSED_PAD src0_sel:DWORD src1_sel:DWORD
	v_ffbh_u32_e32 v4, v3
	v_or_b32_sdwa v2, v9, v2 dst_sel:DWORD dst_unused:UNUSED_PAD src0_sel:BYTE_0 src1_sel:DWORD
	v_min_u32_e32 v4, 32, v4
	v_lshrrev_b16_e32 v2, 3, v2
	v_subrev_u32_e32 v6, 28, v4
	v_and_b32_e32 v2, 15, v2
	v_lshlrev_b32_e32 v6, v6, v9
	v_sub_u32_e32 v4, 29, v4
	v_and_b32_e32 v6, 7, v6
	v_cmp_eq_u16_e32 vcc, 0, v2
	v_cndmask_b32_e32 v3, v3, v6, vcc
	v_cndmask_b32_e32 v2, v2, v4, vcc
	v_lshlrev_b32_e32 v4, 24, v9
	v_mov_b32_e32 v6, 0x3b800000
	v_lshlrev_b32_e32 v3, 20, v3
	v_and_b32_e32 v4, 0x80000000, v4
	v_lshl_add_u32 v2, v2, 23, v6
	v_or3_b32 v2, v4, v2, v3
.LBB1_868:
	s_or_b64 exec, exec, s[6:7]
	s_movk_i32 s4, 0x7f
	v_cmp_gt_i16_sdwa s[6:7], v5, s4 src0_sel:BYTE_0 src1_sel:DWORD
	s_mov_b64 s[4:5], 0
                                        ; implicit-def: $sgpr10
	s_and_saveexec_b64 s[8:9], s[6:7]
	s_xor_b64 s[6:7], exec, s[8:9]
	s_cbranch_execz .LBB1_869
; %bb.36709:
	s_getpc_b64 s[14:15]
.Lpost_getpc4018:
	s_add_u32 s14, s14, (.LBB1_15205-.Lpost_getpc4018)&4294967295
	s_addc_u32 s15, s15, (.LBB1_15205-.Lpost_getpc4018)>>32
	s_setpc_b64 s[14:15]
.LBB1_869:
	s_or_saveexec_b64 s[6:7], s[6:7]
	v_mov_b32_e32 v3, s10
	s_xor_b64 exec, exec, s[6:7]
	s_cbranch_execz .LBB1_870
; %bb.36711:
	s_getpc_b64 s[14:15]
.Lpost_getpc4019:
	s_add_u32 s14, s14, (.LBB1_15208-.Lpost_getpc4019)&4294967295
	s_addc_u32 s15, s15, (.LBB1_15208-.Lpost_getpc4019)>>32
	s_setpc_b64 s[14:15]
.LBB1_870:
	s_or_b64 exec, exec, s[6:7]
	s_and_saveexec_b64 s[6:7], s[4:5]
	s_cbranch_execz .LBB1_872
.LBB1_871:
	v_mov_b32_e32 v3, 8
	v_and_b32_e32 v4, 7, v5
	v_lshrrev_b32_sdwa v3, v3, v5 dst_sel:BYTE_1 dst_unused:UNUSED_PAD src0_sel:DWORD src1_sel:DWORD
	v_ffbh_u32_e32 v6, v4
	v_or_b32_sdwa v3, v5, v3 dst_sel:DWORD dst_unused:UNUSED_PAD src0_sel:BYTE_0 src1_sel:DWORD
	v_min_u32_e32 v6, 32, v6
	v_lshrrev_b16_e32 v3, 3, v3
	v_subrev_u32_e32 v7, 28, v6
	v_and_b32_e32 v3, 15, v3
	v_lshlrev_b32_e32 v7, v7, v5
	v_sub_u32_e32 v6, 29, v6
	v_and_b32_e32 v7, 7, v7
	v_cmp_eq_u16_e32 vcc, 0, v3
	v_cndmask_b32_e32 v4, v4, v7, vcc
	v_cndmask_b32_e32 v3, v3, v6, vcc
	v_lshlrev_b32_e32 v6, 24, v5
	v_mov_b32_e32 v7, 0x3b800000
	v_lshlrev_b32_e32 v4, 20, v4
	v_and_b32_e32 v6, 0x80000000, v6
	v_lshl_add_u32 v3, v3, 23, v7
	v_or3_b32 v3, v6, v3, v4
.LBB1_872:
	s_or_b64 exec, exec, s[6:7]
	s_nop 0
	v_mfma_f32_16x16x4f32 a[0:3], v2, v3, a[0:3]
	v_lshrrev_b32_e32 v3, 8, v9
	s_movk_i32 s4, 0x7f
	v_cmp_gt_i16_sdwa s[6:7], v3, s4 src0_sel:BYTE_0 src1_sel:DWORD
	s_mov_b64 s[4:5], 0
                                        ; implicit-def: $sgpr10
	s_and_saveexec_b64 s[8:9], s[6:7]
	s_xor_b64 s[6:7], exec, s[8:9]
	s_cbranch_execz .LBB1_873
; %bb.36713:
	s_getpc_b64 s[14:15]
.Lpost_getpc4020:
	s_add_u32 s14, s14, (.LBB1_15209-.Lpost_getpc4020)&4294967295
	s_addc_u32 s15, s15, (.LBB1_15209-.Lpost_getpc4020)>>32
	s_setpc_b64 s[14:15]
.LBB1_873:
	s_or_saveexec_b64 s[6:7], s[6:7]
	v_mov_b32_e32 v2, s10
	s_xor_b64 exec, exec, s[6:7]
	s_cbranch_execz .LBB1_874
; %bb.36715:
	s_getpc_b64 s[14:15]
.Lpost_getpc4021:
	s_add_u32 s14, s14, (.LBB1_15212-.Lpost_getpc4021)&4294967295
	s_addc_u32 s15, s15, (.LBB1_15212-.Lpost_getpc4021)>>32
	s_setpc_b64 s[14:15]
.LBB1_874:
	s_or_b64 exec, exec, s[6:7]
	s_and_saveexec_b64 s[6:7], s[4:5]
	s_cbranch_execz .LBB1_876
.LBB1_875:
	v_bfe_u32 v2, v9, 8, 3
	v_ffbh_u32_e32 v6, v2
	v_min_u32_e32 v6, 32, v6
	v_lshrrev_b16_e32 v4, 3, v3
	v_subrev_u32_e32 v7, 28, v6
	v_and_b32_e32 v4, 15, v4
	v_lshlrev_b32_e32 v3, v7, v3
	v_sub_u32_e32 v6, 29, v6
	v_and_b32_e32 v3, 7, v3
	v_cmp_eq_u16_e32 vcc, 0, v4
	v_cndmask_b32_e32 v2, v2, v3, vcc
	v_cndmask_b32_e32 v3, v4, v6, vcc
	v_lshlrev_b32_e32 v4, 16, v9
	v_mov_b32_e32 v6, 0x3b800000
	v_lshlrev_b32_e32 v2, 20, v2
	v_and_b32_e32 v4, 0x80000000, v4
	v_lshl_add_u32 v3, v3, 23, v6
	v_or3_b32 v2, v4, v3, v2
.LBB1_876:
	s_or_b64 exec, exec, s[6:7]
	v_lshrrev_b32_e32 v3, 8, v5
	s_movk_i32 s4, 0x7f
	v_cmp_gt_i16_sdwa s[6:7], v3, s4 src0_sel:BYTE_0 src1_sel:DWORD
	s_mov_b64 s[4:5], 0
                                        ; implicit-def: $sgpr10
	s_and_saveexec_b64 s[8:9], s[6:7]
	s_xor_b64 s[6:7], exec, s[8:9]
	s_cbranch_execz .LBB1_877
; %bb.36717:
	s_getpc_b64 s[14:15]
.Lpost_getpc4022:
	s_add_u32 s14, s14, (.LBB1_15213-.Lpost_getpc4022)&4294967295
	s_addc_u32 s15, s15, (.LBB1_15213-.Lpost_getpc4022)>>32
	s_setpc_b64 s[14:15]
.LBB1_877:
	s_or_saveexec_b64 s[6:7], s[6:7]
	v_mov_b32_e32 v4, s10
	s_xor_b64 exec, exec, s[6:7]
	s_cbranch_execz .LBB1_878
; %bb.36719:
	s_getpc_b64 s[14:15]
.Lpost_getpc4023:
	s_add_u32 s14, s14, (.LBB1_15216-.Lpost_getpc4023)&4294967295
	s_addc_u32 s15, s15, (.LBB1_15216-.Lpost_getpc4023)>>32
	s_setpc_b64 s[14:15]
.LBB1_878:
	s_or_b64 exec, exec, s[6:7]
	s_and_saveexec_b64 s[6:7], s[4:5]
	s_cbranch_execz .LBB1_880
.LBB1_879:
	v_bfe_u32 v4, v5, 8, 3
	v_ffbh_u32_e32 v7, v4
	v_min_u32_e32 v7, 32, v7
	v_lshrrev_b16_e32 v6, 3, v3
	v_subrev_u32_e32 v8, 28, v7
	v_and_b32_e32 v6, 15, v6
	v_lshlrev_b32_e32 v3, v8, v3
	v_sub_u32_e32 v7, 29, v7
	v_and_b32_e32 v3, 7, v3
	v_cmp_eq_u16_e32 vcc, 0, v6
	v_cndmask_b32_e32 v3, v4, v3, vcc
	v_cndmask_b32_e32 v4, v6, v7, vcc
	v_lshlrev_b32_e32 v6, 16, v5
	v_mov_b32_e32 v7, 0x3b800000
	v_lshlrev_b32_e32 v3, 20, v3
	v_and_b32_e32 v6, 0x80000000, v6
	v_lshl_add_u32 v4, v4, 23, v7
	v_or3_b32 v4, v6, v4, v3
.LBB1_880:
	s_or_b64 exec, exec, s[6:7]
	s_nop 0
	v_mfma_f32_16x16x4f32 a[0:3], v2, v4, a[0:3]
	s_movk_i32 s4, 0xff
	v_and_b32_sdwa v3, v9, s4 dst_sel:DWORD dst_unused:UNUSED_PAD src0_sel:WORD_1 src1_sel:DWORD
	s_movk_i32 s4, 0x7f
	v_cmp_lt_i16_e32 vcc, s4, v3
	s_mov_b64 s[4:5], 0
                                        ; implicit-def: $sgpr10
	s_and_saveexec_b64 s[6:7], vcc
	s_xor_b64 s[6:7], exec, s[6:7]
	s_cbranch_execz .LBB1_881
; %bb.36721:
	s_getpc_b64 s[14:15]
.Lpost_getpc4024:
	s_add_u32 s14, s14, (.LBB1_15217-.Lpost_getpc4024)&4294967295
	s_addc_u32 s15, s15, (.LBB1_15217-.Lpost_getpc4024)>>32
	s_setpc_b64 s[14:15]
.LBB1_881:
	s_or_saveexec_b64 s[6:7], s[6:7]
	v_mov_b32_e32 v2, s10
	s_xor_b64 exec, exec, s[6:7]
	s_cbranch_execz .LBB1_882
; %bb.36723:
	s_getpc_b64 s[14:15]
.Lpost_getpc4025:
	s_add_u32 s14, s14, (.LBB1_15220-.Lpost_getpc4025)&4294967295
	s_addc_u32 s15, s15, (.LBB1_15220-.Lpost_getpc4025)>>32
	s_setpc_b64 s[14:15]
.LBB1_882:
	s_or_b64 exec, exec, s[6:7]
	s_and_saveexec_b64 s[6:7], s[4:5]
	s_cbranch_execz .LBB1_884
.LBB1_883:
	v_bfe_u32 v2, v9, 16, 3
	v_ffbh_u32_e32 v6, v2
	v_min_u32_e32 v6, 32, v6
	v_lshrrev_b32_e32 v3, 19, v9
	v_subrev_u32_e32 v7, 28, v6
	v_and_b32_e32 v3, 15, v3
	v_lshlrev_b32_sdwa v7, v7, v9 dst_sel:DWORD dst_unused:UNUSED_PAD src0_sel:DWORD src1_sel:WORD_1
	v_bfe_u32 v4, v9, 19, 4
	v_sub_u32_e32 v6, 29, v6
	v_and_b32_e32 v7, 7, v7
	v_cmp_eq_u16_e32 vcc, 0, v3
	v_cndmask_b32_e32 v2, v2, v7, vcc
	v_cndmask_b32_e32 v3, v4, v6, vcc
	v_lshlrev_b32_e32 v4, 8, v9
	v_mov_b32_e32 v6, 0x3b800000
	v_lshlrev_b32_e32 v2, 20, v2
	v_and_b32_e32 v4, 0x80000000, v4
	v_lshl_add_u32 v3, v3, 23, v6
	v_or3_b32 v2, v4, v3, v2
.LBB1_884:
	s_or_b64 exec, exec, s[6:7]
	s_movk_i32 s4, 0xff
	v_and_b32_sdwa v3, v5, s4 dst_sel:DWORD dst_unused:UNUSED_PAD src0_sel:WORD_1 src1_sel:DWORD
	s_movk_i32 s4, 0x7f
	v_cmp_lt_i16_e32 vcc, s4, v3
	s_mov_b64 s[4:5], 0
                                        ; implicit-def: $sgpr10
	s_and_saveexec_b64 s[6:7], vcc
	s_xor_b64 s[6:7], exec, s[6:7]
	s_cbranch_execz .LBB1_885
; %bb.36725:
	s_getpc_b64 s[14:15]
.Lpost_getpc4026:
	s_add_u32 s14, s14, (.LBB1_15221-.Lpost_getpc4026)&4294967295
	s_addc_u32 s15, s15, (.LBB1_15221-.Lpost_getpc4026)>>32
	s_setpc_b64 s[14:15]
.LBB1_885:
	s_or_saveexec_b64 s[6:7], s[6:7]
	v_mov_b32_e32 v4, s10
	s_xor_b64 exec, exec, s[6:7]
	s_cbranch_execz .LBB1_886
; %bb.36727:
	s_getpc_b64 s[14:15]
.Lpost_getpc4027:
	s_add_u32 s14, s14, (.LBB1_15224-.Lpost_getpc4027)&4294967295
	s_addc_u32 s15, s15, (.LBB1_15224-.Lpost_getpc4027)>>32
	s_setpc_b64 s[14:15]
.LBB1_886:
	s_or_b64 exec, exec, s[6:7]
	s_and_saveexec_b64 s[6:7], s[4:5]
	s_cbranch_execz .LBB1_888
.LBB1_887:
	v_bfe_u32 v3, v5, 16, 3
	v_ffbh_u32_e32 v7, v3
	v_min_u32_e32 v7, 32, v7
	v_lshrrev_b32_e32 v4, 19, v5
	v_subrev_u32_e32 v8, 28, v7
	v_and_b32_e32 v4, 15, v4
	v_lshlrev_b32_sdwa v8, v8, v5 dst_sel:DWORD dst_unused:UNUSED_PAD src0_sel:DWORD src1_sel:WORD_1
	v_bfe_u32 v6, v5, 19, 4
	v_sub_u32_e32 v7, 29, v7
	v_and_b32_e32 v8, 7, v8
	v_cmp_eq_u16_e32 vcc, 0, v4
	v_cndmask_b32_e32 v3, v3, v8, vcc
	v_cndmask_b32_e32 v4, v6, v7, vcc
	v_lshlrev_b32_e32 v6, 8, v5
	v_mov_b32_e32 v7, 0x3b800000
	v_lshlrev_b32_e32 v3, 20, v3
	v_and_b32_e32 v6, 0x80000000, v6
	v_lshl_add_u32 v4, v4, 23, v7
	v_or3_b32 v4, v6, v4, v3
.LBB1_888:
	s_or_b64 exec, exec, s[6:7]
	s_nop 0
	v_mfma_f32_16x16x4f32 a[0:3], v2, v4, a[0:3]
	s_movk_i32 s4, 0x7f
	v_cmp_gt_i16_sdwa s[6:7], v9, s4 src0_sel:BYTE_3 src1_sel:DWORD
	s_mov_b64 s[4:5], 0
                                        ; implicit-def: $sgpr10
	s_and_saveexec_b64 s[8:9], s[6:7]
	s_xor_b64 s[6:7], exec, s[8:9]
	s_cbranch_execz .LBB1_889
; %bb.36729:
	s_getpc_b64 s[14:15]
.Lpost_getpc4028:
	s_add_u32 s14, s14, (.LBB1_15225-.Lpost_getpc4028)&4294967295
	s_addc_u32 s15, s15, (.LBB1_15225-.Lpost_getpc4028)>>32
	s_setpc_b64 s[14:15]
.LBB1_889:
	s_or_saveexec_b64 s[6:7], s[6:7]
	v_mov_b32_e32 v2, s10
	s_xor_b64 exec, exec, s[6:7]
	s_cbranch_execz .LBB1_890
; %bb.36731:
	s_getpc_b64 s[14:15]
.Lpost_getpc4029:
	s_add_u32 s14, s14, (.LBB1_15228-.Lpost_getpc4029)&4294967295
	s_addc_u32 s15, s15, (.LBB1_15228-.Lpost_getpc4029)>>32
	s_setpc_b64 s[14:15]
.LBB1_890:
	s_or_b64 exec, exec, s[6:7]
	s_and_saveexec_b64 s[6:7], s[4:5]
	s_cbranch_execz .LBB1_892
.LBB1_891:
	v_bfe_u32 v2, v9, 24, 3
	v_ffbh_u32_e32 v7, v2
	v_min_u32_e32 v7, 32, v7
	v_lshrrev_b32_e32 v4, 27, v9
	v_subrev_u32_e32 v8, 28, v7
	v_and_b32_e32 v4, 15, v4
	v_lshlrev_b32_sdwa v8, v8, v9 dst_sel:DWORD dst_unused:UNUSED_PAD src0_sel:DWORD src1_sel:BYTE_3
	v_bfe_u32 v6, v9, 27, 4
	v_sub_u32_e32 v7, 29, v7
	v_and_b32_e32 v8, 7, v8
	v_cmp_eq_u16_e32 vcc, 0, v4
	v_cndmask_b32_e32 v2, v2, v8, vcc
	v_cndmask_b32_e32 v4, v6, v7, vcc
	v_mov_b32_e32 v6, 0x3b800000
	v_and_b32_e32 v3, 0x80000000, v9
	v_lshlrev_b32_e32 v2, 20, v2
	v_lshl_add_u32 v4, v4, 23, v6
	v_or3_b32 v2, v3, v4, v2
.LBB1_892:
	s_or_b64 exec, exec, s[6:7]
	s_movk_i32 s4, 0x7f
	v_cmp_gt_i16_sdwa s[6:7], v5, s4 src0_sel:BYTE_3 src1_sel:DWORD
	s_mov_b64 s[4:5], 0
                                        ; implicit-def: $sgpr10
	s_and_saveexec_b64 s[8:9], s[6:7]
	s_xor_b64 s[6:7], exec, s[8:9]
	s_cbranch_execz .LBB1_893
; %bb.36733:
	s_getpc_b64 s[14:15]
.Lpost_getpc4030:
	s_add_u32 s14, s14, (.LBB1_15229-.Lpost_getpc4030)&4294967295
	s_addc_u32 s15, s15, (.LBB1_15229-.Lpost_getpc4030)>>32
	s_setpc_b64 s[14:15]
.LBB1_893:
	s_or_saveexec_b64 s[6:7], s[6:7]
	v_mov_b32_e32 v3, s10
	s_xor_b64 exec, exec, s[6:7]
	s_cbranch_execz .LBB1_894
; %bb.36735:
	s_getpc_b64 s[14:15]
.Lpost_getpc4031:
	s_add_u32 s14, s14, (.LBB1_15232-.Lpost_getpc4031)&4294967295
	s_addc_u32 s15, s15, (.LBB1_15232-.Lpost_getpc4031)>>32
	s_setpc_b64 s[14:15]
.LBB1_894:
	s_or_b64 exec, exec, s[6:7]
	s_and_saveexec_b64 s[6:7], s[4:5]
	s_cbranch_execz .LBB1_896
.LBB1_895:
	v_bfe_u32 v3, v5, 24, 3
	v_ffbh_u32_e32 v8, v3
	v_min_u32_e32 v8, 32, v8
	v_lshrrev_b32_e32 v6, 27, v5
	v_subrev_u32_e32 v9, 28, v8
	v_and_b32_e32 v4, 0x80000000, v5
	v_and_b32_e32 v6, 15, v6
	v_bfe_u32 v7, v5, 27, 4
	v_lshlrev_b32_sdwa v5, v9, v5 dst_sel:DWORD dst_unused:UNUSED_PAD src0_sel:DWORD src1_sel:BYTE_3
	v_sub_u32_e32 v8, 29, v8
	v_and_b32_e32 v5, 7, v5
	v_cmp_eq_u16_e32 vcc, 0, v6
	v_cndmask_b32_e32 v3, v3, v5, vcc
	v_cndmask_b32_e32 v5, v7, v8, vcc
	v_mov_b32_e32 v6, 0x3b800000
	v_lshlrev_b32_e32 v3, 20, v3
	v_lshl_add_u32 v5, v5, 23, v6
	v_or3_b32 v3, v4, v5, v3
.LBB1_896:
	s_or_b64 exec, exec, s[6:7]
	s_nop 0
	v_mfma_f32_16x16x4f32 a[0:3], v2, v3, a[0:3]
	s_movk_i32 s4, 0x7f
                                        ; implicit-def: $sgpr10
	s_nop 7
	s_nop 1
	flat_store_dwordx4 v[10:11], a[0:3] offset:96
	flat_load_dwordx4 v[12:15], v[0:1]
	s_nop 0
	flat_load_dwordx2 v[10:11], v[0:1] offset:16
	s_waitcnt vmcnt(0) lgkmcnt(0)
	flat_load_dwordx4 v[6:9], v[12:13]
	flat_load_dwordx4 v[2:5], v[14:15] offset:112
	s_waitcnt vmcnt(0) lgkmcnt(0)
	v_cmp_gt_i16_sdwa s[6:7], v6, s4 src0_sel:BYTE_0 src1_sel:DWORD
	s_mov_b64 s[4:5], 0
	s_and_saveexec_b64 s[8:9], s[6:7]
	s_xor_b64 s[6:7], exec, s[8:9]
	s_cbranch_execz .LBB1_897
; %bb.36737:
	s_getpc_b64 s[14:15]
.Lpost_getpc4032:
	s_add_u32 s14, s14, (.LBB1_15233-.Lpost_getpc4032)&4294967295
	s_addc_u32 s15, s15, (.LBB1_15233-.Lpost_getpc4032)>>32
	s_setpc_b64 s[14:15]
.LBB1_897:
	s_or_saveexec_b64 s[6:7], s[6:7]
	v_mov_b32_e32 v12, s10
	s_xor_b64 exec, exec, s[6:7]
	s_cbranch_execz .LBB1_898
; %bb.36739:
	s_getpc_b64 s[14:15]
.Lpost_getpc4033:
	s_add_u32 s14, s14, (.LBB1_15236-.Lpost_getpc4033)&4294967295
	s_addc_u32 s15, s15, (.LBB1_15236-.Lpost_getpc4033)>>32
	s_setpc_b64 s[14:15]
.LBB1_898:
	s_or_b64 exec, exec, s[6:7]
	s_and_saveexec_b64 s[6:7], s[4:5]
	s_cbranch_execz .LBB1_900
.LBB1_899:
	v_and_b32_e32 v12, 7, v6
	v_ffbh_u32_e32 v14, v12
	v_min_u32_e32 v14, 32, v14
	v_lshrrev_b16_e32 v13, 3, v6
	v_subrev_u32_e32 v15, 28, v14
	v_and_b32_e32 v13, 15, v13
	v_lshlrev_b32_e32 v15, v15, v6
	v_sub_u32_e32 v14, 29, v14
	v_and_b32_e32 v15, 7, v15
	v_cmp_eq_u16_e32 vcc, 0, v13
	v_cndmask_b32_e32 v12, v12, v15, vcc
	v_cndmask_b32_e32 v13, v13, v14, vcc
	v_lshlrev_b32_e32 v14, 24, v6
	v_mov_b32_e32 v15, 0x3b800000
	v_lshlrev_b32_e32 v12, 20, v12
	v_and_b32_e32 v14, 0x80000000, v14
	v_lshl_add_u32 v13, v13, 23, v15
	v_or3_b32 v12, v14, v13, v12
.LBB1_900:
	s_or_b64 exec, exec, s[6:7]
	s_movk_i32 s4, 0x7f
	v_cmp_gt_i16_sdwa s[6:7], v2, s4 src0_sel:BYTE_0 src1_sel:DWORD
	s_mov_b64 s[4:5], 0
                                        ; implicit-def: $sgpr10
	s_and_saveexec_b64 s[8:9], s[6:7]
	s_xor_b64 s[6:7], exec, s[8:9]
	s_cbranch_execz .LBB1_901
; %bb.36741:
	s_getpc_b64 s[14:15]
.Lpost_getpc4034:
	s_add_u32 s14, s14, (.LBB1_15237-.Lpost_getpc4034)&4294967295
	s_addc_u32 s15, s15, (.LBB1_15237-.Lpost_getpc4034)>>32
	s_setpc_b64 s[14:15]
.LBB1_901:
	s_or_saveexec_b64 s[6:7], s[6:7]
	v_mov_b32_e32 v13, s10
	s_xor_b64 exec, exec, s[6:7]
	s_cbranch_execz .LBB1_902
; %bb.36743:
	s_getpc_b64 s[14:15]
.Lpost_getpc4035:
	s_add_u32 s14, s14, (.LBB1_15240-.Lpost_getpc4035)&4294967295
	s_addc_u32 s15, s15, (.LBB1_15240-.Lpost_getpc4035)>>32
	s_setpc_b64 s[14:15]
.LBB1_902:
	s_or_b64 exec, exec, s[6:7]
	s_and_saveexec_b64 s[6:7], s[4:5]
	s_cbranch_execz .LBB1_904
.LBB1_903:
	v_and_b32_e32 v13, 7, v2
	v_ffbh_u32_e32 v15, v13
	v_min_u32_e32 v15, 32, v15
	v_lshrrev_b16_e32 v14, 3, v2
	v_subrev_u32_e32 v16, 28, v15
	v_and_b32_e32 v14, 15, v14
	v_lshlrev_b32_e32 v16, v16, v2
	v_sub_u32_e32 v15, 29, v15
	v_and_b32_e32 v16, 7, v16
	v_cmp_eq_u16_e32 vcc, 0, v14
	v_cndmask_b32_e32 v13, v13, v16, vcc
	v_cndmask_b32_e32 v14, v14, v15, vcc
	v_lshlrev_b32_e32 v15, 24, v2
	v_mov_b32_e32 v16, 0x3b800000
	v_lshlrev_b32_e32 v13, 20, v13
	v_and_b32_e32 v15, 0x80000000, v15
	v_lshl_add_u32 v14, v14, 23, v16
	v_or3_b32 v13, v15, v14, v13
.LBB1_904:
	s_or_b64 exec, exec, s[6:7]
	flat_load_dwordx4 a[0:3], v[10:11] offset:112
	s_movk_i32 s4, 0x7f
                                        ; implicit-def: $sgpr10
	s_waitcnt vmcnt(0) lgkmcnt(0)
	v_mfma_f32_16x16x4f32 a[0:3], v12, v13, a[0:3]
	v_lshrrev_b32_e32 v13, 8, v6
	v_cmp_gt_i16_sdwa s[6:7], v13, s4 src0_sel:BYTE_0 src1_sel:DWORD
	s_mov_b64 s[4:5], 0
	s_and_saveexec_b64 s[8:9], s[6:7]
	s_xor_b64 s[6:7], exec, s[8:9]
	s_cbranch_execz .LBB1_905
; %bb.36745:
	s_getpc_b64 s[14:15]
.Lpost_getpc4036:
	s_add_u32 s14, s14, (.LBB1_15241-.Lpost_getpc4036)&4294967295
	s_addc_u32 s15, s15, (.LBB1_15241-.Lpost_getpc4036)>>32
	s_setpc_b64 s[14:15]
.LBB1_905:
	s_or_saveexec_b64 s[6:7], s[6:7]
	v_mov_b32_e32 v12, s10
	s_xor_b64 exec, exec, s[6:7]
	s_cbranch_execz .LBB1_906
; %bb.36747:
	s_getpc_b64 s[14:15]
.Lpost_getpc4037:
	s_add_u32 s14, s14, (.LBB1_15244-.Lpost_getpc4037)&4294967295
	s_addc_u32 s15, s15, (.LBB1_15244-.Lpost_getpc4037)>>32
	s_setpc_b64 s[14:15]
.LBB1_906:
	s_or_b64 exec, exec, s[6:7]
	s_and_saveexec_b64 s[6:7], s[4:5]
	s_cbranch_execz .LBB1_908
.LBB1_907:
	v_bfe_u32 v12, v6, 8, 3
	v_ffbh_u32_e32 v15, v12
	v_min_u32_e32 v15, 32, v15
	v_lshrrev_b16_e32 v14, 3, v13
	v_subrev_u32_e32 v16, 28, v15
	v_and_b32_e32 v14, 15, v14
	v_lshlrev_b32_e32 v13, v16, v13
	v_sub_u32_e32 v15, 29, v15
	v_and_b32_e32 v13, 7, v13
	v_cmp_eq_u16_e32 vcc, 0, v14
	v_cndmask_b32_e32 v12, v12, v13, vcc
	v_cndmask_b32_e32 v13, v14, v15, vcc
	v_lshlrev_b32_e32 v14, 16, v6
	v_mov_b32_e32 v15, 0x3b800000
	v_lshlrev_b32_e32 v12, 20, v12
	v_and_b32_e32 v14, 0x80000000, v14
	v_lshl_add_u32 v13, v13, 23, v15
	v_or3_b32 v12, v14, v13, v12
.LBB1_908:
	s_or_b64 exec, exec, s[6:7]
	v_lshrrev_b32_e32 v13, 8, v2
	s_movk_i32 s4, 0x7f
	v_cmp_gt_i16_sdwa s[6:7], v13, s4 src0_sel:BYTE_0 src1_sel:DWORD
	s_mov_b64 s[4:5], 0
                                        ; implicit-def: $sgpr10
	s_and_saveexec_b64 s[8:9], s[6:7]
	s_xor_b64 s[6:7], exec, s[8:9]
	s_cbranch_execz .LBB1_909
; %bb.36749:
	s_getpc_b64 s[14:15]
.Lpost_getpc4038:
	s_add_u32 s14, s14, (.LBB1_15245-.Lpost_getpc4038)&4294967295
	s_addc_u32 s15, s15, (.LBB1_15245-.Lpost_getpc4038)>>32
	s_setpc_b64 s[14:15]
.LBB1_909:
	s_or_saveexec_b64 s[6:7], s[6:7]
	v_mov_b32_e32 v14, s10
	s_xor_b64 exec, exec, s[6:7]
	s_cbranch_execz .LBB1_910
; %bb.36751:
	s_getpc_b64 s[14:15]
.Lpost_getpc4039:
	s_add_u32 s14, s14, (.LBB1_15248-.Lpost_getpc4039)&4294967295
	s_addc_u32 s15, s15, (.LBB1_15248-.Lpost_getpc4039)>>32
	s_setpc_b64 s[14:15]
.LBB1_910:
	s_or_b64 exec, exec, s[6:7]
	s_and_saveexec_b64 s[6:7], s[4:5]
	s_cbranch_execz .LBB1_912
.LBB1_911:
	v_bfe_u32 v14, v2, 8, 3
	v_ffbh_u32_e32 v16, v14
	v_min_u32_e32 v16, 32, v16
	v_lshrrev_b16_e32 v15, 3, v13
	v_subrev_u32_e32 v17, 28, v16
	v_and_b32_e32 v15, 15, v15
	v_lshlrev_b32_e32 v13, v17, v13
	v_sub_u32_e32 v16, 29, v16
	v_and_b32_e32 v13, 7, v13
	v_cmp_eq_u16_e32 vcc, 0, v15
	v_cndmask_b32_e32 v13, v14, v13, vcc
	v_cndmask_b32_e32 v14, v15, v16, vcc
	v_lshlrev_b32_e32 v15, 16, v2
	v_mov_b32_e32 v16, 0x3b800000
	v_lshlrev_b32_e32 v13, 20, v13
	v_and_b32_e32 v15, 0x80000000, v15
	v_lshl_add_u32 v14, v14, 23, v16
	v_or3_b32 v14, v15, v14, v13
.LBB1_912:
	s_or_b64 exec, exec, s[6:7]
	s_nop 0
	v_mfma_f32_16x16x4f32 a[0:3], v12, v14, a[0:3]
	s_movk_i32 s4, 0xff
	v_and_b32_sdwa v13, v6, s4 dst_sel:DWORD dst_unused:UNUSED_PAD src0_sel:WORD_1 src1_sel:DWORD
	s_movk_i32 s4, 0x7f
	v_cmp_lt_i16_e32 vcc, s4, v13
	s_mov_b64 s[4:5], 0
                                        ; implicit-def: $sgpr10
	s_and_saveexec_b64 s[6:7], vcc
	s_xor_b64 s[6:7], exec, s[6:7]
	s_cbranch_execz .LBB1_913
; %bb.36753:
	s_getpc_b64 s[14:15]
.Lpost_getpc4040:
	s_add_u32 s14, s14, (.LBB1_15249-.Lpost_getpc4040)&4294967295
	s_addc_u32 s15, s15, (.LBB1_15249-.Lpost_getpc4040)>>32
	s_setpc_b64 s[14:15]
.LBB1_913:
	s_or_saveexec_b64 s[6:7], s[6:7]
	v_mov_b32_e32 v12, s10
	s_xor_b64 exec, exec, s[6:7]
	s_cbranch_execz .LBB1_914
; %bb.36755:
	s_getpc_b64 s[14:15]
.Lpost_getpc4041:
	s_add_u32 s14, s14, (.LBB1_15252-.Lpost_getpc4041)&4294967295
	s_addc_u32 s15, s15, (.LBB1_15252-.Lpost_getpc4041)>>32
	s_setpc_b64 s[14:15]
.LBB1_914:
	s_or_b64 exec, exec, s[6:7]
	s_and_saveexec_b64 s[6:7], s[4:5]
	s_cbranch_execz .LBB1_916
.LBB1_915:
	v_bfe_u32 v12, v6, 16, 3
	v_ffbh_u32_e32 v15, v12
	v_min_u32_e32 v15, 32, v15
	v_lshrrev_b32_e32 v13, 19, v6
	v_subrev_u32_e32 v16, 28, v15
	v_and_b32_e32 v13, 15, v13
	v_lshlrev_b32_sdwa v16, v16, v6 dst_sel:DWORD dst_unused:UNUSED_PAD src0_sel:DWORD src1_sel:WORD_1
	v_bfe_u32 v14, v6, 19, 4
	v_sub_u32_e32 v15, 29, v15
	v_and_b32_e32 v16, 7, v16
	v_cmp_eq_u16_e32 vcc, 0, v13
	v_cndmask_b32_e32 v12, v12, v16, vcc
	v_cndmask_b32_e32 v13, v14, v15, vcc
	v_lshlrev_b32_e32 v14, 8, v6
	v_mov_b32_e32 v15, 0x3b800000
	v_lshlrev_b32_e32 v12, 20, v12
	v_and_b32_e32 v14, 0x80000000, v14
	v_lshl_add_u32 v13, v13, 23, v15
	v_or3_b32 v12, v14, v13, v12
.LBB1_916:
	s_or_b64 exec, exec, s[6:7]
	s_movk_i32 s4, 0xff
	v_and_b32_sdwa v13, v2, s4 dst_sel:DWORD dst_unused:UNUSED_PAD src0_sel:WORD_1 src1_sel:DWORD
	s_movk_i32 s4, 0x7f
	v_cmp_lt_i16_e32 vcc, s4, v13
	s_mov_b64 s[4:5], 0
                                        ; implicit-def: $sgpr10
	s_and_saveexec_b64 s[6:7], vcc
	s_xor_b64 s[6:7], exec, s[6:7]
	s_cbranch_execz .LBB1_917
; %bb.36757:
	s_getpc_b64 s[14:15]
.Lpost_getpc4042:
	s_add_u32 s14, s14, (.LBB1_15253-.Lpost_getpc4042)&4294967295
	s_addc_u32 s15, s15, (.LBB1_15253-.Lpost_getpc4042)>>32
	s_setpc_b64 s[14:15]
.LBB1_917:
	s_or_saveexec_b64 s[6:7], s[6:7]
	v_mov_b32_e32 v14, s10
	s_xor_b64 exec, exec, s[6:7]
	s_cbranch_execz .LBB1_918
; %bb.36759:
	s_getpc_b64 s[14:15]
.Lpost_getpc4043:
	s_add_u32 s14, s14, (.LBB1_15256-.Lpost_getpc4043)&4294967295
	s_addc_u32 s15, s15, (.LBB1_15256-.Lpost_getpc4043)>>32
	s_setpc_b64 s[14:15]
.LBB1_918:
	s_or_b64 exec, exec, s[6:7]
	s_and_saveexec_b64 s[6:7], s[4:5]
	s_cbranch_execz .LBB1_920
.LBB1_919:
	v_bfe_u32 v13, v2, 16, 3
	v_ffbh_u32_e32 v16, v13
	v_min_u32_e32 v16, 32, v16
	v_lshrrev_b32_e32 v14, 19, v2
	v_subrev_u32_e32 v17, 28, v16
	v_and_b32_e32 v14, 15, v14
	v_lshlrev_b32_sdwa v17, v17, v2 dst_sel:DWORD dst_unused:UNUSED_PAD src0_sel:DWORD src1_sel:WORD_1
	v_bfe_u32 v15, v2, 19, 4
	v_sub_u32_e32 v16, 29, v16
	v_and_b32_e32 v17, 7, v17
	v_cmp_eq_u16_e32 vcc, 0, v14
	v_cndmask_b32_e32 v13, v13, v17, vcc
	v_cndmask_b32_e32 v14, v15, v16, vcc
	v_lshlrev_b32_e32 v15, 8, v2
	v_mov_b32_e32 v16, 0x3b800000
	v_lshlrev_b32_e32 v13, 20, v13
	v_and_b32_e32 v15, 0x80000000, v15
	v_lshl_add_u32 v14, v14, 23, v16
	v_or3_b32 v14, v15, v14, v13
.LBB1_920:
	s_or_b64 exec, exec, s[6:7]
	s_nop 0
	v_mfma_f32_16x16x4f32 a[0:3], v12, v14, a[0:3]
	s_movk_i32 s4, 0x7f
	v_cmp_gt_i16_sdwa s[6:7], v6, s4 src0_sel:BYTE_3 src1_sel:DWORD
	s_mov_b64 s[4:5], 0
                                        ; implicit-def: $sgpr10
	s_and_saveexec_b64 s[8:9], s[6:7]
	s_xor_b64 s[6:7], exec, s[8:9]
	s_cbranch_execz .LBB1_921
; %bb.36761:
	s_getpc_b64 s[14:15]
.Lpost_getpc4044:
	s_add_u32 s14, s14, (.LBB1_15257-.Lpost_getpc4044)&4294967295
	s_addc_u32 s15, s15, (.LBB1_15257-.Lpost_getpc4044)>>32
	s_setpc_b64 s[14:15]
.LBB1_921:
	s_or_saveexec_b64 s[6:7], s[6:7]
	v_mov_b32_e32 v12, s10
	s_xor_b64 exec, exec, s[6:7]
	s_cbranch_execz .LBB1_922
; %bb.36763:
	s_getpc_b64 s[14:15]
.Lpost_getpc4045:
	s_add_u32 s14, s14, (.LBB1_15260-.Lpost_getpc4045)&4294967295
	s_addc_u32 s15, s15, (.LBB1_15260-.Lpost_getpc4045)>>32
	s_setpc_b64 s[14:15]
.LBB1_922:
	s_or_b64 exec, exec, s[6:7]
	s_and_saveexec_b64 s[6:7], s[4:5]
	s_cbranch_execz .LBB1_924
.LBB1_923:
	v_bfe_u32 v12, v6, 24, 3
	v_ffbh_u32_e32 v16, v12
	v_min_u32_e32 v16, 32, v16
	v_lshrrev_b32_e32 v14, 27, v6
	v_subrev_u32_e32 v17, 28, v16
	v_and_b32_e32 v13, 0x80000000, v6
	v_and_b32_e32 v14, 15, v14
	v_bfe_u32 v15, v6, 27, 4
	v_lshlrev_b32_sdwa v6, v17, v6 dst_sel:DWORD dst_unused:UNUSED_PAD src0_sel:DWORD src1_sel:BYTE_3
	v_sub_u32_e32 v16, 29, v16
	v_and_b32_e32 v6, 7, v6
	v_cmp_eq_u16_e32 vcc, 0, v14
	v_cndmask_b32_e32 v6, v12, v6, vcc
	v_cndmask_b32_e32 v12, v15, v16, vcc
	v_mov_b32_e32 v14, 0x3b800000
	v_lshlrev_b32_e32 v6, 20, v6
	v_lshl_add_u32 v12, v12, 23, v14
	v_or3_b32 v12, v13, v12, v6
.LBB1_924:
	s_or_b64 exec, exec, s[6:7]
	s_movk_i32 s4, 0x7f
	v_cmp_gt_i16_sdwa s[6:7], v2, s4 src0_sel:BYTE_3 src1_sel:DWORD
	s_mov_b64 s[4:5], 0
                                        ; implicit-def: $sgpr10
	s_and_saveexec_b64 s[8:9], s[6:7]
	s_xor_b64 s[6:7], exec, s[8:9]
	s_cbranch_execz .LBB1_925
; %bb.36765:
	s_getpc_b64 s[14:15]
.Lpost_getpc4046:
	s_add_u32 s14, s14, (.LBB1_15261-.Lpost_getpc4046)&4294967295
	s_addc_u32 s15, s15, (.LBB1_15261-.Lpost_getpc4046)>>32
	s_setpc_b64 s[14:15]
.LBB1_925:
	s_or_saveexec_b64 s[6:7], s[6:7]
	v_mov_b32_e32 v6, s10
	s_xor_b64 exec, exec, s[6:7]
	s_cbranch_execz .LBB1_926
; %bb.36767:
	s_getpc_b64 s[14:15]
.Lpost_getpc4047:
	s_add_u32 s14, s14, (.LBB1_15264-.Lpost_getpc4047)&4294967295
	s_addc_u32 s15, s15, (.LBB1_15264-.Lpost_getpc4047)>>32
	s_setpc_b64 s[14:15]
.LBB1_926:
	s_or_b64 exec, exec, s[6:7]
	s_and_saveexec_b64 s[6:7], s[4:5]
	s_cbranch_execz .LBB1_928
.LBB1_927:
	v_bfe_u32 v6, v2, 24, 3
	v_ffbh_u32_e32 v16, v6
	v_min_u32_e32 v16, 32, v16
	v_lshrrev_b32_e32 v14, 27, v2
	v_subrev_u32_e32 v17, 28, v16
	v_and_b32_e32 v13, 0x80000000, v2
	v_and_b32_e32 v14, 15, v14
	v_bfe_u32 v15, v2, 27, 4
	v_lshlrev_b32_sdwa v2, v17, v2 dst_sel:DWORD dst_unused:UNUSED_PAD src0_sel:DWORD src1_sel:BYTE_3
	v_sub_u32_e32 v16, 29, v16
	v_and_b32_e32 v2, 7, v2
	v_cmp_eq_u16_e32 vcc, 0, v14
	v_cndmask_b32_e32 v2, v6, v2, vcc
	v_cndmask_b32_e32 v6, v15, v16, vcc
	v_mov_b32_e32 v14, 0x3b800000
	v_lshlrev_b32_e32 v2, 20, v2
	v_lshl_add_u32 v6, v6, 23, v14
	v_or3_b32 v6, v13, v6, v2
.LBB1_928:
	s_or_b64 exec, exec, s[6:7]
	s_nop 0
	v_mfma_f32_16x16x4f32 a[0:3], v12, v6, a[0:3]
	s_movk_i32 s4, 0x7f
	v_cmp_gt_i16_sdwa s[6:7], v7, s4 src0_sel:BYTE_0 src1_sel:DWORD
	s_mov_b64 s[4:5], 0
                                        ; implicit-def: $sgpr10
	s_and_saveexec_b64 s[8:9], s[6:7]
	s_xor_b64 s[6:7], exec, s[8:9]
	s_cbranch_execz .LBB1_929
; %bb.36769:
	s_getpc_b64 s[14:15]
.Lpost_getpc4048:
	s_add_u32 s14, s14, (.LBB1_15265-.Lpost_getpc4048)&4294967295
	s_addc_u32 s15, s15, (.LBB1_15265-.Lpost_getpc4048)>>32
	s_setpc_b64 s[14:15]
.LBB1_929:
	s_or_saveexec_b64 s[6:7], s[6:7]
	v_mov_b32_e32 v2, s10
	s_xor_b64 exec, exec, s[6:7]
	s_cbranch_execz .LBB1_930
; %bb.36771:
	s_getpc_b64 s[14:15]
.Lpost_getpc4049:
	s_add_u32 s14, s14, (.LBB1_15268-.Lpost_getpc4049)&4294967295
	s_addc_u32 s15, s15, (.LBB1_15268-.Lpost_getpc4049)>>32
	s_setpc_b64 s[14:15]
.LBB1_930:
	s_or_b64 exec, exec, s[6:7]
	s_and_saveexec_b64 s[6:7], s[4:5]
	s_cbranch_execz .LBB1_932
.LBB1_931:
	v_and_b32_e32 v2, 7, v7
	v_ffbh_u32_e32 v12, v2
	v_min_u32_e32 v12, 32, v12
	v_lshrrev_b16_e32 v6, 3, v7
	v_subrev_u32_e32 v13, 28, v12
	v_and_b32_e32 v6, 15, v6
	v_lshlrev_b32_e32 v13, v13, v7
	v_sub_u32_e32 v12, 29, v12
	v_and_b32_e32 v13, 7, v13
	v_cmp_eq_u16_e32 vcc, 0, v6
	v_cndmask_b32_e32 v2, v2, v13, vcc
	v_cndmask_b32_e32 v6, v6, v12, vcc
	v_lshlrev_b32_e32 v12, 24, v7
	v_mov_b32_e32 v13, 0x3b800000
	v_lshlrev_b32_e32 v2, 20, v2
	v_and_b32_e32 v12, 0x80000000, v12
	v_lshl_add_u32 v6, v6, 23, v13
	v_or3_b32 v2, v12, v6, v2
.LBB1_932:
	s_or_b64 exec, exec, s[6:7]
	s_movk_i32 s4, 0x7f
	v_cmp_gt_i16_sdwa s[6:7], v3, s4 src0_sel:BYTE_0 src1_sel:DWORD
	s_mov_b64 s[4:5], 0
                                        ; implicit-def: $sgpr10
	s_and_saveexec_b64 s[8:9], s[6:7]
	s_xor_b64 s[6:7], exec, s[8:9]
	s_cbranch_execz .LBB1_933
; %bb.36773:
	s_getpc_b64 s[14:15]
.Lpost_getpc4050:
	s_add_u32 s14, s14, (.LBB1_15269-.Lpost_getpc4050)&4294967295
	s_addc_u32 s15, s15, (.LBB1_15269-.Lpost_getpc4050)>>32
	s_setpc_b64 s[14:15]
.LBB1_933:
	s_or_saveexec_b64 s[6:7], s[6:7]
	v_mov_b32_e32 v6, s10
	s_xor_b64 exec, exec, s[6:7]
	s_cbranch_execz .LBB1_934
; %bb.36775:
	s_getpc_b64 s[14:15]
.Lpost_getpc4051:
	s_add_u32 s14, s14, (.LBB1_15272-.Lpost_getpc4051)&4294967295
	s_addc_u32 s15, s15, (.LBB1_15272-.Lpost_getpc4051)>>32
	s_setpc_b64 s[14:15]
.LBB1_934:
	s_or_b64 exec, exec, s[6:7]
	s_and_saveexec_b64 s[6:7], s[4:5]
	s_cbranch_execz .LBB1_936
.LBB1_935:
	v_and_b32_e32 v6, 7, v3
	v_ffbh_u32_e32 v13, v6
	v_min_u32_e32 v13, 32, v13
	v_lshrrev_b16_e32 v12, 3, v3
	v_subrev_u32_e32 v14, 28, v13
	v_and_b32_e32 v12, 15, v12
	v_lshlrev_b32_e32 v14, v14, v3
	v_sub_u32_e32 v13, 29, v13
	v_and_b32_e32 v14, 7, v14
	v_cmp_eq_u16_e32 vcc, 0, v12
	v_cndmask_b32_e32 v6, v6, v14, vcc
	v_cndmask_b32_e32 v12, v12, v13, vcc
	v_lshlrev_b32_e32 v13, 24, v3
	v_mov_b32_e32 v14, 0x3b800000
	v_lshlrev_b32_e32 v6, 20, v6
	v_and_b32_e32 v13, 0x80000000, v13
	v_lshl_add_u32 v12, v12, 23, v14
	v_or3_b32 v6, v13, v12, v6
.LBB1_936:
	s_or_b64 exec, exec, s[6:7]
	s_nop 0
	v_mfma_f32_16x16x4f32 a[0:3], v2, v6, a[0:3]
	v_lshrrev_b32_e32 v6, 8, v7
	s_movk_i32 s4, 0x7f
	v_cmp_gt_i16_sdwa s[6:7], v6, s4 src0_sel:BYTE_0 src1_sel:DWORD
	s_mov_b64 s[4:5], 0
                                        ; implicit-def: $sgpr10
	s_and_saveexec_b64 s[8:9], s[6:7]
	s_xor_b64 s[6:7], exec, s[8:9]
	s_cbranch_execz .LBB1_937
; %bb.36777:
	s_getpc_b64 s[14:15]
.Lpost_getpc4052:
	s_add_u32 s14, s14, (.LBB1_15273-.Lpost_getpc4052)&4294967295
	s_addc_u32 s15, s15, (.LBB1_15273-.Lpost_getpc4052)>>32
	s_setpc_b64 s[14:15]
.LBB1_937:
	s_or_saveexec_b64 s[6:7], s[6:7]
	v_mov_b32_e32 v2, s10
	s_xor_b64 exec, exec, s[6:7]
	s_cbranch_execz .LBB1_938
; %bb.36779:
	s_getpc_b64 s[14:15]
.Lpost_getpc4053:
	s_add_u32 s14, s14, (.LBB1_15276-.Lpost_getpc4053)&4294967295
	s_addc_u32 s15, s15, (.LBB1_15276-.Lpost_getpc4053)>>32
	s_setpc_b64 s[14:15]
.LBB1_938:
	s_or_b64 exec, exec, s[6:7]
	s_and_saveexec_b64 s[6:7], s[4:5]
	s_cbranch_execz .LBB1_940
.LBB1_939:
	v_bfe_u32 v2, v7, 8, 3
	v_ffbh_u32_e32 v13, v2
	v_min_u32_e32 v13, 32, v13
	v_lshrrev_b16_e32 v12, 3, v6
	v_subrev_u32_e32 v14, 28, v13
	v_and_b32_e32 v12, 15, v12
	v_lshlrev_b32_e32 v6, v14, v6
	v_sub_u32_e32 v13, 29, v13
	v_and_b32_e32 v6, 7, v6
	v_cmp_eq_u16_e32 vcc, 0, v12
	v_cndmask_b32_e32 v2, v2, v6, vcc
	v_cndmask_b32_e32 v6, v12, v13, vcc
	v_lshlrev_b32_e32 v12, 16, v7
	v_mov_b32_e32 v13, 0x3b800000
	v_lshlrev_b32_e32 v2, 20, v2
	v_and_b32_e32 v12, 0x80000000, v12
	v_lshl_add_u32 v6, v6, 23, v13
	v_or3_b32 v2, v12, v6, v2
.LBB1_940:
	s_or_b64 exec, exec, s[6:7]
	v_lshrrev_b32_e32 v6, 8, v3
	s_movk_i32 s4, 0x7f
	v_cmp_gt_i16_sdwa s[6:7], v6, s4 src0_sel:BYTE_0 src1_sel:DWORD
	s_mov_b64 s[4:5], 0
                                        ; implicit-def: $sgpr10
	s_and_saveexec_b64 s[8:9], s[6:7]
	s_xor_b64 s[6:7], exec, s[8:9]
	s_cbranch_execz .LBB1_941
; %bb.36781:
	s_getpc_b64 s[14:15]
.Lpost_getpc4054:
	s_add_u32 s14, s14, (.LBB1_15277-.Lpost_getpc4054)&4294967295
	s_addc_u32 s15, s15, (.LBB1_15277-.Lpost_getpc4054)>>32
	s_setpc_b64 s[14:15]
.LBB1_941:
	s_or_saveexec_b64 s[6:7], s[6:7]
	v_mov_b32_e32 v12, s10
	s_xor_b64 exec, exec, s[6:7]
	s_cbranch_execz .LBB1_942
; %bb.36783:
	s_getpc_b64 s[14:15]
.Lpost_getpc4055:
	s_add_u32 s14, s14, (.LBB1_15280-.Lpost_getpc4055)&4294967295
	s_addc_u32 s15, s15, (.LBB1_15280-.Lpost_getpc4055)>>32
	s_setpc_b64 s[14:15]
.LBB1_942:
	s_or_b64 exec, exec, s[6:7]
	s_and_saveexec_b64 s[6:7], s[4:5]
	s_cbranch_execz .LBB1_944
.LBB1_943:
	v_bfe_u32 v12, v3, 8, 3
	v_ffbh_u32_e32 v14, v12
	v_min_u32_e32 v14, 32, v14
	v_lshrrev_b16_e32 v13, 3, v6
	v_subrev_u32_e32 v15, 28, v14
	v_and_b32_e32 v13, 15, v13
	v_lshlrev_b32_e32 v6, v15, v6
	v_sub_u32_e32 v14, 29, v14
	v_and_b32_e32 v6, 7, v6
	v_cmp_eq_u16_e32 vcc, 0, v13
	v_cndmask_b32_e32 v6, v12, v6, vcc
	v_cndmask_b32_e32 v12, v13, v14, vcc
	v_lshlrev_b32_e32 v13, 16, v3
	v_mov_b32_e32 v14, 0x3b800000
	v_lshlrev_b32_e32 v6, 20, v6
	v_and_b32_e32 v13, 0x80000000, v13
	v_lshl_add_u32 v12, v12, 23, v14
	v_or3_b32 v12, v13, v12, v6
.LBB1_944:
	s_or_b64 exec, exec, s[6:7]
	s_nop 0
	v_mfma_f32_16x16x4f32 a[0:3], v2, v12, a[0:3]
	s_movk_i32 s4, 0xff
	v_and_b32_sdwa v6, v7, s4 dst_sel:DWORD dst_unused:UNUSED_PAD src0_sel:WORD_1 src1_sel:DWORD
	s_movk_i32 s4, 0x7f
	v_cmp_lt_i16_e32 vcc, s4, v6
	s_mov_b64 s[4:5], 0
                                        ; implicit-def: $sgpr10
	s_and_saveexec_b64 s[6:7], vcc
	s_xor_b64 s[6:7], exec, s[6:7]
	s_cbranch_execz .LBB1_945
; %bb.36785:
	s_getpc_b64 s[14:15]
.Lpost_getpc4056:
	s_add_u32 s14, s14, (.LBB1_15281-.Lpost_getpc4056)&4294967295
	s_addc_u32 s15, s15, (.LBB1_15281-.Lpost_getpc4056)>>32
	s_setpc_b64 s[14:15]
.LBB1_945:
	s_or_saveexec_b64 s[6:7], s[6:7]
	v_mov_b32_e32 v2, s10
	s_xor_b64 exec, exec, s[6:7]
	s_cbranch_execz .LBB1_946
; %bb.36787:
	s_getpc_b64 s[14:15]
.Lpost_getpc4057:
	s_add_u32 s14, s14, (.LBB1_15284-.Lpost_getpc4057)&4294967295
	s_addc_u32 s15, s15, (.LBB1_15284-.Lpost_getpc4057)>>32
	s_setpc_b64 s[14:15]
.LBB1_946:
	s_or_b64 exec, exec, s[6:7]
	s_and_saveexec_b64 s[6:7], s[4:5]
	s_cbranch_execz .LBB1_948
.LBB1_947:
	v_bfe_u32 v2, v7, 16, 3
	v_ffbh_u32_e32 v13, v2
	v_min_u32_e32 v13, 32, v13
	v_lshrrev_b32_e32 v6, 19, v7
	v_subrev_u32_e32 v14, 28, v13
	v_and_b32_e32 v6, 15, v6
	v_lshlrev_b32_sdwa v14, v14, v7 dst_sel:DWORD dst_unused:UNUSED_PAD src0_sel:DWORD src1_sel:WORD_1
	v_bfe_u32 v12, v7, 19, 4
	v_sub_u32_e32 v13, 29, v13
	v_and_b32_e32 v14, 7, v14
	v_cmp_eq_u16_e32 vcc, 0, v6
	v_cndmask_b32_e32 v2, v2, v14, vcc
	v_cndmask_b32_e32 v6, v12, v13, vcc
	v_lshlrev_b32_e32 v12, 8, v7
	v_mov_b32_e32 v13, 0x3b800000
	v_lshlrev_b32_e32 v2, 20, v2
	v_and_b32_e32 v12, 0x80000000, v12
	v_lshl_add_u32 v6, v6, 23, v13
	v_or3_b32 v2, v12, v6, v2
.LBB1_948:
	s_or_b64 exec, exec, s[6:7]
	s_movk_i32 s4, 0xff
	v_and_b32_sdwa v6, v3, s4 dst_sel:DWORD dst_unused:UNUSED_PAD src0_sel:WORD_1 src1_sel:DWORD
	s_movk_i32 s4, 0x7f
	v_cmp_lt_i16_e32 vcc, s4, v6
	s_mov_b64 s[4:5], 0
                                        ; implicit-def: $sgpr10
	s_and_saveexec_b64 s[6:7], vcc
	s_xor_b64 s[6:7], exec, s[6:7]
	s_cbranch_execz .LBB1_949
; %bb.36789:
	s_getpc_b64 s[14:15]
.Lpost_getpc4058:
	s_add_u32 s14, s14, (.LBB1_15285-.Lpost_getpc4058)&4294967295
	s_addc_u32 s15, s15, (.LBB1_15285-.Lpost_getpc4058)>>32
	s_setpc_b64 s[14:15]
.LBB1_949:
	s_or_saveexec_b64 s[6:7], s[6:7]
	v_mov_b32_e32 v12, s10
	s_xor_b64 exec, exec, s[6:7]
	s_cbranch_execz .LBB1_950
; %bb.36791:
	s_getpc_b64 s[14:15]
.Lpost_getpc4059:
	s_add_u32 s14, s14, (.LBB1_15288-.Lpost_getpc4059)&4294967295
	s_addc_u32 s15, s15, (.LBB1_15288-.Lpost_getpc4059)>>32
	s_setpc_b64 s[14:15]
.LBB1_950:
	s_or_b64 exec, exec, s[6:7]
	s_and_saveexec_b64 s[6:7], s[4:5]
	s_cbranch_execz .LBB1_952
.LBB1_951:
	v_bfe_u32 v6, v3, 16, 3
	v_ffbh_u32_e32 v14, v6
	v_min_u32_e32 v14, 32, v14
	v_lshrrev_b32_e32 v12, 19, v3
	v_subrev_u32_e32 v15, 28, v14
	v_and_b32_e32 v12, 15, v12
	v_lshlrev_b32_sdwa v15, v15, v3 dst_sel:DWORD dst_unused:UNUSED_PAD src0_sel:DWORD src1_sel:WORD_1
	v_bfe_u32 v13, v3, 19, 4
	v_sub_u32_e32 v14, 29, v14
	v_and_b32_e32 v15, 7, v15
	v_cmp_eq_u16_e32 vcc, 0, v12
	v_cndmask_b32_e32 v6, v6, v15, vcc
	v_cndmask_b32_e32 v12, v13, v14, vcc
	v_lshlrev_b32_e32 v13, 8, v3
	v_mov_b32_e32 v14, 0x3b800000
	v_lshlrev_b32_e32 v6, 20, v6
	v_and_b32_e32 v13, 0x80000000, v13
	v_lshl_add_u32 v12, v12, 23, v14
	v_or3_b32 v12, v13, v12, v6
.LBB1_952:
	s_or_b64 exec, exec, s[6:7]
	s_nop 0
	v_mfma_f32_16x16x4f32 a[0:3], v2, v12, a[0:3]
	s_movk_i32 s4, 0x7f
	v_cmp_gt_i16_sdwa s[6:7], v7, s4 src0_sel:BYTE_3 src1_sel:DWORD
	s_mov_b64 s[4:5], 0
                                        ; implicit-def: $sgpr10
	s_and_saveexec_b64 s[8:9], s[6:7]
	s_xor_b64 s[6:7], exec, s[8:9]
	s_cbranch_execz .LBB1_953
; %bb.36793:
	s_getpc_b64 s[14:15]
.Lpost_getpc4060:
	s_add_u32 s14, s14, (.LBB1_15289-.Lpost_getpc4060)&4294967295
	s_addc_u32 s15, s15, (.LBB1_15289-.Lpost_getpc4060)>>32
	s_setpc_b64 s[14:15]
.LBB1_953:
	s_or_saveexec_b64 s[6:7], s[6:7]
	v_mov_b32_e32 v2, s10
	s_xor_b64 exec, exec, s[6:7]
	s_cbranch_execz .LBB1_954
; %bb.36795:
	s_getpc_b64 s[14:15]
.Lpost_getpc4061:
	s_add_u32 s14, s14, (.LBB1_15292-.Lpost_getpc4061)&4294967295
	s_addc_u32 s15, s15, (.LBB1_15292-.Lpost_getpc4061)>>32
	s_setpc_b64 s[14:15]
.LBB1_954:
	s_or_b64 exec, exec, s[6:7]
	s_and_saveexec_b64 s[6:7], s[4:5]
	s_cbranch_execz .LBB1_956
.LBB1_955:
	v_bfe_u32 v2, v7, 24, 3
	v_ffbh_u32_e32 v14, v2
	v_min_u32_e32 v14, 32, v14
	v_lshrrev_b32_e32 v12, 27, v7
	v_subrev_u32_e32 v15, 28, v14
	v_and_b32_e32 v6, 0x80000000, v7
	v_and_b32_e32 v12, 15, v12
	v_bfe_u32 v13, v7, 27, 4
	v_lshlrev_b32_sdwa v7, v15, v7 dst_sel:DWORD dst_unused:UNUSED_PAD src0_sel:DWORD src1_sel:BYTE_3
	v_sub_u32_e32 v14, 29, v14
	v_and_b32_e32 v7, 7, v7
	v_cmp_eq_u16_e32 vcc, 0, v12
	v_cndmask_b32_e32 v2, v2, v7, vcc
	v_cndmask_b32_e32 v7, v13, v14, vcc
	v_mov_b32_e32 v12, 0x3b800000
	v_lshlrev_b32_e32 v2, 20, v2
	v_lshl_add_u32 v7, v7, 23, v12
	v_or3_b32 v2, v6, v7, v2
.LBB1_956:
	s_or_b64 exec, exec, s[6:7]
	s_movk_i32 s4, 0x7f
	v_cmp_gt_i16_sdwa s[6:7], v3, s4 src0_sel:BYTE_3 src1_sel:DWORD
	s_mov_b64 s[4:5], 0
                                        ; implicit-def: $sgpr10
	s_and_saveexec_b64 s[8:9], s[6:7]
	s_xor_b64 s[6:7], exec, s[8:9]
	s_cbranch_execz .LBB1_957
; %bb.36797:
	s_getpc_b64 s[14:15]
.Lpost_getpc4062:
	s_add_u32 s14, s14, (.LBB1_15293-.Lpost_getpc4062)&4294967295
	s_addc_u32 s15, s15, (.LBB1_15293-.Lpost_getpc4062)>>32
	s_setpc_b64 s[14:15]
.LBB1_957:
	s_or_saveexec_b64 s[6:7], s[6:7]
	v_mov_b32_e32 v6, s10
	s_xor_b64 exec, exec, s[6:7]
	s_cbranch_execz .LBB1_958
; %bb.36799:
	s_getpc_b64 s[14:15]
.Lpost_getpc4063:
	s_add_u32 s14, s14, (.LBB1_15296-.Lpost_getpc4063)&4294967295
	s_addc_u32 s15, s15, (.LBB1_15296-.Lpost_getpc4063)>>32
	s_setpc_b64 s[14:15]
.LBB1_958:
	s_or_b64 exec, exec, s[6:7]
	s_and_saveexec_b64 s[6:7], s[4:5]
	s_cbranch_execz .LBB1_960
.LBB1_959:
	v_bfe_u32 v6, v3, 24, 3
	v_ffbh_u32_e32 v14, v6
	v_min_u32_e32 v14, 32, v14
	v_lshrrev_b32_e32 v12, 27, v3
	v_subrev_u32_e32 v15, 28, v14
	v_and_b32_e32 v7, 0x80000000, v3
	v_and_b32_e32 v12, 15, v12
	v_bfe_u32 v13, v3, 27, 4
	v_lshlrev_b32_sdwa v3, v15, v3 dst_sel:DWORD dst_unused:UNUSED_PAD src0_sel:DWORD src1_sel:BYTE_3
	v_sub_u32_e32 v14, 29, v14
	v_and_b32_e32 v3, 7, v3
	v_cmp_eq_u16_e32 vcc, 0, v12
	v_cndmask_b32_e32 v3, v6, v3, vcc
	v_cndmask_b32_e32 v6, v13, v14, vcc
	v_mov_b32_e32 v12, 0x3b800000
	v_lshlrev_b32_e32 v3, 20, v3
	v_lshl_add_u32 v6, v6, 23, v12
	v_or3_b32 v6, v7, v6, v3
.LBB1_960:
	s_or_b64 exec, exec, s[6:7]
	s_nop 0
	v_mfma_f32_16x16x4f32 a[0:3], v2, v6, a[0:3]
	s_movk_i32 s4, 0x7f
	v_cmp_gt_i16_sdwa s[6:7], v8, s4 src0_sel:BYTE_0 src1_sel:DWORD
	s_mov_b64 s[4:5], 0
                                        ; implicit-def: $sgpr10
	s_and_saveexec_b64 s[8:9], s[6:7]
	s_xor_b64 s[6:7], exec, s[8:9]
	s_cbranch_execz .LBB1_961
; %bb.36801:
	s_getpc_b64 s[14:15]
.Lpost_getpc4064:
	s_add_u32 s14, s14, (.LBB1_15297-.Lpost_getpc4064)&4294967295
	s_addc_u32 s15, s15, (.LBB1_15297-.Lpost_getpc4064)>>32
	s_setpc_b64 s[14:15]
.LBB1_961:
	s_or_saveexec_b64 s[6:7], s[6:7]
	v_mov_b32_e32 v2, s10
	s_xor_b64 exec, exec, s[6:7]
	s_cbranch_execz .LBB1_962
; %bb.36803:
	s_getpc_b64 s[14:15]
.Lpost_getpc4065:
	s_add_u32 s14, s14, (.LBB1_15300-.Lpost_getpc4065)&4294967295
	s_addc_u32 s15, s15, (.LBB1_15300-.Lpost_getpc4065)>>32
	s_setpc_b64 s[14:15]
.LBB1_962:
	s_or_b64 exec, exec, s[6:7]
	s_and_saveexec_b64 s[6:7], s[4:5]
	s_cbranch_execz .LBB1_964
.LBB1_963:
	v_and_b32_e32 v2, 7, v8
	v_ffbh_u32_e32 v6, v2
	v_min_u32_e32 v6, 32, v6
	v_lshrrev_b16_e32 v3, 3, v8
	v_subrev_u32_e32 v7, 28, v6
	v_and_b32_e32 v3, 15, v3
	v_lshlrev_b32_e32 v7, v7, v8
	v_sub_u32_e32 v6, 29, v6
	v_and_b32_e32 v7, 7, v7
	v_cmp_eq_u16_e32 vcc, 0, v3
	v_cndmask_b32_e32 v2, v2, v7, vcc
	v_cndmask_b32_e32 v3, v3, v6, vcc
	v_lshlrev_b32_e32 v6, 24, v8
	v_mov_b32_e32 v7, 0x3b800000
	v_lshlrev_b32_e32 v2, 20, v2
	v_and_b32_e32 v6, 0x80000000, v6
	v_lshl_add_u32 v3, v3, 23, v7
	v_or3_b32 v2, v6, v3, v2
.LBB1_964:
	s_or_b64 exec, exec, s[6:7]
	s_movk_i32 s4, 0x7f
	v_cmp_gt_i16_sdwa s[6:7], v4, s4 src0_sel:BYTE_0 src1_sel:DWORD
	s_mov_b64 s[4:5], 0
                                        ; implicit-def: $sgpr10
	s_and_saveexec_b64 s[8:9], s[6:7]
	s_xor_b64 s[6:7], exec, s[8:9]
	s_cbranch_execz .LBB1_965
; %bb.36805:
	s_getpc_b64 s[14:15]
.Lpost_getpc4066:
	s_add_u32 s14, s14, (.LBB1_15301-.Lpost_getpc4066)&4294967295
	s_addc_u32 s15, s15, (.LBB1_15301-.Lpost_getpc4066)>>32
	s_setpc_b64 s[14:15]
.LBB1_965:
	s_or_saveexec_b64 s[6:7], s[6:7]
	v_mov_b32_e32 v3, s10
	s_xor_b64 exec, exec, s[6:7]
	s_cbranch_execz .LBB1_966
; %bb.36807:
	s_getpc_b64 s[14:15]
.Lpost_getpc4067:
	s_add_u32 s14, s14, (.LBB1_15304-.Lpost_getpc4067)&4294967295
	s_addc_u32 s15, s15, (.LBB1_15304-.Lpost_getpc4067)>>32
	s_setpc_b64 s[14:15]
.LBB1_966:
	s_or_b64 exec, exec, s[6:7]
	s_and_saveexec_b64 s[6:7], s[4:5]
	s_cbranch_execz .LBB1_968
.LBB1_967:
	v_and_b32_e32 v3, 7, v4
	v_ffbh_u32_e32 v7, v3
	v_min_u32_e32 v7, 32, v7
	v_lshrrev_b16_e32 v6, 3, v4
	v_subrev_u32_e32 v12, 28, v7
	v_and_b32_e32 v6, 15, v6
	v_lshlrev_b32_e32 v12, v12, v4
	v_sub_u32_e32 v7, 29, v7
	v_and_b32_e32 v12, 7, v12
	v_cmp_eq_u16_e32 vcc, 0, v6
	v_cndmask_b32_e32 v3, v3, v12, vcc
	v_cndmask_b32_e32 v6, v6, v7, vcc
	v_lshlrev_b32_e32 v7, 24, v4
	v_mov_b32_e32 v12, 0x3b800000
	v_lshlrev_b32_e32 v3, 20, v3
	v_and_b32_e32 v7, 0x80000000, v7
	v_lshl_add_u32 v6, v6, 23, v12
	v_or3_b32 v3, v7, v6, v3
.LBB1_968:
	s_or_b64 exec, exec, s[6:7]
	s_nop 0
	v_mfma_f32_16x16x4f32 a[0:3], v2, v3, a[0:3]
	v_lshrrev_b32_e32 v3, 8, v8
	s_movk_i32 s4, 0x7f
	v_cmp_gt_i16_sdwa s[6:7], v3, s4 src0_sel:BYTE_0 src1_sel:DWORD
	s_mov_b64 s[4:5], 0
                                        ; implicit-def: $sgpr10
	s_and_saveexec_b64 s[8:9], s[6:7]
	s_xor_b64 s[6:7], exec, s[8:9]
	s_cbranch_execz .LBB1_969
; %bb.36809:
	s_getpc_b64 s[14:15]
.Lpost_getpc4068:
	s_add_u32 s14, s14, (.LBB1_15305-.Lpost_getpc4068)&4294967295
	s_addc_u32 s15, s15, (.LBB1_15305-.Lpost_getpc4068)>>32
	s_setpc_b64 s[14:15]
.LBB1_969:
	s_or_saveexec_b64 s[6:7], s[6:7]
	v_mov_b32_e32 v2, s10
	s_xor_b64 exec, exec, s[6:7]
	s_cbranch_execz .LBB1_970
; %bb.36811:
	s_getpc_b64 s[14:15]
.Lpost_getpc4069:
	s_add_u32 s14, s14, (.LBB1_15308-.Lpost_getpc4069)&4294967295
	s_addc_u32 s15, s15, (.LBB1_15308-.Lpost_getpc4069)>>32
	s_setpc_b64 s[14:15]
.LBB1_970:
	s_or_b64 exec, exec, s[6:7]
	s_and_saveexec_b64 s[6:7], s[4:5]
	s_cbranch_execz .LBB1_972
.LBB1_971:
	v_bfe_u32 v2, v8, 8, 3
	v_ffbh_u32_e32 v7, v2
	v_min_u32_e32 v7, 32, v7
	v_lshrrev_b16_e32 v6, 3, v3
	v_subrev_u32_e32 v12, 28, v7
	v_and_b32_e32 v6, 15, v6
	v_lshlrev_b32_e32 v3, v12, v3
	v_sub_u32_e32 v7, 29, v7
	v_and_b32_e32 v3, 7, v3
	v_cmp_eq_u16_e32 vcc, 0, v6
	v_cndmask_b32_e32 v2, v2, v3, vcc
	v_cndmask_b32_e32 v3, v6, v7, vcc
	v_lshlrev_b32_e32 v6, 16, v8
	v_mov_b32_e32 v7, 0x3b800000
	v_lshlrev_b32_e32 v2, 20, v2
	v_and_b32_e32 v6, 0x80000000, v6
	v_lshl_add_u32 v3, v3, 23, v7
	v_or3_b32 v2, v6, v3, v2
.LBB1_972:
	s_or_b64 exec, exec, s[6:7]
	v_lshrrev_b32_e32 v3, 8, v4
	s_movk_i32 s4, 0x7f
	v_cmp_gt_i16_sdwa s[6:7], v3, s4 src0_sel:BYTE_0 src1_sel:DWORD
	s_mov_b64 s[4:5], 0
                                        ; implicit-def: $sgpr10
	s_and_saveexec_b64 s[8:9], s[6:7]
	s_xor_b64 s[6:7], exec, s[8:9]
	s_cbranch_execz .LBB1_973
; %bb.36813:
	s_getpc_b64 s[14:15]
.Lpost_getpc4070:
	s_add_u32 s14, s14, (.LBB1_15309-.Lpost_getpc4070)&4294967295
	s_addc_u32 s15, s15, (.LBB1_15309-.Lpost_getpc4070)>>32
	s_setpc_b64 s[14:15]
.LBB1_973:
	s_or_saveexec_b64 s[6:7], s[6:7]
	v_mov_b32_e32 v6, s10
	s_xor_b64 exec, exec, s[6:7]
	s_cbranch_execz .LBB1_974
; %bb.36815:
	s_getpc_b64 s[14:15]
.Lpost_getpc4071:
	s_add_u32 s14, s14, (.LBB1_15312-.Lpost_getpc4071)&4294967295
	s_addc_u32 s15, s15, (.LBB1_15312-.Lpost_getpc4071)>>32
	s_setpc_b64 s[14:15]
.LBB1_974:
	s_or_b64 exec, exec, s[6:7]
	s_and_saveexec_b64 s[6:7], s[4:5]
	s_cbranch_execz .LBB1_976
.LBB1_975:
	v_bfe_u32 v6, v4, 8, 3
	v_ffbh_u32_e32 v12, v6
	v_min_u32_e32 v12, 32, v12
	v_lshrrev_b16_e32 v7, 3, v3
	v_subrev_u32_e32 v13, 28, v12
	v_and_b32_e32 v7, 15, v7
	v_lshlrev_b32_e32 v3, v13, v3
	v_sub_u32_e32 v12, 29, v12
	v_and_b32_e32 v3, 7, v3
	v_cmp_eq_u16_e32 vcc, 0, v7
	v_cndmask_b32_e32 v3, v6, v3, vcc
	v_cndmask_b32_e32 v6, v7, v12, vcc
	v_lshlrev_b32_e32 v7, 16, v4
	v_mov_b32_e32 v12, 0x3b800000
	v_lshlrev_b32_e32 v3, 20, v3
	v_and_b32_e32 v7, 0x80000000, v7
	v_lshl_add_u32 v6, v6, 23, v12
	v_or3_b32 v6, v7, v6, v3
.LBB1_976:
	s_or_b64 exec, exec, s[6:7]
	s_nop 0
	v_mfma_f32_16x16x4f32 a[0:3], v2, v6, a[0:3]
	s_movk_i32 s4, 0xff
	v_and_b32_sdwa v3, v8, s4 dst_sel:DWORD dst_unused:UNUSED_PAD src0_sel:WORD_1 src1_sel:DWORD
	s_movk_i32 s4, 0x7f
	v_cmp_lt_i16_e32 vcc, s4, v3
	s_mov_b64 s[4:5], 0
                                        ; implicit-def: $sgpr10
	s_and_saveexec_b64 s[6:7], vcc
	s_xor_b64 s[6:7], exec, s[6:7]
	s_cbranch_execz .LBB1_977
; %bb.36817:
	s_getpc_b64 s[14:15]
.Lpost_getpc4072:
	s_add_u32 s14, s14, (.LBB1_15313-.Lpost_getpc4072)&4294967295
	s_addc_u32 s15, s15, (.LBB1_15313-.Lpost_getpc4072)>>32
	s_setpc_b64 s[14:15]
.LBB1_977:
	s_or_saveexec_b64 s[6:7], s[6:7]
	v_mov_b32_e32 v2, s10
	s_xor_b64 exec, exec, s[6:7]
	s_cbranch_execz .LBB1_978
; %bb.36819:
	s_getpc_b64 s[14:15]
.Lpost_getpc4073:
	s_add_u32 s14, s14, (.LBB1_15316-.Lpost_getpc4073)&4294967295
	s_addc_u32 s15, s15, (.LBB1_15316-.Lpost_getpc4073)>>32
	s_setpc_b64 s[14:15]
.LBB1_978:
	s_or_b64 exec, exec, s[6:7]
	s_and_saveexec_b64 s[6:7], s[4:5]
	s_cbranch_execz .LBB1_980
.LBB1_979:
	v_bfe_u32 v2, v8, 16, 3
	v_ffbh_u32_e32 v7, v2
	v_min_u32_e32 v7, 32, v7
	v_lshrrev_b32_e32 v3, 19, v8
	v_subrev_u32_e32 v12, 28, v7
	v_and_b32_e32 v3, 15, v3
	v_lshlrev_b32_sdwa v12, v12, v8 dst_sel:DWORD dst_unused:UNUSED_PAD src0_sel:DWORD src1_sel:WORD_1
	v_bfe_u32 v6, v8, 19, 4
	v_sub_u32_e32 v7, 29, v7
	v_and_b32_e32 v12, 7, v12
	v_cmp_eq_u16_e32 vcc, 0, v3
	v_cndmask_b32_e32 v2, v2, v12, vcc
	v_cndmask_b32_e32 v3, v6, v7, vcc
	v_lshlrev_b32_e32 v6, 8, v8
	v_mov_b32_e32 v7, 0x3b800000
	v_lshlrev_b32_e32 v2, 20, v2
	v_and_b32_e32 v6, 0x80000000, v6
	v_lshl_add_u32 v3, v3, 23, v7
	v_or3_b32 v2, v6, v3, v2
.LBB1_980:
	s_or_b64 exec, exec, s[6:7]
	s_movk_i32 s4, 0xff
	v_and_b32_sdwa v3, v4, s4 dst_sel:DWORD dst_unused:UNUSED_PAD src0_sel:WORD_1 src1_sel:DWORD
	s_movk_i32 s4, 0x7f
	v_cmp_lt_i16_e32 vcc, s4, v3
	s_mov_b64 s[4:5], 0
                                        ; implicit-def: $sgpr10
	s_and_saveexec_b64 s[6:7], vcc
	s_xor_b64 s[6:7], exec, s[6:7]
	s_cbranch_execz .LBB1_981
; %bb.36821:
	s_getpc_b64 s[14:15]
.Lpost_getpc4074:
	s_add_u32 s14, s14, (.LBB1_15317-.Lpost_getpc4074)&4294967295
	s_addc_u32 s15, s15, (.LBB1_15317-.Lpost_getpc4074)>>32
	s_setpc_b64 s[14:15]
.LBB1_981:
	s_or_saveexec_b64 s[6:7], s[6:7]
	v_mov_b32_e32 v6, s10
	s_xor_b64 exec, exec, s[6:7]
	s_cbranch_execz .LBB1_982
; %bb.36823:
	s_getpc_b64 s[14:15]
.Lpost_getpc4075:
	s_add_u32 s14, s14, (.LBB1_15320-.Lpost_getpc4075)&4294967295
	s_addc_u32 s15, s15, (.LBB1_15320-.Lpost_getpc4075)>>32
	s_setpc_b64 s[14:15]
.LBB1_982:
	s_or_b64 exec, exec, s[6:7]
	s_and_saveexec_b64 s[6:7], s[4:5]
	s_cbranch_execz .LBB1_984
.LBB1_983:
	v_bfe_u32 v3, v4, 16, 3
	v_ffbh_u32_e32 v12, v3
	v_min_u32_e32 v12, 32, v12
	v_lshrrev_b32_e32 v6, 19, v4
	v_subrev_u32_e32 v13, 28, v12
	v_and_b32_e32 v6, 15, v6
	v_lshlrev_b32_sdwa v13, v13, v4 dst_sel:DWORD dst_unused:UNUSED_PAD src0_sel:DWORD src1_sel:WORD_1
	v_bfe_u32 v7, v4, 19, 4
	v_sub_u32_e32 v12, 29, v12
	v_and_b32_e32 v13, 7, v13
	v_cmp_eq_u16_e32 vcc, 0, v6
	v_cndmask_b32_e32 v3, v3, v13, vcc
	v_cndmask_b32_e32 v6, v7, v12, vcc
	v_lshlrev_b32_e32 v7, 8, v4
	v_mov_b32_e32 v12, 0x3b800000
	v_lshlrev_b32_e32 v3, 20, v3
	v_and_b32_e32 v7, 0x80000000, v7
	v_lshl_add_u32 v6, v6, 23, v12
	v_or3_b32 v6, v7, v6, v3
.LBB1_984:
	s_or_b64 exec, exec, s[6:7]
	s_nop 0
	v_mfma_f32_16x16x4f32 a[0:3], v2, v6, a[0:3]
	s_movk_i32 s4, 0x7f
	v_cmp_gt_i16_sdwa s[6:7], v8, s4 src0_sel:BYTE_3 src1_sel:DWORD
	s_mov_b64 s[4:5], 0
                                        ; implicit-def: $sgpr10
	s_and_saveexec_b64 s[8:9], s[6:7]
	s_xor_b64 s[6:7], exec, s[8:9]
	s_cbranch_execz .LBB1_985
; %bb.36825:
	s_getpc_b64 s[14:15]
.Lpost_getpc4076:
	s_add_u32 s14, s14, (.LBB1_15321-.Lpost_getpc4076)&4294967295
	s_addc_u32 s15, s15, (.LBB1_15321-.Lpost_getpc4076)>>32
	s_setpc_b64 s[14:15]
.LBB1_985:
	s_or_saveexec_b64 s[6:7], s[6:7]
	v_mov_b32_e32 v2, s10
	s_xor_b64 exec, exec, s[6:7]
	s_cbranch_execz .LBB1_986
; %bb.36827:
	s_getpc_b64 s[14:15]
.Lpost_getpc4077:
	s_add_u32 s14, s14, (.LBB1_15324-.Lpost_getpc4077)&4294967295
	s_addc_u32 s15, s15, (.LBB1_15324-.Lpost_getpc4077)>>32
	s_setpc_b64 s[14:15]
.LBB1_986:
	s_or_b64 exec, exec, s[6:7]
	s_and_saveexec_b64 s[6:7], s[4:5]
	s_cbranch_execz .LBB1_988
.LBB1_987:
	v_bfe_u32 v2, v8, 24, 3
	v_ffbh_u32_e32 v12, v2
	v_min_u32_e32 v12, 32, v12
	v_lshrrev_b32_e32 v6, 27, v8
	v_subrev_u32_e32 v13, 28, v12
	v_and_b32_e32 v3, 0x80000000, v8
	v_and_b32_e32 v6, 15, v6
	v_bfe_u32 v7, v8, 27, 4
	v_lshlrev_b32_sdwa v8, v13, v8 dst_sel:DWORD dst_unused:UNUSED_PAD src0_sel:DWORD src1_sel:BYTE_3
	v_sub_u32_e32 v12, 29, v12
	v_and_b32_e32 v8, 7, v8
	v_cmp_eq_u16_e32 vcc, 0, v6
	v_cndmask_b32_e32 v2, v2, v8, vcc
	v_cndmask_b32_e32 v6, v7, v12, vcc
	v_mov_b32_e32 v7, 0x3b800000
	v_lshlrev_b32_e32 v2, 20, v2
	v_lshl_add_u32 v6, v6, 23, v7
	v_or3_b32 v2, v3, v6, v2
.LBB1_988:
	s_or_b64 exec, exec, s[6:7]
	s_movk_i32 s4, 0x7f
	v_cmp_gt_i16_sdwa s[6:7], v4, s4 src0_sel:BYTE_3 src1_sel:DWORD
	s_mov_b64 s[4:5], 0
                                        ; implicit-def: $sgpr10
	s_and_saveexec_b64 s[8:9], s[6:7]
	s_xor_b64 s[6:7], exec, s[8:9]
	s_cbranch_execz .LBB1_989
; %bb.36829:
	s_getpc_b64 s[14:15]
.Lpost_getpc4078:
	s_add_u32 s14, s14, (.LBB1_15325-.Lpost_getpc4078)&4294967295
	s_addc_u32 s15, s15, (.LBB1_15325-.Lpost_getpc4078)>>32
	s_setpc_b64 s[14:15]
.LBB1_989:
	s_or_saveexec_b64 s[6:7], s[6:7]
	v_mov_b32_e32 v3, s10
	s_xor_b64 exec, exec, s[6:7]
	s_cbranch_execz .LBB1_990
; %bb.36831:
	s_getpc_b64 s[14:15]
.Lpost_getpc4079:
	s_add_u32 s14, s14, (.LBB1_15328-.Lpost_getpc4079)&4294967295
	s_addc_u32 s15, s15, (.LBB1_15328-.Lpost_getpc4079)>>32
	s_setpc_b64 s[14:15]
.LBB1_990:
	s_or_b64 exec, exec, s[6:7]
	s_and_saveexec_b64 s[6:7], s[4:5]
	s_cbranch_execz .LBB1_992
.LBB1_991:
	v_bfe_u32 v3, v4, 24, 3
	v_ffbh_u32_e32 v12, v3
	v_min_u32_e32 v12, 32, v12
	v_lshrrev_b32_e32 v7, 27, v4
	v_subrev_u32_e32 v13, 28, v12
	v_and_b32_e32 v6, 0x80000000, v4
	v_and_b32_e32 v7, 15, v7
	v_bfe_u32 v8, v4, 27, 4
	v_lshlrev_b32_sdwa v4, v13, v4 dst_sel:DWORD dst_unused:UNUSED_PAD src0_sel:DWORD src1_sel:BYTE_3
	v_sub_u32_e32 v12, 29, v12
	v_and_b32_e32 v4, 7, v4
	v_cmp_eq_u16_e32 vcc, 0, v7
	v_cndmask_b32_e32 v3, v3, v4, vcc
	v_cndmask_b32_e32 v4, v8, v12, vcc
	v_mov_b32_e32 v7, 0x3b800000
	v_lshlrev_b32_e32 v3, 20, v3
	v_lshl_add_u32 v4, v4, 23, v7
	v_or3_b32 v3, v6, v4, v3
.LBB1_992:
	s_or_b64 exec, exec, s[6:7]
	s_nop 0
	v_mfma_f32_16x16x4f32 a[0:3], v2, v3, a[0:3]
	s_movk_i32 s4, 0x7f
	v_cmp_gt_i16_sdwa s[6:7], v9, s4 src0_sel:BYTE_0 src1_sel:DWORD
	s_mov_b64 s[4:5], 0
                                        ; implicit-def: $sgpr10
	s_and_saveexec_b64 s[8:9], s[6:7]
	s_xor_b64 s[6:7], exec, s[8:9]
	s_cbranch_execz .LBB1_993
; %bb.36833:
	s_getpc_b64 s[14:15]
.Lpost_getpc4080:
	s_add_u32 s14, s14, (.LBB1_15329-.Lpost_getpc4080)&4294967295
	s_addc_u32 s15, s15, (.LBB1_15329-.Lpost_getpc4080)>>32
	s_setpc_b64 s[14:15]
.LBB1_993:
	s_or_saveexec_b64 s[6:7], s[6:7]
	v_mov_b32_e32 v2, s10
	s_xor_b64 exec, exec, s[6:7]
	s_cbranch_execz .LBB1_994
; %bb.36835:
	s_getpc_b64 s[14:15]
.Lpost_getpc4081:
	s_add_u32 s14, s14, (.LBB1_15332-.Lpost_getpc4081)&4294967295
	s_addc_u32 s15, s15, (.LBB1_15332-.Lpost_getpc4081)>>32
	s_setpc_b64 s[14:15]
.LBB1_994:
	s_or_b64 exec, exec, s[6:7]
	s_and_saveexec_b64 s[6:7], s[4:5]
	s_cbranch_execz .LBB1_996
.LBB1_995:
	v_mov_b32_e32 v2, 8
	v_and_b32_e32 v3, 7, v9
	v_lshrrev_b32_sdwa v2, v2, v9 dst_sel:BYTE_1 dst_unused:UNUSED_PAD src0_sel:DWORD src1_sel:DWORD
	v_ffbh_u32_e32 v4, v3
	v_or_b32_sdwa v2, v9, v2 dst_sel:DWORD dst_unused:UNUSED_PAD src0_sel:BYTE_0 src1_sel:DWORD
	v_min_u32_e32 v4, 32, v4
	v_lshrrev_b16_e32 v2, 3, v2
	v_subrev_u32_e32 v6, 28, v4
	v_and_b32_e32 v2, 15, v2
	v_lshlrev_b32_e32 v6, v6, v9
	v_sub_u32_e32 v4, 29, v4
	v_and_b32_e32 v6, 7, v6
	v_cmp_eq_u16_e32 vcc, 0, v2
	v_cndmask_b32_e32 v3, v3, v6, vcc
	v_cndmask_b32_e32 v2, v2, v4, vcc
	v_lshlrev_b32_e32 v4, 24, v9
	v_mov_b32_e32 v6, 0x3b800000
	v_lshlrev_b32_e32 v3, 20, v3
	v_and_b32_e32 v4, 0x80000000, v4
	v_lshl_add_u32 v2, v2, 23, v6
	v_or3_b32 v2, v4, v2, v3
.LBB1_996:
	s_or_b64 exec, exec, s[6:7]
	s_movk_i32 s4, 0x7f
	v_cmp_gt_i16_sdwa s[6:7], v5, s4 src0_sel:BYTE_0 src1_sel:DWORD
	s_mov_b64 s[4:5], 0
                                        ; implicit-def: $sgpr10
	s_and_saveexec_b64 s[8:9], s[6:7]
	s_xor_b64 s[6:7], exec, s[8:9]
	s_cbranch_execz .LBB1_997
; %bb.36837:
	s_getpc_b64 s[14:15]
.Lpost_getpc4082:
	s_add_u32 s14, s14, (.LBB1_15333-.Lpost_getpc4082)&4294967295
	s_addc_u32 s15, s15, (.LBB1_15333-.Lpost_getpc4082)>>32
	s_setpc_b64 s[14:15]
.LBB1_997:
	s_or_saveexec_b64 s[6:7], s[6:7]
	v_mov_b32_e32 v3, s10
	s_xor_b64 exec, exec, s[6:7]
	s_cbranch_execz .LBB1_998
; %bb.36839:
	s_getpc_b64 s[14:15]
.Lpost_getpc4083:
	s_add_u32 s14, s14, (.LBB1_15336-.Lpost_getpc4083)&4294967295
	s_addc_u32 s15, s15, (.LBB1_15336-.Lpost_getpc4083)>>32
	s_setpc_b64 s[14:15]
.LBB1_998:
	s_or_b64 exec, exec, s[6:7]
	s_and_saveexec_b64 s[6:7], s[4:5]
	s_cbranch_execz .LBB1_1000
.LBB1_999:
	v_mov_b32_e32 v3, 8
	v_and_b32_e32 v4, 7, v5
	v_lshrrev_b32_sdwa v3, v3, v5 dst_sel:BYTE_1 dst_unused:UNUSED_PAD src0_sel:DWORD src1_sel:DWORD
	v_ffbh_u32_e32 v6, v4
	v_or_b32_sdwa v3, v5, v3 dst_sel:DWORD dst_unused:UNUSED_PAD src0_sel:BYTE_0 src1_sel:DWORD
	v_min_u32_e32 v6, 32, v6
	v_lshrrev_b16_e32 v3, 3, v3
	v_subrev_u32_e32 v7, 28, v6
	v_and_b32_e32 v3, 15, v3
	v_lshlrev_b32_e32 v7, v7, v5
	v_sub_u32_e32 v6, 29, v6
	v_and_b32_e32 v7, 7, v7
	v_cmp_eq_u16_e32 vcc, 0, v3
	v_cndmask_b32_e32 v4, v4, v7, vcc
	v_cndmask_b32_e32 v3, v3, v6, vcc
	v_lshlrev_b32_e32 v6, 24, v5
	v_mov_b32_e32 v7, 0x3b800000
	v_lshlrev_b32_e32 v4, 20, v4
	v_and_b32_e32 v6, 0x80000000, v6
	v_lshl_add_u32 v3, v3, 23, v7
	v_or3_b32 v3, v6, v3, v4
.LBB1_1000:
	s_or_b64 exec, exec, s[6:7]
	s_nop 0
	v_mfma_f32_16x16x4f32 a[0:3], v2, v3, a[0:3]
	v_lshrrev_b32_e32 v3, 8, v9
	s_movk_i32 s4, 0x7f
	v_cmp_gt_i16_sdwa s[6:7], v3, s4 src0_sel:BYTE_0 src1_sel:DWORD
	s_mov_b64 s[4:5], 0
                                        ; implicit-def: $sgpr10
	s_and_saveexec_b64 s[8:9], s[6:7]
	s_xor_b64 s[6:7], exec, s[8:9]
	s_cbranch_execz .LBB1_1001
; %bb.36841:
	s_getpc_b64 s[14:15]
.Lpost_getpc4084:
	s_add_u32 s14, s14, (.LBB1_15337-.Lpost_getpc4084)&4294967295
	s_addc_u32 s15, s15, (.LBB1_15337-.Lpost_getpc4084)>>32
	s_setpc_b64 s[14:15]
.LBB1_1001:
	s_or_saveexec_b64 s[6:7], s[6:7]
	v_mov_b32_e32 v2, s10
	s_xor_b64 exec, exec, s[6:7]
	s_cbranch_execz .LBB1_1002
; %bb.36843:
	s_getpc_b64 s[14:15]
.Lpost_getpc4085:
	s_add_u32 s14, s14, (.LBB1_15340-.Lpost_getpc4085)&4294967295
	s_addc_u32 s15, s15, (.LBB1_15340-.Lpost_getpc4085)>>32
	s_setpc_b64 s[14:15]
.LBB1_1002:
	s_or_b64 exec, exec, s[6:7]
	s_and_saveexec_b64 s[6:7], s[4:5]
	s_cbranch_execz .LBB1_1004
.LBB1_1003:
	v_bfe_u32 v2, v9, 8, 3
	v_ffbh_u32_e32 v6, v2
	v_min_u32_e32 v6, 32, v6
	v_lshrrev_b16_e32 v4, 3, v3
	v_subrev_u32_e32 v7, 28, v6
	v_and_b32_e32 v4, 15, v4
	v_lshlrev_b32_e32 v3, v7, v3
	v_sub_u32_e32 v6, 29, v6
	v_and_b32_e32 v3, 7, v3
	v_cmp_eq_u16_e32 vcc, 0, v4
	v_cndmask_b32_e32 v2, v2, v3, vcc
	v_cndmask_b32_e32 v3, v4, v6, vcc
	v_lshlrev_b32_e32 v4, 16, v9
	v_mov_b32_e32 v6, 0x3b800000
	v_lshlrev_b32_e32 v2, 20, v2
	v_and_b32_e32 v4, 0x80000000, v4
	v_lshl_add_u32 v3, v3, 23, v6
	v_or3_b32 v2, v4, v3, v2
.LBB1_1004:
	s_or_b64 exec, exec, s[6:7]
	v_lshrrev_b32_e32 v3, 8, v5
	s_movk_i32 s4, 0x7f
	v_cmp_gt_i16_sdwa s[6:7], v3, s4 src0_sel:BYTE_0 src1_sel:DWORD
	s_mov_b64 s[4:5], 0
                                        ; implicit-def: $sgpr10
	s_and_saveexec_b64 s[8:9], s[6:7]
	s_xor_b64 s[6:7], exec, s[8:9]
	s_cbranch_execz .LBB1_1005
; %bb.36845:
	s_getpc_b64 s[14:15]
.Lpost_getpc4086:
	s_add_u32 s14, s14, (.LBB1_15341-.Lpost_getpc4086)&4294967295
	s_addc_u32 s15, s15, (.LBB1_15341-.Lpost_getpc4086)>>32
	s_setpc_b64 s[14:15]
.LBB1_1005:
	s_or_saveexec_b64 s[6:7], s[6:7]
	v_mov_b32_e32 v4, s10
	s_xor_b64 exec, exec, s[6:7]
	s_cbranch_execz .LBB1_1006
; %bb.36847:
	s_getpc_b64 s[14:15]
.Lpost_getpc4087:
	s_add_u32 s14, s14, (.LBB1_15344-.Lpost_getpc4087)&4294967295
	s_addc_u32 s15, s15, (.LBB1_15344-.Lpost_getpc4087)>>32
	s_setpc_b64 s[14:15]
.LBB1_1006:
	s_or_b64 exec, exec, s[6:7]
	s_and_saveexec_b64 s[6:7], s[4:5]
	s_cbranch_execz .LBB1_1008
.LBB1_1007:
	v_bfe_u32 v4, v5, 8, 3
	v_ffbh_u32_e32 v7, v4
	v_min_u32_e32 v7, 32, v7
	v_lshrrev_b16_e32 v6, 3, v3
	v_subrev_u32_e32 v8, 28, v7
	v_and_b32_e32 v6, 15, v6
	v_lshlrev_b32_e32 v3, v8, v3
	v_sub_u32_e32 v7, 29, v7
	v_and_b32_e32 v3, 7, v3
	v_cmp_eq_u16_e32 vcc, 0, v6
	v_cndmask_b32_e32 v3, v4, v3, vcc
	v_cndmask_b32_e32 v4, v6, v7, vcc
	v_lshlrev_b32_e32 v6, 16, v5
	v_mov_b32_e32 v7, 0x3b800000
	v_lshlrev_b32_e32 v3, 20, v3
	v_and_b32_e32 v6, 0x80000000, v6
	v_lshl_add_u32 v4, v4, 23, v7
	v_or3_b32 v4, v6, v4, v3
.LBB1_1008:
	s_or_b64 exec, exec, s[6:7]
	s_nop 0
	v_mfma_f32_16x16x4f32 a[0:3], v2, v4, a[0:3]
	s_movk_i32 s4, 0xff
	v_and_b32_sdwa v3, v9, s4 dst_sel:DWORD dst_unused:UNUSED_PAD src0_sel:WORD_1 src1_sel:DWORD
	s_movk_i32 s4, 0x7f
	v_cmp_lt_i16_e32 vcc, s4, v3
	s_mov_b64 s[4:5], 0
                                        ; implicit-def: $sgpr10
	s_and_saveexec_b64 s[6:7], vcc
	s_xor_b64 s[6:7], exec, s[6:7]
	s_cbranch_execz .LBB1_1009
; %bb.36849:
	s_getpc_b64 s[14:15]
.Lpost_getpc4088:
	s_add_u32 s14, s14, (.LBB1_15345-.Lpost_getpc4088)&4294967295
	s_addc_u32 s15, s15, (.LBB1_15345-.Lpost_getpc4088)>>32
	s_setpc_b64 s[14:15]
.LBB1_1009:
	s_or_saveexec_b64 s[6:7], s[6:7]
	v_mov_b32_e32 v2, s10
	s_xor_b64 exec, exec, s[6:7]
	s_cbranch_execz .LBB1_1010
; %bb.36851:
	s_getpc_b64 s[14:15]
.Lpost_getpc4089:
	s_add_u32 s14, s14, (.LBB1_15348-.Lpost_getpc4089)&4294967295
	s_addc_u32 s15, s15, (.LBB1_15348-.Lpost_getpc4089)>>32
	s_setpc_b64 s[14:15]
.LBB1_1010:
	s_or_b64 exec, exec, s[6:7]
	s_and_saveexec_b64 s[6:7], s[4:5]
	s_cbranch_execz .LBB1_1012
.LBB1_1011:
	v_bfe_u32 v2, v9, 16, 3
	v_ffbh_u32_e32 v6, v2
	v_min_u32_e32 v6, 32, v6
	v_lshrrev_b32_e32 v3, 19, v9
	v_subrev_u32_e32 v7, 28, v6
	v_and_b32_e32 v3, 15, v3
	v_lshlrev_b32_sdwa v7, v7, v9 dst_sel:DWORD dst_unused:UNUSED_PAD src0_sel:DWORD src1_sel:WORD_1
	v_bfe_u32 v4, v9, 19, 4
	v_sub_u32_e32 v6, 29, v6
	v_and_b32_e32 v7, 7, v7
	v_cmp_eq_u16_e32 vcc, 0, v3
	v_cndmask_b32_e32 v2, v2, v7, vcc
	v_cndmask_b32_e32 v3, v4, v6, vcc
	v_lshlrev_b32_e32 v4, 8, v9
	v_mov_b32_e32 v6, 0x3b800000
	v_lshlrev_b32_e32 v2, 20, v2
	v_and_b32_e32 v4, 0x80000000, v4
	v_lshl_add_u32 v3, v3, 23, v6
	v_or3_b32 v2, v4, v3, v2
.LBB1_1012:
	s_or_b64 exec, exec, s[6:7]
	s_movk_i32 s4, 0xff
	v_and_b32_sdwa v3, v5, s4 dst_sel:DWORD dst_unused:UNUSED_PAD src0_sel:WORD_1 src1_sel:DWORD
	s_movk_i32 s4, 0x7f
	v_cmp_lt_i16_e32 vcc, s4, v3
	s_mov_b64 s[4:5], 0
                                        ; implicit-def: $sgpr10
	s_and_saveexec_b64 s[6:7], vcc
	s_xor_b64 s[6:7], exec, s[6:7]
	s_cbranch_execz .LBB1_1013
; %bb.36853:
	s_getpc_b64 s[14:15]
.Lpost_getpc4090:
	s_add_u32 s14, s14, (.LBB1_15349-.Lpost_getpc4090)&4294967295
	s_addc_u32 s15, s15, (.LBB1_15349-.Lpost_getpc4090)>>32
	s_setpc_b64 s[14:15]
.LBB1_1013:
	s_or_saveexec_b64 s[6:7], s[6:7]
	v_mov_b32_e32 v4, s10
	s_xor_b64 exec, exec, s[6:7]
	s_cbranch_execz .LBB1_1014
; %bb.36855:
	s_getpc_b64 s[14:15]
.Lpost_getpc4091:
	s_add_u32 s14, s14, (.LBB1_15352-.Lpost_getpc4091)&4294967295
	s_addc_u32 s15, s15, (.LBB1_15352-.Lpost_getpc4091)>>32
	s_setpc_b64 s[14:15]
.LBB1_1014:
	s_or_b64 exec, exec, s[6:7]
	s_and_saveexec_b64 s[6:7], s[4:5]
	s_cbranch_execz .LBB1_1016
.LBB1_1015:
	v_bfe_u32 v3, v5, 16, 3
	v_ffbh_u32_e32 v7, v3
	v_min_u32_e32 v7, 32, v7
	v_lshrrev_b32_e32 v4, 19, v5
	v_subrev_u32_e32 v8, 28, v7
	v_and_b32_e32 v4, 15, v4
	v_lshlrev_b32_sdwa v8, v8, v5 dst_sel:DWORD dst_unused:UNUSED_PAD src0_sel:DWORD src1_sel:WORD_1
	v_bfe_u32 v6, v5, 19, 4
	v_sub_u32_e32 v7, 29, v7
	v_and_b32_e32 v8, 7, v8
	v_cmp_eq_u16_e32 vcc, 0, v4
	v_cndmask_b32_e32 v3, v3, v8, vcc
	v_cndmask_b32_e32 v4, v6, v7, vcc
	v_lshlrev_b32_e32 v6, 8, v5
	v_mov_b32_e32 v7, 0x3b800000
	v_lshlrev_b32_e32 v3, 20, v3
	v_and_b32_e32 v6, 0x80000000, v6
	v_lshl_add_u32 v4, v4, 23, v7
	v_or3_b32 v4, v6, v4, v3
.LBB1_1016:
	s_or_b64 exec, exec, s[6:7]
	s_nop 0
	v_mfma_f32_16x16x4f32 a[0:3], v2, v4, a[0:3]
	s_movk_i32 s4, 0x7f
	v_cmp_gt_i16_sdwa s[6:7], v9, s4 src0_sel:BYTE_3 src1_sel:DWORD
	s_mov_b64 s[4:5], 0
                                        ; implicit-def: $sgpr10
	s_and_saveexec_b64 s[8:9], s[6:7]
	s_xor_b64 s[6:7], exec, s[8:9]
	s_cbranch_execz .LBB1_1017
; %bb.36857:
	s_getpc_b64 s[14:15]
.Lpost_getpc4092:
	s_add_u32 s14, s14, (.LBB1_15353-.Lpost_getpc4092)&4294967295
	s_addc_u32 s15, s15, (.LBB1_15353-.Lpost_getpc4092)>>32
	s_setpc_b64 s[14:15]
.LBB1_1017:
	s_or_saveexec_b64 s[6:7], s[6:7]
	v_mov_b32_e32 v2, s10
	s_xor_b64 exec, exec, s[6:7]
	s_cbranch_execz .LBB1_1018
; %bb.36859:
	s_getpc_b64 s[14:15]
.Lpost_getpc4093:
	s_add_u32 s14, s14, (.LBB1_15356-.Lpost_getpc4093)&4294967295
	s_addc_u32 s15, s15, (.LBB1_15356-.Lpost_getpc4093)>>32
	s_setpc_b64 s[14:15]
.LBB1_1018:
	s_or_b64 exec, exec, s[6:7]
	s_and_saveexec_b64 s[6:7], s[4:5]
	s_cbranch_execz .LBB1_1020
.LBB1_1019:
	v_bfe_u32 v2, v9, 24, 3
	v_ffbh_u32_e32 v7, v2
	v_min_u32_e32 v7, 32, v7
	v_lshrrev_b32_e32 v4, 27, v9
	v_subrev_u32_e32 v8, 28, v7
	v_and_b32_e32 v4, 15, v4
	v_lshlrev_b32_sdwa v8, v8, v9 dst_sel:DWORD dst_unused:UNUSED_PAD src0_sel:DWORD src1_sel:BYTE_3
	v_bfe_u32 v6, v9, 27, 4
	v_sub_u32_e32 v7, 29, v7
	v_and_b32_e32 v8, 7, v8
	v_cmp_eq_u16_e32 vcc, 0, v4
	v_cndmask_b32_e32 v2, v2, v8, vcc
	v_cndmask_b32_e32 v4, v6, v7, vcc
	v_mov_b32_e32 v6, 0x3b800000
	v_and_b32_e32 v3, 0x80000000, v9
	v_lshlrev_b32_e32 v2, 20, v2
	v_lshl_add_u32 v4, v4, 23, v6
	v_or3_b32 v2, v3, v4, v2
.LBB1_1020:
	s_or_b64 exec, exec, s[6:7]
	s_movk_i32 s4, 0x7f
	v_cmp_gt_i16_sdwa s[6:7], v5, s4 src0_sel:BYTE_3 src1_sel:DWORD
	s_mov_b64 s[4:5], 0
                                        ; implicit-def: $sgpr10
	s_and_saveexec_b64 s[8:9], s[6:7]
	s_xor_b64 s[6:7], exec, s[8:9]
	s_cbranch_execz .LBB1_1021
; %bb.36861:
	s_getpc_b64 s[14:15]
.Lpost_getpc4094:
	s_add_u32 s14, s14, (.LBB1_15357-.Lpost_getpc4094)&4294967295
	s_addc_u32 s15, s15, (.LBB1_15357-.Lpost_getpc4094)>>32
	s_setpc_b64 s[14:15]
.LBB1_1021:
	s_or_saveexec_b64 s[6:7], s[6:7]
	v_mov_b32_e32 v3, s10
	s_xor_b64 exec, exec, s[6:7]
	s_cbranch_execz .LBB1_1022
; %bb.36863:
	s_getpc_b64 s[14:15]
.Lpost_getpc4095:
	s_add_u32 s14, s14, (.LBB1_15360-.Lpost_getpc4095)&4294967295
	s_addc_u32 s15, s15, (.LBB1_15360-.Lpost_getpc4095)>>32
	s_setpc_b64 s[14:15]
.LBB1_1022:
	s_or_b64 exec, exec, s[6:7]
	s_and_saveexec_b64 s[6:7], s[4:5]
	s_cbranch_execz .LBB1_1024
.LBB1_1023:
	v_bfe_u32 v3, v5, 24, 3
	v_ffbh_u32_e32 v8, v3
	v_min_u32_e32 v8, 32, v8
	v_lshrrev_b32_e32 v6, 27, v5
	v_subrev_u32_e32 v9, 28, v8
	v_and_b32_e32 v4, 0x80000000, v5
	v_and_b32_e32 v6, 15, v6
	v_bfe_u32 v7, v5, 27, 4
	v_lshlrev_b32_sdwa v5, v9, v5 dst_sel:DWORD dst_unused:UNUSED_PAD src0_sel:DWORD src1_sel:BYTE_3
	v_sub_u32_e32 v8, 29, v8
	v_and_b32_e32 v5, 7, v5
	v_cmp_eq_u16_e32 vcc, 0, v6
	v_cndmask_b32_e32 v3, v3, v5, vcc
	v_cndmask_b32_e32 v5, v7, v8, vcc
	v_mov_b32_e32 v6, 0x3b800000
	v_lshlrev_b32_e32 v3, 20, v3
	v_lshl_add_u32 v5, v5, 23, v6
	v_or3_b32 v3, v4, v5, v3
.LBB1_1024:
	s_or_b64 exec, exec, s[6:7]
	s_nop 0
	v_mfma_f32_16x16x4f32 a[0:3], v2, v3, a[0:3]
	s_movk_i32 s4, 0x7f
                                        ; implicit-def: $sgpr10
	s_nop 7
	s_nop 1
	flat_store_dwordx4 v[10:11], a[0:3] offset:112
	flat_load_dwordx4 v[12:15], v[0:1]
	s_nop 0
	flat_load_dwordx2 v[10:11], v[0:1] offset:16
	s_waitcnt vmcnt(0) lgkmcnt(0)
	flat_load_dwordx4 v[6:9], v[12:13] offset:16
	flat_load_dwordx4 v[2:5], v[14:15]
	s_waitcnt vmcnt(0) lgkmcnt(0)
	v_cmp_gt_i16_sdwa s[6:7], v6, s4 src0_sel:BYTE_0 src1_sel:DWORD
	s_mov_b64 s[4:5], 0
	s_and_saveexec_b64 s[8:9], s[6:7]
	s_xor_b64 s[6:7], exec, s[8:9]
	s_cbranch_execz .LBB1_1025
; %bb.36865:
	s_getpc_b64 s[14:15]
.Lpost_getpc4096:
	s_add_u32 s14, s14, (.LBB1_15361-.Lpost_getpc4096)&4294967295
	s_addc_u32 s15, s15, (.LBB1_15361-.Lpost_getpc4096)>>32
	s_setpc_b64 s[14:15]
.LBB1_1025:
	s_or_saveexec_b64 s[6:7], s[6:7]
	v_mov_b32_e32 v12, s10
	s_xor_b64 exec, exec, s[6:7]
	s_cbranch_execz .LBB1_1026
; %bb.36867:
	s_getpc_b64 s[14:15]
.Lpost_getpc4097:
	s_add_u32 s14, s14, (.LBB1_15364-.Lpost_getpc4097)&4294967295
	s_addc_u32 s15, s15, (.LBB1_15364-.Lpost_getpc4097)>>32
	s_setpc_b64 s[14:15]
.LBB1_1026:
	s_or_b64 exec, exec, s[6:7]
	s_and_saveexec_b64 s[6:7], s[4:5]
	s_cbranch_execz .LBB1_1028
.LBB1_1027:
	v_and_b32_e32 v12, 7, v6
	v_ffbh_u32_e32 v14, v12
	v_min_u32_e32 v14, 32, v14
	v_lshrrev_b16_e32 v13, 3, v6
	v_subrev_u32_e32 v15, 28, v14
	v_and_b32_e32 v13, 15, v13
	v_lshlrev_b32_e32 v15, v15, v6
	v_sub_u32_e32 v14, 29, v14
	v_and_b32_e32 v15, 7, v15
	v_cmp_eq_u16_e32 vcc, 0, v13
	v_cndmask_b32_e32 v12, v12, v15, vcc
	v_cndmask_b32_e32 v13, v13, v14, vcc
	v_lshlrev_b32_e32 v14, 24, v6
	v_mov_b32_e32 v15, 0x3b800000
	v_lshlrev_b32_e32 v12, 20, v12
	v_and_b32_e32 v14, 0x80000000, v14
	v_lshl_add_u32 v13, v13, 23, v15
	v_or3_b32 v12, v14, v13, v12
.LBB1_1028:
	s_or_b64 exec, exec, s[6:7]
	s_movk_i32 s4, 0x7f
	v_cmp_gt_i16_sdwa s[6:7], v2, s4 src0_sel:BYTE_0 src1_sel:DWORD
	s_mov_b64 s[4:5], 0
                                        ; implicit-def: $sgpr10
	s_and_saveexec_b64 s[8:9], s[6:7]
	s_xor_b64 s[6:7], exec, s[8:9]
	s_cbranch_execz .LBB1_1029
; %bb.36869:
	s_getpc_b64 s[14:15]
.Lpost_getpc4098:
	s_add_u32 s14, s14, (.LBB1_15365-.Lpost_getpc4098)&4294967295
	s_addc_u32 s15, s15, (.LBB1_15365-.Lpost_getpc4098)>>32
	s_setpc_b64 s[14:15]
.LBB1_1029:
	s_or_saveexec_b64 s[6:7], s[6:7]
	v_mov_b32_e32 v13, s10
	s_xor_b64 exec, exec, s[6:7]
	s_cbranch_execz .LBB1_1030
; %bb.36871:
	s_getpc_b64 s[14:15]
.Lpost_getpc4099:
	s_add_u32 s14, s14, (.LBB1_15368-.Lpost_getpc4099)&4294967295
	s_addc_u32 s15, s15, (.LBB1_15368-.Lpost_getpc4099)>>32
	s_setpc_b64 s[14:15]
.LBB1_1030:
	s_or_b64 exec, exec, s[6:7]
	s_and_saveexec_b64 s[6:7], s[4:5]
	s_cbranch_execz .LBB1_1032
.LBB1_1031:
	v_and_b32_e32 v13, 7, v2
	v_ffbh_u32_e32 v15, v13
	v_min_u32_e32 v15, 32, v15
	v_lshrrev_b16_e32 v14, 3, v2
	v_subrev_u32_e32 v16, 28, v15
	v_and_b32_e32 v14, 15, v14
	v_lshlrev_b32_e32 v16, v16, v2
	v_sub_u32_e32 v15, 29, v15
	v_and_b32_e32 v16, 7, v16
	v_cmp_eq_u16_e32 vcc, 0, v14
	v_cndmask_b32_e32 v13, v13, v16, vcc
	v_cndmask_b32_e32 v14, v14, v15, vcc
	v_lshlrev_b32_e32 v15, 24, v2
	v_mov_b32_e32 v16, 0x3b800000
	v_lshlrev_b32_e32 v13, 20, v13
	v_and_b32_e32 v15, 0x80000000, v15
	v_lshl_add_u32 v14, v14, 23, v16
	v_or3_b32 v13, v15, v14, v13
.LBB1_1032:
	s_or_b64 exec, exec, s[6:7]
	flat_load_dwordx4 a[0:3], v[10:11] offset:128
	s_movk_i32 s4, 0x7f
                                        ; implicit-def: $sgpr10
	s_waitcnt vmcnt(0) lgkmcnt(0)
	v_mfma_f32_16x16x4f32 a[0:3], v12, v13, a[0:3]
	v_lshrrev_b32_e32 v13, 8, v6
	v_cmp_gt_i16_sdwa s[6:7], v13, s4 src0_sel:BYTE_0 src1_sel:DWORD
	s_mov_b64 s[4:5], 0
	s_and_saveexec_b64 s[8:9], s[6:7]
	s_xor_b64 s[6:7], exec, s[8:9]
	s_cbranch_execz .LBB1_1033
; %bb.36873:
	s_getpc_b64 s[14:15]
.Lpost_getpc4100:
	s_add_u32 s14, s14, (.LBB1_15369-.Lpost_getpc4100)&4294967295
	s_addc_u32 s15, s15, (.LBB1_15369-.Lpost_getpc4100)>>32
	s_setpc_b64 s[14:15]
.LBB1_1033:
	s_or_saveexec_b64 s[6:7], s[6:7]
	v_mov_b32_e32 v12, s10
	s_xor_b64 exec, exec, s[6:7]
	s_cbranch_execz .LBB1_1034
; %bb.36875:
	s_getpc_b64 s[14:15]
.Lpost_getpc4101:
	s_add_u32 s14, s14, (.LBB1_15372-.Lpost_getpc4101)&4294967295
	s_addc_u32 s15, s15, (.LBB1_15372-.Lpost_getpc4101)>>32
	s_setpc_b64 s[14:15]
.LBB1_1034:
	s_or_b64 exec, exec, s[6:7]
	s_and_saveexec_b64 s[6:7], s[4:5]
	s_cbranch_execz .LBB1_1036
.LBB1_1035:
	v_bfe_u32 v12, v6, 8, 3
	v_ffbh_u32_e32 v15, v12
	v_min_u32_e32 v15, 32, v15
	v_lshrrev_b16_e32 v14, 3, v13
	v_subrev_u32_e32 v16, 28, v15
	v_and_b32_e32 v14, 15, v14
	v_lshlrev_b32_e32 v13, v16, v13
	v_sub_u32_e32 v15, 29, v15
	v_and_b32_e32 v13, 7, v13
	v_cmp_eq_u16_e32 vcc, 0, v14
	v_cndmask_b32_e32 v12, v12, v13, vcc
	v_cndmask_b32_e32 v13, v14, v15, vcc
	v_lshlrev_b32_e32 v14, 16, v6
	v_mov_b32_e32 v15, 0x3b800000
	v_lshlrev_b32_e32 v12, 20, v12
	v_and_b32_e32 v14, 0x80000000, v14
	v_lshl_add_u32 v13, v13, 23, v15
	v_or3_b32 v12, v14, v13, v12
.LBB1_1036:
	s_or_b64 exec, exec, s[6:7]
	v_lshrrev_b32_e32 v13, 8, v2
	s_movk_i32 s4, 0x7f
	v_cmp_gt_i16_sdwa s[6:7], v13, s4 src0_sel:BYTE_0 src1_sel:DWORD
	s_mov_b64 s[4:5], 0
                                        ; implicit-def: $sgpr10
	s_and_saveexec_b64 s[8:9], s[6:7]
	s_xor_b64 s[6:7], exec, s[8:9]
	s_cbranch_execz .LBB1_1037
; %bb.36877:
	s_getpc_b64 s[14:15]
.Lpost_getpc4102:
	s_add_u32 s14, s14, (.LBB1_15373-.Lpost_getpc4102)&4294967295
	s_addc_u32 s15, s15, (.LBB1_15373-.Lpost_getpc4102)>>32
	s_setpc_b64 s[14:15]
.LBB1_1037:
	s_or_saveexec_b64 s[6:7], s[6:7]
	v_mov_b32_e32 v14, s10
	s_xor_b64 exec, exec, s[6:7]
	s_cbranch_execz .LBB1_1038
; %bb.36879:
	s_getpc_b64 s[14:15]
.Lpost_getpc4103:
	s_add_u32 s14, s14, (.LBB1_15376-.Lpost_getpc4103)&4294967295
	s_addc_u32 s15, s15, (.LBB1_15376-.Lpost_getpc4103)>>32
	s_setpc_b64 s[14:15]
.LBB1_1038:
	s_or_b64 exec, exec, s[6:7]
	s_and_saveexec_b64 s[6:7], s[4:5]
	s_cbranch_execz .LBB1_1040
.LBB1_1039:
	v_bfe_u32 v14, v2, 8, 3
	v_ffbh_u32_e32 v16, v14
	v_min_u32_e32 v16, 32, v16
	v_lshrrev_b16_e32 v15, 3, v13
	v_subrev_u32_e32 v17, 28, v16
	v_and_b32_e32 v15, 15, v15
	v_lshlrev_b32_e32 v13, v17, v13
	v_sub_u32_e32 v16, 29, v16
	v_and_b32_e32 v13, 7, v13
	v_cmp_eq_u16_e32 vcc, 0, v15
	v_cndmask_b32_e32 v13, v14, v13, vcc
	v_cndmask_b32_e32 v14, v15, v16, vcc
	v_lshlrev_b32_e32 v15, 16, v2
	v_mov_b32_e32 v16, 0x3b800000
	v_lshlrev_b32_e32 v13, 20, v13
	v_and_b32_e32 v15, 0x80000000, v15
	v_lshl_add_u32 v14, v14, 23, v16
	v_or3_b32 v14, v15, v14, v13
.LBB1_1040:
	s_or_b64 exec, exec, s[6:7]
	s_nop 0
	v_mfma_f32_16x16x4f32 a[0:3], v12, v14, a[0:3]
	s_movk_i32 s4, 0xff
	v_and_b32_sdwa v13, v6, s4 dst_sel:DWORD dst_unused:UNUSED_PAD src0_sel:WORD_1 src1_sel:DWORD
	s_movk_i32 s4, 0x7f
	v_cmp_lt_i16_e32 vcc, s4, v13
	s_mov_b64 s[4:5], 0
                                        ; implicit-def: $sgpr10
	s_and_saveexec_b64 s[6:7], vcc
	s_xor_b64 s[6:7], exec, s[6:7]
	s_cbranch_execz .LBB1_1041
; %bb.36881:
	s_getpc_b64 s[14:15]
.Lpost_getpc4104:
	s_add_u32 s14, s14, (.LBB1_15377-.Lpost_getpc4104)&4294967295
	s_addc_u32 s15, s15, (.LBB1_15377-.Lpost_getpc4104)>>32
	s_setpc_b64 s[14:15]
.LBB1_1041:
	s_or_saveexec_b64 s[6:7], s[6:7]
	v_mov_b32_e32 v12, s10
	s_xor_b64 exec, exec, s[6:7]
	s_cbranch_execz .LBB1_1042
; %bb.36883:
	s_getpc_b64 s[14:15]
.Lpost_getpc4105:
	s_add_u32 s14, s14, (.LBB1_15380-.Lpost_getpc4105)&4294967295
	s_addc_u32 s15, s15, (.LBB1_15380-.Lpost_getpc4105)>>32
	s_setpc_b64 s[14:15]
.LBB1_1042:
	s_or_b64 exec, exec, s[6:7]
	s_and_saveexec_b64 s[6:7], s[4:5]
	s_cbranch_execz .LBB1_1044
.LBB1_1043:
	v_bfe_u32 v12, v6, 16, 3
	v_ffbh_u32_e32 v15, v12
	v_min_u32_e32 v15, 32, v15
	v_lshrrev_b32_e32 v13, 19, v6
	v_subrev_u32_e32 v16, 28, v15
	v_and_b32_e32 v13, 15, v13
	v_lshlrev_b32_sdwa v16, v16, v6 dst_sel:DWORD dst_unused:UNUSED_PAD src0_sel:DWORD src1_sel:WORD_1
	v_bfe_u32 v14, v6, 19, 4
	v_sub_u32_e32 v15, 29, v15
	v_and_b32_e32 v16, 7, v16
	v_cmp_eq_u16_e32 vcc, 0, v13
	v_cndmask_b32_e32 v12, v12, v16, vcc
	v_cndmask_b32_e32 v13, v14, v15, vcc
	v_lshlrev_b32_e32 v14, 8, v6
	v_mov_b32_e32 v15, 0x3b800000
	v_lshlrev_b32_e32 v12, 20, v12
	v_and_b32_e32 v14, 0x80000000, v14
	v_lshl_add_u32 v13, v13, 23, v15
	v_or3_b32 v12, v14, v13, v12
.LBB1_1044:
	s_or_b64 exec, exec, s[6:7]
	s_movk_i32 s4, 0xff
	v_and_b32_sdwa v13, v2, s4 dst_sel:DWORD dst_unused:UNUSED_PAD src0_sel:WORD_1 src1_sel:DWORD
	s_movk_i32 s4, 0x7f
	v_cmp_lt_i16_e32 vcc, s4, v13
	s_mov_b64 s[4:5], 0
                                        ; implicit-def: $sgpr10
	s_and_saveexec_b64 s[6:7], vcc
	s_xor_b64 s[6:7], exec, s[6:7]
	s_cbranch_execz .LBB1_1045
; %bb.36885:
	s_getpc_b64 s[14:15]
.Lpost_getpc4106:
	s_add_u32 s14, s14, (.LBB1_15381-.Lpost_getpc4106)&4294967295
	s_addc_u32 s15, s15, (.LBB1_15381-.Lpost_getpc4106)>>32
	s_setpc_b64 s[14:15]
.LBB1_1045:
	s_or_saveexec_b64 s[6:7], s[6:7]
	v_mov_b32_e32 v14, s10
	s_xor_b64 exec, exec, s[6:7]
	s_cbranch_execz .LBB1_1046
; %bb.36887:
	s_getpc_b64 s[14:15]
.Lpost_getpc4107:
	s_add_u32 s14, s14, (.LBB1_15384-.Lpost_getpc4107)&4294967295
	s_addc_u32 s15, s15, (.LBB1_15384-.Lpost_getpc4107)>>32
	s_setpc_b64 s[14:15]
.LBB1_1046:
	s_or_b64 exec, exec, s[6:7]
	s_and_saveexec_b64 s[6:7], s[4:5]
	s_cbranch_execz .LBB1_1048
.LBB1_1047:
	v_bfe_u32 v13, v2, 16, 3
	v_ffbh_u32_e32 v16, v13
	v_min_u32_e32 v16, 32, v16
	v_lshrrev_b32_e32 v14, 19, v2
	v_subrev_u32_e32 v17, 28, v16
	v_and_b32_e32 v14, 15, v14
	v_lshlrev_b32_sdwa v17, v17, v2 dst_sel:DWORD dst_unused:UNUSED_PAD src0_sel:DWORD src1_sel:WORD_1
	v_bfe_u32 v15, v2, 19, 4
	v_sub_u32_e32 v16, 29, v16
	v_and_b32_e32 v17, 7, v17
	v_cmp_eq_u16_e32 vcc, 0, v14
	v_cndmask_b32_e32 v13, v13, v17, vcc
	v_cndmask_b32_e32 v14, v15, v16, vcc
	v_lshlrev_b32_e32 v15, 8, v2
	v_mov_b32_e32 v16, 0x3b800000
	v_lshlrev_b32_e32 v13, 20, v13
	v_and_b32_e32 v15, 0x80000000, v15
	v_lshl_add_u32 v14, v14, 23, v16
	v_or3_b32 v14, v15, v14, v13
.LBB1_1048:
	s_or_b64 exec, exec, s[6:7]
	s_nop 0
	v_mfma_f32_16x16x4f32 a[0:3], v12, v14, a[0:3]
	s_movk_i32 s4, 0x7f
	v_cmp_gt_i16_sdwa s[6:7], v6, s4 src0_sel:BYTE_3 src1_sel:DWORD
	s_mov_b64 s[4:5], 0
                                        ; implicit-def: $sgpr10
	s_and_saveexec_b64 s[8:9], s[6:7]
	s_xor_b64 s[6:7], exec, s[8:9]
	s_cbranch_execz .LBB1_1049
; %bb.36889:
	s_getpc_b64 s[14:15]
.Lpost_getpc4108:
	s_add_u32 s14, s14, (.LBB1_15385-.Lpost_getpc4108)&4294967295
	s_addc_u32 s15, s15, (.LBB1_15385-.Lpost_getpc4108)>>32
	s_setpc_b64 s[14:15]
.LBB1_1049:
	s_or_saveexec_b64 s[6:7], s[6:7]
	v_mov_b32_e32 v12, s10
	s_xor_b64 exec, exec, s[6:7]
	s_cbranch_execz .LBB1_1050
; %bb.36891:
	s_getpc_b64 s[14:15]
.Lpost_getpc4109:
	s_add_u32 s14, s14, (.LBB1_15388-.Lpost_getpc4109)&4294967295
	s_addc_u32 s15, s15, (.LBB1_15388-.Lpost_getpc4109)>>32
	s_setpc_b64 s[14:15]
.LBB1_1050:
	s_or_b64 exec, exec, s[6:7]
	s_and_saveexec_b64 s[6:7], s[4:5]
	s_cbranch_execz .LBB1_1052
.LBB1_1051:
	v_bfe_u32 v12, v6, 24, 3
	v_ffbh_u32_e32 v16, v12
	v_min_u32_e32 v16, 32, v16
	v_lshrrev_b32_e32 v14, 27, v6
	v_subrev_u32_e32 v17, 28, v16
	v_and_b32_e32 v13, 0x80000000, v6
	v_and_b32_e32 v14, 15, v14
	v_bfe_u32 v15, v6, 27, 4
	v_lshlrev_b32_sdwa v6, v17, v6 dst_sel:DWORD dst_unused:UNUSED_PAD src0_sel:DWORD src1_sel:BYTE_3
	v_sub_u32_e32 v16, 29, v16
	v_and_b32_e32 v6, 7, v6
	v_cmp_eq_u16_e32 vcc, 0, v14
	v_cndmask_b32_e32 v6, v12, v6, vcc
	v_cndmask_b32_e32 v12, v15, v16, vcc
	v_mov_b32_e32 v14, 0x3b800000
	v_lshlrev_b32_e32 v6, 20, v6
	v_lshl_add_u32 v12, v12, 23, v14
	v_or3_b32 v12, v13, v12, v6
.LBB1_1052:
	s_or_b64 exec, exec, s[6:7]
	s_movk_i32 s4, 0x7f
	v_cmp_gt_i16_sdwa s[6:7], v2, s4 src0_sel:BYTE_3 src1_sel:DWORD
	s_mov_b64 s[4:5], 0
                                        ; implicit-def: $sgpr10
	s_and_saveexec_b64 s[8:9], s[6:7]
	s_xor_b64 s[6:7], exec, s[8:9]
	s_cbranch_execz .LBB1_1053
; %bb.36893:
	s_getpc_b64 s[14:15]
.Lpost_getpc4110:
	s_add_u32 s14, s14, (.LBB1_15389-.Lpost_getpc4110)&4294967295
	s_addc_u32 s15, s15, (.LBB1_15389-.Lpost_getpc4110)>>32
	s_setpc_b64 s[14:15]
.LBB1_1053:
	s_or_saveexec_b64 s[6:7], s[6:7]
	v_mov_b32_e32 v6, s10
	s_xor_b64 exec, exec, s[6:7]
	s_cbranch_execz .LBB1_1054
; %bb.36895:
	s_getpc_b64 s[14:15]
.Lpost_getpc4111:
	s_add_u32 s14, s14, (.LBB1_15392-.Lpost_getpc4111)&4294967295
	s_addc_u32 s15, s15, (.LBB1_15392-.Lpost_getpc4111)>>32
	s_setpc_b64 s[14:15]
.LBB1_1054:
	s_or_b64 exec, exec, s[6:7]
	s_and_saveexec_b64 s[6:7], s[4:5]
	s_cbranch_execz .LBB1_1056
.LBB1_1055:
	v_bfe_u32 v6, v2, 24, 3
	v_ffbh_u32_e32 v16, v6
	v_min_u32_e32 v16, 32, v16
	v_lshrrev_b32_e32 v14, 27, v2
	v_subrev_u32_e32 v17, 28, v16
	v_and_b32_e32 v13, 0x80000000, v2
	v_and_b32_e32 v14, 15, v14
	v_bfe_u32 v15, v2, 27, 4
	v_lshlrev_b32_sdwa v2, v17, v2 dst_sel:DWORD dst_unused:UNUSED_PAD src0_sel:DWORD src1_sel:BYTE_3
	v_sub_u32_e32 v16, 29, v16
	v_and_b32_e32 v2, 7, v2
	v_cmp_eq_u16_e32 vcc, 0, v14
	v_cndmask_b32_e32 v2, v6, v2, vcc
	v_cndmask_b32_e32 v6, v15, v16, vcc
	v_mov_b32_e32 v14, 0x3b800000
	v_lshlrev_b32_e32 v2, 20, v2
	v_lshl_add_u32 v6, v6, 23, v14
	v_or3_b32 v6, v13, v6, v2
.LBB1_1056:
	s_or_b64 exec, exec, s[6:7]
	s_nop 0
	v_mfma_f32_16x16x4f32 a[0:3], v12, v6, a[0:3]
	s_movk_i32 s4, 0x7f
	v_cmp_gt_i16_sdwa s[6:7], v7, s4 src0_sel:BYTE_0 src1_sel:DWORD
	s_mov_b64 s[4:5], 0
                                        ; implicit-def: $sgpr10
	s_and_saveexec_b64 s[8:9], s[6:7]
	s_xor_b64 s[6:7], exec, s[8:9]
	s_cbranch_execz .LBB1_1057
; %bb.36897:
	s_getpc_b64 s[14:15]
.Lpost_getpc4112:
	s_add_u32 s14, s14, (.LBB1_15393-.Lpost_getpc4112)&4294967295
	s_addc_u32 s15, s15, (.LBB1_15393-.Lpost_getpc4112)>>32
	s_setpc_b64 s[14:15]
.LBB1_1057:
	s_or_saveexec_b64 s[6:7], s[6:7]
	v_mov_b32_e32 v2, s10
	s_xor_b64 exec, exec, s[6:7]
	s_cbranch_execz .LBB1_1058
; %bb.36899:
	s_getpc_b64 s[14:15]
.Lpost_getpc4113:
	s_add_u32 s14, s14, (.LBB1_15396-.Lpost_getpc4113)&4294967295
	s_addc_u32 s15, s15, (.LBB1_15396-.Lpost_getpc4113)>>32
	s_setpc_b64 s[14:15]
.LBB1_1058:
	s_or_b64 exec, exec, s[6:7]
	s_and_saveexec_b64 s[6:7], s[4:5]
	s_cbranch_execz .LBB1_1060
.LBB1_1059:
	v_and_b32_e32 v2, 7, v7
	v_ffbh_u32_e32 v12, v2
	v_min_u32_e32 v12, 32, v12
	v_lshrrev_b16_e32 v6, 3, v7
	v_subrev_u32_e32 v13, 28, v12
	v_and_b32_e32 v6, 15, v6
	v_lshlrev_b32_e32 v13, v13, v7
	v_sub_u32_e32 v12, 29, v12
	v_and_b32_e32 v13, 7, v13
	v_cmp_eq_u16_e32 vcc, 0, v6
	v_cndmask_b32_e32 v2, v2, v13, vcc
	v_cndmask_b32_e32 v6, v6, v12, vcc
	v_lshlrev_b32_e32 v12, 24, v7
	v_mov_b32_e32 v13, 0x3b800000
	v_lshlrev_b32_e32 v2, 20, v2
	v_and_b32_e32 v12, 0x80000000, v12
	v_lshl_add_u32 v6, v6, 23, v13
	v_or3_b32 v2, v12, v6, v2
.LBB1_1060:
	s_or_b64 exec, exec, s[6:7]
	s_movk_i32 s4, 0x7f
	v_cmp_gt_i16_sdwa s[6:7], v3, s4 src0_sel:BYTE_0 src1_sel:DWORD
	s_mov_b64 s[4:5], 0
                                        ; implicit-def: $sgpr10
	s_and_saveexec_b64 s[8:9], s[6:7]
	s_xor_b64 s[6:7], exec, s[8:9]
	s_cbranch_execz .LBB1_1061
; %bb.36901:
	s_getpc_b64 s[14:15]
.Lpost_getpc4114:
	s_add_u32 s14, s14, (.LBB1_15397-.Lpost_getpc4114)&4294967295
	s_addc_u32 s15, s15, (.LBB1_15397-.Lpost_getpc4114)>>32
	s_setpc_b64 s[14:15]
.LBB1_1061:
	s_or_saveexec_b64 s[6:7], s[6:7]
	v_mov_b32_e32 v6, s10
	s_xor_b64 exec, exec, s[6:7]
	s_cbranch_execz .LBB1_1062
; %bb.36903:
	s_getpc_b64 s[14:15]
.Lpost_getpc4115:
	s_add_u32 s14, s14, (.LBB1_15400-.Lpost_getpc4115)&4294967295
	s_addc_u32 s15, s15, (.LBB1_15400-.Lpost_getpc4115)>>32
	s_setpc_b64 s[14:15]
.LBB1_1062:
	s_or_b64 exec, exec, s[6:7]
	s_and_saveexec_b64 s[6:7], s[4:5]
	s_cbranch_execz .LBB1_1064
.LBB1_1063:
	v_and_b32_e32 v6, 7, v3
	v_ffbh_u32_e32 v13, v6
	v_min_u32_e32 v13, 32, v13
	v_lshrrev_b16_e32 v12, 3, v3
	v_subrev_u32_e32 v14, 28, v13
	v_and_b32_e32 v12, 15, v12
	v_lshlrev_b32_e32 v14, v14, v3
	v_sub_u32_e32 v13, 29, v13
	v_and_b32_e32 v14, 7, v14
	v_cmp_eq_u16_e32 vcc, 0, v12
	v_cndmask_b32_e32 v6, v6, v14, vcc
	v_cndmask_b32_e32 v12, v12, v13, vcc
	v_lshlrev_b32_e32 v13, 24, v3
	v_mov_b32_e32 v14, 0x3b800000
	v_lshlrev_b32_e32 v6, 20, v6
	v_and_b32_e32 v13, 0x80000000, v13
	v_lshl_add_u32 v12, v12, 23, v14
	v_or3_b32 v6, v13, v12, v6
.LBB1_1064:
	s_or_b64 exec, exec, s[6:7]
	s_nop 0
	v_mfma_f32_16x16x4f32 a[0:3], v2, v6, a[0:3]
	v_lshrrev_b32_e32 v6, 8, v7
	s_movk_i32 s4, 0x7f
	v_cmp_gt_i16_sdwa s[6:7], v6, s4 src0_sel:BYTE_0 src1_sel:DWORD
	s_mov_b64 s[4:5], 0
                                        ; implicit-def: $sgpr10
	s_and_saveexec_b64 s[8:9], s[6:7]
	s_xor_b64 s[6:7], exec, s[8:9]
	s_cbranch_execz .LBB1_1065
; %bb.36905:
	s_getpc_b64 s[14:15]
.Lpost_getpc4116:
	s_add_u32 s14, s14, (.LBB1_15401-.Lpost_getpc4116)&4294967295
	s_addc_u32 s15, s15, (.LBB1_15401-.Lpost_getpc4116)>>32
	s_setpc_b64 s[14:15]
.LBB1_1065:
	s_or_saveexec_b64 s[6:7], s[6:7]
	v_mov_b32_e32 v2, s10
	s_xor_b64 exec, exec, s[6:7]
	s_cbranch_execz .LBB1_1066
; %bb.36907:
	s_getpc_b64 s[14:15]
.Lpost_getpc4117:
	s_add_u32 s14, s14, (.LBB1_15404-.Lpost_getpc4117)&4294967295
	s_addc_u32 s15, s15, (.LBB1_15404-.Lpost_getpc4117)>>32
	s_setpc_b64 s[14:15]
.LBB1_1066:
	s_or_b64 exec, exec, s[6:7]
	s_and_saveexec_b64 s[6:7], s[4:5]
	s_cbranch_execz .LBB1_1068
.LBB1_1067:
	v_bfe_u32 v2, v7, 8, 3
	v_ffbh_u32_e32 v13, v2
	v_min_u32_e32 v13, 32, v13
	v_lshrrev_b16_e32 v12, 3, v6
	v_subrev_u32_e32 v14, 28, v13
	v_and_b32_e32 v12, 15, v12
	v_lshlrev_b32_e32 v6, v14, v6
	v_sub_u32_e32 v13, 29, v13
	v_and_b32_e32 v6, 7, v6
	v_cmp_eq_u16_e32 vcc, 0, v12
	v_cndmask_b32_e32 v2, v2, v6, vcc
	v_cndmask_b32_e32 v6, v12, v13, vcc
	v_lshlrev_b32_e32 v12, 16, v7
	v_mov_b32_e32 v13, 0x3b800000
	v_lshlrev_b32_e32 v2, 20, v2
	v_and_b32_e32 v12, 0x80000000, v12
	v_lshl_add_u32 v6, v6, 23, v13
	v_or3_b32 v2, v12, v6, v2
.LBB1_1068:
	s_or_b64 exec, exec, s[6:7]
	v_lshrrev_b32_e32 v6, 8, v3
	s_movk_i32 s4, 0x7f
	v_cmp_gt_i16_sdwa s[6:7], v6, s4 src0_sel:BYTE_0 src1_sel:DWORD
	s_mov_b64 s[4:5], 0
                                        ; implicit-def: $sgpr10
	s_and_saveexec_b64 s[8:9], s[6:7]
	s_xor_b64 s[6:7], exec, s[8:9]
	s_cbranch_execz .LBB1_1069
; %bb.36909:
	s_getpc_b64 s[14:15]
.Lpost_getpc4118:
	s_add_u32 s14, s14, (.LBB1_15405-.Lpost_getpc4118)&4294967295
	s_addc_u32 s15, s15, (.LBB1_15405-.Lpost_getpc4118)>>32
	s_setpc_b64 s[14:15]
.LBB1_1069:
	s_or_saveexec_b64 s[6:7], s[6:7]
	v_mov_b32_e32 v12, s10
	s_xor_b64 exec, exec, s[6:7]
	s_cbranch_execz .LBB1_1070
; %bb.36911:
	s_getpc_b64 s[14:15]
.Lpost_getpc4119:
	s_add_u32 s14, s14, (.LBB1_15408-.Lpost_getpc4119)&4294967295
	s_addc_u32 s15, s15, (.LBB1_15408-.Lpost_getpc4119)>>32
	s_setpc_b64 s[14:15]
.LBB1_1070:
	s_or_b64 exec, exec, s[6:7]
	s_and_saveexec_b64 s[6:7], s[4:5]
	s_cbranch_execz .LBB1_1072
.LBB1_1071:
	v_bfe_u32 v12, v3, 8, 3
	v_ffbh_u32_e32 v14, v12
	v_min_u32_e32 v14, 32, v14
	v_lshrrev_b16_e32 v13, 3, v6
	v_subrev_u32_e32 v15, 28, v14
	v_and_b32_e32 v13, 15, v13
	v_lshlrev_b32_e32 v6, v15, v6
	v_sub_u32_e32 v14, 29, v14
	v_and_b32_e32 v6, 7, v6
	v_cmp_eq_u16_e32 vcc, 0, v13
	v_cndmask_b32_e32 v6, v12, v6, vcc
	v_cndmask_b32_e32 v12, v13, v14, vcc
	v_lshlrev_b32_e32 v13, 16, v3
	v_mov_b32_e32 v14, 0x3b800000
	v_lshlrev_b32_e32 v6, 20, v6
	v_and_b32_e32 v13, 0x80000000, v13
	v_lshl_add_u32 v12, v12, 23, v14
	v_or3_b32 v12, v13, v12, v6
.LBB1_1072:
	s_or_b64 exec, exec, s[6:7]
	s_nop 0
	v_mfma_f32_16x16x4f32 a[0:3], v2, v12, a[0:3]
	s_movk_i32 s4, 0xff
	v_and_b32_sdwa v6, v7, s4 dst_sel:DWORD dst_unused:UNUSED_PAD src0_sel:WORD_1 src1_sel:DWORD
	s_movk_i32 s4, 0x7f
	v_cmp_lt_i16_e32 vcc, s4, v6
	s_mov_b64 s[4:5], 0
                                        ; implicit-def: $sgpr10
	s_and_saveexec_b64 s[6:7], vcc
	s_xor_b64 s[6:7], exec, s[6:7]
	s_cbranch_execz .LBB1_1073
; %bb.36913:
	s_getpc_b64 s[14:15]
.Lpost_getpc4120:
	s_add_u32 s14, s14, (.LBB1_15409-.Lpost_getpc4120)&4294967295
	s_addc_u32 s15, s15, (.LBB1_15409-.Lpost_getpc4120)>>32
	s_setpc_b64 s[14:15]
.LBB1_1073:
	s_or_saveexec_b64 s[6:7], s[6:7]
	v_mov_b32_e32 v2, s10
	s_xor_b64 exec, exec, s[6:7]
	s_cbranch_execz .LBB1_1074
; %bb.36915:
	s_getpc_b64 s[14:15]
.Lpost_getpc4121:
	s_add_u32 s14, s14, (.LBB1_15412-.Lpost_getpc4121)&4294967295
	s_addc_u32 s15, s15, (.LBB1_15412-.Lpost_getpc4121)>>32
	s_setpc_b64 s[14:15]
.LBB1_1074:
	s_or_b64 exec, exec, s[6:7]
	s_and_saveexec_b64 s[6:7], s[4:5]
	s_cbranch_execz .LBB1_1076
.LBB1_1075:
	v_bfe_u32 v2, v7, 16, 3
	v_ffbh_u32_e32 v13, v2
	v_min_u32_e32 v13, 32, v13
	v_lshrrev_b32_e32 v6, 19, v7
	v_subrev_u32_e32 v14, 28, v13
	v_and_b32_e32 v6, 15, v6
	v_lshlrev_b32_sdwa v14, v14, v7 dst_sel:DWORD dst_unused:UNUSED_PAD src0_sel:DWORD src1_sel:WORD_1
	v_bfe_u32 v12, v7, 19, 4
	v_sub_u32_e32 v13, 29, v13
	v_and_b32_e32 v14, 7, v14
	v_cmp_eq_u16_e32 vcc, 0, v6
	v_cndmask_b32_e32 v2, v2, v14, vcc
	v_cndmask_b32_e32 v6, v12, v13, vcc
	v_lshlrev_b32_e32 v12, 8, v7
	v_mov_b32_e32 v13, 0x3b800000
	v_lshlrev_b32_e32 v2, 20, v2
	v_and_b32_e32 v12, 0x80000000, v12
	v_lshl_add_u32 v6, v6, 23, v13
	v_or3_b32 v2, v12, v6, v2
.LBB1_1076:
	s_or_b64 exec, exec, s[6:7]
	s_movk_i32 s4, 0xff
	v_and_b32_sdwa v6, v3, s4 dst_sel:DWORD dst_unused:UNUSED_PAD src0_sel:WORD_1 src1_sel:DWORD
	s_movk_i32 s4, 0x7f
	v_cmp_lt_i16_e32 vcc, s4, v6
	s_mov_b64 s[4:5], 0
                                        ; implicit-def: $sgpr10
	s_and_saveexec_b64 s[6:7], vcc
	s_xor_b64 s[6:7], exec, s[6:7]
	s_cbranch_execz .LBB1_1077
; %bb.36917:
	s_getpc_b64 s[14:15]
.Lpost_getpc4122:
	s_add_u32 s14, s14, (.LBB1_15413-.Lpost_getpc4122)&4294967295
	s_addc_u32 s15, s15, (.LBB1_15413-.Lpost_getpc4122)>>32
	s_setpc_b64 s[14:15]
.LBB1_1077:
	s_or_saveexec_b64 s[6:7], s[6:7]
	v_mov_b32_e32 v12, s10
	s_xor_b64 exec, exec, s[6:7]
	s_cbranch_execz .LBB1_1078
; %bb.36919:
	s_getpc_b64 s[14:15]
.Lpost_getpc4123:
	s_add_u32 s14, s14, (.LBB1_15416-.Lpost_getpc4123)&4294967295
	s_addc_u32 s15, s15, (.LBB1_15416-.Lpost_getpc4123)>>32
	s_setpc_b64 s[14:15]
.LBB1_1078:
	s_or_b64 exec, exec, s[6:7]
	s_and_saveexec_b64 s[6:7], s[4:5]
	s_cbranch_execz .LBB1_1080
.LBB1_1079:
	v_bfe_u32 v6, v3, 16, 3
	v_ffbh_u32_e32 v14, v6
	v_min_u32_e32 v14, 32, v14
	v_lshrrev_b32_e32 v12, 19, v3
	v_subrev_u32_e32 v15, 28, v14
	v_and_b32_e32 v12, 15, v12
	v_lshlrev_b32_sdwa v15, v15, v3 dst_sel:DWORD dst_unused:UNUSED_PAD src0_sel:DWORD src1_sel:WORD_1
	v_bfe_u32 v13, v3, 19, 4
	v_sub_u32_e32 v14, 29, v14
	v_and_b32_e32 v15, 7, v15
	v_cmp_eq_u16_e32 vcc, 0, v12
	v_cndmask_b32_e32 v6, v6, v15, vcc
	v_cndmask_b32_e32 v12, v13, v14, vcc
	v_lshlrev_b32_e32 v13, 8, v3
	v_mov_b32_e32 v14, 0x3b800000
	v_lshlrev_b32_e32 v6, 20, v6
	v_and_b32_e32 v13, 0x80000000, v13
	v_lshl_add_u32 v12, v12, 23, v14
	v_or3_b32 v12, v13, v12, v6
.LBB1_1080:
	s_or_b64 exec, exec, s[6:7]
	s_nop 0
	v_mfma_f32_16x16x4f32 a[0:3], v2, v12, a[0:3]
	s_movk_i32 s4, 0x7f
	v_cmp_gt_i16_sdwa s[6:7], v7, s4 src0_sel:BYTE_3 src1_sel:DWORD
	s_mov_b64 s[4:5], 0
                                        ; implicit-def: $sgpr10
	s_and_saveexec_b64 s[8:9], s[6:7]
	s_xor_b64 s[6:7], exec, s[8:9]
	s_cbranch_execz .LBB1_1081
; %bb.36921:
	s_getpc_b64 s[14:15]
.Lpost_getpc4124:
	s_add_u32 s14, s14, (.LBB1_15417-.Lpost_getpc4124)&4294967295
	s_addc_u32 s15, s15, (.LBB1_15417-.Lpost_getpc4124)>>32
	s_setpc_b64 s[14:15]
.LBB1_1081:
	s_or_saveexec_b64 s[6:7], s[6:7]
	v_mov_b32_e32 v2, s10
	s_xor_b64 exec, exec, s[6:7]
	s_cbranch_execz .LBB1_1082
; %bb.36923:
	s_getpc_b64 s[14:15]
.Lpost_getpc4125:
	s_add_u32 s14, s14, (.LBB1_15420-.Lpost_getpc4125)&4294967295
	s_addc_u32 s15, s15, (.LBB1_15420-.Lpost_getpc4125)>>32
	s_setpc_b64 s[14:15]
.LBB1_1082:
	s_or_b64 exec, exec, s[6:7]
	s_and_saveexec_b64 s[6:7], s[4:5]
	s_cbranch_execz .LBB1_1084
.LBB1_1083:
	v_bfe_u32 v2, v7, 24, 3
	v_ffbh_u32_e32 v14, v2
	v_min_u32_e32 v14, 32, v14
	v_lshrrev_b32_e32 v12, 27, v7
	v_subrev_u32_e32 v15, 28, v14
	v_and_b32_e32 v6, 0x80000000, v7
	v_and_b32_e32 v12, 15, v12
	v_bfe_u32 v13, v7, 27, 4
	v_lshlrev_b32_sdwa v7, v15, v7 dst_sel:DWORD dst_unused:UNUSED_PAD src0_sel:DWORD src1_sel:BYTE_3
	v_sub_u32_e32 v14, 29, v14
	v_and_b32_e32 v7, 7, v7
	v_cmp_eq_u16_e32 vcc, 0, v12
	v_cndmask_b32_e32 v2, v2, v7, vcc
	v_cndmask_b32_e32 v7, v13, v14, vcc
	v_mov_b32_e32 v12, 0x3b800000
	v_lshlrev_b32_e32 v2, 20, v2
	v_lshl_add_u32 v7, v7, 23, v12
	v_or3_b32 v2, v6, v7, v2
.LBB1_1084:
	s_or_b64 exec, exec, s[6:7]
	s_movk_i32 s4, 0x7f
	v_cmp_gt_i16_sdwa s[6:7], v3, s4 src0_sel:BYTE_3 src1_sel:DWORD
	s_mov_b64 s[4:5], 0
                                        ; implicit-def: $sgpr10
	s_and_saveexec_b64 s[8:9], s[6:7]
	s_xor_b64 s[6:7], exec, s[8:9]
	s_cbranch_execz .LBB1_1085
; %bb.36925:
	s_getpc_b64 s[14:15]
.Lpost_getpc4126:
	s_add_u32 s14, s14, (.LBB1_15421-.Lpost_getpc4126)&4294967295
	s_addc_u32 s15, s15, (.LBB1_15421-.Lpost_getpc4126)>>32
	s_setpc_b64 s[14:15]
.LBB1_1085:
	s_or_saveexec_b64 s[6:7], s[6:7]
	v_mov_b32_e32 v6, s10
	s_xor_b64 exec, exec, s[6:7]
	s_cbranch_execz .LBB1_1086
; %bb.36927:
	s_getpc_b64 s[14:15]
.Lpost_getpc4127:
	s_add_u32 s14, s14, (.LBB1_15424-.Lpost_getpc4127)&4294967295
	s_addc_u32 s15, s15, (.LBB1_15424-.Lpost_getpc4127)>>32
	s_setpc_b64 s[14:15]
.LBB1_1086:
	s_or_b64 exec, exec, s[6:7]
	s_and_saveexec_b64 s[6:7], s[4:5]
	s_cbranch_execz .LBB1_1088
.LBB1_1087:
	v_bfe_u32 v6, v3, 24, 3
	v_ffbh_u32_e32 v14, v6
	v_min_u32_e32 v14, 32, v14
	v_lshrrev_b32_e32 v12, 27, v3
	v_subrev_u32_e32 v15, 28, v14
	v_and_b32_e32 v7, 0x80000000, v3
	v_and_b32_e32 v12, 15, v12
	v_bfe_u32 v13, v3, 27, 4
	v_lshlrev_b32_sdwa v3, v15, v3 dst_sel:DWORD dst_unused:UNUSED_PAD src0_sel:DWORD src1_sel:BYTE_3
	v_sub_u32_e32 v14, 29, v14
	v_and_b32_e32 v3, 7, v3
	v_cmp_eq_u16_e32 vcc, 0, v12
	v_cndmask_b32_e32 v3, v6, v3, vcc
	v_cndmask_b32_e32 v6, v13, v14, vcc
	v_mov_b32_e32 v12, 0x3b800000
	v_lshlrev_b32_e32 v3, 20, v3
	v_lshl_add_u32 v6, v6, 23, v12
	v_or3_b32 v6, v7, v6, v3
.LBB1_1088:
	s_or_b64 exec, exec, s[6:7]
	s_nop 0
	v_mfma_f32_16x16x4f32 a[0:3], v2, v6, a[0:3]
	s_movk_i32 s4, 0x7f
	v_cmp_gt_i16_sdwa s[6:7], v8, s4 src0_sel:BYTE_0 src1_sel:DWORD
	s_mov_b64 s[4:5], 0
                                        ; implicit-def: $sgpr10
	s_and_saveexec_b64 s[8:9], s[6:7]
	s_xor_b64 s[6:7], exec, s[8:9]
	s_cbranch_execz .LBB1_1089
; %bb.36929:
	s_getpc_b64 s[14:15]
.Lpost_getpc4128:
	s_add_u32 s14, s14, (.LBB1_15425-.Lpost_getpc4128)&4294967295
	s_addc_u32 s15, s15, (.LBB1_15425-.Lpost_getpc4128)>>32
	s_setpc_b64 s[14:15]
.LBB1_1089:
	s_or_saveexec_b64 s[6:7], s[6:7]
	v_mov_b32_e32 v2, s10
	s_xor_b64 exec, exec, s[6:7]
	s_cbranch_execz .LBB1_1090
; %bb.36931:
	s_getpc_b64 s[14:15]
.Lpost_getpc4129:
	s_add_u32 s14, s14, (.LBB1_15428-.Lpost_getpc4129)&4294967295
	s_addc_u32 s15, s15, (.LBB1_15428-.Lpost_getpc4129)>>32
	s_setpc_b64 s[14:15]
.LBB1_1090:
	s_or_b64 exec, exec, s[6:7]
	s_and_saveexec_b64 s[6:7], s[4:5]
	s_cbranch_execz .LBB1_1092
.LBB1_1091:
	v_and_b32_e32 v2, 7, v8
	v_ffbh_u32_e32 v6, v2
	v_min_u32_e32 v6, 32, v6
	v_lshrrev_b16_e32 v3, 3, v8
	v_subrev_u32_e32 v7, 28, v6
	v_and_b32_e32 v3, 15, v3
	v_lshlrev_b32_e32 v7, v7, v8
	v_sub_u32_e32 v6, 29, v6
	v_and_b32_e32 v7, 7, v7
	v_cmp_eq_u16_e32 vcc, 0, v3
	v_cndmask_b32_e32 v2, v2, v7, vcc
	v_cndmask_b32_e32 v3, v3, v6, vcc
	v_lshlrev_b32_e32 v6, 24, v8
	v_mov_b32_e32 v7, 0x3b800000
	v_lshlrev_b32_e32 v2, 20, v2
	v_and_b32_e32 v6, 0x80000000, v6
	v_lshl_add_u32 v3, v3, 23, v7
	v_or3_b32 v2, v6, v3, v2
.LBB1_1092:
	s_or_b64 exec, exec, s[6:7]
	s_movk_i32 s4, 0x7f
	v_cmp_gt_i16_sdwa s[6:7], v4, s4 src0_sel:BYTE_0 src1_sel:DWORD
	s_mov_b64 s[4:5], 0
                                        ; implicit-def: $sgpr10
	s_and_saveexec_b64 s[8:9], s[6:7]
	s_xor_b64 s[6:7], exec, s[8:9]
	s_cbranch_execz .LBB1_1093
; %bb.36933:
	s_getpc_b64 s[14:15]
.Lpost_getpc4130:
	s_add_u32 s14, s14, (.LBB1_15429-.Lpost_getpc4130)&4294967295
	s_addc_u32 s15, s15, (.LBB1_15429-.Lpost_getpc4130)>>32
	s_setpc_b64 s[14:15]
.LBB1_1093:
	s_or_saveexec_b64 s[6:7], s[6:7]
	v_mov_b32_e32 v3, s10
	s_xor_b64 exec, exec, s[6:7]
	s_cbranch_execz .LBB1_1094
; %bb.36935:
	s_getpc_b64 s[14:15]
.Lpost_getpc4131:
	s_add_u32 s14, s14, (.LBB1_15432-.Lpost_getpc4131)&4294967295
	s_addc_u32 s15, s15, (.LBB1_15432-.Lpost_getpc4131)>>32
	s_setpc_b64 s[14:15]
.LBB1_1094:
	s_or_b64 exec, exec, s[6:7]
	s_and_saveexec_b64 s[6:7], s[4:5]
	s_cbranch_execz .LBB1_1096
.LBB1_1095:
	v_and_b32_e32 v3, 7, v4
	v_ffbh_u32_e32 v7, v3
	v_min_u32_e32 v7, 32, v7
	v_lshrrev_b16_e32 v6, 3, v4
	v_subrev_u32_e32 v12, 28, v7
	v_and_b32_e32 v6, 15, v6
	v_lshlrev_b32_e32 v12, v12, v4
	v_sub_u32_e32 v7, 29, v7
	v_and_b32_e32 v12, 7, v12
	v_cmp_eq_u16_e32 vcc, 0, v6
	v_cndmask_b32_e32 v3, v3, v12, vcc
	v_cndmask_b32_e32 v6, v6, v7, vcc
	v_lshlrev_b32_e32 v7, 24, v4
	v_mov_b32_e32 v12, 0x3b800000
	v_lshlrev_b32_e32 v3, 20, v3
	v_and_b32_e32 v7, 0x80000000, v7
	v_lshl_add_u32 v6, v6, 23, v12
	v_or3_b32 v3, v7, v6, v3
.LBB1_1096:
	s_or_b64 exec, exec, s[6:7]
	s_nop 0
	v_mfma_f32_16x16x4f32 a[0:3], v2, v3, a[0:3]
	v_lshrrev_b32_e32 v3, 8, v8
	s_movk_i32 s4, 0x7f
	v_cmp_gt_i16_sdwa s[6:7], v3, s4 src0_sel:BYTE_0 src1_sel:DWORD
	s_mov_b64 s[4:5], 0
                                        ; implicit-def: $sgpr10
	s_and_saveexec_b64 s[8:9], s[6:7]
	s_xor_b64 s[6:7], exec, s[8:9]
	s_cbranch_execz .LBB1_1097
; %bb.36937:
	s_getpc_b64 s[14:15]
.Lpost_getpc4132:
	s_add_u32 s14, s14, (.LBB1_15433-.Lpost_getpc4132)&4294967295
	s_addc_u32 s15, s15, (.LBB1_15433-.Lpost_getpc4132)>>32
	s_setpc_b64 s[14:15]
.LBB1_1097:
	s_or_saveexec_b64 s[6:7], s[6:7]
	v_mov_b32_e32 v2, s10
	s_xor_b64 exec, exec, s[6:7]
	s_cbranch_execz .LBB1_1098
; %bb.36939:
	s_getpc_b64 s[14:15]
.Lpost_getpc4133:
	s_add_u32 s14, s14, (.LBB1_15436-.Lpost_getpc4133)&4294967295
	s_addc_u32 s15, s15, (.LBB1_15436-.Lpost_getpc4133)>>32
	s_setpc_b64 s[14:15]
.LBB1_1098:
	s_or_b64 exec, exec, s[6:7]
	s_and_saveexec_b64 s[6:7], s[4:5]
	s_cbranch_execz .LBB1_1100
.LBB1_1099:
	v_bfe_u32 v2, v8, 8, 3
	v_ffbh_u32_e32 v7, v2
	v_min_u32_e32 v7, 32, v7
	v_lshrrev_b16_e32 v6, 3, v3
	v_subrev_u32_e32 v12, 28, v7
	v_and_b32_e32 v6, 15, v6
	v_lshlrev_b32_e32 v3, v12, v3
	v_sub_u32_e32 v7, 29, v7
	v_and_b32_e32 v3, 7, v3
	v_cmp_eq_u16_e32 vcc, 0, v6
	v_cndmask_b32_e32 v2, v2, v3, vcc
	v_cndmask_b32_e32 v3, v6, v7, vcc
	v_lshlrev_b32_e32 v6, 16, v8
	v_mov_b32_e32 v7, 0x3b800000
	v_lshlrev_b32_e32 v2, 20, v2
	v_and_b32_e32 v6, 0x80000000, v6
	v_lshl_add_u32 v3, v3, 23, v7
	v_or3_b32 v2, v6, v3, v2
.LBB1_1100:
	s_or_b64 exec, exec, s[6:7]
	v_lshrrev_b32_e32 v3, 8, v4
	s_movk_i32 s4, 0x7f
	v_cmp_gt_i16_sdwa s[6:7], v3, s4 src0_sel:BYTE_0 src1_sel:DWORD
	s_mov_b64 s[4:5], 0
                                        ; implicit-def: $sgpr10
	s_and_saveexec_b64 s[8:9], s[6:7]
	s_xor_b64 s[6:7], exec, s[8:9]
	s_cbranch_execz .LBB1_1101
; %bb.36941:
	s_getpc_b64 s[14:15]
.Lpost_getpc4134:
	s_add_u32 s14, s14, (.LBB1_15437-.Lpost_getpc4134)&4294967295
	s_addc_u32 s15, s15, (.LBB1_15437-.Lpost_getpc4134)>>32
	s_setpc_b64 s[14:15]
.LBB1_1101:
	s_or_saveexec_b64 s[6:7], s[6:7]
	v_mov_b32_e32 v6, s10
	s_xor_b64 exec, exec, s[6:7]
	s_cbranch_execz .LBB1_1102
; %bb.36943:
	s_getpc_b64 s[14:15]
.Lpost_getpc4135:
	s_add_u32 s14, s14, (.LBB1_15440-.Lpost_getpc4135)&4294967295
	s_addc_u32 s15, s15, (.LBB1_15440-.Lpost_getpc4135)>>32
	s_setpc_b64 s[14:15]
.LBB1_1102:
	s_or_b64 exec, exec, s[6:7]
	s_and_saveexec_b64 s[6:7], s[4:5]
	s_cbranch_execz .LBB1_1104
.LBB1_1103:
	v_bfe_u32 v6, v4, 8, 3
	v_ffbh_u32_e32 v12, v6
	v_min_u32_e32 v12, 32, v12
	v_lshrrev_b16_e32 v7, 3, v3
	v_subrev_u32_e32 v13, 28, v12
	v_and_b32_e32 v7, 15, v7
	v_lshlrev_b32_e32 v3, v13, v3
	v_sub_u32_e32 v12, 29, v12
	v_and_b32_e32 v3, 7, v3
	v_cmp_eq_u16_e32 vcc, 0, v7
	v_cndmask_b32_e32 v3, v6, v3, vcc
	v_cndmask_b32_e32 v6, v7, v12, vcc
	v_lshlrev_b32_e32 v7, 16, v4
	v_mov_b32_e32 v12, 0x3b800000
	v_lshlrev_b32_e32 v3, 20, v3
	v_and_b32_e32 v7, 0x80000000, v7
	v_lshl_add_u32 v6, v6, 23, v12
	v_or3_b32 v6, v7, v6, v3
.LBB1_1104:
	s_or_b64 exec, exec, s[6:7]
	s_nop 0
	v_mfma_f32_16x16x4f32 a[0:3], v2, v6, a[0:3]
	s_movk_i32 s4, 0xff
	v_and_b32_sdwa v3, v8, s4 dst_sel:DWORD dst_unused:UNUSED_PAD src0_sel:WORD_1 src1_sel:DWORD
	s_movk_i32 s4, 0x7f
	v_cmp_lt_i16_e32 vcc, s4, v3
	s_mov_b64 s[4:5], 0
                                        ; implicit-def: $sgpr10
	s_and_saveexec_b64 s[6:7], vcc
	s_xor_b64 s[6:7], exec, s[6:7]
	s_cbranch_execz .LBB1_1105
; %bb.36945:
	s_getpc_b64 s[14:15]
.Lpost_getpc4136:
	s_add_u32 s14, s14, (.LBB1_15441-.Lpost_getpc4136)&4294967295
	s_addc_u32 s15, s15, (.LBB1_15441-.Lpost_getpc4136)>>32
	s_setpc_b64 s[14:15]
.LBB1_1105:
	s_or_saveexec_b64 s[6:7], s[6:7]
	v_mov_b32_e32 v2, s10
	s_xor_b64 exec, exec, s[6:7]
	s_cbranch_execz .LBB1_1106
; %bb.36947:
	s_getpc_b64 s[14:15]
.Lpost_getpc4137:
	s_add_u32 s14, s14, (.LBB1_15444-.Lpost_getpc4137)&4294967295
	s_addc_u32 s15, s15, (.LBB1_15444-.Lpost_getpc4137)>>32
	s_setpc_b64 s[14:15]
.LBB1_1106:
	s_or_b64 exec, exec, s[6:7]
	s_and_saveexec_b64 s[6:7], s[4:5]
	s_cbranch_execz .LBB1_1108
.LBB1_1107:
	v_bfe_u32 v2, v8, 16, 3
	v_ffbh_u32_e32 v7, v2
	v_min_u32_e32 v7, 32, v7
	v_lshrrev_b32_e32 v3, 19, v8
	v_subrev_u32_e32 v12, 28, v7
	v_and_b32_e32 v3, 15, v3
	v_lshlrev_b32_sdwa v12, v12, v8 dst_sel:DWORD dst_unused:UNUSED_PAD src0_sel:DWORD src1_sel:WORD_1
	v_bfe_u32 v6, v8, 19, 4
	v_sub_u32_e32 v7, 29, v7
	v_and_b32_e32 v12, 7, v12
	v_cmp_eq_u16_e32 vcc, 0, v3
	v_cndmask_b32_e32 v2, v2, v12, vcc
	v_cndmask_b32_e32 v3, v6, v7, vcc
	v_lshlrev_b32_e32 v6, 8, v8
	v_mov_b32_e32 v7, 0x3b800000
	v_lshlrev_b32_e32 v2, 20, v2
	v_and_b32_e32 v6, 0x80000000, v6
	v_lshl_add_u32 v3, v3, 23, v7
	v_or3_b32 v2, v6, v3, v2
.LBB1_1108:
	s_or_b64 exec, exec, s[6:7]
	s_movk_i32 s4, 0xff
	v_and_b32_sdwa v3, v4, s4 dst_sel:DWORD dst_unused:UNUSED_PAD src0_sel:WORD_1 src1_sel:DWORD
	s_movk_i32 s4, 0x7f
	v_cmp_lt_i16_e32 vcc, s4, v3
	s_mov_b64 s[4:5], 0
                                        ; implicit-def: $sgpr10
	s_and_saveexec_b64 s[6:7], vcc
	s_xor_b64 s[6:7], exec, s[6:7]
	s_cbranch_execz .LBB1_1109
; %bb.36949:
	s_getpc_b64 s[14:15]
.Lpost_getpc4138:
	s_add_u32 s14, s14, (.LBB1_15445-.Lpost_getpc4138)&4294967295
	s_addc_u32 s15, s15, (.LBB1_15445-.Lpost_getpc4138)>>32
	s_setpc_b64 s[14:15]
.LBB1_1109:
	s_or_saveexec_b64 s[6:7], s[6:7]
	v_mov_b32_e32 v6, s10
	s_xor_b64 exec, exec, s[6:7]
	s_cbranch_execz .LBB1_1110
; %bb.36951:
	s_getpc_b64 s[14:15]
.Lpost_getpc4139:
	s_add_u32 s14, s14, (.LBB1_15448-.Lpost_getpc4139)&4294967295
	s_addc_u32 s15, s15, (.LBB1_15448-.Lpost_getpc4139)>>32
	s_setpc_b64 s[14:15]
.LBB1_1110:
	s_or_b64 exec, exec, s[6:7]
	s_and_saveexec_b64 s[6:7], s[4:5]
	s_cbranch_execz .LBB1_1112
.LBB1_1111:
	v_bfe_u32 v3, v4, 16, 3
	v_ffbh_u32_e32 v12, v3
	v_min_u32_e32 v12, 32, v12
	v_lshrrev_b32_e32 v6, 19, v4
	v_subrev_u32_e32 v13, 28, v12
	v_and_b32_e32 v6, 15, v6
	v_lshlrev_b32_sdwa v13, v13, v4 dst_sel:DWORD dst_unused:UNUSED_PAD src0_sel:DWORD src1_sel:WORD_1
	v_bfe_u32 v7, v4, 19, 4
	v_sub_u32_e32 v12, 29, v12
	v_and_b32_e32 v13, 7, v13
	v_cmp_eq_u16_e32 vcc, 0, v6
	v_cndmask_b32_e32 v3, v3, v13, vcc
	v_cndmask_b32_e32 v6, v7, v12, vcc
	v_lshlrev_b32_e32 v7, 8, v4
	v_mov_b32_e32 v12, 0x3b800000
	v_lshlrev_b32_e32 v3, 20, v3
	v_and_b32_e32 v7, 0x80000000, v7
	v_lshl_add_u32 v6, v6, 23, v12
	v_or3_b32 v6, v7, v6, v3
.LBB1_1112:
	s_or_b64 exec, exec, s[6:7]
	s_nop 0
	v_mfma_f32_16x16x4f32 a[0:3], v2, v6, a[0:3]
	s_movk_i32 s4, 0x7f
	v_cmp_gt_i16_sdwa s[6:7], v8, s4 src0_sel:BYTE_3 src1_sel:DWORD
	s_mov_b64 s[4:5], 0
                                        ; implicit-def: $sgpr10
	s_and_saveexec_b64 s[8:9], s[6:7]
	s_xor_b64 s[6:7], exec, s[8:9]
	s_cbranch_execz .LBB1_1113
; %bb.36953:
	s_getpc_b64 s[14:15]
.Lpost_getpc4140:
	s_add_u32 s14, s14, (.LBB1_15449-.Lpost_getpc4140)&4294967295
	s_addc_u32 s15, s15, (.LBB1_15449-.Lpost_getpc4140)>>32
	s_setpc_b64 s[14:15]
.LBB1_1113:
	s_or_saveexec_b64 s[6:7], s[6:7]
	v_mov_b32_e32 v2, s10
	s_xor_b64 exec, exec, s[6:7]
	s_cbranch_execz .LBB1_1114
; %bb.36955:
	s_getpc_b64 s[14:15]
.Lpost_getpc4141:
	s_add_u32 s14, s14, (.LBB1_15452-.Lpost_getpc4141)&4294967295
	s_addc_u32 s15, s15, (.LBB1_15452-.Lpost_getpc4141)>>32
	s_setpc_b64 s[14:15]
.LBB1_1114:
	s_or_b64 exec, exec, s[6:7]
	s_and_saveexec_b64 s[6:7], s[4:5]
	s_cbranch_execz .LBB1_1116
.LBB1_1115:
	v_bfe_u32 v2, v8, 24, 3
	v_ffbh_u32_e32 v12, v2
	v_min_u32_e32 v12, 32, v12
	v_lshrrev_b32_e32 v6, 27, v8
	v_subrev_u32_e32 v13, 28, v12
	v_and_b32_e32 v3, 0x80000000, v8
	v_and_b32_e32 v6, 15, v6
	v_bfe_u32 v7, v8, 27, 4
	v_lshlrev_b32_sdwa v8, v13, v8 dst_sel:DWORD dst_unused:UNUSED_PAD src0_sel:DWORD src1_sel:BYTE_3
	v_sub_u32_e32 v12, 29, v12
	v_and_b32_e32 v8, 7, v8
	v_cmp_eq_u16_e32 vcc, 0, v6
	v_cndmask_b32_e32 v2, v2, v8, vcc
	v_cndmask_b32_e32 v6, v7, v12, vcc
	v_mov_b32_e32 v7, 0x3b800000
	v_lshlrev_b32_e32 v2, 20, v2
	v_lshl_add_u32 v6, v6, 23, v7
	v_or3_b32 v2, v3, v6, v2
.LBB1_1116:
	s_or_b64 exec, exec, s[6:7]
	s_movk_i32 s4, 0x7f
	v_cmp_gt_i16_sdwa s[6:7], v4, s4 src0_sel:BYTE_3 src1_sel:DWORD
	s_mov_b64 s[4:5], 0
                                        ; implicit-def: $sgpr10
	s_and_saveexec_b64 s[8:9], s[6:7]
	s_xor_b64 s[6:7], exec, s[8:9]
	s_cbranch_execz .LBB1_1117
; %bb.36957:
	s_getpc_b64 s[14:15]
.Lpost_getpc4142:
	s_add_u32 s14, s14, (.LBB1_15453-.Lpost_getpc4142)&4294967295
	s_addc_u32 s15, s15, (.LBB1_15453-.Lpost_getpc4142)>>32
	s_setpc_b64 s[14:15]
.LBB1_1117:
	s_or_saveexec_b64 s[6:7], s[6:7]
	v_mov_b32_e32 v3, s10
	s_xor_b64 exec, exec, s[6:7]
	s_cbranch_execz .LBB1_1118
; %bb.36959:
	s_getpc_b64 s[14:15]
.Lpost_getpc4143:
	s_add_u32 s14, s14, (.LBB1_15456-.Lpost_getpc4143)&4294967295
	s_addc_u32 s15, s15, (.LBB1_15456-.Lpost_getpc4143)>>32
	s_setpc_b64 s[14:15]
.LBB1_1118:
	s_or_b64 exec, exec, s[6:7]
	s_and_saveexec_b64 s[6:7], s[4:5]
	s_cbranch_execz .LBB1_1120
.LBB1_1119:
	v_bfe_u32 v3, v4, 24, 3
	v_ffbh_u32_e32 v12, v3
	v_min_u32_e32 v12, 32, v12
	v_lshrrev_b32_e32 v7, 27, v4
	v_subrev_u32_e32 v13, 28, v12
	v_and_b32_e32 v6, 0x80000000, v4
	v_and_b32_e32 v7, 15, v7
	v_bfe_u32 v8, v4, 27, 4
	v_lshlrev_b32_sdwa v4, v13, v4 dst_sel:DWORD dst_unused:UNUSED_PAD src0_sel:DWORD src1_sel:BYTE_3
	v_sub_u32_e32 v12, 29, v12
	v_and_b32_e32 v4, 7, v4
	v_cmp_eq_u16_e32 vcc, 0, v7
	v_cndmask_b32_e32 v3, v3, v4, vcc
	v_cndmask_b32_e32 v4, v8, v12, vcc
	v_mov_b32_e32 v7, 0x3b800000
	v_lshlrev_b32_e32 v3, 20, v3
	v_lshl_add_u32 v4, v4, 23, v7
	v_or3_b32 v3, v6, v4, v3
.LBB1_1120:
	s_or_b64 exec, exec, s[6:7]
	s_nop 0
	v_mfma_f32_16x16x4f32 a[0:3], v2, v3, a[0:3]
	s_movk_i32 s4, 0x7f
	v_cmp_gt_i16_sdwa s[6:7], v9, s4 src0_sel:BYTE_0 src1_sel:DWORD
	s_mov_b64 s[4:5], 0
                                        ; implicit-def: $sgpr10
	s_and_saveexec_b64 s[8:9], s[6:7]
	s_xor_b64 s[6:7], exec, s[8:9]
	s_cbranch_execz .LBB1_1121
; %bb.36961:
	s_getpc_b64 s[14:15]
.Lpost_getpc4144:
	s_add_u32 s14, s14, (.LBB1_15457-.Lpost_getpc4144)&4294967295
	s_addc_u32 s15, s15, (.LBB1_15457-.Lpost_getpc4144)>>32
	s_setpc_b64 s[14:15]
.LBB1_1121:
	s_or_saveexec_b64 s[6:7], s[6:7]
	v_mov_b32_e32 v2, s10
	s_xor_b64 exec, exec, s[6:7]
	s_cbranch_execz .LBB1_1122
; %bb.36963:
	s_getpc_b64 s[14:15]
.Lpost_getpc4145:
	s_add_u32 s14, s14, (.LBB1_15460-.Lpost_getpc4145)&4294967295
	s_addc_u32 s15, s15, (.LBB1_15460-.Lpost_getpc4145)>>32
	s_setpc_b64 s[14:15]
.LBB1_1122:
	s_or_b64 exec, exec, s[6:7]
	s_and_saveexec_b64 s[6:7], s[4:5]
	s_cbranch_execz .LBB1_1124
.LBB1_1123:
	v_mov_b32_e32 v2, 8
	v_and_b32_e32 v3, 7, v9
	v_lshrrev_b32_sdwa v2, v2, v9 dst_sel:BYTE_1 dst_unused:UNUSED_PAD src0_sel:DWORD src1_sel:DWORD
	v_ffbh_u32_e32 v4, v3
	v_or_b32_sdwa v2, v9, v2 dst_sel:DWORD dst_unused:UNUSED_PAD src0_sel:BYTE_0 src1_sel:DWORD
	v_min_u32_e32 v4, 32, v4
	v_lshrrev_b16_e32 v2, 3, v2
	v_subrev_u32_e32 v6, 28, v4
	v_and_b32_e32 v2, 15, v2
	v_lshlrev_b32_e32 v6, v6, v9
	v_sub_u32_e32 v4, 29, v4
	v_and_b32_e32 v6, 7, v6
	v_cmp_eq_u16_e32 vcc, 0, v2
	v_cndmask_b32_e32 v3, v3, v6, vcc
	v_cndmask_b32_e32 v2, v2, v4, vcc
	v_lshlrev_b32_e32 v4, 24, v9
	v_mov_b32_e32 v6, 0x3b800000
	v_lshlrev_b32_e32 v3, 20, v3
	v_and_b32_e32 v4, 0x80000000, v4
	v_lshl_add_u32 v2, v2, 23, v6
	v_or3_b32 v2, v4, v2, v3
.LBB1_1124:
	s_or_b64 exec, exec, s[6:7]
	s_movk_i32 s4, 0x7f
	v_cmp_gt_i16_sdwa s[6:7], v5, s4 src0_sel:BYTE_0 src1_sel:DWORD
	s_mov_b64 s[4:5], 0
                                        ; implicit-def: $sgpr10
	s_and_saveexec_b64 s[8:9], s[6:7]
	s_xor_b64 s[6:7], exec, s[8:9]
	s_cbranch_execz .LBB1_1125
; %bb.36965:
	s_getpc_b64 s[14:15]
.Lpost_getpc4146:
	s_add_u32 s14, s14, (.LBB1_15461-.Lpost_getpc4146)&4294967295
	s_addc_u32 s15, s15, (.LBB1_15461-.Lpost_getpc4146)>>32
	s_setpc_b64 s[14:15]
.LBB1_1125:
	s_or_saveexec_b64 s[6:7], s[6:7]
	v_mov_b32_e32 v3, s10
	s_xor_b64 exec, exec, s[6:7]
	s_cbranch_execz .LBB1_1126
; %bb.36967:
	s_getpc_b64 s[14:15]
.Lpost_getpc4147:
	s_add_u32 s14, s14, (.LBB1_15464-.Lpost_getpc4147)&4294967295
	s_addc_u32 s15, s15, (.LBB1_15464-.Lpost_getpc4147)>>32
	s_setpc_b64 s[14:15]
.LBB1_1126:
	s_or_b64 exec, exec, s[6:7]
	s_and_saveexec_b64 s[6:7], s[4:5]
	s_cbranch_execz .LBB1_1128
.LBB1_1127:
	v_mov_b32_e32 v3, 8
	v_and_b32_e32 v4, 7, v5
	v_lshrrev_b32_sdwa v3, v3, v5 dst_sel:BYTE_1 dst_unused:UNUSED_PAD src0_sel:DWORD src1_sel:DWORD
	v_ffbh_u32_e32 v6, v4
	v_or_b32_sdwa v3, v5, v3 dst_sel:DWORD dst_unused:UNUSED_PAD src0_sel:BYTE_0 src1_sel:DWORD
	v_min_u32_e32 v6, 32, v6
	v_lshrrev_b16_e32 v3, 3, v3
	v_subrev_u32_e32 v7, 28, v6
	v_and_b32_e32 v3, 15, v3
	v_lshlrev_b32_e32 v7, v7, v5
	v_sub_u32_e32 v6, 29, v6
	v_and_b32_e32 v7, 7, v7
	v_cmp_eq_u16_e32 vcc, 0, v3
	v_cndmask_b32_e32 v4, v4, v7, vcc
	v_cndmask_b32_e32 v3, v3, v6, vcc
	v_lshlrev_b32_e32 v6, 24, v5
	v_mov_b32_e32 v7, 0x3b800000
	v_lshlrev_b32_e32 v4, 20, v4
	v_and_b32_e32 v6, 0x80000000, v6
	v_lshl_add_u32 v3, v3, 23, v7
	v_or3_b32 v3, v6, v3, v4
.LBB1_1128:
	s_or_b64 exec, exec, s[6:7]
	s_nop 0
	v_mfma_f32_16x16x4f32 a[0:3], v2, v3, a[0:3]
	v_lshrrev_b32_e32 v3, 8, v9
	s_movk_i32 s4, 0x7f
	v_cmp_gt_i16_sdwa s[6:7], v3, s4 src0_sel:BYTE_0 src1_sel:DWORD
	s_mov_b64 s[4:5], 0
                                        ; implicit-def: $sgpr10
	s_and_saveexec_b64 s[8:9], s[6:7]
	s_xor_b64 s[6:7], exec, s[8:9]
	s_cbranch_execz .LBB1_1129
; %bb.36969:
	s_getpc_b64 s[14:15]
.Lpost_getpc4148:
	s_add_u32 s14, s14, (.LBB1_15465-.Lpost_getpc4148)&4294967295
	s_addc_u32 s15, s15, (.LBB1_15465-.Lpost_getpc4148)>>32
	s_setpc_b64 s[14:15]
.LBB1_1129:
	s_or_saveexec_b64 s[6:7], s[6:7]
	v_mov_b32_e32 v2, s10
	s_xor_b64 exec, exec, s[6:7]
	s_cbranch_execz .LBB1_1130
; %bb.36971:
	s_getpc_b64 s[14:15]
.Lpost_getpc4149:
	s_add_u32 s14, s14, (.LBB1_15468-.Lpost_getpc4149)&4294967295
	s_addc_u32 s15, s15, (.LBB1_15468-.Lpost_getpc4149)>>32
	s_setpc_b64 s[14:15]
.LBB1_1130:
	s_or_b64 exec, exec, s[6:7]
	s_and_saveexec_b64 s[6:7], s[4:5]
	s_cbranch_execz .LBB1_1132
.LBB1_1131:
	v_bfe_u32 v2, v9, 8, 3
	v_ffbh_u32_e32 v6, v2
	v_min_u32_e32 v6, 32, v6
	v_lshrrev_b16_e32 v4, 3, v3
	v_subrev_u32_e32 v7, 28, v6
	v_and_b32_e32 v4, 15, v4
	v_lshlrev_b32_e32 v3, v7, v3
	v_sub_u32_e32 v6, 29, v6
	v_and_b32_e32 v3, 7, v3
	v_cmp_eq_u16_e32 vcc, 0, v4
	v_cndmask_b32_e32 v2, v2, v3, vcc
	v_cndmask_b32_e32 v3, v4, v6, vcc
	v_lshlrev_b32_e32 v4, 16, v9
	v_mov_b32_e32 v6, 0x3b800000
	v_lshlrev_b32_e32 v2, 20, v2
	v_and_b32_e32 v4, 0x80000000, v4
	v_lshl_add_u32 v3, v3, 23, v6
	v_or3_b32 v2, v4, v3, v2
.LBB1_1132:
	s_or_b64 exec, exec, s[6:7]
	v_lshrrev_b32_e32 v3, 8, v5
	s_movk_i32 s4, 0x7f
	v_cmp_gt_i16_sdwa s[6:7], v3, s4 src0_sel:BYTE_0 src1_sel:DWORD
	s_mov_b64 s[4:5], 0
                                        ; implicit-def: $sgpr10
	s_and_saveexec_b64 s[8:9], s[6:7]
	s_xor_b64 s[6:7], exec, s[8:9]
	s_cbranch_execz .LBB1_1133
; %bb.36973:
	s_getpc_b64 s[14:15]
.Lpost_getpc4150:
	s_add_u32 s14, s14, (.LBB1_15469-.Lpost_getpc4150)&4294967295
	s_addc_u32 s15, s15, (.LBB1_15469-.Lpost_getpc4150)>>32
	s_setpc_b64 s[14:15]
.LBB1_1133:
	s_or_saveexec_b64 s[6:7], s[6:7]
	v_mov_b32_e32 v4, s10
	s_xor_b64 exec, exec, s[6:7]
	s_cbranch_execz .LBB1_1134
; %bb.36975:
	s_getpc_b64 s[14:15]
.Lpost_getpc4151:
	s_add_u32 s14, s14, (.LBB1_15472-.Lpost_getpc4151)&4294967295
	s_addc_u32 s15, s15, (.LBB1_15472-.Lpost_getpc4151)>>32
	s_setpc_b64 s[14:15]
.LBB1_1134:
	s_or_b64 exec, exec, s[6:7]
	s_and_saveexec_b64 s[6:7], s[4:5]
	s_cbranch_execz .LBB1_1136
.LBB1_1135:
	v_bfe_u32 v4, v5, 8, 3
	v_ffbh_u32_e32 v7, v4
	v_min_u32_e32 v7, 32, v7
	v_lshrrev_b16_e32 v6, 3, v3
	v_subrev_u32_e32 v8, 28, v7
	v_and_b32_e32 v6, 15, v6
	v_lshlrev_b32_e32 v3, v8, v3
	v_sub_u32_e32 v7, 29, v7
	v_and_b32_e32 v3, 7, v3
	v_cmp_eq_u16_e32 vcc, 0, v6
	v_cndmask_b32_e32 v3, v4, v3, vcc
	v_cndmask_b32_e32 v4, v6, v7, vcc
	v_lshlrev_b32_e32 v6, 16, v5
	v_mov_b32_e32 v7, 0x3b800000
	v_lshlrev_b32_e32 v3, 20, v3
	v_and_b32_e32 v6, 0x80000000, v6
	v_lshl_add_u32 v4, v4, 23, v7
	v_or3_b32 v4, v6, v4, v3
.LBB1_1136:
	s_or_b64 exec, exec, s[6:7]
	s_nop 0
	v_mfma_f32_16x16x4f32 a[0:3], v2, v4, a[0:3]
	s_movk_i32 s4, 0xff
	v_and_b32_sdwa v3, v9, s4 dst_sel:DWORD dst_unused:UNUSED_PAD src0_sel:WORD_1 src1_sel:DWORD
	s_movk_i32 s4, 0x7f
	v_cmp_lt_i16_e32 vcc, s4, v3
	s_mov_b64 s[4:5], 0
                                        ; implicit-def: $sgpr10
	s_and_saveexec_b64 s[6:7], vcc
	s_xor_b64 s[6:7], exec, s[6:7]
	s_cbranch_execz .LBB1_1137
; %bb.36977:
	s_getpc_b64 s[14:15]
.Lpost_getpc4152:
	s_add_u32 s14, s14, (.LBB1_15473-.Lpost_getpc4152)&4294967295
	s_addc_u32 s15, s15, (.LBB1_15473-.Lpost_getpc4152)>>32
	s_setpc_b64 s[14:15]
.LBB1_1137:
	s_or_saveexec_b64 s[6:7], s[6:7]
	v_mov_b32_e32 v2, s10
	s_xor_b64 exec, exec, s[6:7]
	s_cbranch_execz .LBB1_1138
; %bb.36979:
	s_getpc_b64 s[14:15]
.Lpost_getpc4153:
	s_add_u32 s14, s14, (.LBB1_15476-.Lpost_getpc4153)&4294967295
	s_addc_u32 s15, s15, (.LBB1_15476-.Lpost_getpc4153)>>32
	s_setpc_b64 s[14:15]
.LBB1_1138:
	s_or_b64 exec, exec, s[6:7]
	s_and_saveexec_b64 s[6:7], s[4:5]
	s_cbranch_execz .LBB1_1140
.LBB1_1139:
	v_bfe_u32 v2, v9, 16, 3
	v_ffbh_u32_e32 v6, v2
	v_min_u32_e32 v6, 32, v6
	v_lshrrev_b32_e32 v3, 19, v9
	v_subrev_u32_e32 v7, 28, v6
	v_and_b32_e32 v3, 15, v3
	v_lshlrev_b32_sdwa v7, v7, v9 dst_sel:DWORD dst_unused:UNUSED_PAD src0_sel:DWORD src1_sel:WORD_1
	v_bfe_u32 v4, v9, 19, 4
	v_sub_u32_e32 v6, 29, v6
	v_and_b32_e32 v7, 7, v7
	v_cmp_eq_u16_e32 vcc, 0, v3
	v_cndmask_b32_e32 v2, v2, v7, vcc
	v_cndmask_b32_e32 v3, v4, v6, vcc
	v_lshlrev_b32_e32 v4, 8, v9
	v_mov_b32_e32 v6, 0x3b800000
	v_lshlrev_b32_e32 v2, 20, v2
	v_and_b32_e32 v4, 0x80000000, v4
	v_lshl_add_u32 v3, v3, 23, v6
	v_or3_b32 v2, v4, v3, v2
.LBB1_1140:
	s_or_b64 exec, exec, s[6:7]
	s_movk_i32 s4, 0xff
	v_and_b32_sdwa v3, v5, s4 dst_sel:DWORD dst_unused:UNUSED_PAD src0_sel:WORD_1 src1_sel:DWORD
	s_movk_i32 s4, 0x7f
	v_cmp_lt_i16_e32 vcc, s4, v3
	s_mov_b64 s[4:5], 0
                                        ; implicit-def: $sgpr10
	s_and_saveexec_b64 s[6:7], vcc
	s_xor_b64 s[6:7], exec, s[6:7]
	s_cbranch_execz .LBB1_1141
; %bb.36981:
	s_getpc_b64 s[14:15]
.Lpost_getpc4154:
	s_add_u32 s14, s14, (.LBB1_15477-.Lpost_getpc4154)&4294967295
	s_addc_u32 s15, s15, (.LBB1_15477-.Lpost_getpc4154)>>32
	s_setpc_b64 s[14:15]
.LBB1_1141:
	s_or_saveexec_b64 s[6:7], s[6:7]
	v_mov_b32_e32 v4, s10
	s_xor_b64 exec, exec, s[6:7]
	s_cbranch_execz .LBB1_1142
; %bb.36983:
	s_getpc_b64 s[14:15]
.Lpost_getpc4155:
	s_add_u32 s14, s14, (.LBB1_15480-.Lpost_getpc4155)&4294967295
	s_addc_u32 s15, s15, (.LBB1_15480-.Lpost_getpc4155)>>32
	s_setpc_b64 s[14:15]
.LBB1_1142:
	s_or_b64 exec, exec, s[6:7]
	s_and_saveexec_b64 s[6:7], s[4:5]
	s_cbranch_execz .LBB1_1144
.LBB1_1143:
	v_bfe_u32 v3, v5, 16, 3
	v_ffbh_u32_e32 v7, v3
	v_min_u32_e32 v7, 32, v7
	v_lshrrev_b32_e32 v4, 19, v5
	v_subrev_u32_e32 v8, 28, v7
	v_and_b32_e32 v4, 15, v4
	v_lshlrev_b32_sdwa v8, v8, v5 dst_sel:DWORD dst_unused:UNUSED_PAD src0_sel:DWORD src1_sel:WORD_1
	v_bfe_u32 v6, v5, 19, 4
	v_sub_u32_e32 v7, 29, v7
	v_and_b32_e32 v8, 7, v8
	v_cmp_eq_u16_e32 vcc, 0, v4
	v_cndmask_b32_e32 v3, v3, v8, vcc
	v_cndmask_b32_e32 v4, v6, v7, vcc
	v_lshlrev_b32_e32 v6, 8, v5
	v_mov_b32_e32 v7, 0x3b800000
	v_lshlrev_b32_e32 v3, 20, v3
	v_and_b32_e32 v6, 0x80000000, v6
	v_lshl_add_u32 v4, v4, 23, v7
	v_or3_b32 v4, v6, v4, v3
.LBB1_1144:
	s_or_b64 exec, exec, s[6:7]
	s_nop 0
	v_mfma_f32_16x16x4f32 a[0:3], v2, v4, a[0:3]
	s_movk_i32 s4, 0x7f
	v_cmp_gt_i16_sdwa s[6:7], v9, s4 src0_sel:BYTE_3 src1_sel:DWORD
	s_mov_b64 s[4:5], 0
                                        ; implicit-def: $sgpr10
	s_and_saveexec_b64 s[8:9], s[6:7]
	s_xor_b64 s[6:7], exec, s[8:9]
	s_cbranch_execz .LBB1_1145
; %bb.36985:
	s_getpc_b64 s[14:15]
.Lpost_getpc4156:
	s_add_u32 s14, s14, (.LBB1_15481-.Lpost_getpc4156)&4294967295
	s_addc_u32 s15, s15, (.LBB1_15481-.Lpost_getpc4156)>>32
	s_setpc_b64 s[14:15]
.LBB1_1145:
	s_or_saveexec_b64 s[6:7], s[6:7]
	v_mov_b32_e32 v2, s10
	s_xor_b64 exec, exec, s[6:7]
	s_cbranch_execz .LBB1_1146
; %bb.36987:
	s_getpc_b64 s[14:15]
.Lpost_getpc4157:
	s_add_u32 s14, s14, (.LBB1_15484-.Lpost_getpc4157)&4294967295
	s_addc_u32 s15, s15, (.LBB1_15484-.Lpost_getpc4157)>>32
	s_setpc_b64 s[14:15]
.LBB1_1146:
	s_or_b64 exec, exec, s[6:7]
	s_and_saveexec_b64 s[6:7], s[4:5]
	s_cbranch_execz .LBB1_1148
.LBB1_1147:
	v_bfe_u32 v2, v9, 24, 3
	v_ffbh_u32_e32 v7, v2
	v_min_u32_e32 v7, 32, v7
	v_lshrrev_b32_e32 v4, 27, v9
	v_subrev_u32_e32 v8, 28, v7
	v_and_b32_e32 v4, 15, v4
	v_lshlrev_b32_sdwa v8, v8, v9 dst_sel:DWORD dst_unused:UNUSED_PAD src0_sel:DWORD src1_sel:BYTE_3
	v_bfe_u32 v6, v9, 27, 4
	v_sub_u32_e32 v7, 29, v7
	v_and_b32_e32 v8, 7, v8
	v_cmp_eq_u16_e32 vcc, 0, v4
	v_cndmask_b32_e32 v2, v2, v8, vcc
	v_cndmask_b32_e32 v4, v6, v7, vcc
	v_mov_b32_e32 v6, 0x3b800000
	v_and_b32_e32 v3, 0x80000000, v9
	v_lshlrev_b32_e32 v2, 20, v2
	v_lshl_add_u32 v4, v4, 23, v6
	v_or3_b32 v2, v3, v4, v2
.LBB1_1148:
	s_or_b64 exec, exec, s[6:7]
	s_movk_i32 s4, 0x7f
	v_cmp_gt_i16_sdwa s[6:7], v5, s4 src0_sel:BYTE_3 src1_sel:DWORD
	s_mov_b64 s[4:5], 0
                                        ; implicit-def: $sgpr10
	s_and_saveexec_b64 s[8:9], s[6:7]
	s_xor_b64 s[6:7], exec, s[8:9]
	s_cbranch_execz .LBB1_1149
; %bb.36989:
	s_getpc_b64 s[14:15]
.Lpost_getpc4158:
	s_add_u32 s14, s14, (.LBB1_15485-.Lpost_getpc4158)&4294967295
	s_addc_u32 s15, s15, (.LBB1_15485-.Lpost_getpc4158)>>32
	s_setpc_b64 s[14:15]
.LBB1_1149:
	s_or_saveexec_b64 s[6:7], s[6:7]
	v_mov_b32_e32 v3, s10
	s_xor_b64 exec, exec, s[6:7]
	s_cbranch_execz .LBB1_1150
; %bb.36991:
	s_getpc_b64 s[14:15]
.Lpost_getpc4159:
	s_add_u32 s14, s14, (.LBB1_15488-.Lpost_getpc4159)&4294967295
	s_addc_u32 s15, s15, (.LBB1_15488-.Lpost_getpc4159)>>32
	s_setpc_b64 s[14:15]
.LBB1_1150:
	s_or_b64 exec, exec, s[6:7]
	s_and_saveexec_b64 s[6:7], s[4:5]
	s_cbranch_execz .LBB1_1152
.LBB1_1151:
	v_bfe_u32 v3, v5, 24, 3
	v_ffbh_u32_e32 v8, v3
	v_min_u32_e32 v8, 32, v8
	v_lshrrev_b32_e32 v6, 27, v5
	v_subrev_u32_e32 v9, 28, v8
	v_and_b32_e32 v4, 0x80000000, v5
	v_and_b32_e32 v6, 15, v6
	v_bfe_u32 v7, v5, 27, 4
	v_lshlrev_b32_sdwa v5, v9, v5 dst_sel:DWORD dst_unused:UNUSED_PAD src0_sel:DWORD src1_sel:BYTE_3
	v_sub_u32_e32 v8, 29, v8
	v_and_b32_e32 v5, 7, v5
	v_cmp_eq_u16_e32 vcc, 0, v6
	v_cndmask_b32_e32 v3, v3, v5, vcc
	v_cndmask_b32_e32 v5, v7, v8, vcc
	v_mov_b32_e32 v6, 0x3b800000
	v_lshlrev_b32_e32 v3, 20, v3
	v_lshl_add_u32 v5, v5, 23, v6
	v_or3_b32 v3, v4, v5, v3
.LBB1_1152:
	s_or_b64 exec, exec, s[6:7]
	s_nop 0
	v_mfma_f32_16x16x4f32 a[0:3], v2, v3, a[0:3]
	s_movk_i32 s4, 0x7f
                                        ; implicit-def: $sgpr10
	s_nop 7
	s_nop 1
	flat_store_dwordx4 v[10:11], a[0:3] offset:128
	flat_load_dwordx4 v[12:15], v[0:1]
	s_nop 0
	flat_load_dwordx2 v[10:11], v[0:1] offset:16
	s_waitcnt vmcnt(0) lgkmcnt(0)
	flat_load_dwordx4 v[6:9], v[12:13] offset:16
	flat_load_dwordx4 v[2:5], v[14:15] offset:16
	s_waitcnt vmcnt(0) lgkmcnt(0)
	v_cmp_gt_i16_sdwa s[6:7], v6, s4 src0_sel:BYTE_0 src1_sel:DWORD
	s_mov_b64 s[4:5], 0
	s_and_saveexec_b64 s[8:9], s[6:7]
	s_xor_b64 s[6:7], exec, s[8:9]
	s_cbranch_execz .LBB1_1153
; %bb.36993:
	s_getpc_b64 s[14:15]
.Lpost_getpc4160:
	s_add_u32 s14, s14, (.LBB1_15489-.Lpost_getpc4160)&4294967295
	s_addc_u32 s15, s15, (.LBB1_15489-.Lpost_getpc4160)>>32
	s_setpc_b64 s[14:15]
.LBB1_1153:
	s_or_saveexec_b64 s[6:7], s[6:7]
	v_mov_b32_e32 v12, s10
	s_xor_b64 exec, exec, s[6:7]
	s_cbranch_execz .LBB1_1154
; %bb.36995:
	s_getpc_b64 s[14:15]
.Lpost_getpc4161:
	s_add_u32 s14, s14, (.LBB1_15492-.Lpost_getpc4161)&4294967295
	s_addc_u32 s15, s15, (.LBB1_15492-.Lpost_getpc4161)>>32
	s_setpc_b64 s[14:15]
.LBB1_1154:
	s_or_b64 exec, exec, s[6:7]
	s_and_saveexec_b64 s[6:7], s[4:5]
	s_cbranch_execz .LBB1_1156
.LBB1_1155:
	v_and_b32_e32 v12, 7, v6
	v_ffbh_u32_e32 v14, v12
	v_min_u32_e32 v14, 32, v14
	v_lshrrev_b16_e32 v13, 3, v6
	v_subrev_u32_e32 v15, 28, v14
	v_and_b32_e32 v13, 15, v13
	v_lshlrev_b32_e32 v15, v15, v6
	v_sub_u32_e32 v14, 29, v14
	v_and_b32_e32 v15, 7, v15
	v_cmp_eq_u16_e32 vcc, 0, v13
	v_cndmask_b32_e32 v12, v12, v15, vcc
	v_cndmask_b32_e32 v13, v13, v14, vcc
	v_lshlrev_b32_e32 v14, 24, v6
	v_mov_b32_e32 v15, 0x3b800000
	v_lshlrev_b32_e32 v12, 20, v12
	v_and_b32_e32 v14, 0x80000000, v14
	v_lshl_add_u32 v13, v13, 23, v15
	v_or3_b32 v12, v14, v13, v12
.LBB1_1156:
	s_or_b64 exec, exec, s[6:7]
	s_movk_i32 s4, 0x7f
	v_cmp_gt_i16_sdwa s[6:7], v2, s4 src0_sel:BYTE_0 src1_sel:DWORD
	s_mov_b64 s[4:5], 0
                                        ; implicit-def: $sgpr10
	s_and_saveexec_b64 s[8:9], s[6:7]
	s_xor_b64 s[6:7], exec, s[8:9]
	s_cbranch_execz .LBB1_1157
; %bb.36997:
	s_getpc_b64 s[14:15]
.Lpost_getpc4162:
	s_add_u32 s14, s14, (.LBB1_15493-.Lpost_getpc4162)&4294967295
	s_addc_u32 s15, s15, (.LBB1_15493-.Lpost_getpc4162)>>32
	s_setpc_b64 s[14:15]
.LBB1_1157:
	s_or_saveexec_b64 s[6:7], s[6:7]
	v_mov_b32_e32 v13, s10
	s_xor_b64 exec, exec, s[6:7]
	s_cbranch_execz .LBB1_1158
; %bb.36999:
	s_getpc_b64 s[14:15]
.Lpost_getpc4163:
	s_add_u32 s14, s14, (.LBB1_15496-.Lpost_getpc4163)&4294967295
	s_addc_u32 s15, s15, (.LBB1_15496-.Lpost_getpc4163)>>32
	s_setpc_b64 s[14:15]
.LBB1_1158:
	s_or_b64 exec, exec, s[6:7]
	s_and_saveexec_b64 s[6:7], s[4:5]
	s_cbranch_execz .LBB1_1160
.LBB1_1159:
	v_and_b32_e32 v13, 7, v2
	v_ffbh_u32_e32 v15, v13
	v_min_u32_e32 v15, 32, v15
	v_lshrrev_b16_e32 v14, 3, v2
	v_subrev_u32_e32 v16, 28, v15
	v_and_b32_e32 v14, 15, v14
	v_lshlrev_b32_e32 v16, v16, v2
	v_sub_u32_e32 v15, 29, v15
	v_and_b32_e32 v16, 7, v16
	v_cmp_eq_u16_e32 vcc, 0, v14
	v_cndmask_b32_e32 v13, v13, v16, vcc
	v_cndmask_b32_e32 v14, v14, v15, vcc
	v_lshlrev_b32_e32 v15, 24, v2
	v_mov_b32_e32 v16, 0x3b800000
	v_lshlrev_b32_e32 v13, 20, v13
	v_and_b32_e32 v15, 0x80000000, v15
	v_lshl_add_u32 v14, v14, 23, v16
	v_or3_b32 v13, v15, v14, v13
.LBB1_1160:
	s_or_b64 exec, exec, s[6:7]
	flat_load_dwordx4 a[0:3], v[10:11] offset:144
	s_movk_i32 s4, 0x7f
                                        ; implicit-def: $sgpr10
	s_waitcnt vmcnt(0) lgkmcnt(0)
	v_mfma_f32_16x16x4f32 a[0:3], v12, v13, a[0:3]
	v_lshrrev_b32_e32 v13, 8, v6
	v_cmp_gt_i16_sdwa s[6:7], v13, s4 src0_sel:BYTE_0 src1_sel:DWORD
	s_mov_b64 s[4:5], 0
	s_and_saveexec_b64 s[8:9], s[6:7]
	s_xor_b64 s[6:7], exec, s[8:9]
	s_cbranch_execz .LBB1_1161
; %bb.37001:
	s_getpc_b64 s[14:15]
.Lpost_getpc4164:
	s_add_u32 s14, s14, (.LBB1_15497-.Lpost_getpc4164)&4294967295
	s_addc_u32 s15, s15, (.LBB1_15497-.Lpost_getpc4164)>>32
	s_setpc_b64 s[14:15]
.LBB1_1161:
	s_or_saveexec_b64 s[6:7], s[6:7]
	v_mov_b32_e32 v12, s10
	s_xor_b64 exec, exec, s[6:7]
	s_cbranch_execz .LBB1_1162
; %bb.37003:
	s_getpc_b64 s[14:15]
.Lpost_getpc4165:
	s_add_u32 s14, s14, (.LBB1_15500-.Lpost_getpc4165)&4294967295
	s_addc_u32 s15, s15, (.LBB1_15500-.Lpost_getpc4165)>>32
	s_setpc_b64 s[14:15]
.LBB1_1162:
	s_or_b64 exec, exec, s[6:7]
	s_and_saveexec_b64 s[6:7], s[4:5]
	s_cbranch_execz .LBB1_1164
.LBB1_1163:
	v_bfe_u32 v12, v6, 8, 3
	v_ffbh_u32_e32 v15, v12
	v_min_u32_e32 v15, 32, v15
	v_lshrrev_b16_e32 v14, 3, v13
	v_subrev_u32_e32 v16, 28, v15
	v_and_b32_e32 v14, 15, v14
	v_lshlrev_b32_e32 v13, v16, v13
	v_sub_u32_e32 v15, 29, v15
	v_and_b32_e32 v13, 7, v13
	v_cmp_eq_u16_e32 vcc, 0, v14
	v_cndmask_b32_e32 v12, v12, v13, vcc
	v_cndmask_b32_e32 v13, v14, v15, vcc
	v_lshlrev_b32_e32 v14, 16, v6
	v_mov_b32_e32 v15, 0x3b800000
	v_lshlrev_b32_e32 v12, 20, v12
	v_and_b32_e32 v14, 0x80000000, v14
	v_lshl_add_u32 v13, v13, 23, v15
	v_or3_b32 v12, v14, v13, v12
.LBB1_1164:
	s_or_b64 exec, exec, s[6:7]
	v_lshrrev_b32_e32 v13, 8, v2
	s_movk_i32 s4, 0x7f
	v_cmp_gt_i16_sdwa s[6:7], v13, s4 src0_sel:BYTE_0 src1_sel:DWORD
	s_mov_b64 s[4:5], 0
                                        ; implicit-def: $sgpr10
	s_and_saveexec_b64 s[8:9], s[6:7]
	s_xor_b64 s[6:7], exec, s[8:9]
	s_cbranch_execz .LBB1_1165
; %bb.37005:
	s_getpc_b64 s[14:15]
.Lpost_getpc4166:
	s_add_u32 s14, s14, (.LBB1_15501-.Lpost_getpc4166)&4294967295
	s_addc_u32 s15, s15, (.LBB1_15501-.Lpost_getpc4166)>>32
	s_setpc_b64 s[14:15]
.LBB1_1165:
	s_or_saveexec_b64 s[6:7], s[6:7]
	v_mov_b32_e32 v14, s10
	s_xor_b64 exec, exec, s[6:7]
	s_cbranch_execz .LBB1_1166
; %bb.37007:
	s_getpc_b64 s[14:15]
.Lpost_getpc4167:
	s_add_u32 s14, s14, (.LBB1_15504-.Lpost_getpc4167)&4294967295
	s_addc_u32 s15, s15, (.LBB1_15504-.Lpost_getpc4167)>>32
	s_setpc_b64 s[14:15]
.LBB1_1166:
	s_or_b64 exec, exec, s[6:7]
	s_and_saveexec_b64 s[6:7], s[4:5]
	s_cbranch_execz .LBB1_1168
.LBB1_1167:
	v_bfe_u32 v14, v2, 8, 3
	v_ffbh_u32_e32 v16, v14
	v_min_u32_e32 v16, 32, v16
	v_lshrrev_b16_e32 v15, 3, v13
	v_subrev_u32_e32 v17, 28, v16
	v_and_b32_e32 v15, 15, v15
	v_lshlrev_b32_e32 v13, v17, v13
	v_sub_u32_e32 v16, 29, v16
	v_and_b32_e32 v13, 7, v13
	v_cmp_eq_u16_e32 vcc, 0, v15
	v_cndmask_b32_e32 v13, v14, v13, vcc
	v_cndmask_b32_e32 v14, v15, v16, vcc
	v_lshlrev_b32_e32 v15, 16, v2
	v_mov_b32_e32 v16, 0x3b800000
	v_lshlrev_b32_e32 v13, 20, v13
	v_and_b32_e32 v15, 0x80000000, v15
	v_lshl_add_u32 v14, v14, 23, v16
	v_or3_b32 v14, v15, v14, v13
.LBB1_1168:
	s_or_b64 exec, exec, s[6:7]
	s_nop 0
	v_mfma_f32_16x16x4f32 a[0:3], v12, v14, a[0:3]
	s_movk_i32 s4, 0xff
	v_and_b32_sdwa v13, v6, s4 dst_sel:DWORD dst_unused:UNUSED_PAD src0_sel:WORD_1 src1_sel:DWORD
	s_movk_i32 s4, 0x7f
	v_cmp_lt_i16_e32 vcc, s4, v13
	s_mov_b64 s[4:5], 0
                                        ; implicit-def: $sgpr10
	s_and_saveexec_b64 s[6:7], vcc
	s_xor_b64 s[6:7], exec, s[6:7]
	s_cbranch_execz .LBB1_1169
; %bb.37009:
	s_getpc_b64 s[14:15]
.Lpost_getpc4168:
	s_add_u32 s14, s14, (.LBB1_15505-.Lpost_getpc4168)&4294967295
	s_addc_u32 s15, s15, (.LBB1_15505-.Lpost_getpc4168)>>32
	s_setpc_b64 s[14:15]
.LBB1_1169:
	s_or_saveexec_b64 s[6:7], s[6:7]
	v_mov_b32_e32 v12, s10
	s_xor_b64 exec, exec, s[6:7]
	s_cbranch_execz .LBB1_1170
; %bb.37011:
	s_getpc_b64 s[14:15]
.Lpost_getpc4169:
	s_add_u32 s14, s14, (.LBB1_15508-.Lpost_getpc4169)&4294967295
	s_addc_u32 s15, s15, (.LBB1_15508-.Lpost_getpc4169)>>32
	s_setpc_b64 s[14:15]
.LBB1_1170:
	s_or_b64 exec, exec, s[6:7]
	s_and_saveexec_b64 s[6:7], s[4:5]
	s_cbranch_execz .LBB1_1172
.LBB1_1171:
	v_bfe_u32 v12, v6, 16, 3
	v_ffbh_u32_e32 v15, v12
	v_min_u32_e32 v15, 32, v15
	v_lshrrev_b32_e32 v13, 19, v6
	v_subrev_u32_e32 v16, 28, v15
	v_and_b32_e32 v13, 15, v13
	v_lshlrev_b32_sdwa v16, v16, v6 dst_sel:DWORD dst_unused:UNUSED_PAD src0_sel:DWORD src1_sel:WORD_1
	v_bfe_u32 v14, v6, 19, 4
	v_sub_u32_e32 v15, 29, v15
	v_and_b32_e32 v16, 7, v16
	v_cmp_eq_u16_e32 vcc, 0, v13
	v_cndmask_b32_e32 v12, v12, v16, vcc
	v_cndmask_b32_e32 v13, v14, v15, vcc
	v_lshlrev_b32_e32 v14, 8, v6
	v_mov_b32_e32 v15, 0x3b800000
	v_lshlrev_b32_e32 v12, 20, v12
	v_and_b32_e32 v14, 0x80000000, v14
	v_lshl_add_u32 v13, v13, 23, v15
	v_or3_b32 v12, v14, v13, v12
.LBB1_1172:
	s_or_b64 exec, exec, s[6:7]
	s_movk_i32 s4, 0xff
	v_and_b32_sdwa v13, v2, s4 dst_sel:DWORD dst_unused:UNUSED_PAD src0_sel:WORD_1 src1_sel:DWORD
	s_movk_i32 s4, 0x7f
	v_cmp_lt_i16_e32 vcc, s4, v13
	s_mov_b64 s[4:5], 0
                                        ; implicit-def: $sgpr10
	s_and_saveexec_b64 s[6:7], vcc
	s_xor_b64 s[6:7], exec, s[6:7]
	s_cbranch_execz .LBB1_1173
; %bb.37013:
	s_getpc_b64 s[14:15]
.Lpost_getpc4170:
	s_add_u32 s14, s14, (.LBB1_15509-.Lpost_getpc4170)&4294967295
	s_addc_u32 s15, s15, (.LBB1_15509-.Lpost_getpc4170)>>32
	s_setpc_b64 s[14:15]
.LBB1_1173:
	s_or_saveexec_b64 s[6:7], s[6:7]
	v_mov_b32_e32 v14, s10
	s_xor_b64 exec, exec, s[6:7]
	s_cbranch_execz .LBB1_1174
; %bb.37015:
	s_getpc_b64 s[14:15]
.Lpost_getpc4171:
	s_add_u32 s14, s14, (.LBB1_15512-.Lpost_getpc4171)&4294967295
	s_addc_u32 s15, s15, (.LBB1_15512-.Lpost_getpc4171)>>32
	s_setpc_b64 s[14:15]
.LBB1_1174:
	s_or_b64 exec, exec, s[6:7]
	s_and_saveexec_b64 s[6:7], s[4:5]
	s_cbranch_execz .LBB1_1176
.LBB1_1175:
	v_bfe_u32 v13, v2, 16, 3
	v_ffbh_u32_e32 v16, v13
	v_min_u32_e32 v16, 32, v16
	v_lshrrev_b32_e32 v14, 19, v2
	v_subrev_u32_e32 v17, 28, v16
	v_and_b32_e32 v14, 15, v14
	v_lshlrev_b32_sdwa v17, v17, v2 dst_sel:DWORD dst_unused:UNUSED_PAD src0_sel:DWORD src1_sel:WORD_1
	v_bfe_u32 v15, v2, 19, 4
	v_sub_u32_e32 v16, 29, v16
	v_and_b32_e32 v17, 7, v17
	v_cmp_eq_u16_e32 vcc, 0, v14
	v_cndmask_b32_e32 v13, v13, v17, vcc
	v_cndmask_b32_e32 v14, v15, v16, vcc
	v_lshlrev_b32_e32 v15, 8, v2
	v_mov_b32_e32 v16, 0x3b800000
	v_lshlrev_b32_e32 v13, 20, v13
	v_and_b32_e32 v15, 0x80000000, v15
	v_lshl_add_u32 v14, v14, 23, v16
	v_or3_b32 v14, v15, v14, v13
.LBB1_1176:
	s_or_b64 exec, exec, s[6:7]
	s_nop 0
	v_mfma_f32_16x16x4f32 a[0:3], v12, v14, a[0:3]
	s_movk_i32 s4, 0x7f
	v_cmp_gt_i16_sdwa s[6:7], v6, s4 src0_sel:BYTE_3 src1_sel:DWORD
	s_mov_b64 s[4:5], 0
                                        ; implicit-def: $sgpr10
	s_and_saveexec_b64 s[8:9], s[6:7]
	s_xor_b64 s[6:7], exec, s[8:9]
	s_cbranch_execz .LBB1_1177
; %bb.37017:
	s_getpc_b64 s[14:15]
.Lpost_getpc4172:
	s_add_u32 s14, s14, (.LBB1_15513-.Lpost_getpc4172)&4294967295
	s_addc_u32 s15, s15, (.LBB1_15513-.Lpost_getpc4172)>>32
	s_setpc_b64 s[14:15]
.LBB1_1177:
	s_or_saveexec_b64 s[6:7], s[6:7]
	v_mov_b32_e32 v12, s10
	s_xor_b64 exec, exec, s[6:7]
	s_cbranch_execz .LBB1_1178
; %bb.37019:
	s_getpc_b64 s[14:15]
.Lpost_getpc4173:
	s_add_u32 s14, s14, (.LBB1_15516-.Lpost_getpc4173)&4294967295
	s_addc_u32 s15, s15, (.LBB1_15516-.Lpost_getpc4173)>>32
	s_setpc_b64 s[14:15]
.LBB1_1178:
	s_or_b64 exec, exec, s[6:7]
	s_and_saveexec_b64 s[6:7], s[4:5]
	s_cbranch_execz .LBB1_1180
.LBB1_1179:
	v_bfe_u32 v12, v6, 24, 3
	v_ffbh_u32_e32 v16, v12
	v_min_u32_e32 v16, 32, v16
	v_lshrrev_b32_e32 v14, 27, v6
	v_subrev_u32_e32 v17, 28, v16
	v_and_b32_e32 v13, 0x80000000, v6
	v_and_b32_e32 v14, 15, v14
	v_bfe_u32 v15, v6, 27, 4
	v_lshlrev_b32_sdwa v6, v17, v6 dst_sel:DWORD dst_unused:UNUSED_PAD src0_sel:DWORD src1_sel:BYTE_3
	v_sub_u32_e32 v16, 29, v16
	v_and_b32_e32 v6, 7, v6
	v_cmp_eq_u16_e32 vcc, 0, v14
	v_cndmask_b32_e32 v6, v12, v6, vcc
	v_cndmask_b32_e32 v12, v15, v16, vcc
	v_mov_b32_e32 v14, 0x3b800000
	v_lshlrev_b32_e32 v6, 20, v6
	v_lshl_add_u32 v12, v12, 23, v14
	v_or3_b32 v12, v13, v12, v6
.LBB1_1180:
	s_or_b64 exec, exec, s[6:7]
	s_movk_i32 s4, 0x7f
	v_cmp_gt_i16_sdwa s[6:7], v2, s4 src0_sel:BYTE_3 src1_sel:DWORD
	s_mov_b64 s[4:5], 0
                                        ; implicit-def: $sgpr10
	s_and_saveexec_b64 s[8:9], s[6:7]
	s_xor_b64 s[6:7], exec, s[8:9]
	s_cbranch_execz .LBB1_1181
; %bb.37021:
	s_getpc_b64 s[14:15]
.Lpost_getpc4174:
	s_add_u32 s14, s14, (.LBB1_15517-.Lpost_getpc4174)&4294967295
	s_addc_u32 s15, s15, (.LBB1_15517-.Lpost_getpc4174)>>32
	s_setpc_b64 s[14:15]
.LBB1_1181:
	s_or_saveexec_b64 s[6:7], s[6:7]
	v_mov_b32_e32 v6, s10
	s_xor_b64 exec, exec, s[6:7]
	s_cbranch_execz .LBB1_1182
; %bb.37023:
	s_getpc_b64 s[14:15]
.Lpost_getpc4175:
	s_add_u32 s14, s14, (.LBB1_15520-.Lpost_getpc4175)&4294967295
	s_addc_u32 s15, s15, (.LBB1_15520-.Lpost_getpc4175)>>32
	s_setpc_b64 s[14:15]
.LBB1_1182:
	s_or_b64 exec, exec, s[6:7]
	s_and_saveexec_b64 s[6:7], s[4:5]
	s_cbranch_execz .LBB1_1184
.LBB1_1183:
	v_bfe_u32 v6, v2, 24, 3
	v_ffbh_u32_e32 v16, v6
	v_min_u32_e32 v16, 32, v16
	v_lshrrev_b32_e32 v14, 27, v2
	v_subrev_u32_e32 v17, 28, v16
	v_and_b32_e32 v13, 0x80000000, v2
	v_and_b32_e32 v14, 15, v14
	v_bfe_u32 v15, v2, 27, 4
	v_lshlrev_b32_sdwa v2, v17, v2 dst_sel:DWORD dst_unused:UNUSED_PAD src0_sel:DWORD src1_sel:BYTE_3
	v_sub_u32_e32 v16, 29, v16
	v_and_b32_e32 v2, 7, v2
	v_cmp_eq_u16_e32 vcc, 0, v14
	v_cndmask_b32_e32 v2, v6, v2, vcc
	v_cndmask_b32_e32 v6, v15, v16, vcc
	v_mov_b32_e32 v14, 0x3b800000
	v_lshlrev_b32_e32 v2, 20, v2
	v_lshl_add_u32 v6, v6, 23, v14
	v_or3_b32 v6, v13, v6, v2
.LBB1_1184:
	s_or_b64 exec, exec, s[6:7]
	s_nop 0
	v_mfma_f32_16x16x4f32 a[0:3], v12, v6, a[0:3]
	s_movk_i32 s4, 0x7f
	v_cmp_gt_i16_sdwa s[6:7], v7, s4 src0_sel:BYTE_0 src1_sel:DWORD
	s_mov_b64 s[4:5], 0
                                        ; implicit-def: $sgpr10
	s_and_saveexec_b64 s[8:9], s[6:7]
	s_xor_b64 s[6:7], exec, s[8:9]
	s_cbranch_execz .LBB1_1185
; %bb.37025:
	s_getpc_b64 s[14:15]
.Lpost_getpc4176:
	s_add_u32 s14, s14, (.LBB1_15521-.Lpost_getpc4176)&4294967295
	s_addc_u32 s15, s15, (.LBB1_15521-.Lpost_getpc4176)>>32
	s_setpc_b64 s[14:15]
.LBB1_1185:
	s_or_saveexec_b64 s[6:7], s[6:7]
	v_mov_b32_e32 v2, s10
	s_xor_b64 exec, exec, s[6:7]
	s_cbranch_execz .LBB1_1186
; %bb.37027:
	s_getpc_b64 s[14:15]
.Lpost_getpc4177:
	s_add_u32 s14, s14, (.LBB1_15524-.Lpost_getpc4177)&4294967295
	s_addc_u32 s15, s15, (.LBB1_15524-.Lpost_getpc4177)>>32
	s_setpc_b64 s[14:15]
.LBB1_1186:
	s_or_b64 exec, exec, s[6:7]
	s_and_saveexec_b64 s[6:7], s[4:5]
	s_cbranch_execz .LBB1_1188
.LBB1_1187:
	v_and_b32_e32 v2, 7, v7
	v_ffbh_u32_e32 v12, v2
	v_min_u32_e32 v12, 32, v12
	v_lshrrev_b16_e32 v6, 3, v7
	v_subrev_u32_e32 v13, 28, v12
	v_and_b32_e32 v6, 15, v6
	v_lshlrev_b32_e32 v13, v13, v7
	v_sub_u32_e32 v12, 29, v12
	v_and_b32_e32 v13, 7, v13
	v_cmp_eq_u16_e32 vcc, 0, v6
	v_cndmask_b32_e32 v2, v2, v13, vcc
	v_cndmask_b32_e32 v6, v6, v12, vcc
	v_lshlrev_b32_e32 v12, 24, v7
	v_mov_b32_e32 v13, 0x3b800000
	v_lshlrev_b32_e32 v2, 20, v2
	v_and_b32_e32 v12, 0x80000000, v12
	v_lshl_add_u32 v6, v6, 23, v13
	v_or3_b32 v2, v12, v6, v2
.LBB1_1188:
	s_or_b64 exec, exec, s[6:7]
	s_movk_i32 s4, 0x7f
	v_cmp_gt_i16_sdwa s[6:7], v3, s4 src0_sel:BYTE_0 src1_sel:DWORD
	s_mov_b64 s[4:5], 0
                                        ; implicit-def: $sgpr10
	s_and_saveexec_b64 s[8:9], s[6:7]
	s_xor_b64 s[6:7], exec, s[8:9]
	s_cbranch_execz .LBB1_1189
; %bb.37029:
	s_getpc_b64 s[14:15]
.Lpost_getpc4178:
	s_add_u32 s14, s14, (.LBB1_15525-.Lpost_getpc4178)&4294967295
	s_addc_u32 s15, s15, (.LBB1_15525-.Lpost_getpc4178)>>32
	s_setpc_b64 s[14:15]
.LBB1_1189:
	s_or_saveexec_b64 s[6:7], s[6:7]
	v_mov_b32_e32 v6, s10
	s_xor_b64 exec, exec, s[6:7]
	s_cbranch_execz .LBB1_1190
; %bb.37031:
	s_getpc_b64 s[14:15]
.Lpost_getpc4179:
	s_add_u32 s14, s14, (.LBB1_15528-.Lpost_getpc4179)&4294967295
	s_addc_u32 s15, s15, (.LBB1_15528-.Lpost_getpc4179)>>32
	s_setpc_b64 s[14:15]
.LBB1_1190:
	s_or_b64 exec, exec, s[6:7]
	s_and_saveexec_b64 s[6:7], s[4:5]
	s_cbranch_execz .LBB1_1192
.LBB1_1191:
	v_and_b32_e32 v6, 7, v3
	v_ffbh_u32_e32 v13, v6
	v_min_u32_e32 v13, 32, v13
	v_lshrrev_b16_e32 v12, 3, v3
	v_subrev_u32_e32 v14, 28, v13
	v_and_b32_e32 v12, 15, v12
	v_lshlrev_b32_e32 v14, v14, v3
	v_sub_u32_e32 v13, 29, v13
	v_and_b32_e32 v14, 7, v14
	v_cmp_eq_u16_e32 vcc, 0, v12
	v_cndmask_b32_e32 v6, v6, v14, vcc
	v_cndmask_b32_e32 v12, v12, v13, vcc
	v_lshlrev_b32_e32 v13, 24, v3
	v_mov_b32_e32 v14, 0x3b800000
	v_lshlrev_b32_e32 v6, 20, v6
	v_and_b32_e32 v13, 0x80000000, v13
	v_lshl_add_u32 v12, v12, 23, v14
	v_or3_b32 v6, v13, v12, v6
.LBB1_1192:
	s_or_b64 exec, exec, s[6:7]
	s_nop 0
	v_mfma_f32_16x16x4f32 a[0:3], v2, v6, a[0:3]
	v_lshrrev_b32_e32 v6, 8, v7
	s_movk_i32 s4, 0x7f
	v_cmp_gt_i16_sdwa s[6:7], v6, s4 src0_sel:BYTE_0 src1_sel:DWORD
	s_mov_b64 s[4:5], 0
                                        ; implicit-def: $sgpr10
	s_and_saveexec_b64 s[8:9], s[6:7]
	s_xor_b64 s[6:7], exec, s[8:9]
	s_cbranch_execz .LBB1_1193
; %bb.37033:
	s_getpc_b64 s[14:15]
.Lpost_getpc4180:
	s_add_u32 s14, s14, (.LBB1_15529-.Lpost_getpc4180)&4294967295
	s_addc_u32 s15, s15, (.LBB1_15529-.Lpost_getpc4180)>>32
	s_setpc_b64 s[14:15]
.LBB1_1193:
	s_or_saveexec_b64 s[6:7], s[6:7]
	v_mov_b32_e32 v2, s10
	s_xor_b64 exec, exec, s[6:7]
	s_cbranch_execz .LBB1_1194
; %bb.37035:
	s_getpc_b64 s[14:15]
.Lpost_getpc4181:
	s_add_u32 s14, s14, (.LBB1_15532-.Lpost_getpc4181)&4294967295
	s_addc_u32 s15, s15, (.LBB1_15532-.Lpost_getpc4181)>>32
	s_setpc_b64 s[14:15]
.LBB1_1194:
	s_or_b64 exec, exec, s[6:7]
	s_and_saveexec_b64 s[6:7], s[4:5]
	s_cbranch_execz .LBB1_1196
.LBB1_1195:
	v_bfe_u32 v2, v7, 8, 3
	v_ffbh_u32_e32 v13, v2
	v_min_u32_e32 v13, 32, v13
	v_lshrrev_b16_e32 v12, 3, v6
	v_subrev_u32_e32 v14, 28, v13
	v_and_b32_e32 v12, 15, v12
	v_lshlrev_b32_e32 v6, v14, v6
	v_sub_u32_e32 v13, 29, v13
	v_and_b32_e32 v6, 7, v6
	v_cmp_eq_u16_e32 vcc, 0, v12
	v_cndmask_b32_e32 v2, v2, v6, vcc
	v_cndmask_b32_e32 v6, v12, v13, vcc
	v_lshlrev_b32_e32 v12, 16, v7
	v_mov_b32_e32 v13, 0x3b800000
	v_lshlrev_b32_e32 v2, 20, v2
	v_and_b32_e32 v12, 0x80000000, v12
	v_lshl_add_u32 v6, v6, 23, v13
	v_or3_b32 v2, v12, v6, v2
.LBB1_1196:
	s_or_b64 exec, exec, s[6:7]
	v_lshrrev_b32_e32 v6, 8, v3
	s_movk_i32 s4, 0x7f
	v_cmp_gt_i16_sdwa s[6:7], v6, s4 src0_sel:BYTE_0 src1_sel:DWORD
	s_mov_b64 s[4:5], 0
                                        ; implicit-def: $sgpr10
	s_and_saveexec_b64 s[8:9], s[6:7]
	s_xor_b64 s[6:7], exec, s[8:9]
	s_cbranch_execz .LBB1_1197
; %bb.37037:
	s_getpc_b64 s[14:15]
.Lpost_getpc4182:
	s_add_u32 s14, s14, (.LBB1_15533-.Lpost_getpc4182)&4294967295
	s_addc_u32 s15, s15, (.LBB1_15533-.Lpost_getpc4182)>>32
	s_setpc_b64 s[14:15]
.LBB1_1197:
	s_or_saveexec_b64 s[6:7], s[6:7]
	v_mov_b32_e32 v12, s10
	s_xor_b64 exec, exec, s[6:7]
	s_cbranch_execz .LBB1_1198
; %bb.37039:
	s_getpc_b64 s[14:15]
.Lpost_getpc4183:
	s_add_u32 s14, s14, (.LBB1_15536-.Lpost_getpc4183)&4294967295
	s_addc_u32 s15, s15, (.LBB1_15536-.Lpost_getpc4183)>>32
	s_setpc_b64 s[14:15]
.LBB1_1198:
	s_or_b64 exec, exec, s[6:7]
	s_and_saveexec_b64 s[6:7], s[4:5]
	s_cbranch_execz .LBB1_1200
.LBB1_1199:
	v_bfe_u32 v12, v3, 8, 3
	v_ffbh_u32_e32 v14, v12
	v_min_u32_e32 v14, 32, v14
	v_lshrrev_b16_e32 v13, 3, v6
	v_subrev_u32_e32 v15, 28, v14
	v_and_b32_e32 v13, 15, v13
	v_lshlrev_b32_e32 v6, v15, v6
	v_sub_u32_e32 v14, 29, v14
	v_and_b32_e32 v6, 7, v6
	v_cmp_eq_u16_e32 vcc, 0, v13
	v_cndmask_b32_e32 v6, v12, v6, vcc
	v_cndmask_b32_e32 v12, v13, v14, vcc
	v_lshlrev_b32_e32 v13, 16, v3
	v_mov_b32_e32 v14, 0x3b800000
	v_lshlrev_b32_e32 v6, 20, v6
	v_and_b32_e32 v13, 0x80000000, v13
	v_lshl_add_u32 v12, v12, 23, v14
	v_or3_b32 v12, v13, v12, v6
.LBB1_1200:
	s_or_b64 exec, exec, s[6:7]
	s_nop 0
	v_mfma_f32_16x16x4f32 a[0:3], v2, v12, a[0:3]
	s_movk_i32 s4, 0xff
	v_and_b32_sdwa v6, v7, s4 dst_sel:DWORD dst_unused:UNUSED_PAD src0_sel:WORD_1 src1_sel:DWORD
	s_movk_i32 s4, 0x7f
	v_cmp_lt_i16_e32 vcc, s4, v6
	s_mov_b64 s[4:5], 0
                                        ; implicit-def: $sgpr10
	s_and_saveexec_b64 s[6:7], vcc
	s_xor_b64 s[6:7], exec, s[6:7]
	s_cbranch_execz .LBB1_1201
; %bb.37041:
	s_getpc_b64 s[14:15]
.Lpost_getpc4184:
	s_add_u32 s14, s14, (.LBB1_15537-.Lpost_getpc4184)&4294967295
	s_addc_u32 s15, s15, (.LBB1_15537-.Lpost_getpc4184)>>32
	s_setpc_b64 s[14:15]
.LBB1_1201:
	s_or_saveexec_b64 s[6:7], s[6:7]
	v_mov_b32_e32 v2, s10
	s_xor_b64 exec, exec, s[6:7]
	s_cbranch_execz .LBB1_1202
; %bb.37043:
	s_getpc_b64 s[14:15]
.Lpost_getpc4185:
	s_add_u32 s14, s14, (.LBB1_15540-.Lpost_getpc4185)&4294967295
	s_addc_u32 s15, s15, (.LBB1_15540-.Lpost_getpc4185)>>32
	s_setpc_b64 s[14:15]
.LBB1_1202:
	s_or_b64 exec, exec, s[6:7]
	s_and_saveexec_b64 s[6:7], s[4:5]
	s_cbranch_execz .LBB1_1204
.LBB1_1203:
	v_bfe_u32 v2, v7, 16, 3
	v_ffbh_u32_e32 v13, v2
	v_min_u32_e32 v13, 32, v13
	v_lshrrev_b32_e32 v6, 19, v7
	v_subrev_u32_e32 v14, 28, v13
	v_and_b32_e32 v6, 15, v6
	v_lshlrev_b32_sdwa v14, v14, v7 dst_sel:DWORD dst_unused:UNUSED_PAD src0_sel:DWORD src1_sel:WORD_1
	v_bfe_u32 v12, v7, 19, 4
	v_sub_u32_e32 v13, 29, v13
	v_and_b32_e32 v14, 7, v14
	v_cmp_eq_u16_e32 vcc, 0, v6
	v_cndmask_b32_e32 v2, v2, v14, vcc
	v_cndmask_b32_e32 v6, v12, v13, vcc
	v_lshlrev_b32_e32 v12, 8, v7
	v_mov_b32_e32 v13, 0x3b800000
	v_lshlrev_b32_e32 v2, 20, v2
	v_and_b32_e32 v12, 0x80000000, v12
	v_lshl_add_u32 v6, v6, 23, v13
	v_or3_b32 v2, v12, v6, v2
.LBB1_1204:
	s_or_b64 exec, exec, s[6:7]
	s_movk_i32 s4, 0xff
	v_and_b32_sdwa v6, v3, s4 dst_sel:DWORD dst_unused:UNUSED_PAD src0_sel:WORD_1 src1_sel:DWORD
	s_movk_i32 s4, 0x7f
	v_cmp_lt_i16_e32 vcc, s4, v6
	s_mov_b64 s[4:5], 0
                                        ; implicit-def: $sgpr10
	s_and_saveexec_b64 s[6:7], vcc
	s_xor_b64 s[6:7], exec, s[6:7]
	s_cbranch_execz .LBB1_1205
; %bb.37045:
	s_getpc_b64 s[14:15]
.Lpost_getpc4186:
	s_add_u32 s14, s14, (.LBB1_15541-.Lpost_getpc4186)&4294967295
	s_addc_u32 s15, s15, (.LBB1_15541-.Lpost_getpc4186)>>32
	s_setpc_b64 s[14:15]
.LBB1_1205:
	s_or_saveexec_b64 s[6:7], s[6:7]
	v_mov_b32_e32 v12, s10
	s_xor_b64 exec, exec, s[6:7]
	s_cbranch_execz .LBB1_1206
; %bb.37047:
	s_getpc_b64 s[14:15]
.Lpost_getpc4187:
	s_add_u32 s14, s14, (.LBB1_15544-.Lpost_getpc4187)&4294967295
	s_addc_u32 s15, s15, (.LBB1_15544-.Lpost_getpc4187)>>32
	s_setpc_b64 s[14:15]
.LBB1_1206:
	s_or_b64 exec, exec, s[6:7]
	s_and_saveexec_b64 s[6:7], s[4:5]
	s_cbranch_execz .LBB1_1208
.LBB1_1207:
	v_bfe_u32 v6, v3, 16, 3
	v_ffbh_u32_e32 v14, v6
	v_min_u32_e32 v14, 32, v14
	v_lshrrev_b32_e32 v12, 19, v3
	v_subrev_u32_e32 v15, 28, v14
	v_and_b32_e32 v12, 15, v12
	v_lshlrev_b32_sdwa v15, v15, v3 dst_sel:DWORD dst_unused:UNUSED_PAD src0_sel:DWORD src1_sel:WORD_1
	v_bfe_u32 v13, v3, 19, 4
	v_sub_u32_e32 v14, 29, v14
	v_and_b32_e32 v15, 7, v15
	v_cmp_eq_u16_e32 vcc, 0, v12
	v_cndmask_b32_e32 v6, v6, v15, vcc
	v_cndmask_b32_e32 v12, v13, v14, vcc
	v_lshlrev_b32_e32 v13, 8, v3
	v_mov_b32_e32 v14, 0x3b800000
	v_lshlrev_b32_e32 v6, 20, v6
	v_and_b32_e32 v13, 0x80000000, v13
	v_lshl_add_u32 v12, v12, 23, v14
	v_or3_b32 v12, v13, v12, v6
.LBB1_1208:
	s_or_b64 exec, exec, s[6:7]
	s_nop 0
	v_mfma_f32_16x16x4f32 a[0:3], v2, v12, a[0:3]
	s_movk_i32 s4, 0x7f
	v_cmp_gt_i16_sdwa s[6:7], v7, s4 src0_sel:BYTE_3 src1_sel:DWORD
	s_mov_b64 s[4:5], 0
                                        ; implicit-def: $sgpr10
	s_and_saveexec_b64 s[8:9], s[6:7]
	s_xor_b64 s[6:7], exec, s[8:9]
	s_cbranch_execz .LBB1_1209
; %bb.37049:
	s_getpc_b64 s[14:15]
.Lpost_getpc4188:
	s_add_u32 s14, s14, (.LBB1_15545-.Lpost_getpc4188)&4294967295
	s_addc_u32 s15, s15, (.LBB1_15545-.Lpost_getpc4188)>>32
	s_setpc_b64 s[14:15]
.LBB1_1209:
	s_or_saveexec_b64 s[6:7], s[6:7]
	v_mov_b32_e32 v2, s10
	s_xor_b64 exec, exec, s[6:7]
	s_cbranch_execz .LBB1_1210
; %bb.37051:
	s_getpc_b64 s[14:15]
.Lpost_getpc4189:
	s_add_u32 s14, s14, (.LBB1_15548-.Lpost_getpc4189)&4294967295
	s_addc_u32 s15, s15, (.LBB1_15548-.Lpost_getpc4189)>>32
	s_setpc_b64 s[14:15]
.LBB1_1210:
	s_or_b64 exec, exec, s[6:7]
	s_and_saveexec_b64 s[6:7], s[4:5]
	s_cbranch_execz .LBB1_1212
.LBB1_1211:
	v_bfe_u32 v2, v7, 24, 3
	v_ffbh_u32_e32 v14, v2
	v_min_u32_e32 v14, 32, v14
	v_lshrrev_b32_e32 v12, 27, v7
	v_subrev_u32_e32 v15, 28, v14
	v_and_b32_e32 v6, 0x80000000, v7
	v_and_b32_e32 v12, 15, v12
	v_bfe_u32 v13, v7, 27, 4
	v_lshlrev_b32_sdwa v7, v15, v7 dst_sel:DWORD dst_unused:UNUSED_PAD src0_sel:DWORD src1_sel:BYTE_3
	v_sub_u32_e32 v14, 29, v14
	v_and_b32_e32 v7, 7, v7
	v_cmp_eq_u16_e32 vcc, 0, v12
	v_cndmask_b32_e32 v2, v2, v7, vcc
	v_cndmask_b32_e32 v7, v13, v14, vcc
	v_mov_b32_e32 v12, 0x3b800000
	v_lshlrev_b32_e32 v2, 20, v2
	v_lshl_add_u32 v7, v7, 23, v12
	v_or3_b32 v2, v6, v7, v2
.LBB1_1212:
	s_or_b64 exec, exec, s[6:7]
	s_movk_i32 s4, 0x7f
	v_cmp_gt_i16_sdwa s[6:7], v3, s4 src0_sel:BYTE_3 src1_sel:DWORD
	s_mov_b64 s[4:5], 0
                                        ; implicit-def: $sgpr10
	s_and_saveexec_b64 s[8:9], s[6:7]
	s_xor_b64 s[6:7], exec, s[8:9]
	s_cbranch_execz .LBB1_1213
; %bb.37053:
	s_getpc_b64 s[14:15]
.Lpost_getpc4190:
	s_add_u32 s14, s14, (.LBB1_15549-.Lpost_getpc4190)&4294967295
	s_addc_u32 s15, s15, (.LBB1_15549-.Lpost_getpc4190)>>32
	s_setpc_b64 s[14:15]
.LBB1_1213:
	s_or_saveexec_b64 s[6:7], s[6:7]
	v_mov_b32_e32 v6, s10
	s_xor_b64 exec, exec, s[6:7]
	s_cbranch_execz .LBB1_1214
; %bb.37055:
	s_getpc_b64 s[14:15]
.Lpost_getpc4191:
	s_add_u32 s14, s14, (.LBB1_15552-.Lpost_getpc4191)&4294967295
	s_addc_u32 s15, s15, (.LBB1_15552-.Lpost_getpc4191)>>32
	s_setpc_b64 s[14:15]
.LBB1_1214:
	s_or_b64 exec, exec, s[6:7]
	s_and_saveexec_b64 s[6:7], s[4:5]
	s_cbranch_execz .LBB1_1216
.LBB1_1215:
	v_bfe_u32 v6, v3, 24, 3
	v_ffbh_u32_e32 v14, v6
	v_min_u32_e32 v14, 32, v14
	v_lshrrev_b32_e32 v12, 27, v3
	v_subrev_u32_e32 v15, 28, v14
	v_and_b32_e32 v7, 0x80000000, v3
	v_and_b32_e32 v12, 15, v12
	v_bfe_u32 v13, v3, 27, 4
	v_lshlrev_b32_sdwa v3, v15, v3 dst_sel:DWORD dst_unused:UNUSED_PAD src0_sel:DWORD src1_sel:BYTE_3
	v_sub_u32_e32 v14, 29, v14
	v_and_b32_e32 v3, 7, v3
	v_cmp_eq_u16_e32 vcc, 0, v12
	v_cndmask_b32_e32 v3, v6, v3, vcc
	v_cndmask_b32_e32 v6, v13, v14, vcc
	v_mov_b32_e32 v12, 0x3b800000
	v_lshlrev_b32_e32 v3, 20, v3
	v_lshl_add_u32 v6, v6, 23, v12
	v_or3_b32 v6, v7, v6, v3
.LBB1_1216:
	s_or_b64 exec, exec, s[6:7]
	s_nop 0
	v_mfma_f32_16x16x4f32 a[0:3], v2, v6, a[0:3]
	s_movk_i32 s4, 0x7f
	v_cmp_gt_i16_sdwa s[6:7], v8, s4 src0_sel:BYTE_0 src1_sel:DWORD
	s_mov_b64 s[4:5], 0
                                        ; implicit-def: $sgpr10
	s_and_saveexec_b64 s[8:9], s[6:7]
	s_xor_b64 s[6:7], exec, s[8:9]
	s_cbranch_execz .LBB1_1217
; %bb.37057:
	s_getpc_b64 s[14:15]
.Lpost_getpc4192:
	s_add_u32 s14, s14, (.LBB1_15553-.Lpost_getpc4192)&4294967295
	s_addc_u32 s15, s15, (.LBB1_15553-.Lpost_getpc4192)>>32
	s_setpc_b64 s[14:15]
.LBB1_1217:
	s_or_saveexec_b64 s[6:7], s[6:7]
	v_mov_b32_e32 v2, s10
	s_xor_b64 exec, exec, s[6:7]
	s_cbranch_execz .LBB1_1218
; %bb.37059:
	s_getpc_b64 s[14:15]
.Lpost_getpc4193:
	s_add_u32 s14, s14, (.LBB1_15556-.Lpost_getpc4193)&4294967295
	s_addc_u32 s15, s15, (.LBB1_15556-.Lpost_getpc4193)>>32
	s_setpc_b64 s[14:15]
.LBB1_1218:
	s_or_b64 exec, exec, s[6:7]
	s_and_saveexec_b64 s[6:7], s[4:5]
	s_cbranch_execz .LBB1_1220
.LBB1_1219:
	v_and_b32_e32 v2, 7, v8
	v_ffbh_u32_e32 v6, v2
	v_min_u32_e32 v6, 32, v6
	v_lshrrev_b16_e32 v3, 3, v8
	v_subrev_u32_e32 v7, 28, v6
	v_and_b32_e32 v3, 15, v3
	v_lshlrev_b32_e32 v7, v7, v8
	v_sub_u32_e32 v6, 29, v6
	v_and_b32_e32 v7, 7, v7
	v_cmp_eq_u16_e32 vcc, 0, v3
	v_cndmask_b32_e32 v2, v2, v7, vcc
	v_cndmask_b32_e32 v3, v3, v6, vcc
	v_lshlrev_b32_e32 v6, 24, v8
	v_mov_b32_e32 v7, 0x3b800000
	v_lshlrev_b32_e32 v2, 20, v2
	v_and_b32_e32 v6, 0x80000000, v6
	v_lshl_add_u32 v3, v3, 23, v7
	v_or3_b32 v2, v6, v3, v2
.LBB1_1220:
	s_or_b64 exec, exec, s[6:7]
	s_movk_i32 s4, 0x7f
	v_cmp_gt_i16_sdwa s[6:7], v4, s4 src0_sel:BYTE_0 src1_sel:DWORD
	s_mov_b64 s[4:5], 0
                                        ; implicit-def: $sgpr10
	s_and_saveexec_b64 s[8:9], s[6:7]
	s_xor_b64 s[6:7], exec, s[8:9]
	s_cbranch_execz .LBB1_1221
; %bb.37061:
	s_getpc_b64 s[14:15]
.Lpost_getpc4194:
	s_add_u32 s14, s14, (.LBB1_15557-.Lpost_getpc4194)&4294967295
	s_addc_u32 s15, s15, (.LBB1_15557-.Lpost_getpc4194)>>32
	s_setpc_b64 s[14:15]
.LBB1_1221:
	s_or_saveexec_b64 s[6:7], s[6:7]
	v_mov_b32_e32 v3, s10
	s_xor_b64 exec, exec, s[6:7]
	s_cbranch_execz .LBB1_1222
; %bb.37063:
	s_getpc_b64 s[14:15]
.Lpost_getpc4195:
	s_add_u32 s14, s14, (.LBB1_15560-.Lpost_getpc4195)&4294967295
	s_addc_u32 s15, s15, (.LBB1_15560-.Lpost_getpc4195)>>32
	s_setpc_b64 s[14:15]
.LBB1_1222:
	s_or_b64 exec, exec, s[6:7]
	s_and_saveexec_b64 s[6:7], s[4:5]
	s_cbranch_execz .LBB1_1224
.LBB1_1223:
	v_and_b32_e32 v3, 7, v4
	v_ffbh_u32_e32 v7, v3
	v_min_u32_e32 v7, 32, v7
	v_lshrrev_b16_e32 v6, 3, v4
	v_subrev_u32_e32 v12, 28, v7
	v_and_b32_e32 v6, 15, v6
	v_lshlrev_b32_e32 v12, v12, v4
	v_sub_u32_e32 v7, 29, v7
	v_and_b32_e32 v12, 7, v12
	v_cmp_eq_u16_e32 vcc, 0, v6
	v_cndmask_b32_e32 v3, v3, v12, vcc
	v_cndmask_b32_e32 v6, v6, v7, vcc
	v_lshlrev_b32_e32 v7, 24, v4
	v_mov_b32_e32 v12, 0x3b800000
	v_lshlrev_b32_e32 v3, 20, v3
	v_and_b32_e32 v7, 0x80000000, v7
	v_lshl_add_u32 v6, v6, 23, v12
	v_or3_b32 v3, v7, v6, v3
.LBB1_1224:
	s_or_b64 exec, exec, s[6:7]
	s_nop 0
	v_mfma_f32_16x16x4f32 a[0:3], v2, v3, a[0:3]
	v_lshrrev_b32_e32 v3, 8, v8
	s_movk_i32 s4, 0x7f
	v_cmp_gt_i16_sdwa s[6:7], v3, s4 src0_sel:BYTE_0 src1_sel:DWORD
	s_mov_b64 s[4:5], 0
                                        ; implicit-def: $sgpr10
	s_and_saveexec_b64 s[8:9], s[6:7]
	s_xor_b64 s[6:7], exec, s[8:9]
	s_cbranch_execz .LBB1_1225
; %bb.37065:
	s_getpc_b64 s[14:15]
.Lpost_getpc4196:
	s_add_u32 s14, s14, (.LBB1_15561-.Lpost_getpc4196)&4294967295
	s_addc_u32 s15, s15, (.LBB1_15561-.Lpost_getpc4196)>>32
	s_setpc_b64 s[14:15]
.LBB1_1225:
	s_or_saveexec_b64 s[6:7], s[6:7]
	v_mov_b32_e32 v2, s10
	s_xor_b64 exec, exec, s[6:7]
	s_cbranch_execz .LBB1_1226
; %bb.37067:
	s_getpc_b64 s[14:15]
.Lpost_getpc4197:
	s_add_u32 s14, s14, (.LBB1_15564-.Lpost_getpc4197)&4294967295
	s_addc_u32 s15, s15, (.LBB1_15564-.Lpost_getpc4197)>>32
	s_setpc_b64 s[14:15]
.LBB1_1226:
	s_or_b64 exec, exec, s[6:7]
	s_and_saveexec_b64 s[6:7], s[4:5]
	s_cbranch_execz .LBB1_1228
.LBB1_1227:
	v_bfe_u32 v2, v8, 8, 3
	v_ffbh_u32_e32 v7, v2
	v_min_u32_e32 v7, 32, v7
	v_lshrrev_b16_e32 v6, 3, v3
	v_subrev_u32_e32 v12, 28, v7
	v_and_b32_e32 v6, 15, v6
	v_lshlrev_b32_e32 v3, v12, v3
	v_sub_u32_e32 v7, 29, v7
	v_and_b32_e32 v3, 7, v3
	v_cmp_eq_u16_e32 vcc, 0, v6
	v_cndmask_b32_e32 v2, v2, v3, vcc
	v_cndmask_b32_e32 v3, v6, v7, vcc
	v_lshlrev_b32_e32 v6, 16, v8
	v_mov_b32_e32 v7, 0x3b800000
	v_lshlrev_b32_e32 v2, 20, v2
	v_and_b32_e32 v6, 0x80000000, v6
	v_lshl_add_u32 v3, v3, 23, v7
	v_or3_b32 v2, v6, v3, v2
.LBB1_1228:
	s_or_b64 exec, exec, s[6:7]
	v_lshrrev_b32_e32 v3, 8, v4
	s_movk_i32 s4, 0x7f
	v_cmp_gt_i16_sdwa s[6:7], v3, s4 src0_sel:BYTE_0 src1_sel:DWORD
	s_mov_b64 s[4:5], 0
                                        ; implicit-def: $sgpr10
	s_and_saveexec_b64 s[8:9], s[6:7]
	s_xor_b64 s[6:7], exec, s[8:9]
	s_cbranch_execz .LBB1_1229
; %bb.37069:
	s_getpc_b64 s[14:15]
.Lpost_getpc4198:
	s_add_u32 s14, s14, (.LBB1_15565-.Lpost_getpc4198)&4294967295
	s_addc_u32 s15, s15, (.LBB1_15565-.Lpost_getpc4198)>>32
	s_setpc_b64 s[14:15]
.LBB1_1229:
	s_or_saveexec_b64 s[6:7], s[6:7]
	v_mov_b32_e32 v6, s10
	s_xor_b64 exec, exec, s[6:7]
	s_cbranch_execz .LBB1_1230
; %bb.37071:
	s_getpc_b64 s[14:15]
.Lpost_getpc4199:
	s_add_u32 s14, s14, (.LBB1_15568-.Lpost_getpc4199)&4294967295
	s_addc_u32 s15, s15, (.LBB1_15568-.Lpost_getpc4199)>>32
	s_setpc_b64 s[14:15]
.LBB1_1230:
	s_or_b64 exec, exec, s[6:7]
	s_and_saveexec_b64 s[6:7], s[4:5]
	s_cbranch_execz .LBB1_1232
.LBB1_1231:
	v_bfe_u32 v6, v4, 8, 3
	v_ffbh_u32_e32 v12, v6
	v_min_u32_e32 v12, 32, v12
	v_lshrrev_b16_e32 v7, 3, v3
	v_subrev_u32_e32 v13, 28, v12
	v_and_b32_e32 v7, 15, v7
	v_lshlrev_b32_e32 v3, v13, v3
	v_sub_u32_e32 v12, 29, v12
	v_and_b32_e32 v3, 7, v3
	v_cmp_eq_u16_e32 vcc, 0, v7
	v_cndmask_b32_e32 v3, v6, v3, vcc
	v_cndmask_b32_e32 v6, v7, v12, vcc
	v_lshlrev_b32_e32 v7, 16, v4
	v_mov_b32_e32 v12, 0x3b800000
	v_lshlrev_b32_e32 v3, 20, v3
	v_and_b32_e32 v7, 0x80000000, v7
	v_lshl_add_u32 v6, v6, 23, v12
	v_or3_b32 v6, v7, v6, v3
.LBB1_1232:
	s_or_b64 exec, exec, s[6:7]
	s_nop 0
	v_mfma_f32_16x16x4f32 a[0:3], v2, v6, a[0:3]
	s_movk_i32 s4, 0xff
	v_and_b32_sdwa v3, v8, s4 dst_sel:DWORD dst_unused:UNUSED_PAD src0_sel:WORD_1 src1_sel:DWORD
	s_movk_i32 s4, 0x7f
	v_cmp_lt_i16_e32 vcc, s4, v3
	s_mov_b64 s[4:5], 0
                                        ; implicit-def: $sgpr10
	s_and_saveexec_b64 s[6:7], vcc
	s_xor_b64 s[6:7], exec, s[6:7]
	s_cbranch_execz .LBB1_1233
; %bb.37073:
	s_getpc_b64 s[14:15]
.Lpost_getpc4200:
	s_add_u32 s14, s14, (.LBB1_15569-.Lpost_getpc4200)&4294967295
	s_addc_u32 s15, s15, (.LBB1_15569-.Lpost_getpc4200)>>32
	s_setpc_b64 s[14:15]
.LBB1_1233:
	s_or_saveexec_b64 s[6:7], s[6:7]
	v_mov_b32_e32 v2, s10
	s_xor_b64 exec, exec, s[6:7]
	s_cbranch_execz .LBB1_1234
; %bb.37075:
	s_getpc_b64 s[14:15]
.Lpost_getpc4201:
	s_add_u32 s14, s14, (.LBB1_15572-.Lpost_getpc4201)&4294967295
	s_addc_u32 s15, s15, (.LBB1_15572-.Lpost_getpc4201)>>32
	s_setpc_b64 s[14:15]
.LBB1_1234:
	s_or_b64 exec, exec, s[6:7]
	s_and_saveexec_b64 s[6:7], s[4:5]
	s_cbranch_execz .LBB1_1236
.LBB1_1235:
	v_bfe_u32 v2, v8, 16, 3
	v_ffbh_u32_e32 v7, v2
	v_min_u32_e32 v7, 32, v7
	v_lshrrev_b32_e32 v3, 19, v8
	v_subrev_u32_e32 v12, 28, v7
	v_and_b32_e32 v3, 15, v3
	v_lshlrev_b32_sdwa v12, v12, v8 dst_sel:DWORD dst_unused:UNUSED_PAD src0_sel:DWORD src1_sel:WORD_1
	v_bfe_u32 v6, v8, 19, 4
	v_sub_u32_e32 v7, 29, v7
	v_and_b32_e32 v12, 7, v12
	v_cmp_eq_u16_e32 vcc, 0, v3
	v_cndmask_b32_e32 v2, v2, v12, vcc
	v_cndmask_b32_e32 v3, v6, v7, vcc
	v_lshlrev_b32_e32 v6, 8, v8
	v_mov_b32_e32 v7, 0x3b800000
	v_lshlrev_b32_e32 v2, 20, v2
	v_and_b32_e32 v6, 0x80000000, v6
	v_lshl_add_u32 v3, v3, 23, v7
	v_or3_b32 v2, v6, v3, v2
.LBB1_1236:
	s_or_b64 exec, exec, s[6:7]
	s_movk_i32 s4, 0xff
	v_and_b32_sdwa v3, v4, s4 dst_sel:DWORD dst_unused:UNUSED_PAD src0_sel:WORD_1 src1_sel:DWORD
	s_movk_i32 s4, 0x7f
	v_cmp_lt_i16_e32 vcc, s4, v3
	s_mov_b64 s[4:5], 0
                                        ; implicit-def: $sgpr10
	s_and_saveexec_b64 s[6:7], vcc
	s_xor_b64 s[6:7], exec, s[6:7]
	s_cbranch_execz .LBB1_1237
; %bb.37077:
	s_getpc_b64 s[14:15]
.Lpost_getpc4202:
	s_add_u32 s14, s14, (.LBB1_15573-.Lpost_getpc4202)&4294967295
	s_addc_u32 s15, s15, (.LBB1_15573-.Lpost_getpc4202)>>32
	s_setpc_b64 s[14:15]
.LBB1_1237:
	s_or_saveexec_b64 s[6:7], s[6:7]
	v_mov_b32_e32 v6, s10
	s_xor_b64 exec, exec, s[6:7]
	s_cbranch_execz .LBB1_1238
; %bb.37079:
	s_getpc_b64 s[14:15]
.Lpost_getpc4203:
	s_add_u32 s14, s14, (.LBB1_15576-.Lpost_getpc4203)&4294967295
	s_addc_u32 s15, s15, (.LBB1_15576-.Lpost_getpc4203)>>32
	s_setpc_b64 s[14:15]
.LBB1_1238:
	s_or_b64 exec, exec, s[6:7]
	s_and_saveexec_b64 s[6:7], s[4:5]
	s_cbranch_execz .LBB1_1240
.LBB1_1239:
	v_bfe_u32 v3, v4, 16, 3
	v_ffbh_u32_e32 v12, v3
	v_min_u32_e32 v12, 32, v12
	v_lshrrev_b32_e32 v6, 19, v4
	v_subrev_u32_e32 v13, 28, v12
	v_and_b32_e32 v6, 15, v6
	v_lshlrev_b32_sdwa v13, v13, v4 dst_sel:DWORD dst_unused:UNUSED_PAD src0_sel:DWORD src1_sel:WORD_1
	v_bfe_u32 v7, v4, 19, 4
	v_sub_u32_e32 v12, 29, v12
	v_and_b32_e32 v13, 7, v13
	v_cmp_eq_u16_e32 vcc, 0, v6
	v_cndmask_b32_e32 v3, v3, v13, vcc
	v_cndmask_b32_e32 v6, v7, v12, vcc
	v_lshlrev_b32_e32 v7, 8, v4
	v_mov_b32_e32 v12, 0x3b800000
	v_lshlrev_b32_e32 v3, 20, v3
	v_and_b32_e32 v7, 0x80000000, v7
	v_lshl_add_u32 v6, v6, 23, v12
	v_or3_b32 v6, v7, v6, v3
.LBB1_1240:
	s_or_b64 exec, exec, s[6:7]
	s_nop 0
	v_mfma_f32_16x16x4f32 a[0:3], v2, v6, a[0:3]
	s_movk_i32 s4, 0x7f
	v_cmp_gt_i16_sdwa s[6:7], v8, s4 src0_sel:BYTE_3 src1_sel:DWORD
	s_mov_b64 s[4:5], 0
                                        ; implicit-def: $sgpr10
	s_and_saveexec_b64 s[8:9], s[6:7]
	s_xor_b64 s[6:7], exec, s[8:9]
	s_cbranch_execz .LBB1_1241
; %bb.37081:
	s_getpc_b64 s[14:15]
.Lpost_getpc4204:
	s_add_u32 s14, s14, (.LBB1_15577-.Lpost_getpc4204)&4294967295
	s_addc_u32 s15, s15, (.LBB1_15577-.Lpost_getpc4204)>>32
	s_setpc_b64 s[14:15]
.LBB1_1241:
	s_or_saveexec_b64 s[6:7], s[6:7]
	v_mov_b32_e32 v2, s10
	s_xor_b64 exec, exec, s[6:7]
	s_cbranch_execz .LBB1_1242
; %bb.37083:
	s_getpc_b64 s[14:15]
.Lpost_getpc4205:
	s_add_u32 s14, s14, (.LBB1_15580-.Lpost_getpc4205)&4294967295
	s_addc_u32 s15, s15, (.LBB1_15580-.Lpost_getpc4205)>>32
	s_setpc_b64 s[14:15]
.LBB1_1242:
	s_or_b64 exec, exec, s[6:7]
	s_and_saveexec_b64 s[6:7], s[4:5]
	s_cbranch_execz .LBB1_1244
.LBB1_1243:
	v_bfe_u32 v2, v8, 24, 3
	v_ffbh_u32_e32 v12, v2
	v_min_u32_e32 v12, 32, v12
	v_lshrrev_b32_e32 v6, 27, v8
	v_subrev_u32_e32 v13, 28, v12
	v_and_b32_e32 v3, 0x80000000, v8
	v_and_b32_e32 v6, 15, v6
	v_bfe_u32 v7, v8, 27, 4
	v_lshlrev_b32_sdwa v8, v13, v8 dst_sel:DWORD dst_unused:UNUSED_PAD src0_sel:DWORD src1_sel:BYTE_3
	v_sub_u32_e32 v12, 29, v12
	v_and_b32_e32 v8, 7, v8
	v_cmp_eq_u16_e32 vcc, 0, v6
	v_cndmask_b32_e32 v2, v2, v8, vcc
	v_cndmask_b32_e32 v6, v7, v12, vcc
	v_mov_b32_e32 v7, 0x3b800000
	v_lshlrev_b32_e32 v2, 20, v2
	v_lshl_add_u32 v6, v6, 23, v7
	v_or3_b32 v2, v3, v6, v2
.LBB1_1244:
	s_or_b64 exec, exec, s[6:7]
	s_movk_i32 s4, 0x7f
	v_cmp_gt_i16_sdwa s[6:7], v4, s4 src0_sel:BYTE_3 src1_sel:DWORD
	s_mov_b64 s[4:5], 0
                                        ; implicit-def: $sgpr10
	s_and_saveexec_b64 s[8:9], s[6:7]
	s_xor_b64 s[6:7], exec, s[8:9]
	s_cbranch_execz .LBB1_1245
; %bb.37085:
	s_getpc_b64 s[14:15]
.Lpost_getpc4206:
	s_add_u32 s14, s14, (.LBB1_15581-.Lpost_getpc4206)&4294967295
	s_addc_u32 s15, s15, (.LBB1_15581-.Lpost_getpc4206)>>32
	s_setpc_b64 s[14:15]
.LBB1_1245:
	s_or_saveexec_b64 s[6:7], s[6:7]
	v_mov_b32_e32 v3, s10
	s_xor_b64 exec, exec, s[6:7]
	s_cbranch_execz .LBB1_1246
; %bb.37087:
	s_getpc_b64 s[14:15]
.Lpost_getpc4207:
	s_add_u32 s14, s14, (.LBB1_15584-.Lpost_getpc4207)&4294967295
	s_addc_u32 s15, s15, (.LBB1_15584-.Lpost_getpc4207)>>32
	s_setpc_b64 s[14:15]
.LBB1_1246:
	s_or_b64 exec, exec, s[6:7]
	s_and_saveexec_b64 s[6:7], s[4:5]
	s_cbranch_execz .LBB1_1248
.LBB1_1247:
	v_bfe_u32 v3, v4, 24, 3
	v_ffbh_u32_e32 v12, v3
	v_min_u32_e32 v12, 32, v12
	v_lshrrev_b32_e32 v7, 27, v4
	v_subrev_u32_e32 v13, 28, v12
	v_and_b32_e32 v6, 0x80000000, v4
	v_and_b32_e32 v7, 15, v7
	v_bfe_u32 v8, v4, 27, 4
	v_lshlrev_b32_sdwa v4, v13, v4 dst_sel:DWORD dst_unused:UNUSED_PAD src0_sel:DWORD src1_sel:BYTE_3
	v_sub_u32_e32 v12, 29, v12
	v_and_b32_e32 v4, 7, v4
	v_cmp_eq_u16_e32 vcc, 0, v7
	v_cndmask_b32_e32 v3, v3, v4, vcc
	v_cndmask_b32_e32 v4, v8, v12, vcc
	v_mov_b32_e32 v7, 0x3b800000
	v_lshlrev_b32_e32 v3, 20, v3
	v_lshl_add_u32 v4, v4, 23, v7
	v_or3_b32 v3, v6, v4, v3
.LBB1_1248:
	s_or_b64 exec, exec, s[6:7]
	s_nop 0
	v_mfma_f32_16x16x4f32 a[0:3], v2, v3, a[0:3]
	s_movk_i32 s4, 0x7f
	v_cmp_gt_i16_sdwa s[6:7], v9, s4 src0_sel:BYTE_0 src1_sel:DWORD
	s_mov_b64 s[4:5], 0
                                        ; implicit-def: $sgpr10
	s_and_saveexec_b64 s[8:9], s[6:7]
	s_xor_b64 s[6:7], exec, s[8:9]
	s_cbranch_execz .LBB1_1249
; %bb.37089:
	s_getpc_b64 s[14:15]
.Lpost_getpc4208:
	s_add_u32 s14, s14, (.LBB1_15585-.Lpost_getpc4208)&4294967295
	s_addc_u32 s15, s15, (.LBB1_15585-.Lpost_getpc4208)>>32
	s_setpc_b64 s[14:15]
.LBB1_1249:
	s_or_saveexec_b64 s[6:7], s[6:7]
	v_mov_b32_e32 v2, s10
	s_xor_b64 exec, exec, s[6:7]
	s_cbranch_execz .LBB1_1250
; %bb.37091:
	s_getpc_b64 s[14:15]
.Lpost_getpc4209:
	s_add_u32 s14, s14, (.LBB1_15588-.Lpost_getpc4209)&4294967295
	s_addc_u32 s15, s15, (.LBB1_15588-.Lpost_getpc4209)>>32
	s_setpc_b64 s[14:15]
.LBB1_1250:
	s_or_b64 exec, exec, s[6:7]
	s_and_saveexec_b64 s[6:7], s[4:5]
	s_cbranch_execz .LBB1_1252
.LBB1_1251:
	v_mov_b32_e32 v2, 8
	v_and_b32_e32 v3, 7, v9
	v_lshrrev_b32_sdwa v2, v2, v9 dst_sel:BYTE_1 dst_unused:UNUSED_PAD src0_sel:DWORD src1_sel:DWORD
	v_ffbh_u32_e32 v4, v3
	v_or_b32_sdwa v2, v9, v2 dst_sel:DWORD dst_unused:UNUSED_PAD src0_sel:BYTE_0 src1_sel:DWORD
	v_min_u32_e32 v4, 32, v4
	v_lshrrev_b16_e32 v2, 3, v2
	v_subrev_u32_e32 v6, 28, v4
	v_and_b32_e32 v2, 15, v2
	v_lshlrev_b32_e32 v6, v6, v9
	v_sub_u32_e32 v4, 29, v4
	v_and_b32_e32 v6, 7, v6
	v_cmp_eq_u16_e32 vcc, 0, v2
	v_cndmask_b32_e32 v3, v3, v6, vcc
	v_cndmask_b32_e32 v2, v2, v4, vcc
	v_lshlrev_b32_e32 v4, 24, v9
	v_mov_b32_e32 v6, 0x3b800000
	v_lshlrev_b32_e32 v3, 20, v3
	v_and_b32_e32 v4, 0x80000000, v4
	v_lshl_add_u32 v2, v2, 23, v6
	v_or3_b32 v2, v4, v2, v3
.LBB1_1252:
	s_or_b64 exec, exec, s[6:7]
	s_movk_i32 s4, 0x7f
	v_cmp_gt_i16_sdwa s[6:7], v5, s4 src0_sel:BYTE_0 src1_sel:DWORD
	s_mov_b64 s[4:5], 0
                                        ; implicit-def: $sgpr10
	s_and_saveexec_b64 s[8:9], s[6:7]
	s_xor_b64 s[6:7], exec, s[8:9]
	s_cbranch_execz .LBB1_1253
; %bb.37093:
	s_getpc_b64 s[14:15]
.Lpost_getpc4210:
	s_add_u32 s14, s14, (.LBB1_15589-.Lpost_getpc4210)&4294967295
	s_addc_u32 s15, s15, (.LBB1_15589-.Lpost_getpc4210)>>32
	s_setpc_b64 s[14:15]
.LBB1_1253:
	s_or_saveexec_b64 s[6:7], s[6:7]
	v_mov_b32_e32 v3, s10
	s_xor_b64 exec, exec, s[6:7]
	s_cbranch_execz .LBB1_1254
; %bb.37095:
	s_getpc_b64 s[14:15]
.Lpost_getpc4211:
	s_add_u32 s14, s14, (.LBB1_15592-.Lpost_getpc4211)&4294967295
	s_addc_u32 s15, s15, (.LBB1_15592-.Lpost_getpc4211)>>32
	s_setpc_b64 s[14:15]
.LBB1_1254:
	s_or_b64 exec, exec, s[6:7]
	s_and_saveexec_b64 s[6:7], s[4:5]
	s_cbranch_execz .LBB1_1256
.LBB1_1255:
	v_mov_b32_e32 v3, 8
	v_and_b32_e32 v4, 7, v5
	v_lshrrev_b32_sdwa v3, v3, v5 dst_sel:BYTE_1 dst_unused:UNUSED_PAD src0_sel:DWORD src1_sel:DWORD
	v_ffbh_u32_e32 v6, v4
	v_or_b32_sdwa v3, v5, v3 dst_sel:DWORD dst_unused:UNUSED_PAD src0_sel:BYTE_0 src1_sel:DWORD
	v_min_u32_e32 v6, 32, v6
	v_lshrrev_b16_e32 v3, 3, v3
	v_subrev_u32_e32 v7, 28, v6
	v_and_b32_e32 v3, 15, v3
	v_lshlrev_b32_e32 v7, v7, v5
	v_sub_u32_e32 v6, 29, v6
	v_and_b32_e32 v7, 7, v7
	v_cmp_eq_u16_e32 vcc, 0, v3
	v_cndmask_b32_e32 v4, v4, v7, vcc
	v_cndmask_b32_e32 v3, v3, v6, vcc
	v_lshlrev_b32_e32 v6, 24, v5
	v_mov_b32_e32 v7, 0x3b800000
	v_lshlrev_b32_e32 v4, 20, v4
	v_and_b32_e32 v6, 0x80000000, v6
	v_lshl_add_u32 v3, v3, 23, v7
	v_or3_b32 v3, v6, v3, v4
.LBB1_1256:
	s_or_b64 exec, exec, s[6:7]
	s_nop 0
	v_mfma_f32_16x16x4f32 a[0:3], v2, v3, a[0:3]
	v_lshrrev_b32_e32 v3, 8, v9
	s_movk_i32 s4, 0x7f
	v_cmp_gt_i16_sdwa s[6:7], v3, s4 src0_sel:BYTE_0 src1_sel:DWORD
	s_mov_b64 s[4:5], 0
                                        ; implicit-def: $sgpr10
	s_and_saveexec_b64 s[8:9], s[6:7]
	s_xor_b64 s[6:7], exec, s[8:9]
	s_cbranch_execz .LBB1_1257
; %bb.37097:
	s_getpc_b64 s[14:15]
.Lpost_getpc4212:
	s_add_u32 s14, s14, (.LBB1_15593-.Lpost_getpc4212)&4294967295
	s_addc_u32 s15, s15, (.LBB1_15593-.Lpost_getpc4212)>>32
	s_setpc_b64 s[14:15]
.LBB1_1257:
	s_or_saveexec_b64 s[6:7], s[6:7]
	v_mov_b32_e32 v2, s10
	s_xor_b64 exec, exec, s[6:7]
	s_cbranch_execz .LBB1_1258
; %bb.37099:
	s_getpc_b64 s[14:15]
.Lpost_getpc4213:
	s_add_u32 s14, s14, (.LBB1_15596-.Lpost_getpc4213)&4294967295
	s_addc_u32 s15, s15, (.LBB1_15596-.Lpost_getpc4213)>>32
	s_setpc_b64 s[14:15]
.LBB1_1258:
	s_or_b64 exec, exec, s[6:7]
	s_and_saveexec_b64 s[6:7], s[4:5]
	s_cbranch_execz .LBB1_1260
.LBB1_1259:
	v_bfe_u32 v2, v9, 8, 3
	v_ffbh_u32_e32 v6, v2
	v_min_u32_e32 v6, 32, v6
	v_lshrrev_b16_e32 v4, 3, v3
	v_subrev_u32_e32 v7, 28, v6
	v_and_b32_e32 v4, 15, v4
	v_lshlrev_b32_e32 v3, v7, v3
	v_sub_u32_e32 v6, 29, v6
	v_and_b32_e32 v3, 7, v3
	v_cmp_eq_u16_e32 vcc, 0, v4
	v_cndmask_b32_e32 v2, v2, v3, vcc
	v_cndmask_b32_e32 v3, v4, v6, vcc
	v_lshlrev_b32_e32 v4, 16, v9
	v_mov_b32_e32 v6, 0x3b800000
	v_lshlrev_b32_e32 v2, 20, v2
	v_and_b32_e32 v4, 0x80000000, v4
	v_lshl_add_u32 v3, v3, 23, v6
	v_or3_b32 v2, v4, v3, v2
.LBB1_1260:
	s_or_b64 exec, exec, s[6:7]
	v_lshrrev_b32_e32 v3, 8, v5
	s_movk_i32 s4, 0x7f
	v_cmp_gt_i16_sdwa s[6:7], v3, s4 src0_sel:BYTE_0 src1_sel:DWORD
	s_mov_b64 s[4:5], 0
                                        ; implicit-def: $sgpr10
	s_and_saveexec_b64 s[8:9], s[6:7]
	s_xor_b64 s[6:7], exec, s[8:9]
	s_cbranch_execz .LBB1_1261
; %bb.37101:
	s_getpc_b64 s[14:15]
.Lpost_getpc4214:
	s_add_u32 s14, s14, (.LBB1_15597-.Lpost_getpc4214)&4294967295
	s_addc_u32 s15, s15, (.LBB1_15597-.Lpost_getpc4214)>>32
	s_setpc_b64 s[14:15]
.LBB1_1261:
	s_or_saveexec_b64 s[6:7], s[6:7]
	v_mov_b32_e32 v4, s10
	s_xor_b64 exec, exec, s[6:7]
	s_cbranch_execz .LBB1_1262
; %bb.37103:
	s_getpc_b64 s[14:15]
.Lpost_getpc4215:
	s_add_u32 s14, s14, (.LBB1_15600-.Lpost_getpc4215)&4294967295
	s_addc_u32 s15, s15, (.LBB1_15600-.Lpost_getpc4215)>>32
	s_setpc_b64 s[14:15]
.LBB1_1262:
	s_or_b64 exec, exec, s[6:7]
	s_and_saveexec_b64 s[6:7], s[4:5]
	s_cbranch_execz .LBB1_1264
.LBB1_1263:
	v_bfe_u32 v4, v5, 8, 3
	v_ffbh_u32_e32 v7, v4
	v_min_u32_e32 v7, 32, v7
	v_lshrrev_b16_e32 v6, 3, v3
	v_subrev_u32_e32 v8, 28, v7
	v_and_b32_e32 v6, 15, v6
	v_lshlrev_b32_e32 v3, v8, v3
	v_sub_u32_e32 v7, 29, v7
	v_and_b32_e32 v3, 7, v3
	v_cmp_eq_u16_e32 vcc, 0, v6
	v_cndmask_b32_e32 v3, v4, v3, vcc
	v_cndmask_b32_e32 v4, v6, v7, vcc
	v_lshlrev_b32_e32 v6, 16, v5
	v_mov_b32_e32 v7, 0x3b800000
	v_lshlrev_b32_e32 v3, 20, v3
	v_and_b32_e32 v6, 0x80000000, v6
	v_lshl_add_u32 v4, v4, 23, v7
	v_or3_b32 v4, v6, v4, v3
.LBB1_1264:
	s_or_b64 exec, exec, s[6:7]
	s_nop 0
	v_mfma_f32_16x16x4f32 a[0:3], v2, v4, a[0:3]
	s_movk_i32 s4, 0xff
	v_and_b32_sdwa v3, v9, s4 dst_sel:DWORD dst_unused:UNUSED_PAD src0_sel:WORD_1 src1_sel:DWORD
	s_movk_i32 s4, 0x7f
	v_cmp_lt_i16_e32 vcc, s4, v3
	s_mov_b64 s[4:5], 0
                                        ; implicit-def: $sgpr10
	s_and_saveexec_b64 s[6:7], vcc
	s_xor_b64 s[6:7], exec, s[6:7]
	s_cbranch_execz .LBB1_1265
; %bb.37105:
	s_getpc_b64 s[14:15]
.Lpost_getpc4216:
	s_add_u32 s14, s14, (.LBB1_15601-.Lpost_getpc4216)&4294967295
	s_addc_u32 s15, s15, (.LBB1_15601-.Lpost_getpc4216)>>32
	s_setpc_b64 s[14:15]
.LBB1_1265:
	s_or_saveexec_b64 s[6:7], s[6:7]
	v_mov_b32_e32 v2, s10
	s_xor_b64 exec, exec, s[6:7]
	s_cbranch_execz .LBB1_1266
; %bb.37107:
	s_getpc_b64 s[14:15]
.Lpost_getpc4217:
	s_add_u32 s14, s14, (.LBB1_15604-.Lpost_getpc4217)&4294967295
	s_addc_u32 s15, s15, (.LBB1_15604-.Lpost_getpc4217)>>32
	s_setpc_b64 s[14:15]
.LBB1_1266:
	s_or_b64 exec, exec, s[6:7]
	s_and_saveexec_b64 s[6:7], s[4:5]
	s_cbranch_execz .LBB1_1268
.LBB1_1267:
	v_bfe_u32 v2, v9, 16, 3
	v_ffbh_u32_e32 v6, v2
	v_min_u32_e32 v6, 32, v6
	v_lshrrev_b32_e32 v3, 19, v9
	v_subrev_u32_e32 v7, 28, v6
	v_and_b32_e32 v3, 15, v3
	v_lshlrev_b32_sdwa v7, v7, v9 dst_sel:DWORD dst_unused:UNUSED_PAD src0_sel:DWORD src1_sel:WORD_1
	v_bfe_u32 v4, v9, 19, 4
	v_sub_u32_e32 v6, 29, v6
	v_and_b32_e32 v7, 7, v7
	v_cmp_eq_u16_e32 vcc, 0, v3
	v_cndmask_b32_e32 v2, v2, v7, vcc
	v_cndmask_b32_e32 v3, v4, v6, vcc
	v_lshlrev_b32_e32 v4, 8, v9
	v_mov_b32_e32 v6, 0x3b800000
	v_lshlrev_b32_e32 v2, 20, v2
	v_and_b32_e32 v4, 0x80000000, v4
	v_lshl_add_u32 v3, v3, 23, v6
	v_or3_b32 v2, v4, v3, v2
.LBB1_1268:
	s_or_b64 exec, exec, s[6:7]
	s_movk_i32 s4, 0xff
	v_and_b32_sdwa v3, v5, s4 dst_sel:DWORD dst_unused:UNUSED_PAD src0_sel:WORD_1 src1_sel:DWORD
	s_movk_i32 s4, 0x7f
	v_cmp_lt_i16_e32 vcc, s4, v3
	s_mov_b64 s[4:5], 0
                                        ; implicit-def: $sgpr10
	s_and_saveexec_b64 s[6:7], vcc
	s_xor_b64 s[6:7], exec, s[6:7]
	s_cbranch_execz .LBB1_1269
; %bb.37109:
	s_getpc_b64 s[14:15]
.Lpost_getpc4218:
	s_add_u32 s14, s14, (.LBB1_15605-.Lpost_getpc4218)&4294967295
	s_addc_u32 s15, s15, (.LBB1_15605-.Lpost_getpc4218)>>32
	s_setpc_b64 s[14:15]
.LBB1_1269:
	s_or_saveexec_b64 s[6:7], s[6:7]
	v_mov_b32_e32 v4, s10
	s_xor_b64 exec, exec, s[6:7]
	s_cbranch_execz .LBB1_1270
; %bb.37111:
	s_getpc_b64 s[14:15]
.Lpost_getpc4219:
	s_add_u32 s14, s14, (.LBB1_15608-.Lpost_getpc4219)&4294967295
	s_addc_u32 s15, s15, (.LBB1_15608-.Lpost_getpc4219)>>32
	s_setpc_b64 s[14:15]
.LBB1_1270:
	s_or_b64 exec, exec, s[6:7]
	s_and_saveexec_b64 s[6:7], s[4:5]
	s_cbranch_execz .LBB1_1272
.LBB1_1271:
	v_bfe_u32 v3, v5, 16, 3
	v_ffbh_u32_e32 v7, v3
	v_min_u32_e32 v7, 32, v7
	v_lshrrev_b32_e32 v4, 19, v5
	v_subrev_u32_e32 v8, 28, v7
	v_and_b32_e32 v4, 15, v4
	v_lshlrev_b32_sdwa v8, v8, v5 dst_sel:DWORD dst_unused:UNUSED_PAD src0_sel:DWORD src1_sel:WORD_1
	v_bfe_u32 v6, v5, 19, 4
	v_sub_u32_e32 v7, 29, v7
	v_and_b32_e32 v8, 7, v8
	v_cmp_eq_u16_e32 vcc, 0, v4
	v_cndmask_b32_e32 v3, v3, v8, vcc
	v_cndmask_b32_e32 v4, v6, v7, vcc
	v_lshlrev_b32_e32 v6, 8, v5
	v_mov_b32_e32 v7, 0x3b800000
	v_lshlrev_b32_e32 v3, 20, v3
	v_and_b32_e32 v6, 0x80000000, v6
	v_lshl_add_u32 v4, v4, 23, v7
	v_or3_b32 v4, v6, v4, v3
.LBB1_1272:
	s_or_b64 exec, exec, s[6:7]
	s_nop 0
	v_mfma_f32_16x16x4f32 a[0:3], v2, v4, a[0:3]
	s_movk_i32 s4, 0x7f
	v_cmp_gt_i16_sdwa s[6:7], v9, s4 src0_sel:BYTE_3 src1_sel:DWORD
	s_mov_b64 s[4:5], 0
                                        ; implicit-def: $sgpr10
	s_and_saveexec_b64 s[8:9], s[6:7]
	s_xor_b64 s[6:7], exec, s[8:9]
	s_cbranch_execz .LBB1_1273
; %bb.37113:
	s_getpc_b64 s[14:15]
.Lpost_getpc4220:
	s_add_u32 s14, s14, (.LBB1_15609-.Lpost_getpc4220)&4294967295
	s_addc_u32 s15, s15, (.LBB1_15609-.Lpost_getpc4220)>>32
	s_setpc_b64 s[14:15]
.LBB1_1273:
	s_or_saveexec_b64 s[6:7], s[6:7]
	v_mov_b32_e32 v2, s10
	s_xor_b64 exec, exec, s[6:7]
	s_cbranch_execz .LBB1_1274
; %bb.37115:
	s_getpc_b64 s[14:15]
.Lpost_getpc4221:
	s_add_u32 s14, s14, (.LBB1_15612-.Lpost_getpc4221)&4294967295
	s_addc_u32 s15, s15, (.LBB1_15612-.Lpost_getpc4221)>>32
	s_setpc_b64 s[14:15]
.LBB1_1274:
	s_or_b64 exec, exec, s[6:7]
	s_and_saveexec_b64 s[6:7], s[4:5]
	s_cbranch_execz .LBB1_1276
.LBB1_1275:
	v_bfe_u32 v2, v9, 24, 3
	v_ffbh_u32_e32 v7, v2
	v_min_u32_e32 v7, 32, v7
	v_lshrrev_b32_e32 v4, 27, v9
	v_subrev_u32_e32 v8, 28, v7
	v_and_b32_e32 v4, 15, v4
	v_lshlrev_b32_sdwa v8, v8, v9 dst_sel:DWORD dst_unused:UNUSED_PAD src0_sel:DWORD src1_sel:BYTE_3
	v_bfe_u32 v6, v9, 27, 4
	v_sub_u32_e32 v7, 29, v7
	v_and_b32_e32 v8, 7, v8
	v_cmp_eq_u16_e32 vcc, 0, v4
	v_cndmask_b32_e32 v2, v2, v8, vcc
	v_cndmask_b32_e32 v4, v6, v7, vcc
	v_mov_b32_e32 v6, 0x3b800000
	v_and_b32_e32 v3, 0x80000000, v9
	v_lshlrev_b32_e32 v2, 20, v2
	v_lshl_add_u32 v4, v4, 23, v6
	v_or3_b32 v2, v3, v4, v2
.LBB1_1276:
	s_or_b64 exec, exec, s[6:7]
	s_movk_i32 s4, 0x7f
	v_cmp_gt_i16_sdwa s[6:7], v5, s4 src0_sel:BYTE_3 src1_sel:DWORD
	s_mov_b64 s[4:5], 0
                                        ; implicit-def: $sgpr10
	s_and_saveexec_b64 s[8:9], s[6:7]
	s_xor_b64 s[6:7], exec, s[8:9]
	s_cbranch_execz .LBB1_1277
; %bb.37117:
	s_getpc_b64 s[14:15]
.Lpost_getpc4222:
	s_add_u32 s14, s14, (.LBB1_15613-.Lpost_getpc4222)&4294967295
	s_addc_u32 s15, s15, (.LBB1_15613-.Lpost_getpc4222)>>32
	s_setpc_b64 s[14:15]
.LBB1_1277:
	s_or_saveexec_b64 s[6:7], s[6:7]
	v_mov_b32_e32 v3, s10
	s_xor_b64 exec, exec, s[6:7]
	s_cbranch_execz .LBB1_1278
; %bb.37119:
	s_getpc_b64 s[14:15]
.Lpost_getpc4223:
	s_add_u32 s14, s14, (.LBB1_15616-.Lpost_getpc4223)&4294967295
	s_addc_u32 s15, s15, (.LBB1_15616-.Lpost_getpc4223)>>32
	s_setpc_b64 s[14:15]
.LBB1_1278:
	s_or_b64 exec, exec, s[6:7]
	s_and_saveexec_b64 s[6:7], s[4:5]
	s_cbranch_execz .LBB1_1280
.LBB1_1279:
	v_bfe_u32 v3, v5, 24, 3
	v_ffbh_u32_e32 v8, v3
	v_min_u32_e32 v8, 32, v8
	v_lshrrev_b32_e32 v6, 27, v5
	v_subrev_u32_e32 v9, 28, v8
	v_and_b32_e32 v4, 0x80000000, v5
	v_and_b32_e32 v6, 15, v6
	v_bfe_u32 v7, v5, 27, 4
	v_lshlrev_b32_sdwa v5, v9, v5 dst_sel:DWORD dst_unused:UNUSED_PAD src0_sel:DWORD src1_sel:BYTE_3
	v_sub_u32_e32 v8, 29, v8
	v_and_b32_e32 v5, 7, v5
	v_cmp_eq_u16_e32 vcc, 0, v6
	v_cndmask_b32_e32 v3, v3, v5, vcc
	v_cndmask_b32_e32 v5, v7, v8, vcc
	v_mov_b32_e32 v6, 0x3b800000
	v_lshlrev_b32_e32 v3, 20, v3
	v_lshl_add_u32 v5, v5, 23, v6
	v_or3_b32 v3, v4, v5, v3
.LBB1_1280:
	s_or_b64 exec, exec, s[6:7]
	s_nop 0
	v_mfma_f32_16x16x4f32 a[0:3], v2, v3, a[0:3]
	s_movk_i32 s4, 0x7f
                                        ; implicit-def: $sgpr10
	s_nop 7
	s_nop 1
	flat_store_dwordx4 v[10:11], a[0:3] offset:144
	flat_load_dwordx4 v[12:15], v[0:1]
	s_nop 0
	flat_load_dwordx2 v[10:11], v[0:1] offset:16
	s_waitcnt vmcnt(0) lgkmcnt(0)
	flat_load_dwordx4 v[6:9], v[12:13] offset:16
	flat_load_dwordx4 v[2:5], v[14:15] offset:32
	s_waitcnt vmcnt(0) lgkmcnt(0)
	v_cmp_gt_i16_sdwa s[6:7], v6, s4 src0_sel:BYTE_0 src1_sel:DWORD
	s_mov_b64 s[4:5], 0
	s_and_saveexec_b64 s[8:9], s[6:7]
	s_xor_b64 s[6:7], exec, s[8:9]
	s_cbranch_execz .LBB1_1281
; %bb.37121:
	s_getpc_b64 s[14:15]
.Lpost_getpc4224:
	s_add_u32 s14, s14, (.LBB1_15617-.Lpost_getpc4224)&4294967295
	s_addc_u32 s15, s15, (.LBB1_15617-.Lpost_getpc4224)>>32
	s_setpc_b64 s[14:15]
.LBB1_1281:
	s_or_saveexec_b64 s[6:7], s[6:7]
	v_mov_b32_e32 v12, s10
	s_xor_b64 exec, exec, s[6:7]
	s_cbranch_execz .LBB1_1282
; %bb.37123:
	s_getpc_b64 s[14:15]
.Lpost_getpc4225:
	s_add_u32 s14, s14, (.LBB1_15620-.Lpost_getpc4225)&4294967295
	s_addc_u32 s15, s15, (.LBB1_15620-.Lpost_getpc4225)>>32
	s_setpc_b64 s[14:15]
.LBB1_1282:
	s_or_b64 exec, exec, s[6:7]
	s_and_saveexec_b64 s[6:7], s[4:5]
	s_cbranch_execz .LBB1_1284
.LBB1_1283:
	v_and_b32_e32 v12, 7, v6
	v_ffbh_u32_e32 v14, v12
	v_min_u32_e32 v14, 32, v14
	v_lshrrev_b16_e32 v13, 3, v6
	v_subrev_u32_e32 v15, 28, v14
	v_and_b32_e32 v13, 15, v13
	v_lshlrev_b32_e32 v15, v15, v6
	v_sub_u32_e32 v14, 29, v14
	v_and_b32_e32 v15, 7, v15
	v_cmp_eq_u16_e32 vcc, 0, v13
	v_cndmask_b32_e32 v12, v12, v15, vcc
	v_cndmask_b32_e32 v13, v13, v14, vcc
	v_lshlrev_b32_e32 v14, 24, v6
	v_mov_b32_e32 v15, 0x3b800000
	v_lshlrev_b32_e32 v12, 20, v12
	v_and_b32_e32 v14, 0x80000000, v14
	v_lshl_add_u32 v13, v13, 23, v15
	v_or3_b32 v12, v14, v13, v12
.LBB1_1284:
	s_or_b64 exec, exec, s[6:7]
	s_movk_i32 s4, 0x7f
	v_cmp_gt_i16_sdwa s[6:7], v2, s4 src0_sel:BYTE_0 src1_sel:DWORD
	s_mov_b64 s[4:5], 0
                                        ; implicit-def: $sgpr10
	s_and_saveexec_b64 s[8:9], s[6:7]
	s_xor_b64 s[6:7], exec, s[8:9]
	s_cbranch_execz .LBB1_1285
; %bb.37125:
	s_getpc_b64 s[14:15]
.Lpost_getpc4226:
	s_add_u32 s14, s14, (.LBB1_15621-.Lpost_getpc4226)&4294967295
	s_addc_u32 s15, s15, (.LBB1_15621-.Lpost_getpc4226)>>32
	s_setpc_b64 s[14:15]
.LBB1_1285:
	s_or_saveexec_b64 s[6:7], s[6:7]
	v_mov_b32_e32 v13, s10
	s_xor_b64 exec, exec, s[6:7]
	s_cbranch_execz .LBB1_1286
; %bb.37127:
	s_getpc_b64 s[14:15]
.Lpost_getpc4227:
	s_add_u32 s14, s14, (.LBB1_15624-.Lpost_getpc4227)&4294967295
	s_addc_u32 s15, s15, (.LBB1_15624-.Lpost_getpc4227)>>32
	s_setpc_b64 s[14:15]
.LBB1_1286:
	s_or_b64 exec, exec, s[6:7]
	s_and_saveexec_b64 s[6:7], s[4:5]
	s_cbranch_execz .LBB1_1288
.LBB1_1287:
	v_and_b32_e32 v13, 7, v2
	v_ffbh_u32_e32 v15, v13
	v_min_u32_e32 v15, 32, v15
	v_lshrrev_b16_e32 v14, 3, v2
	v_subrev_u32_e32 v16, 28, v15
	v_and_b32_e32 v14, 15, v14
	v_lshlrev_b32_e32 v16, v16, v2
	v_sub_u32_e32 v15, 29, v15
	v_and_b32_e32 v16, 7, v16
	v_cmp_eq_u16_e32 vcc, 0, v14
	v_cndmask_b32_e32 v13, v13, v16, vcc
	v_cndmask_b32_e32 v14, v14, v15, vcc
	v_lshlrev_b32_e32 v15, 24, v2
	v_mov_b32_e32 v16, 0x3b800000
	v_lshlrev_b32_e32 v13, 20, v13
	v_and_b32_e32 v15, 0x80000000, v15
	v_lshl_add_u32 v14, v14, 23, v16
	v_or3_b32 v13, v15, v14, v13
.LBB1_1288:
	s_or_b64 exec, exec, s[6:7]
	flat_load_dwordx4 a[0:3], v[10:11] offset:160
	s_movk_i32 s4, 0x7f
                                        ; implicit-def: $sgpr10
	s_waitcnt vmcnt(0) lgkmcnt(0)
	v_mfma_f32_16x16x4f32 a[0:3], v12, v13, a[0:3]
	v_lshrrev_b32_e32 v13, 8, v6
	v_cmp_gt_i16_sdwa s[6:7], v13, s4 src0_sel:BYTE_0 src1_sel:DWORD
	s_mov_b64 s[4:5], 0
	s_and_saveexec_b64 s[8:9], s[6:7]
	s_xor_b64 s[6:7], exec, s[8:9]
	s_cbranch_execz .LBB1_1289
; %bb.37129:
	s_getpc_b64 s[14:15]
.Lpost_getpc4228:
	s_add_u32 s14, s14, (.LBB1_15625-.Lpost_getpc4228)&4294967295
	s_addc_u32 s15, s15, (.LBB1_15625-.Lpost_getpc4228)>>32
	s_setpc_b64 s[14:15]
.LBB1_1289:
	s_or_saveexec_b64 s[6:7], s[6:7]
	v_mov_b32_e32 v12, s10
	s_xor_b64 exec, exec, s[6:7]
	s_cbranch_execz .LBB1_1290
; %bb.37131:
	s_getpc_b64 s[14:15]
.Lpost_getpc4229:
	s_add_u32 s14, s14, (.LBB1_15628-.Lpost_getpc4229)&4294967295
	s_addc_u32 s15, s15, (.LBB1_15628-.Lpost_getpc4229)>>32
	s_setpc_b64 s[14:15]
.LBB1_1290:
	s_or_b64 exec, exec, s[6:7]
	s_and_saveexec_b64 s[6:7], s[4:5]
	s_cbranch_execz .LBB1_1292
.LBB1_1291:
	v_bfe_u32 v12, v6, 8, 3
	v_ffbh_u32_e32 v15, v12
	v_min_u32_e32 v15, 32, v15
	v_lshrrev_b16_e32 v14, 3, v13
	v_subrev_u32_e32 v16, 28, v15
	v_and_b32_e32 v14, 15, v14
	v_lshlrev_b32_e32 v13, v16, v13
	v_sub_u32_e32 v15, 29, v15
	v_and_b32_e32 v13, 7, v13
	v_cmp_eq_u16_e32 vcc, 0, v14
	v_cndmask_b32_e32 v12, v12, v13, vcc
	v_cndmask_b32_e32 v13, v14, v15, vcc
	v_lshlrev_b32_e32 v14, 16, v6
	v_mov_b32_e32 v15, 0x3b800000
	v_lshlrev_b32_e32 v12, 20, v12
	v_and_b32_e32 v14, 0x80000000, v14
	v_lshl_add_u32 v13, v13, 23, v15
	v_or3_b32 v12, v14, v13, v12
.LBB1_1292:
	s_or_b64 exec, exec, s[6:7]
	v_lshrrev_b32_e32 v13, 8, v2
	s_movk_i32 s4, 0x7f
	v_cmp_gt_i16_sdwa s[6:7], v13, s4 src0_sel:BYTE_0 src1_sel:DWORD
	s_mov_b64 s[4:5], 0
                                        ; implicit-def: $sgpr10
	s_and_saveexec_b64 s[8:9], s[6:7]
	s_xor_b64 s[6:7], exec, s[8:9]
	s_cbranch_execz .LBB1_1293
; %bb.37133:
	s_getpc_b64 s[14:15]
.Lpost_getpc4230:
	s_add_u32 s14, s14, (.LBB1_15629-.Lpost_getpc4230)&4294967295
	s_addc_u32 s15, s15, (.LBB1_15629-.Lpost_getpc4230)>>32
	s_setpc_b64 s[14:15]
.LBB1_1293:
	s_or_saveexec_b64 s[6:7], s[6:7]
	v_mov_b32_e32 v14, s10
	s_xor_b64 exec, exec, s[6:7]
	s_cbranch_execz .LBB1_1294
; %bb.37135:
	s_getpc_b64 s[14:15]
.Lpost_getpc4231:
	s_add_u32 s14, s14, (.LBB1_15632-.Lpost_getpc4231)&4294967295
	s_addc_u32 s15, s15, (.LBB1_15632-.Lpost_getpc4231)>>32
	s_setpc_b64 s[14:15]
.LBB1_1294:
	s_or_b64 exec, exec, s[6:7]
	s_and_saveexec_b64 s[6:7], s[4:5]
	s_cbranch_execz .LBB1_1296
.LBB1_1295:
	v_bfe_u32 v14, v2, 8, 3
	v_ffbh_u32_e32 v16, v14
	v_min_u32_e32 v16, 32, v16
	v_lshrrev_b16_e32 v15, 3, v13
	v_subrev_u32_e32 v17, 28, v16
	v_and_b32_e32 v15, 15, v15
	v_lshlrev_b32_e32 v13, v17, v13
	v_sub_u32_e32 v16, 29, v16
	v_and_b32_e32 v13, 7, v13
	v_cmp_eq_u16_e32 vcc, 0, v15
	v_cndmask_b32_e32 v13, v14, v13, vcc
	v_cndmask_b32_e32 v14, v15, v16, vcc
	v_lshlrev_b32_e32 v15, 16, v2
	v_mov_b32_e32 v16, 0x3b800000
	v_lshlrev_b32_e32 v13, 20, v13
	v_and_b32_e32 v15, 0x80000000, v15
	v_lshl_add_u32 v14, v14, 23, v16
	v_or3_b32 v14, v15, v14, v13
.LBB1_1296:
	s_or_b64 exec, exec, s[6:7]
	s_nop 0
	v_mfma_f32_16x16x4f32 a[0:3], v12, v14, a[0:3]
	s_movk_i32 s4, 0xff
	v_and_b32_sdwa v13, v6, s4 dst_sel:DWORD dst_unused:UNUSED_PAD src0_sel:WORD_1 src1_sel:DWORD
	s_movk_i32 s4, 0x7f
	v_cmp_lt_i16_e32 vcc, s4, v13
	s_mov_b64 s[4:5], 0
                                        ; implicit-def: $sgpr10
	s_and_saveexec_b64 s[6:7], vcc
	s_xor_b64 s[6:7], exec, s[6:7]
	s_cbranch_execz .LBB1_1297
; %bb.37137:
	s_getpc_b64 s[14:15]
.Lpost_getpc4232:
	s_add_u32 s14, s14, (.LBB1_15633-.Lpost_getpc4232)&4294967295
	s_addc_u32 s15, s15, (.LBB1_15633-.Lpost_getpc4232)>>32
	s_setpc_b64 s[14:15]
.LBB1_1297:
	s_or_saveexec_b64 s[6:7], s[6:7]
	v_mov_b32_e32 v12, s10
	s_xor_b64 exec, exec, s[6:7]
	s_cbranch_execz .LBB1_1298
; %bb.37139:
	s_getpc_b64 s[14:15]
.Lpost_getpc4233:
	s_add_u32 s14, s14, (.LBB1_15636-.Lpost_getpc4233)&4294967295
	s_addc_u32 s15, s15, (.LBB1_15636-.Lpost_getpc4233)>>32
	s_setpc_b64 s[14:15]
.LBB1_1298:
	s_or_b64 exec, exec, s[6:7]
	s_and_saveexec_b64 s[6:7], s[4:5]
	s_cbranch_execz .LBB1_1300
.LBB1_1299:
	v_bfe_u32 v12, v6, 16, 3
	v_ffbh_u32_e32 v15, v12
	v_min_u32_e32 v15, 32, v15
	v_lshrrev_b32_e32 v13, 19, v6
	v_subrev_u32_e32 v16, 28, v15
	v_and_b32_e32 v13, 15, v13
	v_lshlrev_b32_sdwa v16, v16, v6 dst_sel:DWORD dst_unused:UNUSED_PAD src0_sel:DWORD src1_sel:WORD_1
	v_bfe_u32 v14, v6, 19, 4
	v_sub_u32_e32 v15, 29, v15
	v_and_b32_e32 v16, 7, v16
	v_cmp_eq_u16_e32 vcc, 0, v13
	v_cndmask_b32_e32 v12, v12, v16, vcc
	v_cndmask_b32_e32 v13, v14, v15, vcc
	v_lshlrev_b32_e32 v14, 8, v6
	v_mov_b32_e32 v15, 0x3b800000
	v_lshlrev_b32_e32 v12, 20, v12
	v_and_b32_e32 v14, 0x80000000, v14
	v_lshl_add_u32 v13, v13, 23, v15
	v_or3_b32 v12, v14, v13, v12
.LBB1_1300:
	s_or_b64 exec, exec, s[6:7]
	s_movk_i32 s4, 0xff
	v_and_b32_sdwa v13, v2, s4 dst_sel:DWORD dst_unused:UNUSED_PAD src0_sel:WORD_1 src1_sel:DWORD
	s_movk_i32 s4, 0x7f
	v_cmp_lt_i16_e32 vcc, s4, v13
	s_mov_b64 s[4:5], 0
                                        ; implicit-def: $sgpr10
	s_and_saveexec_b64 s[6:7], vcc
	s_xor_b64 s[6:7], exec, s[6:7]
	s_cbranch_execz .LBB1_1301
; %bb.37141:
	s_getpc_b64 s[14:15]
.Lpost_getpc4234:
	s_add_u32 s14, s14, (.LBB1_15637-.Lpost_getpc4234)&4294967295
	s_addc_u32 s15, s15, (.LBB1_15637-.Lpost_getpc4234)>>32
	s_setpc_b64 s[14:15]
.LBB1_1301:
	s_or_saveexec_b64 s[6:7], s[6:7]
	v_mov_b32_e32 v14, s10
	s_xor_b64 exec, exec, s[6:7]
	s_cbranch_execz .LBB1_1302
; %bb.37143:
	s_getpc_b64 s[14:15]
.Lpost_getpc4235:
	s_add_u32 s14, s14, (.LBB1_15640-.Lpost_getpc4235)&4294967295
	s_addc_u32 s15, s15, (.LBB1_15640-.Lpost_getpc4235)>>32
	s_setpc_b64 s[14:15]
.LBB1_1302:
	s_or_b64 exec, exec, s[6:7]
	s_and_saveexec_b64 s[6:7], s[4:5]
	s_cbranch_execz .LBB1_1304
.LBB1_1303:
	v_bfe_u32 v13, v2, 16, 3
	v_ffbh_u32_e32 v16, v13
	v_min_u32_e32 v16, 32, v16
	v_lshrrev_b32_e32 v14, 19, v2
	v_subrev_u32_e32 v17, 28, v16
	v_and_b32_e32 v14, 15, v14
	v_lshlrev_b32_sdwa v17, v17, v2 dst_sel:DWORD dst_unused:UNUSED_PAD src0_sel:DWORD src1_sel:WORD_1
	v_bfe_u32 v15, v2, 19, 4
	v_sub_u32_e32 v16, 29, v16
	v_and_b32_e32 v17, 7, v17
	v_cmp_eq_u16_e32 vcc, 0, v14
	v_cndmask_b32_e32 v13, v13, v17, vcc
	v_cndmask_b32_e32 v14, v15, v16, vcc
	v_lshlrev_b32_e32 v15, 8, v2
	v_mov_b32_e32 v16, 0x3b800000
	v_lshlrev_b32_e32 v13, 20, v13
	v_and_b32_e32 v15, 0x80000000, v15
	v_lshl_add_u32 v14, v14, 23, v16
	v_or3_b32 v14, v15, v14, v13
.LBB1_1304:
	s_or_b64 exec, exec, s[6:7]
	s_nop 0
	v_mfma_f32_16x16x4f32 a[0:3], v12, v14, a[0:3]
	s_movk_i32 s4, 0x7f
	v_cmp_gt_i16_sdwa s[6:7], v6, s4 src0_sel:BYTE_3 src1_sel:DWORD
	s_mov_b64 s[4:5], 0
                                        ; implicit-def: $sgpr10
	s_and_saveexec_b64 s[8:9], s[6:7]
	s_xor_b64 s[6:7], exec, s[8:9]
	s_cbranch_execz .LBB1_1305
; %bb.37145:
	s_getpc_b64 s[14:15]
.Lpost_getpc4236:
	s_add_u32 s14, s14, (.LBB1_15641-.Lpost_getpc4236)&4294967295
	s_addc_u32 s15, s15, (.LBB1_15641-.Lpost_getpc4236)>>32
	s_setpc_b64 s[14:15]
.LBB1_1305:
	s_or_saveexec_b64 s[6:7], s[6:7]
	v_mov_b32_e32 v12, s10
	s_xor_b64 exec, exec, s[6:7]
	s_cbranch_execz .LBB1_1306
; %bb.37147:
	s_getpc_b64 s[14:15]
.Lpost_getpc4237:
	s_add_u32 s14, s14, (.LBB1_15644-.Lpost_getpc4237)&4294967295
	s_addc_u32 s15, s15, (.LBB1_15644-.Lpost_getpc4237)>>32
	s_setpc_b64 s[14:15]
.LBB1_1306:
	s_or_b64 exec, exec, s[6:7]
	s_and_saveexec_b64 s[6:7], s[4:5]
	s_cbranch_execz .LBB1_1308
.LBB1_1307:
	v_bfe_u32 v12, v6, 24, 3
	v_ffbh_u32_e32 v16, v12
	v_min_u32_e32 v16, 32, v16
	v_lshrrev_b32_e32 v14, 27, v6
	v_subrev_u32_e32 v17, 28, v16
	v_and_b32_e32 v13, 0x80000000, v6
	v_and_b32_e32 v14, 15, v14
	v_bfe_u32 v15, v6, 27, 4
	v_lshlrev_b32_sdwa v6, v17, v6 dst_sel:DWORD dst_unused:UNUSED_PAD src0_sel:DWORD src1_sel:BYTE_3
	v_sub_u32_e32 v16, 29, v16
	v_and_b32_e32 v6, 7, v6
	v_cmp_eq_u16_e32 vcc, 0, v14
	v_cndmask_b32_e32 v6, v12, v6, vcc
	v_cndmask_b32_e32 v12, v15, v16, vcc
	v_mov_b32_e32 v14, 0x3b800000
	v_lshlrev_b32_e32 v6, 20, v6
	v_lshl_add_u32 v12, v12, 23, v14
	v_or3_b32 v12, v13, v12, v6
.LBB1_1308:
	s_or_b64 exec, exec, s[6:7]
	s_movk_i32 s4, 0x7f
	v_cmp_gt_i16_sdwa s[6:7], v2, s4 src0_sel:BYTE_3 src1_sel:DWORD
	s_mov_b64 s[4:5], 0
                                        ; implicit-def: $sgpr10
	s_and_saveexec_b64 s[8:9], s[6:7]
	s_xor_b64 s[6:7], exec, s[8:9]
	s_cbranch_execz .LBB1_1309
; %bb.37149:
	s_getpc_b64 s[14:15]
.Lpost_getpc4238:
	s_add_u32 s14, s14, (.LBB1_15645-.Lpost_getpc4238)&4294967295
	s_addc_u32 s15, s15, (.LBB1_15645-.Lpost_getpc4238)>>32
	s_setpc_b64 s[14:15]
.LBB1_1309:
	s_or_saveexec_b64 s[6:7], s[6:7]
	v_mov_b32_e32 v6, s10
	s_xor_b64 exec, exec, s[6:7]
	s_cbranch_execz .LBB1_1310
; %bb.37151:
	s_getpc_b64 s[14:15]
.Lpost_getpc4239:
	s_add_u32 s14, s14, (.LBB1_15648-.Lpost_getpc4239)&4294967295
	s_addc_u32 s15, s15, (.LBB1_15648-.Lpost_getpc4239)>>32
	s_setpc_b64 s[14:15]
.LBB1_1310:
	s_or_b64 exec, exec, s[6:7]
	s_and_saveexec_b64 s[6:7], s[4:5]
	s_cbranch_execz .LBB1_1312
.LBB1_1311:
	v_bfe_u32 v6, v2, 24, 3
	v_ffbh_u32_e32 v16, v6
	v_min_u32_e32 v16, 32, v16
	v_lshrrev_b32_e32 v14, 27, v2
	v_subrev_u32_e32 v17, 28, v16
	v_and_b32_e32 v13, 0x80000000, v2
	v_and_b32_e32 v14, 15, v14
	v_bfe_u32 v15, v2, 27, 4
	v_lshlrev_b32_sdwa v2, v17, v2 dst_sel:DWORD dst_unused:UNUSED_PAD src0_sel:DWORD src1_sel:BYTE_3
	v_sub_u32_e32 v16, 29, v16
	v_and_b32_e32 v2, 7, v2
	v_cmp_eq_u16_e32 vcc, 0, v14
	v_cndmask_b32_e32 v2, v6, v2, vcc
	v_cndmask_b32_e32 v6, v15, v16, vcc
	v_mov_b32_e32 v14, 0x3b800000
	v_lshlrev_b32_e32 v2, 20, v2
	v_lshl_add_u32 v6, v6, 23, v14
	v_or3_b32 v6, v13, v6, v2
.LBB1_1312:
	s_or_b64 exec, exec, s[6:7]
	s_nop 0
	v_mfma_f32_16x16x4f32 a[0:3], v12, v6, a[0:3]
	s_movk_i32 s4, 0x7f
	v_cmp_gt_i16_sdwa s[6:7], v7, s4 src0_sel:BYTE_0 src1_sel:DWORD
	s_mov_b64 s[4:5], 0
                                        ; implicit-def: $sgpr10
	s_and_saveexec_b64 s[8:9], s[6:7]
	s_xor_b64 s[6:7], exec, s[8:9]
	s_cbranch_execz .LBB1_1313
; %bb.37153:
	s_getpc_b64 s[14:15]
.Lpost_getpc4240:
	s_add_u32 s14, s14, (.LBB1_15649-.Lpost_getpc4240)&4294967295
	s_addc_u32 s15, s15, (.LBB1_15649-.Lpost_getpc4240)>>32
	s_setpc_b64 s[14:15]
.LBB1_1313:
	s_or_saveexec_b64 s[6:7], s[6:7]
	v_mov_b32_e32 v2, s10
	s_xor_b64 exec, exec, s[6:7]
	s_cbranch_execz .LBB1_1314
; %bb.37155:
	s_getpc_b64 s[14:15]
.Lpost_getpc4241:
	s_add_u32 s14, s14, (.LBB1_15652-.Lpost_getpc4241)&4294967295
	s_addc_u32 s15, s15, (.LBB1_15652-.Lpost_getpc4241)>>32
	s_setpc_b64 s[14:15]
.LBB1_1314:
	s_or_b64 exec, exec, s[6:7]
	s_and_saveexec_b64 s[6:7], s[4:5]
	s_cbranch_execz .LBB1_1316
.LBB1_1315:
	v_and_b32_e32 v2, 7, v7
	v_ffbh_u32_e32 v12, v2
	v_min_u32_e32 v12, 32, v12
	v_lshrrev_b16_e32 v6, 3, v7
	v_subrev_u32_e32 v13, 28, v12
	v_and_b32_e32 v6, 15, v6
	v_lshlrev_b32_e32 v13, v13, v7
	v_sub_u32_e32 v12, 29, v12
	v_and_b32_e32 v13, 7, v13
	v_cmp_eq_u16_e32 vcc, 0, v6
	v_cndmask_b32_e32 v2, v2, v13, vcc
	v_cndmask_b32_e32 v6, v6, v12, vcc
	v_lshlrev_b32_e32 v12, 24, v7
	v_mov_b32_e32 v13, 0x3b800000
	v_lshlrev_b32_e32 v2, 20, v2
	v_and_b32_e32 v12, 0x80000000, v12
	v_lshl_add_u32 v6, v6, 23, v13
	v_or3_b32 v2, v12, v6, v2
.LBB1_1316:
	s_or_b64 exec, exec, s[6:7]
	s_movk_i32 s4, 0x7f
	v_cmp_gt_i16_sdwa s[6:7], v3, s4 src0_sel:BYTE_0 src1_sel:DWORD
	s_mov_b64 s[4:5], 0
                                        ; implicit-def: $sgpr10
	s_and_saveexec_b64 s[8:9], s[6:7]
	s_xor_b64 s[6:7], exec, s[8:9]
	s_cbranch_execz .LBB1_1317
; %bb.37157:
	s_getpc_b64 s[14:15]
.Lpost_getpc4242:
	s_add_u32 s14, s14, (.LBB1_15653-.Lpost_getpc4242)&4294967295
	s_addc_u32 s15, s15, (.LBB1_15653-.Lpost_getpc4242)>>32
	s_setpc_b64 s[14:15]
.LBB1_1317:
	s_or_saveexec_b64 s[6:7], s[6:7]
	v_mov_b32_e32 v6, s10
	s_xor_b64 exec, exec, s[6:7]
	s_cbranch_execz .LBB1_1318
; %bb.37159:
	s_getpc_b64 s[14:15]
.Lpost_getpc4243:
	s_add_u32 s14, s14, (.LBB1_15656-.Lpost_getpc4243)&4294967295
	s_addc_u32 s15, s15, (.LBB1_15656-.Lpost_getpc4243)>>32
	s_setpc_b64 s[14:15]
.LBB1_1318:
	s_or_b64 exec, exec, s[6:7]
	s_and_saveexec_b64 s[6:7], s[4:5]
	s_cbranch_execz .LBB1_1320
.LBB1_1319:
	v_and_b32_e32 v6, 7, v3
	v_ffbh_u32_e32 v13, v6
	v_min_u32_e32 v13, 32, v13
	v_lshrrev_b16_e32 v12, 3, v3
	v_subrev_u32_e32 v14, 28, v13
	v_and_b32_e32 v12, 15, v12
	v_lshlrev_b32_e32 v14, v14, v3
	v_sub_u32_e32 v13, 29, v13
	v_and_b32_e32 v14, 7, v14
	v_cmp_eq_u16_e32 vcc, 0, v12
	v_cndmask_b32_e32 v6, v6, v14, vcc
	v_cndmask_b32_e32 v12, v12, v13, vcc
	v_lshlrev_b32_e32 v13, 24, v3
	v_mov_b32_e32 v14, 0x3b800000
	v_lshlrev_b32_e32 v6, 20, v6
	v_and_b32_e32 v13, 0x80000000, v13
	v_lshl_add_u32 v12, v12, 23, v14
	v_or3_b32 v6, v13, v12, v6
.LBB1_1320:
	s_or_b64 exec, exec, s[6:7]
	s_nop 0
	v_mfma_f32_16x16x4f32 a[0:3], v2, v6, a[0:3]
	v_lshrrev_b32_e32 v6, 8, v7
	s_movk_i32 s4, 0x7f
	v_cmp_gt_i16_sdwa s[6:7], v6, s4 src0_sel:BYTE_0 src1_sel:DWORD
	s_mov_b64 s[4:5], 0
                                        ; implicit-def: $sgpr10
	s_and_saveexec_b64 s[8:9], s[6:7]
	s_xor_b64 s[6:7], exec, s[8:9]
	s_cbranch_execz .LBB1_1321
; %bb.37161:
	s_getpc_b64 s[14:15]
.Lpost_getpc4244:
	s_add_u32 s14, s14, (.LBB1_15657-.Lpost_getpc4244)&4294967295
	s_addc_u32 s15, s15, (.LBB1_15657-.Lpost_getpc4244)>>32
	s_setpc_b64 s[14:15]
.LBB1_1321:
	s_or_saveexec_b64 s[6:7], s[6:7]
	v_mov_b32_e32 v2, s10
	s_xor_b64 exec, exec, s[6:7]
	s_cbranch_execz .LBB1_1322
; %bb.37163:
	s_getpc_b64 s[14:15]
.Lpost_getpc4245:
	s_add_u32 s14, s14, (.LBB1_15660-.Lpost_getpc4245)&4294967295
	s_addc_u32 s15, s15, (.LBB1_15660-.Lpost_getpc4245)>>32
	s_setpc_b64 s[14:15]
.LBB1_1322:
	s_or_b64 exec, exec, s[6:7]
	s_and_saveexec_b64 s[6:7], s[4:5]
	s_cbranch_execz .LBB1_1324
.LBB1_1323:
	v_bfe_u32 v2, v7, 8, 3
	v_ffbh_u32_e32 v13, v2
	v_min_u32_e32 v13, 32, v13
	v_lshrrev_b16_e32 v12, 3, v6
	v_subrev_u32_e32 v14, 28, v13
	v_and_b32_e32 v12, 15, v12
	v_lshlrev_b32_e32 v6, v14, v6
	v_sub_u32_e32 v13, 29, v13
	v_and_b32_e32 v6, 7, v6
	v_cmp_eq_u16_e32 vcc, 0, v12
	v_cndmask_b32_e32 v2, v2, v6, vcc
	v_cndmask_b32_e32 v6, v12, v13, vcc
	v_lshlrev_b32_e32 v12, 16, v7
	v_mov_b32_e32 v13, 0x3b800000
	v_lshlrev_b32_e32 v2, 20, v2
	v_and_b32_e32 v12, 0x80000000, v12
	v_lshl_add_u32 v6, v6, 23, v13
	v_or3_b32 v2, v12, v6, v2
.LBB1_1324:
	s_or_b64 exec, exec, s[6:7]
	v_lshrrev_b32_e32 v6, 8, v3
	s_movk_i32 s4, 0x7f
	v_cmp_gt_i16_sdwa s[6:7], v6, s4 src0_sel:BYTE_0 src1_sel:DWORD
	s_mov_b64 s[4:5], 0
                                        ; implicit-def: $sgpr10
	s_and_saveexec_b64 s[8:9], s[6:7]
	s_xor_b64 s[6:7], exec, s[8:9]
	s_cbranch_execz .LBB1_1325
; %bb.37165:
	s_getpc_b64 s[14:15]
.Lpost_getpc4246:
	s_add_u32 s14, s14, (.LBB1_15661-.Lpost_getpc4246)&4294967295
	s_addc_u32 s15, s15, (.LBB1_15661-.Lpost_getpc4246)>>32
	s_setpc_b64 s[14:15]
.LBB1_1325:
	s_or_saveexec_b64 s[6:7], s[6:7]
	v_mov_b32_e32 v12, s10
	s_xor_b64 exec, exec, s[6:7]
	s_cbranch_execz .LBB1_1326
; %bb.37167:
	s_getpc_b64 s[14:15]
.Lpost_getpc4247:
	s_add_u32 s14, s14, (.LBB1_15664-.Lpost_getpc4247)&4294967295
	s_addc_u32 s15, s15, (.LBB1_15664-.Lpost_getpc4247)>>32
	s_setpc_b64 s[14:15]
.LBB1_1326:
	s_or_b64 exec, exec, s[6:7]
	s_and_saveexec_b64 s[6:7], s[4:5]
	s_cbranch_execz .LBB1_1328
.LBB1_1327:
	v_bfe_u32 v12, v3, 8, 3
	v_ffbh_u32_e32 v14, v12
	v_min_u32_e32 v14, 32, v14
	v_lshrrev_b16_e32 v13, 3, v6
	v_subrev_u32_e32 v15, 28, v14
	v_and_b32_e32 v13, 15, v13
	v_lshlrev_b32_e32 v6, v15, v6
	v_sub_u32_e32 v14, 29, v14
	v_and_b32_e32 v6, 7, v6
	v_cmp_eq_u16_e32 vcc, 0, v13
	v_cndmask_b32_e32 v6, v12, v6, vcc
	v_cndmask_b32_e32 v12, v13, v14, vcc
	v_lshlrev_b32_e32 v13, 16, v3
	v_mov_b32_e32 v14, 0x3b800000
	v_lshlrev_b32_e32 v6, 20, v6
	v_and_b32_e32 v13, 0x80000000, v13
	v_lshl_add_u32 v12, v12, 23, v14
	v_or3_b32 v12, v13, v12, v6
.LBB1_1328:
	s_or_b64 exec, exec, s[6:7]
	s_nop 0
	v_mfma_f32_16x16x4f32 a[0:3], v2, v12, a[0:3]
	s_movk_i32 s4, 0xff
	v_and_b32_sdwa v6, v7, s4 dst_sel:DWORD dst_unused:UNUSED_PAD src0_sel:WORD_1 src1_sel:DWORD
	s_movk_i32 s4, 0x7f
	v_cmp_lt_i16_e32 vcc, s4, v6
	s_mov_b64 s[4:5], 0
                                        ; implicit-def: $sgpr10
	s_and_saveexec_b64 s[6:7], vcc
	s_xor_b64 s[6:7], exec, s[6:7]
	s_cbranch_execz .LBB1_1329
; %bb.37169:
	s_getpc_b64 s[14:15]
.Lpost_getpc4248:
	s_add_u32 s14, s14, (.LBB1_15665-.Lpost_getpc4248)&4294967295
	s_addc_u32 s15, s15, (.LBB1_15665-.Lpost_getpc4248)>>32
	s_setpc_b64 s[14:15]
.LBB1_1329:
	s_or_saveexec_b64 s[6:7], s[6:7]
	v_mov_b32_e32 v2, s10
	s_xor_b64 exec, exec, s[6:7]
	s_cbranch_execz .LBB1_1330
; %bb.37171:
	s_getpc_b64 s[14:15]
.Lpost_getpc4249:
	s_add_u32 s14, s14, (.LBB1_15668-.Lpost_getpc4249)&4294967295
	s_addc_u32 s15, s15, (.LBB1_15668-.Lpost_getpc4249)>>32
	s_setpc_b64 s[14:15]
.LBB1_1330:
	s_or_b64 exec, exec, s[6:7]
	s_and_saveexec_b64 s[6:7], s[4:5]
	s_cbranch_execz .LBB1_1332
.LBB1_1331:
	v_bfe_u32 v2, v7, 16, 3
	v_ffbh_u32_e32 v13, v2
	v_min_u32_e32 v13, 32, v13
	v_lshrrev_b32_e32 v6, 19, v7
	v_subrev_u32_e32 v14, 28, v13
	v_and_b32_e32 v6, 15, v6
	v_lshlrev_b32_sdwa v14, v14, v7 dst_sel:DWORD dst_unused:UNUSED_PAD src0_sel:DWORD src1_sel:WORD_1
	v_bfe_u32 v12, v7, 19, 4
	v_sub_u32_e32 v13, 29, v13
	v_and_b32_e32 v14, 7, v14
	v_cmp_eq_u16_e32 vcc, 0, v6
	v_cndmask_b32_e32 v2, v2, v14, vcc
	v_cndmask_b32_e32 v6, v12, v13, vcc
	v_lshlrev_b32_e32 v12, 8, v7
	v_mov_b32_e32 v13, 0x3b800000
	v_lshlrev_b32_e32 v2, 20, v2
	v_and_b32_e32 v12, 0x80000000, v12
	v_lshl_add_u32 v6, v6, 23, v13
	v_or3_b32 v2, v12, v6, v2
.LBB1_1332:
	s_or_b64 exec, exec, s[6:7]
	s_movk_i32 s4, 0xff
	v_and_b32_sdwa v6, v3, s4 dst_sel:DWORD dst_unused:UNUSED_PAD src0_sel:WORD_1 src1_sel:DWORD
	s_movk_i32 s4, 0x7f
	v_cmp_lt_i16_e32 vcc, s4, v6
	s_mov_b64 s[4:5], 0
                                        ; implicit-def: $sgpr10
	s_and_saveexec_b64 s[6:7], vcc
	s_xor_b64 s[6:7], exec, s[6:7]
	s_cbranch_execz .LBB1_1333
; %bb.37173:
	s_getpc_b64 s[14:15]
.Lpost_getpc4250:
	s_add_u32 s14, s14, (.LBB1_15669-.Lpost_getpc4250)&4294967295
	s_addc_u32 s15, s15, (.LBB1_15669-.Lpost_getpc4250)>>32
	s_setpc_b64 s[14:15]
.LBB1_1333:
	s_or_saveexec_b64 s[6:7], s[6:7]
	v_mov_b32_e32 v12, s10
	s_xor_b64 exec, exec, s[6:7]
	s_cbranch_execz .LBB1_1334
; %bb.37175:
	s_getpc_b64 s[14:15]
.Lpost_getpc4251:
	s_add_u32 s14, s14, (.LBB1_15672-.Lpost_getpc4251)&4294967295
	s_addc_u32 s15, s15, (.LBB1_15672-.Lpost_getpc4251)>>32
	s_setpc_b64 s[14:15]
.LBB1_1334:
	s_or_b64 exec, exec, s[6:7]
	s_and_saveexec_b64 s[6:7], s[4:5]
	s_cbranch_execz .LBB1_1336
.LBB1_1335:
	v_bfe_u32 v6, v3, 16, 3
	v_ffbh_u32_e32 v14, v6
	v_min_u32_e32 v14, 32, v14
	v_lshrrev_b32_e32 v12, 19, v3
	v_subrev_u32_e32 v15, 28, v14
	v_and_b32_e32 v12, 15, v12
	v_lshlrev_b32_sdwa v15, v15, v3 dst_sel:DWORD dst_unused:UNUSED_PAD src0_sel:DWORD src1_sel:WORD_1
	v_bfe_u32 v13, v3, 19, 4
	v_sub_u32_e32 v14, 29, v14
	v_and_b32_e32 v15, 7, v15
	v_cmp_eq_u16_e32 vcc, 0, v12
	v_cndmask_b32_e32 v6, v6, v15, vcc
	v_cndmask_b32_e32 v12, v13, v14, vcc
	v_lshlrev_b32_e32 v13, 8, v3
	v_mov_b32_e32 v14, 0x3b800000
	v_lshlrev_b32_e32 v6, 20, v6
	v_and_b32_e32 v13, 0x80000000, v13
	v_lshl_add_u32 v12, v12, 23, v14
	v_or3_b32 v12, v13, v12, v6
.LBB1_1336:
	s_or_b64 exec, exec, s[6:7]
	s_nop 0
	v_mfma_f32_16x16x4f32 a[0:3], v2, v12, a[0:3]
	s_movk_i32 s4, 0x7f
	v_cmp_gt_i16_sdwa s[6:7], v7, s4 src0_sel:BYTE_3 src1_sel:DWORD
	s_mov_b64 s[4:5], 0
                                        ; implicit-def: $sgpr10
	s_and_saveexec_b64 s[8:9], s[6:7]
	s_xor_b64 s[6:7], exec, s[8:9]
	s_cbranch_execz .LBB1_1337
; %bb.37177:
	s_getpc_b64 s[14:15]
.Lpost_getpc4252:
	s_add_u32 s14, s14, (.LBB1_15673-.Lpost_getpc4252)&4294967295
	s_addc_u32 s15, s15, (.LBB1_15673-.Lpost_getpc4252)>>32
	s_setpc_b64 s[14:15]
.LBB1_1337:
	s_or_saveexec_b64 s[6:7], s[6:7]
	v_mov_b32_e32 v2, s10
	s_xor_b64 exec, exec, s[6:7]
	s_cbranch_execz .LBB1_1338
; %bb.37179:
	s_getpc_b64 s[14:15]
.Lpost_getpc4253:
	s_add_u32 s14, s14, (.LBB1_15676-.Lpost_getpc4253)&4294967295
	s_addc_u32 s15, s15, (.LBB1_15676-.Lpost_getpc4253)>>32
	s_setpc_b64 s[14:15]
.LBB1_1338:
	s_or_b64 exec, exec, s[6:7]
	s_and_saveexec_b64 s[6:7], s[4:5]
	s_cbranch_execz .LBB1_1340
.LBB1_1339:
	v_bfe_u32 v2, v7, 24, 3
	v_ffbh_u32_e32 v14, v2
	v_min_u32_e32 v14, 32, v14
	v_lshrrev_b32_e32 v12, 27, v7
	v_subrev_u32_e32 v15, 28, v14
	v_and_b32_e32 v6, 0x80000000, v7
	v_and_b32_e32 v12, 15, v12
	v_bfe_u32 v13, v7, 27, 4
	v_lshlrev_b32_sdwa v7, v15, v7 dst_sel:DWORD dst_unused:UNUSED_PAD src0_sel:DWORD src1_sel:BYTE_3
	v_sub_u32_e32 v14, 29, v14
	v_and_b32_e32 v7, 7, v7
	v_cmp_eq_u16_e32 vcc, 0, v12
	v_cndmask_b32_e32 v2, v2, v7, vcc
	v_cndmask_b32_e32 v7, v13, v14, vcc
	v_mov_b32_e32 v12, 0x3b800000
	v_lshlrev_b32_e32 v2, 20, v2
	v_lshl_add_u32 v7, v7, 23, v12
	v_or3_b32 v2, v6, v7, v2
.LBB1_1340:
	s_or_b64 exec, exec, s[6:7]
	s_movk_i32 s4, 0x7f
	v_cmp_gt_i16_sdwa s[6:7], v3, s4 src0_sel:BYTE_3 src1_sel:DWORD
	s_mov_b64 s[4:5], 0
                                        ; implicit-def: $sgpr10
	s_and_saveexec_b64 s[8:9], s[6:7]
	s_xor_b64 s[6:7], exec, s[8:9]
	s_cbranch_execz .LBB1_1341
; %bb.37181:
	s_getpc_b64 s[14:15]
.Lpost_getpc4254:
	s_add_u32 s14, s14, (.LBB1_15677-.Lpost_getpc4254)&4294967295
	s_addc_u32 s15, s15, (.LBB1_15677-.Lpost_getpc4254)>>32
	s_setpc_b64 s[14:15]
.LBB1_1341:
	s_or_saveexec_b64 s[6:7], s[6:7]
	v_mov_b32_e32 v6, s10
	s_xor_b64 exec, exec, s[6:7]
	s_cbranch_execz .LBB1_1342
; %bb.37183:
	s_getpc_b64 s[14:15]
.Lpost_getpc4255:
	s_add_u32 s14, s14, (.LBB1_15680-.Lpost_getpc4255)&4294967295
	s_addc_u32 s15, s15, (.LBB1_15680-.Lpost_getpc4255)>>32
	s_setpc_b64 s[14:15]
.LBB1_1342:
	s_or_b64 exec, exec, s[6:7]
	s_and_saveexec_b64 s[6:7], s[4:5]
	s_cbranch_execz .LBB1_1344
.LBB1_1343:
	v_bfe_u32 v6, v3, 24, 3
	v_ffbh_u32_e32 v14, v6
	v_min_u32_e32 v14, 32, v14
	v_lshrrev_b32_e32 v12, 27, v3
	v_subrev_u32_e32 v15, 28, v14
	v_and_b32_e32 v7, 0x80000000, v3
	v_and_b32_e32 v12, 15, v12
	v_bfe_u32 v13, v3, 27, 4
	v_lshlrev_b32_sdwa v3, v15, v3 dst_sel:DWORD dst_unused:UNUSED_PAD src0_sel:DWORD src1_sel:BYTE_3
	v_sub_u32_e32 v14, 29, v14
	v_and_b32_e32 v3, 7, v3
	v_cmp_eq_u16_e32 vcc, 0, v12
	v_cndmask_b32_e32 v3, v6, v3, vcc
	v_cndmask_b32_e32 v6, v13, v14, vcc
	v_mov_b32_e32 v12, 0x3b800000
	v_lshlrev_b32_e32 v3, 20, v3
	v_lshl_add_u32 v6, v6, 23, v12
	v_or3_b32 v6, v7, v6, v3
.LBB1_1344:
	s_or_b64 exec, exec, s[6:7]
	s_nop 0
	v_mfma_f32_16x16x4f32 a[0:3], v2, v6, a[0:3]
	s_movk_i32 s4, 0x7f
	v_cmp_gt_i16_sdwa s[6:7], v8, s4 src0_sel:BYTE_0 src1_sel:DWORD
	s_mov_b64 s[4:5], 0
                                        ; implicit-def: $sgpr10
	s_and_saveexec_b64 s[8:9], s[6:7]
	s_xor_b64 s[6:7], exec, s[8:9]
	s_cbranch_execz .LBB1_1345
; %bb.37185:
	s_getpc_b64 s[14:15]
.Lpost_getpc4256:
	s_add_u32 s14, s14, (.LBB1_15681-.Lpost_getpc4256)&4294967295
	s_addc_u32 s15, s15, (.LBB1_15681-.Lpost_getpc4256)>>32
	s_setpc_b64 s[14:15]
.LBB1_1345:
	s_or_saveexec_b64 s[6:7], s[6:7]
	v_mov_b32_e32 v2, s10
	s_xor_b64 exec, exec, s[6:7]
	s_cbranch_execz .LBB1_1346
; %bb.37187:
	s_getpc_b64 s[14:15]
.Lpost_getpc4257:
	s_add_u32 s14, s14, (.LBB1_15684-.Lpost_getpc4257)&4294967295
	s_addc_u32 s15, s15, (.LBB1_15684-.Lpost_getpc4257)>>32
	s_setpc_b64 s[14:15]
.LBB1_1346:
	s_or_b64 exec, exec, s[6:7]
	s_and_saveexec_b64 s[6:7], s[4:5]
	s_cbranch_execz .LBB1_1348
.LBB1_1347:
	v_and_b32_e32 v2, 7, v8
	v_ffbh_u32_e32 v6, v2
	v_min_u32_e32 v6, 32, v6
	v_lshrrev_b16_e32 v3, 3, v8
	v_subrev_u32_e32 v7, 28, v6
	v_and_b32_e32 v3, 15, v3
	v_lshlrev_b32_e32 v7, v7, v8
	v_sub_u32_e32 v6, 29, v6
	v_and_b32_e32 v7, 7, v7
	v_cmp_eq_u16_e32 vcc, 0, v3
	v_cndmask_b32_e32 v2, v2, v7, vcc
	v_cndmask_b32_e32 v3, v3, v6, vcc
	v_lshlrev_b32_e32 v6, 24, v8
	v_mov_b32_e32 v7, 0x3b800000
	v_lshlrev_b32_e32 v2, 20, v2
	v_and_b32_e32 v6, 0x80000000, v6
	v_lshl_add_u32 v3, v3, 23, v7
	v_or3_b32 v2, v6, v3, v2
.LBB1_1348:
	s_or_b64 exec, exec, s[6:7]
	s_movk_i32 s4, 0x7f
	v_cmp_gt_i16_sdwa s[6:7], v4, s4 src0_sel:BYTE_0 src1_sel:DWORD
	s_mov_b64 s[4:5], 0
                                        ; implicit-def: $sgpr10
	s_and_saveexec_b64 s[8:9], s[6:7]
	s_xor_b64 s[6:7], exec, s[8:9]
	s_cbranch_execz .LBB1_1349
; %bb.37189:
	s_getpc_b64 s[14:15]
.Lpost_getpc4258:
	s_add_u32 s14, s14, (.LBB1_15685-.Lpost_getpc4258)&4294967295
	s_addc_u32 s15, s15, (.LBB1_15685-.Lpost_getpc4258)>>32
	s_setpc_b64 s[14:15]
.LBB1_1349:
	s_or_saveexec_b64 s[6:7], s[6:7]
	v_mov_b32_e32 v3, s10
	s_xor_b64 exec, exec, s[6:7]
	s_cbranch_execz .LBB1_1350
; %bb.37191:
	s_getpc_b64 s[14:15]
.Lpost_getpc4259:
	s_add_u32 s14, s14, (.LBB1_15688-.Lpost_getpc4259)&4294967295
	s_addc_u32 s15, s15, (.LBB1_15688-.Lpost_getpc4259)>>32
	s_setpc_b64 s[14:15]
.LBB1_1350:
	s_or_b64 exec, exec, s[6:7]
	s_and_saveexec_b64 s[6:7], s[4:5]
	s_cbranch_execz .LBB1_1352
.LBB1_1351:
	v_and_b32_e32 v3, 7, v4
	v_ffbh_u32_e32 v7, v3
	v_min_u32_e32 v7, 32, v7
	v_lshrrev_b16_e32 v6, 3, v4
	v_subrev_u32_e32 v12, 28, v7
	v_and_b32_e32 v6, 15, v6
	v_lshlrev_b32_e32 v12, v12, v4
	v_sub_u32_e32 v7, 29, v7
	v_and_b32_e32 v12, 7, v12
	v_cmp_eq_u16_e32 vcc, 0, v6
	v_cndmask_b32_e32 v3, v3, v12, vcc
	v_cndmask_b32_e32 v6, v6, v7, vcc
	v_lshlrev_b32_e32 v7, 24, v4
	v_mov_b32_e32 v12, 0x3b800000
	v_lshlrev_b32_e32 v3, 20, v3
	v_and_b32_e32 v7, 0x80000000, v7
	v_lshl_add_u32 v6, v6, 23, v12
	v_or3_b32 v3, v7, v6, v3
.LBB1_1352:
	s_or_b64 exec, exec, s[6:7]
	s_nop 0
	v_mfma_f32_16x16x4f32 a[0:3], v2, v3, a[0:3]
	v_lshrrev_b32_e32 v3, 8, v8
	s_movk_i32 s4, 0x7f
	v_cmp_gt_i16_sdwa s[6:7], v3, s4 src0_sel:BYTE_0 src1_sel:DWORD
	s_mov_b64 s[4:5], 0
                                        ; implicit-def: $sgpr10
	s_and_saveexec_b64 s[8:9], s[6:7]
	s_xor_b64 s[6:7], exec, s[8:9]
	s_cbranch_execz .LBB1_1353
; %bb.37193:
	s_getpc_b64 s[14:15]
.Lpost_getpc4260:
	s_add_u32 s14, s14, (.LBB1_15689-.Lpost_getpc4260)&4294967295
	s_addc_u32 s15, s15, (.LBB1_15689-.Lpost_getpc4260)>>32
	s_setpc_b64 s[14:15]
.LBB1_1353:
	s_or_saveexec_b64 s[6:7], s[6:7]
	v_mov_b32_e32 v2, s10
	s_xor_b64 exec, exec, s[6:7]
	s_cbranch_execz .LBB1_1354
; %bb.37195:
	s_getpc_b64 s[14:15]
.Lpost_getpc4261:
	s_add_u32 s14, s14, (.LBB1_15692-.Lpost_getpc4261)&4294967295
	s_addc_u32 s15, s15, (.LBB1_15692-.Lpost_getpc4261)>>32
	s_setpc_b64 s[14:15]
.LBB1_1354:
	s_or_b64 exec, exec, s[6:7]
	s_and_saveexec_b64 s[6:7], s[4:5]
	s_cbranch_execz .LBB1_1356
.LBB1_1355:
	v_bfe_u32 v2, v8, 8, 3
	v_ffbh_u32_e32 v7, v2
	v_min_u32_e32 v7, 32, v7
	v_lshrrev_b16_e32 v6, 3, v3
	v_subrev_u32_e32 v12, 28, v7
	v_and_b32_e32 v6, 15, v6
	v_lshlrev_b32_e32 v3, v12, v3
	v_sub_u32_e32 v7, 29, v7
	v_and_b32_e32 v3, 7, v3
	v_cmp_eq_u16_e32 vcc, 0, v6
	v_cndmask_b32_e32 v2, v2, v3, vcc
	v_cndmask_b32_e32 v3, v6, v7, vcc
	v_lshlrev_b32_e32 v6, 16, v8
	v_mov_b32_e32 v7, 0x3b800000
	v_lshlrev_b32_e32 v2, 20, v2
	v_and_b32_e32 v6, 0x80000000, v6
	v_lshl_add_u32 v3, v3, 23, v7
	v_or3_b32 v2, v6, v3, v2
.LBB1_1356:
	s_or_b64 exec, exec, s[6:7]
	v_lshrrev_b32_e32 v3, 8, v4
	s_movk_i32 s4, 0x7f
	v_cmp_gt_i16_sdwa s[6:7], v3, s4 src0_sel:BYTE_0 src1_sel:DWORD
	s_mov_b64 s[4:5], 0
                                        ; implicit-def: $sgpr10
	s_and_saveexec_b64 s[8:9], s[6:7]
	s_xor_b64 s[6:7], exec, s[8:9]
	s_cbranch_execz .LBB1_1357
; %bb.37197:
	s_getpc_b64 s[14:15]
.Lpost_getpc4262:
	s_add_u32 s14, s14, (.LBB1_15693-.Lpost_getpc4262)&4294967295
	s_addc_u32 s15, s15, (.LBB1_15693-.Lpost_getpc4262)>>32
	s_setpc_b64 s[14:15]
.LBB1_1357:
	s_or_saveexec_b64 s[6:7], s[6:7]
	v_mov_b32_e32 v6, s10
	s_xor_b64 exec, exec, s[6:7]
	s_cbranch_execz .LBB1_1358
; %bb.37199:
	s_getpc_b64 s[14:15]
.Lpost_getpc4263:
	s_add_u32 s14, s14, (.LBB1_15696-.Lpost_getpc4263)&4294967295
	s_addc_u32 s15, s15, (.LBB1_15696-.Lpost_getpc4263)>>32
	s_setpc_b64 s[14:15]
.LBB1_1358:
	s_or_b64 exec, exec, s[6:7]
	s_and_saveexec_b64 s[6:7], s[4:5]
	s_cbranch_execz .LBB1_1360
.LBB1_1359:
	v_bfe_u32 v6, v4, 8, 3
	v_ffbh_u32_e32 v12, v6
	v_min_u32_e32 v12, 32, v12
	v_lshrrev_b16_e32 v7, 3, v3
	v_subrev_u32_e32 v13, 28, v12
	v_and_b32_e32 v7, 15, v7
	v_lshlrev_b32_e32 v3, v13, v3
	v_sub_u32_e32 v12, 29, v12
	v_and_b32_e32 v3, 7, v3
	v_cmp_eq_u16_e32 vcc, 0, v7
	v_cndmask_b32_e32 v3, v6, v3, vcc
	v_cndmask_b32_e32 v6, v7, v12, vcc
	v_lshlrev_b32_e32 v7, 16, v4
	v_mov_b32_e32 v12, 0x3b800000
	v_lshlrev_b32_e32 v3, 20, v3
	v_and_b32_e32 v7, 0x80000000, v7
	v_lshl_add_u32 v6, v6, 23, v12
	v_or3_b32 v6, v7, v6, v3
.LBB1_1360:
	s_or_b64 exec, exec, s[6:7]
	s_nop 0
	v_mfma_f32_16x16x4f32 a[0:3], v2, v6, a[0:3]
	s_movk_i32 s4, 0xff
	v_and_b32_sdwa v3, v8, s4 dst_sel:DWORD dst_unused:UNUSED_PAD src0_sel:WORD_1 src1_sel:DWORD
	s_movk_i32 s4, 0x7f
	v_cmp_lt_i16_e32 vcc, s4, v3
	s_mov_b64 s[4:5], 0
                                        ; implicit-def: $sgpr10
	s_and_saveexec_b64 s[6:7], vcc
	s_xor_b64 s[6:7], exec, s[6:7]
	s_cbranch_execz .LBB1_1361
; %bb.37201:
	s_getpc_b64 s[14:15]
.Lpost_getpc4264:
	s_add_u32 s14, s14, (.LBB1_15697-.Lpost_getpc4264)&4294967295
	s_addc_u32 s15, s15, (.LBB1_15697-.Lpost_getpc4264)>>32
	s_setpc_b64 s[14:15]
.LBB1_1361:
	s_or_saveexec_b64 s[6:7], s[6:7]
	v_mov_b32_e32 v2, s10
	s_xor_b64 exec, exec, s[6:7]
	s_cbranch_execz .LBB1_1362
; %bb.37203:
	s_getpc_b64 s[14:15]
.Lpost_getpc4265:
	s_add_u32 s14, s14, (.LBB1_15700-.Lpost_getpc4265)&4294967295
	s_addc_u32 s15, s15, (.LBB1_15700-.Lpost_getpc4265)>>32
	s_setpc_b64 s[14:15]
.LBB1_1362:
	s_or_b64 exec, exec, s[6:7]
	s_and_saveexec_b64 s[6:7], s[4:5]
	s_cbranch_execz .LBB1_1364
.LBB1_1363:
	v_bfe_u32 v2, v8, 16, 3
	v_ffbh_u32_e32 v7, v2
	v_min_u32_e32 v7, 32, v7
	v_lshrrev_b32_e32 v3, 19, v8
	v_subrev_u32_e32 v12, 28, v7
	v_and_b32_e32 v3, 15, v3
	v_lshlrev_b32_sdwa v12, v12, v8 dst_sel:DWORD dst_unused:UNUSED_PAD src0_sel:DWORD src1_sel:WORD_1
	v_bfe_u32 v6, v8, 19, 4
	v_sub_u32_e32 v7, 29, v7
	v_and_b32_e32 v12, 7, v12
	v_cmp_eq_u16_e32 vcc, 0, v3
	v_cndmask_b32_e32 v2, v2, v12, vcc
	v_cndmask_b32_e32 v3, v6, v7, vcc
	v_lshlrev_b32_e32 v6, 8, v8
	v_mov_b32_e32 v7, 0x3b800000
	v_lshlrev_b32_e32 v2, 20, v2
	v_and_b32_e32 v6, 0x80000000, v6
	v_lshl_add_u32 v3, v3, 23, v7
	v_or3_b32 v2, v6, v3, v2
.LBB1_1364:
	s_or_b64 exec, exec, s[6:7]
	s_movk_i32 s4, 0xff
	v_and_b32_sdwa v3, v4, s4 dst_sel:DWORD dst_unused:UNUSED_PAD src0_sel:WORD_1 src1_sel:DWORD
	s_movk_i32 s4, 0x7f
	v_cmp_lt_i16_e32 vcc, s4, v3
	s_mov_b64 s[4:5], 0
                                        ; implicit-def: $sgpr10
	s_and_saveexec_b64 s[6:7], vcc
	s_xor_b64 s[6:7], exec, s[6:7]
	s_cbranch_execz .LBB1_1365
; %bb.37205:
	s_getpc_b64 s[14:15]
.Lpost_getpc4266:
	s_add_u32 s14, s14, (.LBB1_15701-.Lpost_getpc4266)&4294967295
	s_addc_u32 s15, s15, (.LBB1_15701-.Lpost_getpc4266)>>32
	s_setpc_b64 s[14:15]
.LBB1_1365:
	s_or_saveexec_b64 s[6:7], s[6:7]
	v_mov_b32_e32 v6, s10
	s_xor_b64 exec, exec, s[6:7]
	s_cbranch_execz .LBB1_1366
; %bb.37207:
	s_getpc_b64 s[14:15]
.Lpost_getpc4267:
	s_add_u32 s14, s14, (.LBB1_15704-.Lpost_getpc4267)&4294967295
	s_addc_u32 s15, s15, (.LBB1_15704-.Lpost_getpc4267)>>32
	s_setpc_b64 s[14:15]
.LBB1_1366:
	s_or_b64 exec, exec, s[6:7]
	s_and_saveexec_b64 s[6:7], s[4:5]
	s_cbranch_execz .LBB1_1368
.LBB1_1367:
	v_bfe_u32 v3, v4, 16, 3
	v_ffbh_u32_e32 v12, v3
	v_min_u32_e32 v12, 32, v12
	v_lshrrev_b32_e32 v6, 19, v4
	v_subrev_u32_e32 v13, 28, v12
	v_and_b32_e32 v6, 15, v6
	v_lshlrev_b32_sdwa v13, v13, v4 dst_sel:DWORD dst_unused:UNUSED_PAD src0_sel:DWORD src1_sel:WORD_1
	v_bfe_u32 v7, v4, 19, 4
	v_sub_u32_e32 v12, 29, v12
	v_and_b32_e32 v13, 7, v13
	v_cmp_eq_u16_e32 vcc, 0, v6
	v_cndmask_b32_e32 v3, v3, v13, vcc
	v_cndmask_b32_e32 v6, v7, v12, vcc
	v_lshlrev_b32_e32 v7, 8, v4
	v_mov_b32_e32 v12, 0x3b800000
	v_lshlrev_b32_e32 v3, 20, v3
	v_and_b32_e32 v7, 0x80000000, v7
	v_lshl_add_u32 v6, v6, 23, v12
	v_or3_b32 v6, v7, v6, v3
.LBB1_1368:
	s_or_b64 exec, exec, s[6:7]
	s_nop 0
	v_mfma_f32_16x16x4f32 a[0:3], v2, v6, a[0:3]
	s_movk_i32 s4, 0x7f
	v_cmp_gt_i16_sdwa s[6:7], v8, s4 src0_sel:BYTE_3 src1_sel:DWORD
	s_mov_b64 s[4:5], 0
                                        ; implicit-def: $sgpr10
	s_and_saveexec_b64 s[8:9], s[6:7]
	s_xor_b64 s[6:7], exec, s[8:9]
	s_cbranch_execz .LBB1_1369
; %bb.37209:
	s_getpc_b64 s[14:15]
.Lpost_getpc4268:
	s_add_u32 s14, s14, (.LBB1_15705-.Lpost_getpc4268)&4294967295
	s_addc_u32 s15, s15, (.LBB1_15705-.Lpost_getpc4268)>>32
	s_setpc_b64 s[14:15]
.LBB1_1369:
	s_or_saveexec_b64 s[6:7], s[6:7]
	v_mov_b32_e32 v2, s10
	s_xor_b64 exec, exec, s[6:7]
	s_cbranch_execz .LBB1_1370
; %bb.37211:
	s_getpc_b64 s[14:15]
.Lpost_getpc4269:
	s_add_u32 s14, s14, (.LBB1_15708-.Lpost_getpc4269)&4294967295
	s_addc_u32 s15, s15, (.LBB1_15708-.Lpost_getpc4269)>>32
	s_setpc_b64 s[14:15]
.LBB1_1370:
	s_or_b64 exec, exec, s[6:7]
	s_and_saveexec_b64 s[6:7], s[4:5]
	s_cbranch_execz .LBB1_1372
.LBB1_1371:
	v_bfe_u32 v2, v8, 24, 3
	v_ffbh_u32_e32 v12, v2
	v_min_u32_e32 v12, 32, v12
	v_lshrrev_b32_e32 v6, 27, v8
	v_subrev_u32_e32 v13, 28, v12
	v_and_b32_e32 v3, 0x80000000, v8
	v_and_b32_e32 v6, 15, v6
	v_bfe_u32 v7, v8, 27, 4
	v_lshlrev_b32_sdwa v8, v13, v8 dst_sel:DWORD dst_unused:UNUSED_PAD src0_sel:DWORD src1_sel:BYTE_3
	v_sub_u32_e32 v12, 29, v12
	v_and_b32_e32 v8, 7, v8
	v_cmp_eq_u16_e32 vcc, 0, v6
	v_cndmask_b32_e32 v2, v2, v8, vcc
	v_cndmask_b32_e32 v6, v7, v12, vcc
	v_mov_b32_e32 v7, 0x3b800000
	v_lshlrev_b32_e32 v2, 20, v2
	v_lshl_add_u32 v6, v6, 23, v7
	v_or3_b32 v2, v3, v6, v2
.LBB1_1372:
	s_or_b64 exec, exec, s[6:7]
	s_movk_i32 s4, 0x7f
	v_cmp_gt_i16_sdwa s[6:7], v4, s4 src0_sel:BYTE_3 src1_sel:DWORD
	s_mov_b64 s[4:5], 0
                                        ; implicit-def: $sgpr10
	s_and_saveexec_b64 s[8:9], s[6:7]
	s_xor_b64 s[6:7], exec, s[8:9]
	s_cbranch_execz .LBB1_1373
; %bb.37213:
	s_getpc_b64 s[14:15]
.Lpost_getpc4270:
	s_add_u32 s14, s14, (.LBB1_15709-.Lpost_getpc4270)&4294967295
	s_addc_u32 s15, s15, (.LBB1_15709-.Lpost_getpc4270)>>32
	s_setpc_b64 s[14:15]
.LBB1_1373:
	s_or_saveexec_b64 s[6:7], s[6:7]
	v_mov_b32_e32 v3, s10
	s_xor_b64 exec, exec, s[6:7]
	s_cbranch_execz .LBB1_1374
; %bb.37215:
	s_getpc_b64 s[14:15]
.Lpost_getpc4271:
	s_add_u32 s14, s14, (.LBB1_15712-.Lpost_getpc4271)&4294967295
	s_addc_u32 s15, s15, (.LBB1_15712-.Lpost_getpc4271)>>32
	s_setpc_b64 s[14:15]
.LBB1_1374:
	s_or_b64 exec, exec, s[6:7]
	s_and_saveexec_b64 s[6:7], s[4:5]
	s_cbranch_execz .LBB1_1376
.LBB1_1375:
	v_bfe_u32 v3, v4, 24, 3
	v_ffbh_u32_e32 v12, v3
	v_min_u32_e32 v12, 32, v12
	v_lshrrev_b32_e32 v7, 27, v4
	v_subrev_u32_e32 v13, 28, v12
	v_and_b32_e32 v6, 0x80000000, v4
	v_and_b32_e32 v7, 15, v7
	v_bfe_u32 v8, v4, 27, 4
	v_lshlrev_b32_sdwa v4, v13, v4 dst_sel:DWORD dst_unused:UNUSED_PAD src0_sel:DWORD src1_sel:BYTE_3
	v_sub_u32_e32 v12, 29, v12
	v_and_b32_e32 v4, 7, v4
	v_cmp_eq_u16_e32 vcc, 0, v7
	v_cndmask_b32_e32 v3, v3, v4, vcc
	v_cndmask_b32_e32 v4, v8, v12, vcc
	v_mov_b32_e32 v7, 0x3b800000
	v_lshlrev_b32_e32 v3, 20, v3
	v_lshl_add_u32 v4, v4, 23, v7
	v_or3_b32 v3, v6, v4, v3
.LBB1_1376:
	s_or_b64 exec, exec, s[6:7]
	s_nop 0
	v_mfma_f32_16x16x4f32 a[0:3], v2, v3, a[0:3]
	s_movk_i32 s4, 0x7f
	v_cmp_gt_i16_sdwa s[6:7], v9, s4 src0_sel:BYTE_0 src1_sel:DWORD
	s_mov_b64 s[4:5], 0
                                        ; implicit-def: $sgpr10
	s_and_saveexec_b64 s[8:9], s[6:7]
	s_xor_b64 s[6:7], exec, s[8:9]
	s_cbranch_execz .LBB1_1377
; %bb.37217:
	s_getpc_b64 s[14:15]
.Lpost_getpc4272:
	s_add_u32 s14, s14, (.LBB1_15713-.Lpost_getpc4272)&4294967295
	s_addc_u32 s15, s15, (.LBB1_15713-.Lpost_getpc4272)>>32
	s_setpc_b64 s[14:15]
.LBB1_1377:
	s_or_saveexec_b64 s[6:7], s[6:7]
	v_mov_b32_e32 v2, s10
	s_xor_b64 exec, exec, s[6:7]
	s_cbranch_execz .LBB1_1378
; %bb.37219:
	s_getpc_b64 s[14:15]
.Lpost_getpc4273:
	s_add_u32 s14, s14, (.LBB1_15716-.Lpost_getpc4273)&4294967295
	s_addc_u32 s15, s15, (.LBB1_15716-.Lpost_getpc4273)>>32
	s_setpc_b64 s[14:15]
.LBB1_1378:
	s_or_b64 exec, exec, s[6:7]
	s_and_saveexec_b64 s[6:7], s[4:5]
	s_cbranch_execz .LBB1_1380
.LBB1_1379:
	v_mov_b32_e32 v2, 8
	v_and_b32_e32 v3, 7, v9
	v_lshrrev_b32_sdwa v2, v2, v9 dst_sel:BYTE_1 dst_unused:UNUSED_PAD src0_sel:DWORD src1_sel:DWORD
	v_ffbh_u32_e32 v4, v3
	v_or_b32_sdwa v2, v9, v2 dst_sel:DWORD dst_unused:UNUSED_PAD src0_sel:BYTE_0 src1_sel:DWORD
	v_min_u32_e32 v4, 32, v4
	v_lshrrev_b16_e32 v2, 3, v2
	v_subrev_u32_e32 v6, 28, v4
	v_and_b32_e32 v2, 15, v2
	v_lshlrev_b32_e32 v6, v6, v9
	v_sub_u32_e32 v4, 29, v4
	v_and_b32_e32 v6, 7, v6
	v_cmp_eq_u16_e32 vcc, 0, v2
	v_cndmask_b32_e32 v3, v3, v6, vcc
	v_cndmask_b32_e32 v2, v2, v4, vcc
	v_lshlrev_b32_e32 v4, 24, v9
	v_mov_b32_e32 v6, 0x3b800000
	v_lshlrev_b32_e32 v3, 20, v3
	v_and_b32_e32 v4, 0x80000000, v4
	v_lshl_add_u32 v2, v2, 23, v6
	v_or3_b32 v2, v4, v2, v3
.LBB1_1380:
	s_or_b64 exec, exec, s[6:7]
	s_movk_i32 s4, 0x7f
	v_cmp_gt_i16_sdwa s[6:7], v5, s4 src0_sel:BYTE_0 src1_sel:DWORD
	s_mov_b64 s[4:5], 0
                                        ; implicit-def: $sgpr10
	s_and_saveexec_b64 s[8:9], s[6:7]
	s_xor_b64 s[6:7], exec, s[8:9]
	s_cbranch_execz .LBB1_1381
; %bb.37221:
	s_getpc_b64 s[14:15]
.Lpost_getpc4274:
	s_add_u32 s14, s14, (.LBB1_15717-.Lpost_getpc4274)&4294967295
	s_addc_u32 s15, s15, (.LBB1_15717-.Lpost_getpc4274)>>32
	s_setpc_b64 s[14:15]
.LBB1_1381:
	s_or_saveexec_b64 s[6:7], s[6:7]
	v_mov_b32_e32 v3, s10
	s_xor_b64 exec, exec, s[6:7]
	s_cbranch_execz .LBB1_1382
; %bb.37223:
	s_getpc_b64 s[14:15]
.Lpost_getpc4275:
	s_add_u32 s14, s14, (.LBB1_15720-.Lpost_getpc4275)&4294967295
	s_addc_u32 s15, s15, (.LBB1_15720-.Lpost_getpc4275)>>32
	s_setpc_b64 s[14:15]
.LBB1_1382:
	s_or_b64 exec, exec, s[6:7]
	s_and_saveexec_b64 s[6:7], s[4:5]
	s_cbranch_execz .LBB1_1384
.LBB1_1383:
	v_mov_b32_e32 v3, 8
	v_and_b32_e32 v4, 7, v5
	v_lshrrev_b32_sdwa v3, v3, v5 dst_sel:BYTE_1 dst_unused:UNUSED_PAD src0_sel:DWORD src1_sel:DWORD
	v_ffbh_u32_e32 v6, v4
	v_or_b32_sdwa v3, v5, v3 dst_sel:DWORD dst_unused:UNUSED_PAD src0_sel:BYTE_0 src1_sel:DWORD
	v_min_u32_e32 v6, 32, v6
	v_lshrrev_b16_e32 v3, 3, v3
	v_subrev_u32_e32 v7, 28, v6
	v_and_b32_e32 v3, 15, v3
	v_lshlrev_b32_e32 v7, v7, v5
	v_sub_u32_e32 v6, 29, v6
	v_and_b32_e32 v7, 7, v7
	v_cmp_eq_u16_e32 vcc, 0, v3
	v_cndmask_b32_e32 v4, v4, v7, vcc
	v_cndmask_b32_e32 v3, v3, v6, vcc
	v_lshlrev_b32_e32 v6, 24, v5
	v_mov_b32_e32 v7, 0x3b800000
	v_lshlrev_b32_e32 v4, 20, v4
	v_and_b32_e32 v6, 0x80000000, v6
	v_lshl_add_u32 v3, v3, 23, v7
	v_or3_b32 v3, v6, v3, v4
.LBB1_1384:
	s_or_b64 exec, exec, s[6:7]
	s_nop 0
	v_mfma_f32_16x16x4f32 a[0:3], v2, v3, a[0:3]
	v_lshrrev_b32_e32 v3, 8, v9
	s_movk_i32 s4, 0x7f
	v_cmp_gt_i16_sdwa s[6:7], v3, s4 src0_sel:BYTE_0 src1_sel:DWORD
	s_mov_b64 s[4:5], 0
                                        ; implicit-def: $sgpr10
	s_and_saveexec_b64 s[8:9], s[6:7]
	s_xor_b64 s[6:7], exec, s[8:9]
	s_cbranch_execz .LBB1_1385
; %bb.37225:
	s_getpc_b64 s[14:15]
.Lpost_getpc4276:
	s_add_u32 s14, s14, (.LBB1_15721-.Lpost_getpc4276)&4294967295
	s_addc_u32 s15, s15, (.LBB1_15721-.Lpost_getpc4276)>>32
	s_setpc_b64 s[14:15]
.LBB1_1385:
	s_or_saveexec_b64 s[6:7], s[6:7]
	v_mov_b32_e32 v2, s10
	s_xor_b64 exec, exec, s[6:7]
	s_cbranch_execz .LBB1_1386
; %bb.37227:
	s_getpc_b64 s[14:15]
.Lpost_getpc4277:
	s_add_u32 s14, s14, (.LBB1_15724-.Lpost_getpc4277)&4294967295
	s_addc_u32 s15, s15, (.LBB1_15724-.Lpost_getpc4277)>>32
	s_setpc_b64 s[14:15]
.LBB1_1386:
	s_or_b64 exec, exec, s[6:7]
	s_and_saveexec_b64 s[6:7], s[4:5]
	s_cbranch_execz .LBB1_1388
.LBB1_1387:
	v_bfe_u32 v2, v9, 8, 3
	v_ffbh_u32_e32 v6, v2
	v_min_u32_e32 v6, 32, v6
	v_lshrrev_b16_e32 v4, 3, v3
	v_subrev_u32_e32 v7, 28, v6
	v_and_b32_e32 v4, 15, v4
	v_lshlrev_b32_e32 v3, v7, v3
	v_sub_u32_e32 v6, 29, v6
	v_and_b32_e32 v3, 7, v3
	v_cmp_eq_u16_e32 vcc, 0, v4
	v_cndmask_b32_e32 v2, v2, v3, vcc
	v_cndmask_b32_e32 v3, v4, v6, vcc
	v_lshlrev_b32_e32 v4, 16, v9
	v_mov_b32_e32 v6, 0x3b800000
	v_lshlrev_b32_e32 v2, 20, v2
	v_and_b32_e32 v4, 0x80000000, v4
	v_lshl_add_u32 v3, v3, 23, v6
	v_or3_b32 v2, v4, v3, v2
.LBB1_1388:
	s_or_b64 exec, exec, s[6:7]
	v_lshrrev_b32_e32 v3, 8, v5
	s_movk_i32 s4, 0x7f
	v_cmp_gt_i16_sdwa s[6:7], v3, s4 src0_sel:BYTE_0 src1_sel:DWORD
	s_mov_b64 s[4:5], 0
                                        ; implicit-def: $sgpr10
	s_and_saveexec_b64 s[8:9], s[6:7]
	s_xor_b64 s[6:7], exec, s[8:9]
	s_cbranch_execz .LBB1_1389
; %bb.37229:
	s_getpc_b64 s[14:15]
.Lpost_getpc4278:
	s_add_u32 s14, s14, (.LBB1_15725-.Lpost_getpc4278)&4294967295
	s_addc_u32 s15, s15, (.LBB1_15725-.Lpost_getpc4278)>>32
	s_setpc_b64 s[14:15]
.LBB1_1389:
	s_or_saveexec_b64 s[6:7], s[6:7]
	v_mov_b32_e32 v4, s10
	s_xor_b64 exec, exec, s[6:7]
	s_cbranch_execz .LBB1_1390
; %bb.37231:
	s_getpc_b64 s[14:15]
.Lpost_getpc4279:
	s_add_u32 s14, s14, (.LBB1_15728-.Lpost_getpc4279)&4294967295
	s_addc_u32 s15, s15, (.LBB1_15728-.Lpost_getpc4279)>>32
	s_setpc_b64 s[14:15]
.LBB1_1390:
	s_or_b64 exec, exec, s[6:7]
	s_and_saveexec_b64 s[6:7], s[4:5]
	s_cbranch_execz .LBB1_1392
.LBB1_1391:
	v_bfe_u32 v4, v5, 8, 3
	v_ffbh_u32_e32 v7, v4
	v_min_u32_e32 v7, 32, v7
	v_lshrrev_b16_e32 v6, 3, v3
	v_subrev_u32_e32 v8, 28, v7
	v_and_b32_e32 v6, 15, v6
	v_lshlrev_b32_e32 v3, v8, v3
	v_sub_u32_e32 v7, 29, v7
	v_and_b32_e32 v3, 7, v3
	v_cmp_eq_u16_e32 vcc, 0, v6
	v_cndmask_b32_e32 v3, v4, v3, vcc
	v_cndmask_b32_e32 v4, v6, v7, vcc
	v_lshlrev_b32_e32 v6, 16, v5
	v_mov_b32_e32 v7, 0x3b800000
	v_lshlrev_b32_e32 v3, 20, v3
	v_and_b32_e32 v6, 0x80000000, v6
	v_lshl_add_u32 v4, v4, 23, v7
	v_or3_b32 v4, v6, v4, v3
.LBB1_1392:
	s_or_b64 exec, exec, s[6:7]
	s_nop 0
	v_mfma_f32_16x16x4f32 a[0:3], v2, v4, a[0:3]
	s_movk_i32 s4, 0xff
	v_and_b32_sdwa v3, v9, s4 dst_sel:DWORD dst_unused:UNUSED_PAD src0_sel:WORD_1 src1_sel:DWORD
	s_movk_i32 s4, 0x7f
	v_cmp_lt_i16_e32 vcc, s4, v3
	s_mov_b64 s[4:5], 0
                                        ; implicit-def: $sgpr10
	s_and_saveexec_b64 s[6:7], vcc
	s_xor_b64 s[6:7], exec, s[6:7]
	s_cbranch_execz .LBB1_1393
; %bb.37233:
	s_getpc_b64 s[14:15]
.Lpost_getpc4280:
	s_add_u32 s14, s14, (.LBB1_15729-.Lpost_getpc4280)&4294967295
	s_addc_u32 s15, s15, (.LBB1_15729-.Lpost_getpc4280)>>32
	s_setpc_b64 s[14:15]
.LBB1_1393:
	s_or_saveexec_b64 s[6:7], s[6:7]
	v_mov_b32_e32 v2, s10
	s_xor_b64 exec, exec, s[6:7]
	s_cbranch_execz .LBB1_1394
; %bb.37235:
	s_getpc_b64 s[14:15]
.Lpost_getpc4281:
	s_add_u32 s14, s14, (.LBB1_15732-.Lpost_getpc4281)&4294967295
	s_addc_u32 s15, s15, (.LBB1_15732-.Lpost_getpc4281)>>32
	s_setpc_b64 s[14:15]
.LBB1_1394:
	s_or_b64 exec, exec, s[6:7]
	s_and_saveexec_b64 s[6:7], s[4:5]
	s_cbranch_execz .LBB1_1396
.LBB1_1395:
	v_bfe_u32 v2, v9, 16, 3
	v_ffbh_u32_e32 v6, v2
	v_min_u32_e32 v6, 32, v6
	v_lshrrev_b32_e32 v3, 19, v9
	v_subrev_u32_e32 v7, 28, v6
	v_and_b32_e32 v3, 15, v3
	v_lshlrev_b32_sdwa v7, v7, v9 dst_sel:DWORD dst_unused:UNUSED_PAD src0_sel:DWORD src1_sel:WORD_1
	v_bfe_u32 v4, v9, 19, 4
	v_sub_u32_e32 v6, 29, v6
	v_and_b32_e32 v7, 7, v7
	v_cmp_eq_u16_e32 vcc, 0, v3
	v_cndmask_b32_e32 v2, v2, v7, vcc
	v_cndmask_b32_e32 v3, v4, v6, vcc
	v_lshlrev_b32_e32 v4, 8, v9
	v_mov_b32_e32 v6, 0x3b800000
	v_lshlrev_b32_e32 v2, 20, v2
	v_and_b32_e32 v4, 0x80000000, v4
	v_lshl_add_u32 v3, v3, 23, v6
	v_or3_b32 v2, v4, v3, v2
.LBB1_1396:
	s_or_b64 exec, exec, s[6:7]
	s_movk_i32 s4, 0xff
	v_and_b32_sdwa v3, v5, s4 dst_sel:DWORD dst_unused:UNUSED_PAD src0_sel:WORD_1 src1_sel:DWORD
	s_movk_i32 s4, 0x7f
	v_cmp_lt_i16_e32 vcc, s4, v3
	s_mov_b64 s[4:5], 0
                                        ; implicit-def: $sgpr10
	s_and_saveexec_b64 s[6:7], vcc
	s_xor_b64 s[6:7], exec, s[6:7]
	s_cbranch_execz .LBB1_1397
; %bb.37237:
	s_getpc_b64 s[14:15]
.Lpost_getpc4282:
	s_add_u32 s14, s14, (.LBB1_15733-.Lpost_getpc4282)&4294967295
	s_addc_u32 s15, s15, (.LBB1_15733-.Lpost_getpc4282)>>32
	s_setpc_b64 s[14:15]
.LBB1_1397:
	s_or_saveexec_b64 s[6:7], s[6:7]
	v_mov_b32_e32 v4, s10
	s_xor_b64 exec, exec, s[6:7]
	s_cbranch_execz .LBB1_1398
; %bb.37239:
	s_getpc_b64 s[14:15]
.Lpost_getpc4283:
	s_add_u32 s14, s14, (.LBB1_15736-.Lpost_getpc4283)&4294967295
	s_addc_u32 s15, s15, (.LBB1_15736-.Lpost_getpc4283)>>32
	s_setpc_b64 s[14:15]
.LBB1_1398:
	s_or_b64 exec, exec, s[6:7]
	s_and_saveexec_b64 s[6:7], s[4:5]
	s_cbranch_execz .LBB1_1400
.LBB1_1399:
	v_bfe_u32 v3, v5, 16, 3
	v_ffbh_u32_e32 v7, v3
	v_min_u32_e32 v7, 32, v7
	v_lshrrev_b32_e32 v4, 19, v5
	v_subrev_u32_e32 v8, 28, v7
	v_and_b32_e32 v4, 15, v4
	v_lshlrev_b32_sdwa v8, v8, v5 dst_sel:DWORD dst_unused:UNUSED_PAD src0_sel:DWORD src1_sel:WORD_1
	v_bfe_u32 v6, v5, 19, 4
	v_sub_u32_e32 v7, 29, v7
	v_and_b32_e32 v8, 7, v8
	v_cmp_eq_u16_e32 vcc, 0, v4
	v_cndmask_b32_e32 v3, v3, v8, vcc
	v_cndmask_b32_e32 v4, v6, v7, vcc
	v_lshlrev_b32_e32 v6, 8, v5
	v_mov_b32_e32 v7, 0x3b800000
	v_lshlrev_b32_e32 v3, 20, v3
	v_and_b32_e32 v6, 0x80000000, v6
	v_lshl_add_u32 v4, v4, 23, v7
	v_or3_b32 v4, v6, v4, v3
.LBB1_1400:
	s_or_b64 exec, exec, s[6:7]
	s_nop 0
	v_mfma_f32_16x16x4f32 a[0:3], v2, v4, a[0:3]
	s_movk_i32 s4, 0x7f
	v_cmp_gt_i16_sdwa s[6:7], v9, s4 src0_sel:BYTE_3 src1_sel:DWORD
	s_mov_b64 s[4:5], 0
                                        ; implicit-def: $sgpr10
	s_and_saveexec_b64 s[8:9], s[6:7]
	s_xor_b64 s[6:7], exec, s[8:9]
	s_cbranch_execz .LBB1_1401
; %bb.37241:
	s_getpc_b64 s[14:15]
.Lpost_getpc4284:
	s_add_u32 s14, s14, (.LBB1_15737-.Lpost_getpc4284)&4294967295
	s_addc_u32 s15, s15, (.LBB1_15737-.Lpost_getpc4284)>>32
	s_setpc_b64 s[14:15]
.LBB1_1401:
	s_or_saveexec_b64 s[6:7], s[6:7]
	v_mov_b32_e32 v2, s10
	s_xor_b64 exec, exec, s[6:7]
	s_cbranch_execz .LBB1_1402
; %bb.37243:
	s_getpc_b64 s[14:15]
.Lpost_getpc4285:
	s_add_u32 s14, s14, (.LBB1_15740-.Lpost_getpc4285)&4294967295
	s_addc_u32 s15, s15, (.LBB1_15740-.Lpost_getpc4285)>>32
	s_setpc_b64 s[14:15]
.LBB1_1402:
	s_or_b64 exec, exec, s[6:7]
	s_and_saveexec_b64 s[6:7], s[4:5]
	s_cbranch_execz .LBB1_1404
.LBB1_1403:
	v_bfe_u32 v2, v9, 24, 3
	v_ffbh_u32_e32 v7, v2
	v_min_u32_e32 v7, 32, v7
	v_lshrrev_b32_e32 v4, 27, v9
	v_subrev_u32_e32 v8, 28, v7
	v_and_b32_e32 v4, 15, v4
	v_lshlrev_b32_sdwa v8, v8, v9 dst_sel:DWORD dst_unused:UNUSED_PAD src0_sel:DWORD src1_sel:BYTE_3
	v_bfe_u32 v6, v9, 27, 4
	v_sub_u32_e32 v7, 29, v7
	v_and_b32_e32 v8, 7, v8
	v_cmp_eq_u16_e32 vcc, 0, v4
	v_cndmask_b32_e32 v2, v2, v8, vcc
	v_cndmask_b32_e32 v4, v6, v7, vcc
	v_mov_b32_e32 v6, 0x3b800000
	v_and_b32_e32 v3, 0x80000000, v9
	v_lshlrev_b32_e32 v2, 20, v2
	v_lshl_add_u32 v4, v4, 23, v6
	v_or3_b32 v2, v3, v4, v2
.LBB1_1404:
	s_or_b64 exec, exec, s[6:7]
	s_movk_i32 s4, 0x7f
	v_cmp_gt_i16_sdwa s[6:7], v5, s4 src0_sel:BYTE_3 src1_sel:DWORD
	s_mov_b64 s[4:5], 0
                                        ; implicit-def: $sgpr10
	s_and_saveexec_b64 s[8:9], s[6:7]
	s_xor_b64 s[6:7], exec, s[8:9]
	s_cbranch_execz .LBB1_1405
; %bb.37245:
	s_getpc_b64 s[14:15]
.Lpost_getpc4286:
	s_add_u32 s14, s14, (.LBB1_15741-.Lpost_getpc4286)&4294967295
	s_addc_u32 s15, s15, (.LBB1_15741-.Lpost_getpc4286)>>32
	s_setpc_b64 s[14:15]
.LBB1_1405:
	s_or_saveexec_b64 s[6:7], s[6:7]
	v_mov_b32_e32 v3, s10
	s_xor_b64 exec, exec, s[6:7]
	s_cbranch_execz .LBB1_1406
; %bb.37247:
	s_getpc_b64 s[14:15]
.Lpost_getpc4287:
	s_add_u32 s14, s14, (.LBB1_15744-.Lpost_getpc4287)&4294967295
	s_addc_u32 s15, s15, (.LBB1_15744-.Lpost_getpc4287)>>32
	s_setpc_b64 s[14:15]
.LBB1_1406:
	s_or_b64 exec, exec, s[6:7]
	s_and_saveexec_b64 s[6:7], s[4:5]
	s_cbranch_execz .LBB1_1408
.LBB1_1407:
	v_bfe_u32 v3, v5, 24, 3
	v_ffbh_u32_e32 v8, v3
	v_min_u32_e32 v8, 32, v8
	v_lshrrev_b32_e32 v6, 27, v5
	v_subrev_u32_e32 v9, 28, v8
	v_and_b32_e32 v4, 0x80000000, v5
	v_and_b32_e32 v6, 15, v6
	v_bfe_u32 v7, v5, 27, 4
	v_lshlrev_b32_sdwa v5, v9, v5 dst_sel:DWORD dst_unused:UNUSED_PAD src0_sel:DWORD src1_sel:BYTE_3
	v_sub_u32_e32 v8, 29, v8
	v_and_b32_e32 v5, 7, v5
	v_cmp_eq_u16_e32 vcc, 0, v6
	v_cndmask_b32_e32 v3, v3, v5, vcc
	v_cndmask_b32_e32 v5, v7, v8, vcc
	v_mov_b32_e32 v6, 0x3b800000
	v_lshlrev_b32_e32 v3, 20, v3
	v_lshl_add_u32 v5, v5, 23, v6
	v_or3_b32 v3, v4, v5, v3
.LBB1_1408:
	s_or_b64 exec, exec, s[6:7]
	s_nop 0
	v_mfma_f32_16x16x4f32 a[0:3], v2, v3, a[0:3]
	s_movk_i32 s4, 0x7f
                                        ; implicit-def: $sgpr10
	s_nop 7
	s_nop 1
	flat_store_dwordx4 v[10:11], a[0:3] offset:160
	flat_load_dwordx4 v[12:15], v[0:1]
	s_nop 0
	flat_load_dwordx2 v[10:11], v[0:1] offset:16
	s_waitcnt vmcnt(0) lgkmcnt(0)
	flat_load_dwordx4 v[6:9], v[12:13] offset:16
	flat_load_dwordx4 v[2:5], v[14:15] offset:48
	s_waitcnt vmcnt(0) lgkmcnt(0)
	v_cmp_gt_i16_sdwa s[6:7], v6, s4 src0_sel:BYTE_0 src1_sel:DWORD
	s_mov_b64 s[4:5], 0
	s_and_saveexec_b64 s[8:9], s[6:7]
	s_xor_b64 s[6:7], exec, s[8:9]
	s_cbranch_execz .LBB1_1409
; %bb.37249:
	s_getpc_b64 s[14:15]
.Lpost_getpc4288:
	s_add_u32 s14, s14, (.LBB1_15745-.Lpost_getpc4288)&4294967295
	s_addc_u32 s15, s15, (.LBB1_15745-.Lpost_getpc4288)>>32
	s_setpc_b64 s[14:15]
.LBB1_1409:
	s_or_saveexec_b64 s[6:7], s[6:7]
	v_mov_b32_e32 v12, s10
	s_xor_b64 exec, exec, s[6:7]
	s_cbranch_execz .LBB1_1410
; %bb.37251:
	s_getpc_b64 s[14:15]
.Lpost_getpc4289:
	s_add_u32 s14, s14, (.LBB1_15748-.Lpost_getpc4289)&4294967295
	s_addc_u32 s15, s15, (.LBB1_15748-.Lpost_getpc4289)>>32
	s_setpc_b64 s[14:15]
.LBB1_1410:
	s_or_b64 exec, exec, s[6:7]
	s_and_saveexec_b64 s[6:7], s[4:5]
	s_cbranch_execz .LBB1_1412
.LBB1_1411:
	v_and_b32_e32 v12, 7, v6
	v_ffbh_u32_e32 v14, v12
	v_min_u32_e32 v14, 32, v14
	v_lshrrev_b16_e32 v13, 3, v6
	v_subrev_u32_e32 v15, 28, v14
	v_and_b32_e32 v13, 15, v13
	v_lshlrev_b32_e32 v15, v15, v6
	v_sub_u32_e32 v14, 29, v14
	v_and_b32_e32 v15, 7, v15
	v_cmp_eq_u16_e32 vcc, 0, v13
	v_cndmask_b32_e32 v12, v12, v15, vcc
	v_cndmask_b32_e32 v13, v13, v14, vcc
	v_lshlrev_b32_e32 v14, 24, v6
	v_mov_b32_e32 v15, 0x3b800000
	v_lshlrev_b32_e32 v12, 20, v12
	v_and_b32_e32 v14, 0x80000000, v14
	v_lshl_add_u32 v13, v13, 23, v15
	v_or3_b32 v12, v14, v13, v12
.LBB1_1412:
	s_or_b64 exec, exec, s[6:7]
	s_movk_i32 s4, 0x7f
	v_cmp_gt_i16_sdwa s[6:7], v2, s4 src0_sel:BYTE_0 src1_sel:DWORD
	s_mov_b64 s[4:5], 0
                                        ; implicit-def: $sgpr10
	s_and_saveexec_b64 s[8:9], s[6:7]
	s_xor_b64 s[6:7], exec, s[8:9]
	s_cbranch_execz .LBB1_1413
; %bb.37253:
	s_getpc_b64 s[14:15]
.Lpost_getpc4290:
	s_add_u32 s14, s14, (.LBB1_15749-.Lpost_getpc4290)&4294967295
	s_addc_u32 s15, s15, (.LBB1_15749-.Lpost_getpc4290)>>32
	s_setpc_b64 s[14:15]
.LBB1_1413:
	s_or_saveexec_b64 s[6:7], s[6:7]
	v_mov_b32_e32 v13, s10
	s_xor_b64 exec, exec, s[6:7]
	s_cbranch_execz .LBB1_1414
; %bb.37255:
	s_getpc_b64 s[14:15]
.Lpost_getpc4291:
	s_add_u32 s14, s14, (.LBB1_15752-.Lpost_getpc4291)&4294967295
	s_addc_u32 s15, s15, (.LBB1_15752-.Lpost_getpc4291)>>32
	s_setpc_b64 s[14:15]
.LBB1_1414:
	s_or_b64 exec, exec, s[6:7]
	s_and_saveexec_b64 s[6:7], s[4:5]
	s_cbranch_execz .LBB1_1416
.LBB1_1415:
	v_and_b32_e32 v13, 7, v2
	v_ffbh_u32_e32 v15, v13
	v_min_u32_e32 v15, 32, v15
	v_lshrrev_b16_e32 v14, 3, v2
	v_subrev_u32_e32 v16, 28, v15
	v_and_b32_e32 v14, 15, v14
	v_lshlrev_b32_e32 v16, v16, v2
	v_sub_u32_e32 v15, 29, v15
	v_and_b32_e32 v16, 7, v16
	v_cmp_eq_u16_e32 vcc, 0, v14
	v_cndmask_b32_e32 v13, v13, v16, vcc
	v_cndmask_b32_e32 v14, v14, v15, vcc
	v_lshlrev_b32_e32 v15, 24, v2
	v_mov_b32_e32 v16, 0x3b800000
	v_lshlrev_b32_e32 v13, 20, v13
	v_and_b32_e32 v15, 0x80000000, v15
	v_lshl_add_u32 v14, v14, 23, v16
	v_or3_b32 v13, v15, v14, v13
.LBB1_1416:
	s_or_b64 exec, exec, s[6:7]
	flat_load_dwordx4 a[0:3], v[10:11] offset:176
	s_movk_i32 s4, 0x7f
                                        ; implicit-def: $sgpr10
	s_waitcnt vmcnt(0) lgkmcnt(0)
	v_mfma_f32_16x16x4f32 a[0:3], v12, v13, a[0:3]
	v_lshrrev_b32_e32 v13, 8, v6
	v_cmp_gt_i16_sdwa s[6:7], v13, s4 src0_sel:BYTE_0 src1_sel:DWORD
	s_mov_b64 s[4:5], 0
	s_and_saveexec_b64 s[8:9], s[6:7]
	s_xor_b64 s[6:7], exec, s[8:9]
	s_cbranch_execz .LBB1_1417
; %bb.37257:
	s_getpc_b64 s[14:15]
.Lpost_getpc4292:
	s_add_u32 s14, s14, (.LBB1_15753-.Lpost_getpc4292)&4294967295
	s_addc_u32 s15, s15, (.LBB1_15753-.Lpost_getpc4292)>>32
	s_setpc_b64 s[14:15]
.LBB1_1417:
	s_or_saveexec_b64 s[6:7], s[6:7]
	v_mov_b32_e32 v12, s10
	s_xor_b64 exec, exec, s[6:7]
	s_cbranch_execz .LBB1_1418
; %bb.37259:
	s_getpc_b64 s[14:15]
.Lpost_getpc4293:
	s_add_u32 s14, s14, (.LBB1_15756-.Lpost_getpc4293)&4294967295
	s_addc_u32 s15, s15, (.LBB1_15756-.Lpost_getpc4293)>>32
	s_setpc_b64 s[14:15]
.LBB1_1418:
	s_or_b64 exec, exec, s[6:7]
	s_and_saveexec_b64 s[6:7], s[4:5]
	s_cbranch_execz .LBB1_1420
.LBB1_1419:
	v_bfe_u32 v12, v6, 8, 3
	v_ffbh_u32_e32 v15, v12
	v_min_u32_e32 v15, 32, v15
	v_lshrrev_b16_e32 v14, 3, v13
	v_subrev_u32_e32 v16, 28, v15
	v_and_b32_e32 v14, 15, v14
	v_lshlrev_b32_e32 v13, v16, v13
	v_sub_u32_e32 v15, 29, v15
	v_and_b32_e32 v13, 7, v13
	v_cmp_eq_u16_e32 vcc, 0, v14
	v_cndmask_b32_e32 v12, v12, v13, vcc
	v_cndmask_b32_e32 v13, v14, v15, vcc
	v_lshlrev_b32_e32 v14, 16, v6
	v_mov_b32_e32 v15, 0x3b800000
	v_lshlrev_b32_e32 v12, 20, v12
	v_and_b32_e32 v14, 0x80000000, v14
	v_lshl_add_u32 v13, v13, 23, v15
	v_or3_b32 v12, v14, v13, v12
.LBB1_1420:
	s_or_b64 exec, exec, s[6:7]
	v_lshrrev_b32_e32 v13, 8, v2
	s_movk_i32 s4, 0x7f
	v_cmp_gt_i16_sdwa s[6:7], v13, s4 src0_sel:BYTE_0 src1_sel:DWORD
	s_mov_b64 s[4:5], 0
                                        ; implicit-def: $sgpr10
	s_and_saveexec_b64 s[8:9], s[6:7]
	s_xor_b64 s[6:7], exec, s[8:9]
	s_cbranch_execz .LBB1_1421
; %bb.37261:
	s_getpc_b64 s[14:15]
.Lpost_getpc4294:
	s_add_u32 s14, s14, (.LBB1_15757-.Lpost_getpc4294)&4294967295
	s_addc_u32 s15, s15, (.LBB1_15757-.Lpost_getpc4294)>>32
	s_setpc_b64 s[14:15]
.LBB1_1421:
	s_or_saveexec_b64 s[6:7], s[6:7]
	v_mov_b32_e32 v14, s10
	s_xor_b64 exec, exec, s[6:7]
	s_cbranch_execz .LBB1_1422
; %bb.37263:
	s_getpc_b64 s[14:15]
.Lpost_getpc4295:
	s_add_u32 s14, s14, (.LBB1_15760-.Lpost_getpc4295)&4294967295
	s_addc_u32 s15, s15, (.LBB1_15760-.Lpost_getpc4295)>>32
	s_setpc_b64 s[14:15]
.LBB1_1422:
	s_or_b64 exec, exec, s[6:7]
	s_and_saveexec_b64 s[6:7], s[4:5]
	s_cbranch_execz .LBB1_1424
.LBB1_1423:
	v_bfe_u32 v14, v2, 8, 3
	v_ffbh_u32_e32 v16, v14
	v_min_u32_e32 v16, 32, v16
	v_lshrrev_b16_e32 v15, 3, v13
	v_subrev_u32_e32 v17, 28, v16
	v_and_b32_e32 v15, 15, v15
	v_lshlrev_b32_e32 v13, v17, v13
	v_sub_u32_e32 v16, 29, v16
	v_and_b32_e32 v13, 7, v13
	v_cmp_eq_u16_e32 vcc, 0, v15
	v_cndmask_b32_e32 v13, v14, v13, vcc
	v_cndmask_b32_e32 v14, v15, v16, vcc
	v_lshlrev_b32_e32 v15, 16, v2
	v_mov_b32_e32 v16, 0x3b800000
	v_lshlrev_b32_e32 v13, 20, v13
	v_and_b32_e32 v15, 0x80000000, v15
	v_lshl_add_u32 v14, v14, 23, v16
	v_or3_b32 v14, v15, v14, v13
.LBB1_1424:
	s_or_b64 exec, exec, s[6:7]
	s_nop 0
	v_mfma_f32_16x16x4f32 a[0:3], v12, v14, a[0:3]
	s_movk_i32 s4, 0xff
	v_and_b32_sdwa v13, v6, s4 dst_sel:DWORD dst_unused:UNUSED_PAD src0_sel:WORD_1 src1_sel:DWORD
	s_movk_i32 s4, 0x7f
	v_cmp_lt_i16_e32 vcc, s4, v13
	s_mov_b64 s[4:5], 0
                                        ; implicit-def: $sgpr10
	s_and_saveexec_b64 s[6:7], vcc
	s_xor_b64 s[6:7], exec, s[6:7]
	s_cbranch_execz .LBB1_1425
; %bb.37265:
	s_getpc_b64 s[14:15]
.Lpost_getpc4296:
	s_add_u32 s14, s14, (.LBB1_15761-.Lpost_getpc4296)&4294967295
	s_addc_u32 s15, s15, (.LBB1_15761-.Lpost_getpc4296)>>32
	s_setpc_b64 s[14:15]
.LBB1_1425:
	s_or_saveexec_b64 s[6:7], s[6:7]
	v_mov_b32_e32 v12, s10
	s_xor_b64 exec, exec, s[6:7]
	s_cbranch_execz .LBB1_1426
; %bb.37267:
	s_getpc_b64 s[14:15]
.Lpost_getpc4297:
	s_add_u32 s14, s14, (.LBB1_15764-.Lpost_getpc4297)&4294967295
	s_addc_u32 s15, s15, (.LBB1_15764-.Lpost_getpc4297)>>32
	s_setpc_b64 s[14:15]
.LBB1_1426:
	s_or_b64 exec, exec, s[6:7]
	s_and_saveexec_b64 s[6:7], s[4:5]
	s_cbranch_execz .LBB1_1428
.LBB1_1427:
	v_bfe_u32 v12, v6, 16, 3
	v_ffbh_u32_e32 v15, v12
	v_min_u32_e32 v15, 32, v15
	v_lshrrev_b32_e32 v13, 19, v6
	v_subrev_u32_e32 v16, 28, v15
	v_and_b32_e32 v13, 15, v13
	v_lshlrev_b32_sdwa v16, v16, v6 dst_sel:DWORD dst_unused:UNUSED_PAD src0_sel:DWORD src1_sel:WORD_1
	v_bfe_u32 v14, v6, 19, 4
	v_sub_u32_e32 v15, 29, v15
	v_and_b32_e32 v16, 7, v16
	v_cmp_eq_u16_e32 vcc, 0, v13
	v_cndmask_b32_e32 v12, v12, v16, vcc
	v_cndmask_b32_e32 v13, v14, v15, vcc
	v_lshlrev_b32_e32 v14, 8, v6
	v_mov_b32_e32 v15, 0x3b800000
	v_lshlrev_b32_e32 v12, 20, v12
	v_and_b32_e32 v14, 0x80000000, v14
	v_lshl_add_u32 v13, v13, 23, v15
	v_or3_b32 v12, v14, v13, v12
.LBB1_1428:
	s_or_b64 exec, exec, s[6:7]
	s_movk_i32 s4, 0xff
	v_and_b32_sdwa v13, v2, s4 dst_sel:DWORD dst_unused:UNUSED_PAD src0_sel:WORD_1 src1_sel:DWORD
	s_movk_i32 s4, 0x7f
	v_cmp_lt_i16_e32 vcc, s4, v13
	s_mov_b64 s[4:5], 0
                                        ; implicit-def: $sgpr10
	s_and_saveexec_b64 s[6:7], vcc
	s_xor_b64 s[6:7], exec, s[6:7]
	s_cbranch_execz .LBB1_1429
; %bb.37269:
	s_getpc_b64 s[14:15]
.Lpost_getpc4298:
	s_add_u32 s14, s14, (.LBB1_15765-.Lpost_getpc4298)&4294967295
	s_addc_u32 s15, s15, (.LBB1_15765-.Lpost_getpc4298)>>32
	s_setpc_b64 s[14:15]
.LBB1_1429:
	s_or_saveexec_b64 s[6:7], s[6:7]
	v_mov_b32_e32 v14, s10
	s_xor_b64 exec, exec, s[6:7]
	s_cbranch_execz .LBB1_1430
; %bb.37271:
	s_getpc_b64 s[14:15]
.Lpost_getpc4299:
	s_add_u32 s14, s14, (.LBB1_15768-.Lpost_getpc4299)&4294967295
	s_addc_u32 s15, s15, (.LBB1_15768-.Lpost_getpc4299)>>32
	s_setpc_b64 s[14:15]
.LBB1_1430:
	s_or_b64 exec, exec, s[6:7]
	s_and_saveexec_b64 s[6:7], s[4:5]
	s_cbranch_execz .LBB1_1432
.LBB1_1431:
	v_bfe_u32 v13, v2, 16, 3
	v_ffbh_u32_e32 v16, v13
	v_min_u32_e32 v16, 32, v16
	v_lshrrev_b32_e32 v14, 19, v2
	v_subrev_u32_e32 v17, 28, v16
	v_and_b32_e32 v14, 15, v14
	v_lshlrev_b32_sdwa v17, v17, v2 dst_sel:DWORD dst_unused:UNUSED_PAD src0_sel:DWORD src1_sel:WORD_1
	v_bfe_u32 v15, v2, 19, 4
	v_sub_u32_e32 v16, 29, v16
	v_and_b32_e32 v17, 7, v17
	v_cmp_eq_u16_e32 vcc, 0, v14
	v_cndmask_b32_e32 v13, v13, v17, vcc
	v_cndmask_b32_e32 v14, v15, v16, vcc
	v_lshlrev_b32_e32 v15, 8, v2
	v_mov_b32_e32 v16, 0x3b800000
	v_lshlrev_b32_e32 v13, 20, v13
	v_and_b32_e32 v15, 0x80000000, v15
	v_lshl_add_u32 v14, v14, 23, v16
	v_or3_b32 v14, v15, v14, v13
.LBB1_1432:
	s_or_b64 exec, exec, s[6:7]
	s_nop 0
	v_mfma_f32_16x16x4f32 a[0:3], v12, v14, a[0:3]
	s_movk_i32 s4, 0x7f
	v_cmp_gt_i16_sdwa s[6:7], v6, s4 src0_sel:BYTE_3 src1_sel:DWORD
	s_mov_b64 s[4:5], 0
                                        ; implicit-def: $sgpr10
	s_and_saveexec_b64 s[8:9], s[6:7]
	s_xor_b64 s[6:7], exec, s[8:9]
	s_cbranch_execz .LBB1_1433
; %bb.37273:
	s_getpc_b64 s[14:15]
.Lpost_getpc4300:
	s_add_u32 s14, s14, (.LBB1_15769-.Lpost_getpc4300)&4294967295
	s_addc_u32 s15, s15, (.LBB1_15769-.Lpost_getpc4300)>>32
	s_setpc_b64 s[14:15]
.LBB1_1433:
	s_or_saveexec_b64 s[6:7], s[6:7]
	v_mov_b32_e32 v12, s10
	s_xor_b64 exec, exec, s[6:7]
	s_cbranch_execz .LBB1_1434
; %bb.37275:
	s_getpc_b64 s[14:15]
.Lpost_getpc4301:
	s_add_u32 s14, s14, (.LBB1_15772-.Lpost_getpc4301)&4294967295
	s_addc_u32 s15, s15, (.LBB1_15772-.Lpost_getpc4301)>>32
	s_setpc_b64 s[14:15]
.LBB1_1434:
	s_or_b64 exec, exec, s[6:7]
	s_and_saveexec_b64 s[6:7], s[4:5]
	s_cbranch_execz .LBB1_1436
.LBB1_1435:
	v_bfe_u32 v12, v6, 24, 3
	v_ffbh_u32_e32 v16, v12
	v_min_u32_e32 v16, 32, v16
	v_lshrrev_b32_e32 v14, 27, v6
	v_subrev_u32_e32 v17, 28, v16
	v_and_b32_e32 v13, 0x80000000, v6
	v_and_b32_e32 v14, 15, v14
	v_bfe_u32 v15, v6, 27, 4
	v_lshlrev_b32_sdwa v6, v17, v6 dst_sel:DWORD dst_unused:UNUSED_PAD src0_sel:DWORD src1_sel:BYTE_3
	v_sub_u32_e32 v16, 29, v16
	v_and_b32_e32 v6, 7, v6
	v_cmp_eq_u16_e32 vcc, 0, v14
	v_cndmask_b32_e32 v6, v12, v6, vcc
	v_cndmask_b32_e32 v12, v15, v16, vcc
	v_mov_b32_e32 v14, 0x3b800000
	v_lshlrev_b32_e32 v6, 20, v6
	v_lshl_add_u32 v12, v12, 23, v14
	v_or3_b32 v12, v13, v12, v6
.LBB1_1436:
	s_or_b64 exec, exec, s[6:7]
	s_movk_i32 s4, 0x7f
	v_cmp_gt_i16_sdwa s[6:7], v2, s4 src0_sel:BYTE_3 src1_sel:DWORD
	s_mov_b64 s[4:5], 0
                                        ; implicit-def: $sgpr10
	s_and_saveexec_b64 s[8:9], s[6:7]
	s_xor_b64 s[6:7], exec, s[8:9]
	s_cbranch_execz .LBB1_1437
; %bb.37277:
	s_getpc_b64 s[14:15]
.Lpost_getpc4302:
	s_add_u32 s14, s14, (.LBB1_15773-.Lpost_getpc4302)&4294967295
	s_addc_u32 s15, s15, (.LBB1_15773-.Lpost_getpc4302)>>32
	s_setpc_b64 s[14:15]
.LBB1_1437:
	s_or_saveexec_b64 s[6:7], s[6:7]
	v_mov_b32_e32 v6, s10
	s_xor_b64 exec, exec, s[6:7]
	s_cbranch_execz .LBB1_1438
; %bb.37279:
	s_getpc_b64 s[14:15]
.Lpost_getpc4303:
	s_add_u32 s14, s14, (.LBB1_15776-.Lpost_getpc4303)&4294967295
	s_addc_u32 s15, s15, (.LBB1_15776-.Lpost_getpc4303)>>32
	s_setpc_b64 s[14:15]
.LBB1_1438:
	s_or_b64 exec, exec, s[6:7]
	s_and_saveexec_b64 s[6:7], s[4:5]
	s_cbranch_execz .LBB1_1440
.LBB1_1439:
	v_bfe_u32 v6, v2, 24, 3
	v_ffbh_u32_e32 v16, v6
	v_min_u32_e32 v16, 32, v16
	v_lshrrev_b32_e32 v14, 27, v2
	v_subrev_u32_e32 v17, 28, v16
	v_and_b32_e32 v13, 0x80000000, v2
	v_and_b32_e32 v14, 15, v14
	v_bfe_u32 v15, v2, 27, 4
	v_lshlrev_b32_sdwa v2, v17, v2 dst_sel:DWORD dst_unused:UNUSED_PAD src0_sel:DWORD src1_sel:BYTE_3
	v_sub_u32_e32 v16, 29, v16
	v_and_b32_e32 v2, 7, v2
	v_cmp_eq_u16_e32 vcc, 0, v14
	v_cndmask_b32_e32 v2, v6, v2, vcc
	v_cndmask_b32_e32 v6, v15, v16, vcc
	v_mov_b32_e32 v14, 0x3b800000
	v_lshlrev_b32_e32 v2, 20, v2
	v_lshl_add_u32 v6, v6, 23, v14
	v_or3_b32 v6, v13, v6, v2
.LBB1_1440:
	s_or_b64 exec, exec, s[6:7]
	s_nop 0
	v_mfma_f32_16x16x4f32 a[0:3], v12, v6, a[0:3]
	s_movk_i32 s4, 0x7f
	v_cmp_gt_i16_sdwa s[6:7], v7, s4 src0_sel:BYTE_0 src1_sel:DWORD
	s_mov_b64 s[4:5], 0
                                        ; implicit-def: $sgpr10
	s_and_saveexec_b64 s[8:9], s[6:7]
	s_xor_b64 s[6:7], exec, s[8:9]
	s_cbranch_execz .LBB1_1441
; %bb.37281:
	s_getpc_b64 s[14:15]
.Lpost_getpc4304:
	s_add_u32 s14, s14, (.LBB1_15777-.Lpost_getpc4304)&4294967295
	s_addc_u32 s15, s15, (.LBB1_15777-.Lpost_getpc4304)>>32
	s_setpc_b64 s[14:15]
.LBB1_1441:
	s_or_saveexec_b64 s[6:7], s[6:7]
	v_mov_b32_e32 v2, s10
	s_xor_b64 exec, exec, s[6:7]
	s_cbranch_execz .LBB1_1442
; %bb.37283:
	s_getpc_b64 s[14:15]
.Lpost_getpc4305:
	s_add_u32 s14, s14, (.LBB1_15780-.Lpost_getpc4305)&4294967295
	s_addc_u32 s15, s15, (.LBB1_15780-.Lpost_getpc4305)>>32
	s_setpc_b64 s[14:15]
.LBB1_1442:
	s_or_b64 exec, exec, s[6:7]
	s_and_saveexec_b64 s[6:7], s[4:5]
	s_cbranch_execz .LBB1_1444
.LBB1_1443:
	v_and_b32_e32 v2, 7, v7
	v_ffbh_u32_e32 v12, v2
	v_min_u32_e32 v12, 32, v12
	v_lshrrev_b16_e32 v6, 3, v7
	v_subrev_u32_e32 v13, 28, v12
	v_and_b32_e32 v6, 15, v6
	v_lshlrev_b32_e32 v13, v13, v7
	v_sub_u32_e32 v12, 29, v12
	v_and_b32_e32 v13, 7, v13
	v_cmp_eq_u16_e32 vcc, 0, v6
	v_cndmask_b32_e32 v2, v2, v13, vcc
	v_cndmask_b32_e32 v6, v6, v12, vcc
	v_lshlrev_b32_e32 v12, 24, v7
	v_mov_b32_e32 v13, 0x3b800000
	v_lshlrev_b32_e32 v2, 20, v2
	v_and_b32_e32 v12, 0x80000000, v12
	v_lshl_add_u32 v6, v6, 23, v13
	v_or3_b32 v2, v12, v6, v2
.LBB1_1444:
	s_or_b64 exec, exec, s[6:7]
	s_movk_i32 s4, 0x7f
	v_cmp_gt_i16_sdwa s[6:7], v3, s4 src0_sel:BYTE_0 src1_sel:DWORD
	s_mov_b64 s[4:5], 0
                                        ; implicit-def: $sgpr10
	s_and_saveexec_b64 s[8:9], s[6:7]
	s_xor_b64 s[6:7], exec, s[8:9]
	s_cbranch_execz .LBB1_1445
; %bb.37285:
	s_getpc_b64 s[14:15]
.Lpost_getpc4306:
	s_add_u32 s14, s14, (.LBB1_15781-.Lpost_getpc4306)&4294967295
	s_addc_u32 s15, s15, (.LBB1_15781-.Lpost_getpc4306)>>32
	s_setpc_b64 s[14:15]
.LBB1_1445:
	s_or_saveexec_b64 s[6:7], s[6:7]
	v_mov_b32_e32 v6, s10
	s_xor_b64 exec, exec, s[6:7]
	s_cbranch_execz .LBB1_1446
; %bb.37287:
	s_getpc_b64 s[14:15]
.Lpost_getpc4307:
	s_add_u32 s14, s14, (.LBB1_15784-.Lpost_getpc4307)&4294967295
	s_addc_u32 s15, s15, (.LBB1_15784-.Lpost_getpc4307)>>32
	s_setpc_b64 s[14:15]
.LBB1_1446:
	s_or_b64 exec, exec, s[6:7]
	s_and_saveexec_b64 s[6:7], s[4:5]
	s_cbranch_execz .LBB1_1448
.LBB1_1447:
	v_and_b32_e32 v6, 7, v3
	v_ffbh_u32_e32 v13, v6
	v_min_u32_e32 v13, 32, v13
	v_lshrrev_b16_e32 v12, 3, v3
	v_subrev_u32_e32 v14, 28, v13
	v_and_b32_e32 v12, 15, v12
	v_lshlrev_b32_e32 v14, v14, v3
	v_sub_u32_e32 v13, 29, v13
	v_and_b32_e32 v14, 7, v14
	v_cmp_eq_u16_e32 vcc, 0, v12
	v_cndmask_b32_e32 v6, v6, v14, vcc
	v_cndmask_b32_e32 v12, v12, v13, vcc
	v_lshlrev_b32_e32 v13, 24, v3
	v_mov_b32_e32 v14, 0x3b800000
	v_lshlrev_b32_e32 v6, 20, v6
	v_and_b32_e32 v13, 0x80000000, v13
	v_lshl_add_u32 v12, v12, 23, v14
	v_or3_b32 v6, v13, v12, v6
.LBB1_1448:
	s_or_b64 exec, exec, s[6:7]
	s_nop 0
	v_mfma_f32_16x16x4f32 a[0:3], v2, v6, a[0:3]
	v_lshrrev_b32_e32 v6, 8, v7
	s_movk_i32 s4, 0x7f
	v_cmp_gt_i16_sdwa s[6:7], v6, s4 src0_sel:BYTE_0 src1_sel:DWORD
	s_mov_b64 s[4:5], 0
                                        ; implicit-def: $sgpr10
	s_and_saveexec_b64 s[8:9], s[6:7]
	s_xor_b64 s[6:7], exec, s[8:9]
	s_cbranch_execz .LBB1_1449
; %bb.37289:
	s_getpc_b64 s[14:15]
.Lpost_getpc4308:
	s_add_u32 s14, s14, (.LBB1_15785-.Lpost_getpc4308)&4294967295
	s_addc_u32 s15, s15, (.LBB1_15785-.Lpost_getpc4308)>>32
	s_setpc_b64 s[14:15]
.LBB1_1449:
	s_or_saveexec_b64 s[6:7], s[6:7]
	v_mov_b32_e32 v2, s10
	s_xor_b64 exec, exec, s[6:7]
	s_cbranch_execz .LBB1_1450
; %bb.37291:
	s_getpc_b64 s[14:15]
.Lpost_getpc4309:
	s_add_u32 s14, s14, (.LBB1_15788-.Lpost_getpc4309)&4294967295
	s_addc_u32 s15, s15, (.LBB1_15788-.Lpost_getpc4309)>>32
	s_setpc_b64 s[14:15]
.LBB1_1450:
	s_or_b64 exec, exec, s[6:7]
	s_and_saveexec_b64 s[6:7], s[4:5]
	s_cbranch_execz .LBB1_1452
.LBB1_1451:
	v_bfe_u32 v2, v7, 8, 3
	v_ffbh_u32_e32 v13, v2
	v_min_u32_e32 v13, 32, v13
	v_lshrrev_b16_e32 v12, 3, v6
	v_subrev_u32_e32 v14, 28, v13
	v_and_b32_e32 v12, 15, v12
	v_lshlrev_b32_e32 v6, v14, v6
	v_sub_u32_e32 v13, 29, v13
	v_and_b32_e32 v6, 7, v6
	v_cmp_eq_u16_e32 vcc, 0, v12
	v_cndmask_b32_e32 v2, v2, v6, vcc
	v_cndmask_b32_e32 v6, v12, v13, vcc
	v_lshlrev_b32_e32 v12, 16, v7
	v_mov_b32_e32 v13, 0x3b800000
	v_lshlrev_b32_e32 v2, 20, v2
	v_and_b32_e32 v12, 0x80000000, v12
	v_lshl_add_u32 v6, v6, 23, v13
	v_or3_b32 v2, v12, v6, v2
.LBB1_1452:
	s_or_b64 exec, exec, s[6:7]
	v_lshrrev_b32_e32 v6, 8, v3
	s_movk_i32 s4, 0x7f
	v_cmp_gt_i16_sdwa s[6:7], v6, s4 src0_sel:BYTE_0 src1_sel:DWORD
	s_mov_b64 s[4:5], 0
                                        ; implicit-def: $sgpr10
	s_and_saveexec_b64 s[8:9], s[6:7]
	s_xor_b64 s[6:7], exec, s[8:9]
	s_cbranch_execz .LBB1_1453
; %bb.37293:
	s_getpc_b64 s[14:15]
.Lpost_getpc4310:
	s_add_u32 s14, s14, (.LBB1_15789-.Lpost_getpc4310)&4294967295
	s_addc_u32 s15, s15, (.LBB1_15789-.Lpost_getpc4310)>>32
	s_setpc_b64 s[14:15]
.LBB1_1453:
	s_or_saveexec_b64 s[6:7], s[6:7]
	v_mov_b32_e32 v12, s10
	s_xor_b64 exec, exec, s[6:7]
	s_cbranch_execz .LBB1_1454
; %bb.37295:
	s_getpc_b64 s[14:15]
.Lpost_getpc4311:
	s_add_u32 s14, s14, (.LBB1_15792-.Lpost_getpc4311)&4294967295
	s_addc_u32 s15, s15, (.LBB1_15792-.Lpost_getpc4311)>>32
	s_setpc_b64 s[14:15]
.LBB1_1454:
	s_or_b64 exec, exec, s[6:7]
	s_and_saveexec_b64 s[6:7], s[4:5]
	s_cbranch_execz .LBB1_1456
.LBB1_1455:
	v_bfe_u32 v12, v3, 8, 3
	v_ffbh_u32_e32 v14, v12
	v_min_u32_e32 v14, 32, v14
	v_lshrrev_b16_e32 v13, 3, v6
	v_subrev_u32_e32 v15, 28, v14
	v_and_b32_e32 v13, 15, v13
	v_lshlrev_b32_e32 v6, v15, v6
	v_sub_u32_e32 v14, 29, v14
	v_and_b32_e32 v6, 7, v6
	v_cmp_eq_u16_e32 vcc, 0, v13
	v_cndmask_b32_e32 v6, v12, v6, vcc
	v_cndmask_b32_e32 v12, v13, v14, vcc
	v_lshlrev_b32_e32 v13, 16, v3
	v_mov_b32_e32 v14, 0x3b800000
	v_lshlrev_b32_e32 v6, 20, v6
	v_and_b32_e32 v13, 0x80000000, v13
	v_lshl_add_u32 v12, v12, 23, v14
	v_or3_b32 v12, v13, v12, v6
.LBB1_1456:
	s_or_b64 exec, exec, s[6:7]
	s_nop 0
	v_mfma_f32_16x16x4f32 a[0:3], v2, v12, a[0:3]
	s_movk_i32 s4, 0xff
	v_and_b32_sdwa v6, v7, s4 dst_sel:DWORD dst_unused:UNUSED_PAD src0_sel:WORD_1 src1_sel:DWORD
	s_movk_i32 s4, 0x7f
	v_cmp_lt_i16_e32 vcc, s4, v6
	s_mov_b64 s[4:5], 0
                                        ; implicit-def: $sgpr10
	s_and_saveexec_b64 s[6:7], vcc
	s_xor_b64 s[6:7], exec, s[6:7]
	s_cbranch_execz .LBB1_1457
; %bb.37297:
	s_getpc_b64 s[14:15]
.Lpost_getpc4312:
	s_add_u32 s14, s14, (.LBB1_15793-.Lpost_getpc4312)&4294967295
	s_addc_u32 s15, s15, (.LBB1_15793-.Lpost_getpc4312)>>32
	s_setpc_b64 s[14:15]
.LBB1_1457:
	s_or_saveexec_b64 s[6:7], s[6:7]
	v_mov_b32_e32 v2, s10
	s_xor_b64 exec, exec, s[6:7]
	s_cbranch_execz .LBB1_1458
; %bb.37299:
	s_getpc_b64 s[14:15]
.Lpost_getpc4313:
	s_add_u32 s14, s14, (.LBB1_15796-.Lpost_getpc4313)&4294967295
	s_addc_u32 s15, s15, (.LBB1_15796-.Lpost_getpc4313)>>32
	s_setpc_b64 s[14:15]
.LBB1_1458:
	s_or_b64 exec, exec, s[6:7]
	s_and_saveexec_b64 s[6:7], s[4:5]
	s_cbranch_execz .LBB1_1460
.LBB1_1459:
	v_bfe_u32 v2, v7, 16, 3
	v_ffbh_u32_e32 v13, v2
	v_min_u32_e32 v13, 32, v13
	v_lshrrev_b32_e32 v6, 19, v7
	v_subrev_u32_e32 v14, 28, v13
	v_and_b32_e32 v6, 15, v6
	v_lshlrev_b32_sdwa v14, v14, v7 dst_sel:DWORD dst_unused:UNUSED_PAD src0_sel:DWORD src1_sel:WORD_1
	v_bfe_u32 v12, v7, 19, 4
	v_sub_u32_e32 v13, 29, v13
	v_and_b32_e32 v14, 7, v14
	v_cmp_eq_u16_e32 vcc, 0, v6
	v_cndmask_b32_e32 v2, v2, v14, vcc
	v_cndmask_b32_e32 v6, v12, v13, vcc
	v_lshlrev_b32_e32 v12, 8, v7
	v_mov_b32_e32 v13, 0x3b800000
	v_lshlrev_b32_e32 v2, 20, v2
	v_and_b32_e32 v12, 0x80000000, v12
	v_lshl_add_u32 v6, v6, 23, v13
	v_or3_b32 v2, v12, v6, v2
.LBB1_1460:
	s_or_b64 exec, exec, s[6:7]
	s_movk_i32 s4, 0xff
	v_and_b32_sdwa v6, v3, s4 dst_sel:DWORD dst_unused:UNUSED_PAD src0_sel:WORD_1 src1_sel:DWORD
	s_movk_i32 s4, 0x7f
	v_cmp_lt_i16_e32 vcc, s4, v6
	s_mov_b64 s[4:5], 0
                                        ; implicit-def: $sgpr10
	s_and_saveexec_b64 s[6:7], vcc
	s_xor_b64 s[6:7], exec, s[6:7]
	s_cbranch_execz .LBB1_1461
; %bb.37301:
	s_getpc_b64 s[14:15]
.Lpost_getpc4314:
	s_add_u32 s14, s14, (.LBB1_15797-.Lpost_getpc4314)&4294967295
	s_addc_u32 s15, s15, (.LBB1_15797-.Lpost_getpc4314)>>32
	s_setpc_b64 s[14:15]
.LBB1_1461:
	s_or_saveexec_b64 s[6:7], s[6:7]
	v_mov_b32_e32 v12, s10
	s_xor_b64 exec, exec, s[6:7]
	s_cbranch_execz .LBB1_1462
; %bb.37303:
	s_getpc_b64 s[14:15]
.Lpost_getpc4315:
	s_add_u32 s14, s14, (.LBB1_15800-.Lpost_getpc4315)&4294967295
	s_addc_u32 s15, s15, (.LBB1_15800-.Lpost_getpc4315)>>32
	s_setpc_b64 s[14:15]
.LBB1_1462:
	s_or_b64 exec, exec, s[6:7]
	s_and_saveexec_b64 s[6:7], s[4:5]
	s_cbranch_execz .LBB1_1464
.LBB1_1463:
	v_bfe_u32 v6, v3, 16, 3
	v_ffbh_u32_e32 v14, v6
	v_min_u32_e32 v14, 32, v14
	v_lshrrev_b32_e32 v12, 19, v3
	v_subrev_u32_e32 v15, 28, v14
	v_and_b32_e32 v12, 15, v12
	v_lshlrev_b32_sdwa v15, v15, v3 dst_sel:DWORD dst_unused:UNUSED_PAD src0_sel:DWORD src1_sel:WORD_1
	v_bfe_u32 v13, v3, 19, 4
	v_sub_u32_e32 v14, 29, v14
	v_and_b32_e32 v15, 7, v15
	v_cmp_eq_u16_e32 vcc, 0, v12
	v_cndmask_b32_e32 v6, v6, v15, vcc
	v_cndmask_b32_e32 v12, v13, v14, vcc
	v_lshlrev_b32_e32 v13, 8, v3
	v_mov_b32_e32 v14, 0x3b800000
	v_lshlrev_b32_e32 v6, 20, v6
	v_and_b32_e32 v13, 0x80000000, v13
	v_lshl_add_u32 v12, v12, 23, v14
	v_or3_b32 v12, v13, v12, v6
.LBB1_1464:
	s_or_b64 exec, exec, s[6:7]
	s_nop 0
	v_mfma_f32_16x16x4f32 a[0:3], v2, v12, a[0:3]
	s_movk_i32 s4, 0x7f
	v_cmp_gt_i16_sdwa s[6:7], v7, s4 src0_sel:BYTE_3 src1_sel:DWORD
	s_mov_b64 s[4:5], 0
                                        ; implicit-def: $sgpr10
	s_and_saveexec_b64 s[8:9], s[6:7]
	s_xor_b64 s[6:7], exec, s[8:9]
	s_cbranch_execz .LBB1_1465
; %bb.37305:
	s_getpc_b64 s[14:15]
.Lpost_getpc4316:
	s_add_u32 s14, s14, (.LBB1_15801-.Lpost_getpc4316)&4294967295
	s_addc_u32 s15, s15, (.LBB1_15801-.Lpost_getpc4316)>>32
	s_setpc_b64 s[14:15]
.LBB1_1465:
	s_or_saveexec_b64 s[6:7], s[6:7]
	v_mov_b32_e32 v2, s10
	s_xor_b64 exec, exec, s[6:7]
	s_cbranch_execz .LBB1_1466
; %bb.37307:
	s_getpc_b64 s[14:15]
.Lpost_getpc4317:
	s_add_u32 s14, s14, (.LBB1_15804-.Lpost_getpc4317)&4294967295
	s_addc_u32 s15, s15, (.LBB1_15804-.Lpost_getpc4317)>>32
	s_setpc_b64 s[14:15]
.LBB1_1466:
	s_or_b64 exec, exec, s[6:7]
	s_and_saveexec_b64 s[6:7], s[4:5]
	s_cbranch_execz .LBB1_1468
.LBB1_1467:
	v_bfe_u32 v2, v7, 24, 3
	v_ffbh_u32_e32 v14, v2
	v_min_u32_e32 v14, 32, v14
	v_lshrrev_b32_e32 v12, 27, v7
	v_subrev_u32_e32 v15, 28, v14
	v_and_b32_e32 v6, 0x80000000, v7
	v_and_b32_e32 v12, 15, v12
	v_bfe_u32 v13, v7, 27, 4
	v_lshlrev_b32_sdwa v7, v15, v7 dst_sel:DWORD dst_unused:UNUSED_PAD src0_sel:DWORD src1_sel:BYTE_3
	v_sub_u32_e32 v14, 29, v14
	v_and_b32_e32 v7, 7, v7
	v_cmp_eq_u16_e32 vcc, 0, v12
	v_cndmask_b32_e32 v2, v2, v7, vcc
	v_cndmask_b32_e32 v7, v13, v14, vcc
	v_mov_b32_e32 v12, 0x3b800000
	v_lshlrev_b32_e32 v2, 20, v2
	v_lshl_add_u32 v7, v7, 23, v12
	v_or3_b32 v2, v6, v7, v2
.LBB1_1468:
	s_or_b64 exec, exec, s[6:7]
	s_movk_i32 s4, 0x7f
	v_cmp_gt_i16_sdwa s[6:7], v3, s4 src0_sel:BYTE_3 src1_sel:DWORD
	s_mov_b64 s[4:5], 0
                                        ; implicit-def: $sgpr10
	s_and_saveexec_b64 s[8:9], s[6:7]
	s_xor_b64 s[6:7], exec, s[8:9]
	s_cbranch_execz .LBB1_1469
; %bb.37309:
	s_getpc_b64 s[14:15]
.Lpost_getpc4318:
	s_add_u32 s14, s14, (.LBB1_15805-.Lpost_getpc4318)&4294967295
	s_addc_u32 s15, s15, (.LBB1_15805-.Lpost_getpc4318)>>32
	s_setpc_b64 s[14:15]
.LBB1_1469:
	s_or_saveexec_b64 s[6:7], s[6:7]
	v_mov_b32_e32 v6, s10
	s_xor_b64 exec, exec, s[6:7]
	s_cbranch_execz .LBB1_1470
; %bb.37311:
	s_getpc_b64 s[14:15]
.Lpost_getpc4319:
	s_add_u32 s14, s14, (.LBB1_15808-.Lpost_getpc4319)&4294967295
	s_addc_u32 s15, s15, (.LBB1_15808-.Lpost_getpc4319)>>32
	s_setpc_b64 s[14:15]
.LBB1_1470:
	s_or_b64 exec, exec, s[6:7]
	s_and_saveexec_b64 s[6:7], s[4:5]
	s_cbranch_execz .LBB1_1472
.LBB1_1471:
	v_bfe_u32 v6, v3, 24, 3
	v_ffbh_u32_e32 v14, v6
	v_min_u32_e32 v14, 32, v14
	v_lshrrev_b32_e32 v12, 27, v3
	v_subrev_u32_e32 v15, 28, v14
	v_and_b32_e32 v7, 0x80000000, v3
	v_and_b32_e32 v12, 15, v12
	v_bfe_u32 v13, v3, 27, 4
	v_lshlrev_b32_sdwa v3, v15, v3 dst_sel:DWORD dst_unused:UNUSED_PAD src0_sel:DWORD src1_sel:BYTE_3
	v_sub_u32_e32 v14, 29, v14
	v_and_b32_e32 v3, 7, v3
	v_cmp_eq_u16_e32 vcc, 0, v12
	v_cndmask_b32_e32 v3, v6, v3, vcc
	v_cndmask_b32_e32 v6, v13, v14, vcc
	v_mov_b32_e32 v12, 0x3b800000
	v_lshlrev_b32_e32 v3, 20, v3
	v_lshl_add_u32 v6, v6, 23, v12
	v_or3_b32 v6, v7, v6, v3
.LBB1_1472:
	s_or_b64 exec, exec, s[6:7]
	s_nop 0
	v_mfma_f32_16x16x4f32 a[0:3], v2, v6, a[0:3]
	s_movk_i32 s4, 0x7f
	v_cmp_gt_i16_sdwa s[6:7], v8, s4 src0_sel:BYTE_0 src1_sel:DWORD
	s_mov_b64 s[4:5], 0
                                        ; implicit-def: $sgpr10
	s_and_saveexec_b64 s[8:9], s[6:7]
	s_xor_b64 s[6:7], exec, s[8:9]
	s_cbranch_execz .LBB1_1473
; %bb.37313:
	s_getpc_b64 s[14:15]
.Lpost_getpc4320:
	s_add_u32 s14, s14, (.LBB1_15809-.Lpost_getpc4320)&4294967295
	s_addc_u32 s15, s15, (.LBB1_15809-.Lpost_getpc4320)>>32
	s_setpc_b64 s[14:15]
.LBB1_1473:
	s_or_saveexec_b64 s[6:7], s[6:7]
	v_mov_b32_e32 v2, s10
	s_xor_b64 exec, exec, s[6:7]
	s_cbranch_execz .LBB1_1474
; %bb.37315:
	s_getpc_b64 s[14:15]
.Lpost_getpc4321:
	s_add_u32 s14, s14, (.LBB1_15812-.Lpost_getpc4321)&4294967295
	s_addc_u32 s15, s15, (.LBB1_15812-.Lpost_getpc4321)>>32
	s_setpc_b64 s[14:15]
.LBB1_1474:
	s_or_b64 exec, exec, s[6:7]
	s_and_saveexec_b64 s[6:7], s[4:5]
	s_cbranch_execz .LBB1_1476
.LBB1_1475:
	v_and_b32_e32 v2, 7, v8
	v_ffbh_u32_e32 v6, v2
	v_min_u32_e32 v6, 32, v6
	v_lshrrev_b16_e32 v3, 3, v8
	v_subrev_u32_e32 v7, 28, v6
	v_and_b32_e32 v3, 15, v3
	v_lshlrev_b32_e32 v7, v7, v8
	v_sub_u32_e32 v6, 29, v6
	v_and_b32_e32 v7, 7, v7
	v_cmp_eq_u16_e32 vcc, 0, v3
	v_cndmask_b32_e32 v2, v2, v7, vcc
	v_cndmask_b32_e32 v3, v3, v6, vcc
	v_lshlrev_b32_e32 v6, 24, v8
	v_mov_b32_e32 v7, 0x3b800000
	v_lshlrev_b32_e32 v2, 20, v2
	v_and_b32_e32 v6, 0x80000000, v6
	v_lshl_add_u32 v3, v3, 23, v7
	v_or3_b32 v2, v6, v3, v2
.LBB1_1476:
	s_or_b64 exec, exec, s[6:7]
	s_movk_i32 s4, 0x7f
	v_cmp_gt_i16_sdwa s[6:7], v4, s4 src0_sel:BYTE_0 src1_sel:DWORD
	s_mov_b64 s[4:5], 0
                                        ; implicit-def: $sgpr10
	s_and_saveexec_b64 s[8:9], s[6:7]
	s_xor_b64 s[6:7], exec, s[8:9]
	s_cbranch_execz .LBB1_1477
; %bb.37317:
	s_getpc_b64 s[14:15]
.Lpost_getpc4322:
	s_add_u32 s14, s14, (.LBB1_15813-.Lpost_getpc4322)&4294967295
	s_addc_u32 s15, s15, (.LBB1_15813-.Lpost_getpc4322)>>32
	s_setpc_b64 s[14:15]
.LBB1_1477:
	s_or_saveexec_b64 s[6:7], s[6:7]
	v_mov_b32_e32 v3, s10
	s_xor_b64 exec, exec, s[6:7]
	s_cbranch_execz .LBB1_1478
; %bb.37319:
	s_getpc_b64 s[14:15]
.Lpost_getpc4323:
	s_add_u32 s14, s14, (.LBB1_15816-.Lpost_getpc4323)&4294967295
	s_addc_u32 s15, s15, (.LBB1_15816-.Lpost_getpc4323)>>32
	s_setpc_b64 s[14:15]
.LBB1_1478:
	s_or_b64 exec, exec, s[6:7]
	s_and_saveexec_b64 s[6:7], s[4:5]
	s_cbranch_execz .LBB1_1480
.LBB1_1479:
	v_and_b32_e32 v3, 7, v4
	v_ffbh_u32_e32 v7, v3
	v_min_u32_e32 v7, 32, v7
	v_lshrrev_b16_e32 v6, 3, v4
	v_subrev_u32_e32 v12, 28, v7
	v_and_b32_e32 v6, 15, v6
	v_lshlrev_b32_e32 v12, v12, v4
	v_sub_u32_e32 v7, 29, v7
	v_and_b32_e32 v12, 7, v12
	v_cmp_eq_u16_e32 vcc, 0, v6
	v_cndmask_b32_e32 v3, v3, v12, vcc
	v_cndmask_b32_e32 v6, v6, v7, vcc
	v_lshlrev_b32_e32 v7, 24, v4
	v_mov_b32_e32 v12, 0x3b800000
	v_lshlrev_b32_e32 v3, 20, v3
	v_and_b32_e32 v7, 0x80000000, v7
	v_lshl_add_u32 v6, v6, 23, v12
	v_or3_b32 v3, v7, v6, v3
.LBB1_1480:
	s_or_b64 exec, exec, s[6:7]
	s_nop 0
	v_mfma_f32_16x16x4f32 a[0:3], v2, v3, a[0:3]
	v_lshrrev_b32_e32 v3, 8, v8
	s_movk_i32 s4, 0x7f
	v_cmp_gt_i16_sdwa s[6:7], v3, s4 src0_sel:BYTE_0 src1_sel:DWORD
	s_mov_b64 s[4:5], 0
                                        ; implicit-def: $sgpr10
	s_and_saveexec_b64 s[8:9], s[6:7]
	s_xor_b64 s[6:7], exec, s[8:9]
	s_cbranch_execz .LBB1_1481
; %bb.37321:
	s_getpc_b64 s[14:15]
.Lpost_getpc4324:
	s_add_u32 s14, s14, (.LBB1_15817-.Lpost_getpc4324)&4294967295
	s_addc_u32 s15, s15, (.LBB1_15817-.Lpost_getpc4324)>>32
	s_setpc_b64 s[14:15]
.LBB1_1481:
	s_or_saveexec_b64 s[6:7], s[6:7]
	v_mov_b32_e32 v2, s10
	s_xor_b64 exec, exec, s[6:7]
	s_cbranch_execz .LBB1_1482
; %bb.37323:
	s_getpc_b64 s[14:15]
.Lpost_getpc4325:
	s_add_u32 s14, s14, (.LBB1_15820-.Lpost_getpc4325)&4294967295
	s_addc_u32 s15, s15, (.LBB1_15820-.Lpost_getpc4325)>>32
	s_setpc_b64 s[14:15]
.LBB1_1482:
	s_or_b64 exec, exec, s[6:7]
	s_and_saveexec_b64 s[6:7], s[4:5]
	s_cbranch_execz .LBB1_1484
.LBB1_1483:
	v_bfe_u32 v2, v8, 8, 3
	v_ffbh_u32_e32 v7, v2
	v_min_u32_e32 v7, 32, v7
	v_lshrrev_b16_e32 v6, 3, v3
	v_subrev_u32_e32 v12, 28, v7
	v_and_b32_e32 v6, 15, v6
	v_lshlrev_b32_e32 v3, v12, v3
	v_sub_u32_e32 v7, 29, v7
	v_and_b32_e32 v3, 7, v3
	v_cmp_eq_u16_e32 vcc, 0, v6
	v_cndmask_b32_e32 v2, v2, v3, vcc
	v_cndmask_b32_e32 v3, v6, v7, vcc
	v_lshlrev_b32_e32 v6, 16, v8
	v_mov_b32_e32 v7, 0x3b800000
	v_lshlrev_b32_e32 v2, 20, v2
	v_and_b32_e32 v6, 0x80000000, v6
	v_lshl_add_u32 v3, v3, 23, v7
	v_or3_b32 v2, v6, v3, v2
.LBB1_1484:
	s_or_b64 exec, exec, s[6:7]
	v_lshrrev_b32_e32 v3, 8, v4
	s_movk_i32 s4, 0x7f
	v_cmp_gt_i16_sdwa s[6:7], v3, s4 src0_sel:BYTE_0 src1_sel:DWORD
	s_mov_b64 s[4:5], 0
                                        ; implicit-def: $sgpr10
	s_and_saveexec_b64 s[8:9], s[6:7]
	s_xor_b64 s[6:7], exec, s[8:9]
	s_cbranch_execz .LBB1_1485
; %bb.37325:
	s_getpc_b64 s[14:15]
.Lpost_getpc4326:
	s_add_u32 s14, s14, (.LBB1_15821-.Lpost_getpc4326)&4294967295
	s_addc_u32 s15, s15, (.LBB1_15821-.Lpost_getpc4326)>>32
	s_setpc_b64 s[14:15]
.LBB1_1485:
	s_or_saveexec_b64 s[6:7], s[6:7]
	v_mov_b32_e32 v6, s10
	s_xor_b64 exec, exec, s[6:7]
	s_cbranch_execz .LBB1_1486
; %bb.37327:
	s_getpc_b64 s[14:15]
.Lpost_getpc4327:
	s_add_u32 s14, s14, (.LBB1_15824-.Lpost_getpc4327)&4294967295
	s_addc_u32 s15, s15, (.LBB1_15824-.Lpost_getpc4327)>>32
	s_setpc_b64 s[14:15]
.LBB1_1486:
	s_or_b64 exec, exec, s[6:7]
	s_and_saveexec_b64 s[6:7], s[4:5]
	s_cbranch_execz .LBB1_1488
.LBB1_1487:
	v_bfe_u32 v6, v4, 8, 3
	v_ffbh_u32_e32 v12, v6
	v_min_u32_e32 v12, 32, v12
	v_lshrrev_b16_e32 v7, 3, v3
	v_subrev_u32_e32 v13, 28, v12
	v_and_b32_e32 v7, 15, v7
	v_lshlrev_b32_e32 v3, v13, v3
	v_sub_u32_e32 v12, 29, v12
	v_and_b32_e32 v3, 7, v3
	v_cmp_eq_u16_e32 vcc, 0, v7
	v_cndmask_b32_e32 v3, v6, v3, vcc
	v_cndmask_b32_e32 v6, v7, v12, vcc
	v_lshlrev_b32_e32 v7, 16, v4
	v_mov_b32_e32 v12, 0x3b800000
	v_lshlrev_b32_e32 v3, 20, v3
	v_and_b32_e32 v7, 0x80000000, v7
	v_lshl_add_u32 v6, v6, 23, v12
	v_or3_b32 v6, v7, v6, v3
.LBB1_1488:
	s_or_b64 exec, exec, s[6:7]
	s_nop 0
	v_mfma_f32_16x16x4f32 a[0:3], v2, v6, a[0:3]
	s_movk_i32 s4, 0xff
	v_and_b32_sdwa v3, v8, s4 dst_sel:DWORD dst_unused:UNUSED_PAD src0_sel:WORD_1 src1_sel:DWORD
	s_movk_i32 s4, 0x7f
	v_cmp_lt_i16_e32 vcc, s4, v3
	s_mov_b64 s[4:5], 0
                                        ; implicit-def: $sgpr10
	s_and_saveexec_b64 s[6:7], vcc
	s_xor_b64 s[6:7], exec, s[6:7]
	s_cbranch_execz .LBB1_1489
; %bb.37329:
	s_getpc_b64 s[14:15]
.Lpost_getpc4328:
	s_add_u32 s14, s14, (.LBB1_15825-.Lpost_getpc4328)&4294967295
	s_addc_u32 s15, s15, (.LBB1_15825-.Lpost_getpc4328)>>32
	s_setpc_b64 s[14:15]
.LBB1_1489:
	s_or_saveexec_b64 s[6:7], s[6:7]
	v_mov_b32_e32 v2, s10
	s_xor_b64 exec, exec, s[6:7]
	s_cbranch_execz .LBB1_1490
; %bb.37331:
	s_getpc_b64 s[14:15]
.Lpost_getpc4329:
	s_add_u32 s14, s14, (.LBB1_15828-.Lpost_getpc4329)&4294967295
	s_addc_u32 s15, s15, (.LBB1_15828-.Lpost_getpc4329)>>32
	s_setpc_b64 s[14:15]
.LBB1_1490:
	s_or_b64 exec, exec, s[6:7]
	s_and_saveexec_b64 s[6:7], s[4:5]
	s_cbranch_execz .LBB1_1492
.LBB1_1491:
	v_bfe_u32 v2, v8, 16, 3
	v_ffbh_u32_e32 v7, v2
	v_min_u32_e32 v7, 32, v7
	v_lshrrev_b32_e32 v3, 19, v8
	v_subrev_u32_e32 v12, 28, v7
	v_and_b32_e32 v3, 15, v3
	v_lshlrev_b32_sdwa v12, v12, v8 dst_sel:DWORD dst_unused:UNUSED_PAD src0_sel:DWORD src1_sel:WORD_1
	v_bfe_u32 v6, v8, 19, 4
	v_sub_u32_e32 v7, 29, v7
	v_and_b32_e32 v12, 7, v12
	v_cmp_eq_u16_e32 vcc, 0, v3
	v_cndmask_b32_e32 v2, v2, v12, vcc
	v_cndmask_b32_e32 v3, v6, v7, vcc
	v_lshlrev_b32_e32 v6, 8, v8
	v_mov_b32_e32 v7, 0x3b800000
	v_lshlrev_b32_e32 v2, 20, v2
	v_and_b32_e32 v6, 0x80000000, v6
	v_lshl_add_u32 v3, v3, 23, v7
	v_or3_b32 v2, v6, v3, v2
.LBB1_1492:
	s_or_b64 exec, exec, s[6:7]
	s_movk_i32 s4, 0xff
	v_and_b32_sdwa v3, v4, s4 dst_sel:DWORD dst_unused:UNUSED_PAD src0_sel:WORD_1 src1_sel:DWORD
	s_movk_i32 s4, 0x7f
	v_cmp_lt_i16_e32 vcc, s4, v3
	s_mov_b64 s[4:5], 0
                                        ; implicit-def: $sgpr10
	s_and_saveexec_b64 s[6:7], vcc
	s_xor_b64 s[6:7], exec, s[6:7]
	s_cbranch_execz .LBB1_1493
; %bb.37333:
	s_getpc_b64 s[14:15]
.Lpost_getpc4330:
	s_add_u32 s14, s14, (.LBB1_15829-.Lpost_getpc4330)&4294967295
	s_addc_u32 s15, s15, (.LBB1_15829-.Lpost_getpc4330)>>32
	s_setpc_b64 s[14:15]
.LBB1_1493:
	s_or_saveexec_b64 s[6:7], s[6:7]
	v_mov_b32_e32 v6, s10
	s_xor_b64 exec, exec, s[6:7]
	s_cbranch_execz .LBB1_1494
; %bb.37335:
	s_getpc_b64 s[14:15]
.Lpost_getpc4331:
	s_add_u32 s14, s14, (.LBB1_15832-.Lpost_getpc4331)&4294967295
	s_addc_u32 s15, s15, (.LBB1_15832-.Lpost_getpc4331)>>32
	s_setpc_b64 s[14:15]
.LBB1_1494:
	s_or_b64 exec, exec, s[6:7]
	s_and_saveexec_b64 s[6:7], s[4:5]
	s_cbranch_execz .LBB1_1496
.LBB1_1495:
	v_bfe_u32 v3, v4, 16, 3
	v_ffbh_u32_e32 v12, v3
	v_min_u32_e32 v12, 32, v12
	v_lshrrev_b32_e32 v6, 19, v4
	v_subrev_u32_e32 v13, 28, v12
	v_and_b32_e32 v6, 15, v6
	v_lshlrev_b32_sdwa v13, v13, v4 dst_sel:DWORD dst_unused:UNUSED_PAD src0_sel:DWORD src1_sel:WORD_1
	v_bfe_u32 v7, v4, 19, 4
	v_sub_u32_e32 v12, 29, v12
	v_and_b32_e32 v13, 7, v13
	v_cmp_eq_u16_e32 vcc, 0, v6
	v_cndmask_b32_e32 v3, v3, v13, vcc
	v_cndmask_b32_e32 v6, v7, v12, vcc
	v_lshlrev_b32_e32 v7, 8, v4
	v_mov_b32_e32 v12, 0x3b800000
	v_lshlrev_b32_e32 v3, 20, v3
	v_and_b32_e32 v7, 0x80000000, v7
	v_lshl_add_u32 v6, v6, 23, v12
	v_or3_b32 v6, v7, v6, v3
.LBB1_1496:
	s_or_b64 exec, exec, s[6:7]
	s_nop 0
	v_mfma_f32_16x16x4f32 a[0:3], v2, v6, a[0:3]
	s_movk_i32 s4, 0x7f
	v_cmp_gt_i16_sdwa s[6:7], v8, s4 src0_sel:BYTE_3 src1_sel:DWORD
	s_mov_b64 s[4:5], 0
                                        ; implicit-def: $sgpr10
	s_and_saveexec_b64 s[8:9], s[6:7]
	s_xor_b64 s[6:7], exec, s[8:9]
	s_cbranch_execz .LBB1_1497
; %bb.37337:
	s_getpc_b64 s[14:15]
.Lpost_getpc4332:
	s_add_u32 s14, s14, (.LBB1_15833-.Lpost_getpc4332)&4294967295
	s_addc_u32 s15, s15, (.LBB1_15833-.Lpost_getpc4332)>>32
	s_setpc_b64 s[14:15]
.LBB1_1497:
	s_or_saveexec_b64 s[6:7], s[6:7]
	v_mov_b32_e32 v2, s10
	s_xor_b64 exec, exec, s[6:7]
	s_cbranch_execz .LBB1_1498
; %bb.37339:
	s_getpc_b64 s[14:15]
.Lpost_getpc4333:
	s_add_u32 s14, s14, (.LBB1_15836-.Lpost_getpc4333)&4294967295
	s_addc_u32 s15, s15, (.LBB1_15836-.Lpost_getpc4333)>>32
	s_setpc_b64 s[14:15]
.LBB1_1498:
	s_or_b64 exec, exec, s[6:7]
	s_and_saveexec_b64 s[6:7], s[4:5]
	s_cbranch_execz .LBB1_1500
.LBB1_1499:
	v_bfe_u32 v2, v8, 24, 3
	v_ffbh_u32_e32 v12, v2
	v_min_u32_e32 v12, 32, v12
	v_lshrrev_b32_e32 v6, 27, v8
	v_subrev_u32_e32 v13, 28, v12
	v_and_b32_e32 v3, 0x80000000, v8
	v_and_b32_e32 v6, 15, v6
	v_bfe_u32 v7, v8, 27, 4
	v_lshlrev_b32_sdwa v8, v13, v8 dst_sel:DWORD dst_unused:UNUSED_PAD src0_sel:DWORD src1_sel:BYTE_3
	v_sub_u32_e32 v12, 29, v12
	v_and_b32_e32 v8, 7, v8
	v_cmp_eq_u16_e32 vcc, 0, v6
	v_cndmask_b32_e32 v2, v2, v8, vcc
	v_cndmask_b32_e32 v6, v7, v12, vcc
	v_mov_b32_e32 v7, 0x3b800000
	v_lshlrev_b32_e32 v2, 20, v2
	v_lshl_add_u32 v6, v6, 23, v7
	v_or3_b32 v2, v3, v6, v2
.LBB1_1500:
	s_or_b64 exec, exec, s[6:7]
	s_movk_i32 s4, 0x7f
	v_cmp_gt_i16_sdwa s[6:7], v4, s4 src0_sel:BYTE_3 src1_sel:DWORD
	s_mov_b64 s[4:5], 0
                                        ; implicit-def: $sgpr10
	s_and_saveexec_b64 s[8:9], s[6:7]
	s_xor_b64 s[6:7], exec, s[8:9]
	s_cbranch_execz .LBB1_1501
; %bb.37341:
	s_getpc_b64 s[14:15]
.Lpost_getpc4334:
	s_add_u32 s14, s14, (.LBB1_15837-.Lpost_getpc4334)&4294967295
	s_addc_u32 s15, s15, (.LBB1_15837-.Lpost_getpc4334)>>32
	s_setpc_b64 s[14:15]
.LBB1_1501:
	s_or_saveexec_b64 s[6:7], s[6:7]
	v_mov_b32_e32 v3, s10
	s_xor_b64 exec, exec, s[6:7]
	s_cbranch_execz .LBB1_1502
; %bb.37343:
	s_getpc_b64 s[14:15]
.Lpost_getpc4335:
	s_add_u32 s14, s14, (.LBB1_15840-.Lpost_getpc4335)&4294967295
	s_addc_u32 s15, s15, (.LBB1_15840-.Lpost_getpc4335)>>32
	s_setpc_b64 s[14:15]
.LBB1_1502:
	s_or_b64 exec, exec, s[6:7]
	s_and_saveexec_b64 s[6:7], s[4:5]
	s_cbranch_execz .LBB1_1504
.LBB1_1503:
	v_bfe_u32 v3, v4, 24, 3
	v_ffbh_u32_e32 v12, v3
	v_min_u32_e32 v12, 32, v12
	v_lshrrev_b32_e32 v7, 27, v4
	v_subrev_u32_e32 v13, 28, v12
	v_and_b32_e32 v6, 0x80000000, v4
	v_and_b32_e32 v7, 15, v7
	v_bfe_u32 v8, v4, 27, 4
	v_lshlrev_b32_sdwa v4, v13, v4 dst_sel:DWORD dst_unused:UNUSED_PAD src0_sel:DWORD src1_sel:BYTE_3
	v_sub_u32_e32 v12, 29, v12
	v_and_b32_e32 v4, 7, v4
	v_cmp_eq_u16_e32 vcc, 0, v7
	v_cndmask_b32_e32 v3, v3, v4, vcc
	v_cndmask_b32_e32 v4, v8, v12, vcc
	v_mov_b32_e32 v7, 0x3b800000
	v_lshlrev_b32_e32 v3, 20, v3
	v_lshl_add_u32 v4, v4, 23, v7
	v_or3_b32 v3, v6, v4, v3
.LBB1_1504:
	s_or_b64 exec, exec, s[6:7]
	s_nop 0
	v_mfma_f32_16x16x4f32 a[0:3], v2, v3, a[0:3]
	s_movk_i32 s4, 0x7f
	v_cmp_gt_i16_sdwa s[6:7], v9, s4 src0_sel:BYTE_0 src1_sel:DWORD
	s_mov_b64 s[4:5], 0
                                        ; implicit-def: $sgpr10
	s_and_saveexec_b64 s[8:9], s[6:7]
	s_xor_b64 s[6:7], exec, s[8:9]
	s_cbranch_execz .LBB1_1505
; %bb.37345:
	s_getpc_b64 s[14:15]
.Lpost_getpc4336:
	s_add_u32 s14, s14, (.LBB1_15841-.Lpost_getpc4336)&4294967295
	s_addc_u32 s15, s15, (.LBB1_15841-.Lpost_getpc4336)>>32
	s_setpc_b64 s[14:15]
.LBB1_1505:
	s_or_saveexec_b64 s[6:7], s[6:7]
	v_mov_b32_e32 v2, s10
	s_xor_b64 exec, exec, s[6:7]
	s_cbranch_execz .LBB1_1506
; %bb.37347:
	s_getpc_b64 s[14:15]
.Lpost_getpc4337:
	s_add_u32 s14, s14, (.LBB1_15844-.Lpost_getpc4337)&4294967295
	s_addc_u32 s15, s15, (.LBB1_15844-.Lpost_getpc4337)>>32
	s_setpc_b64 s[14:15]
.LBB1_1506:
	s_or_b64 exec, exec, s[6:7]
	s_and_saveexec_b64 s[6:7], s[4:5]
	s_cbranch_execz .LBB1_1508
.LBB1_1507:
	v_mov_b32_e32 v2, 8
	v_and_b32_e32 v3, 7, v9
	v_lshrrev_b32_sdwa v2, v2, v9 dst_sel:BYTE_1 dst_unused:UNUSED_PAD src0_sel:DWORD src1_sel:DWORD
	v_ffbh_u32_e32 v4, v3
	v_or_b32_sdwa v2, v9, v2 dst_sel:DWORD dst_unused:UNUSED_PAD src0_sel:BYTE_0 src1_sel:DWORD
	v_min_u32_e32 v4, 32, v4
	v_lshrrev_b16_e32 v2, 3, v2
	v_subrev_u32_e32 v6, 28, v4
	v_and_b32_e32 v2, 15, v2
	v_lshlrev_b32_e32 v6, v6, v9
	v_sub_u32_e32 v4, 29, v4
	v_and_b32_e32 v6, 7, v6
	v_cmp_eq_u16_e32 vcc, 0, v2
	v_cndmask_b32_e32 v3, v3, v6, vcc
	v_cndmask_b32_e32 v2, v2, v4, vcc
	v_lshlrev_b32_e32 v4, 24, v9
	v_mov_b32_e32 v6, 0x3b800000
	v_lshlrev_b32_e32 v3, 20, v3
	v_and_b32_e32 v4, 0x80000000, v4
	v_lshl_add_u32 v2, v2, 23, v6
	v_or3_b32 v2, v4, v2, v3
.LBB1_1508:
	s_or_b64 exec, exec, s[6:7]
	s_movk_i32 s4, 0x7f
	v_cmp_gt_i16_sdwa s[6:7], v5, s4 src0_sel:BYTE_0 src1_sel:DWORD
	s_mov_b64 s[4:5], 0
                                        ; implicit-def: $sgpr10
	s_and_saveexec_b64 s[8:9], s[6:7]
	s_xor_b64 s[6:7], exec, s[8:9]
	s_cbranch_execz .LBB1_1509
; %bb.37349:
	s_getpc_b64 s[14:15]
.Lpost_getpc4338:
	s_add_u32 s14, s14, (.LBB1_15845-.Lpost_getpc4338)&4294967295
	s_addc_u32 s15, s15, (.LBB1_15845-.Lpost_getpc4338)>>32
	s_setpc_b64 s[14:15]
.LBB1_1509:
	s_or_saveexec_b64 s[6:7], s[6:7]
	v_mov_b32_e32 v3, s10
	s_xor_b64 exec, exec, s[6:7]
	s_cbranch_execz .LBB1_1510
; %bb.37351:
	s_getpc_b64 s[14:15]
.Lpost_getpc4339:
	s_add_u32 s14, s14, (.LBB1_15848-.Lpost_getpc4339)&4294967295
	s_addc_u32 s15, s15, (.LBB1_15848-.Lpost_getpc4339)>>32
	s_setpc_b64 s[14:15]
.LBB1_1510:
	s_or_b64 exec, exec, s[6:7]
	s_and_saveexec_b64 s[6:7], s[4:5]
	s_cbranch_execz .LBB1_1512
.LBB1_1511:
	v_mov_b32_e32 v3, 8
	v_and_b32_e32 v4, 7, v5
	v_lshrrev_b32_sdwa v3, v3, v5 dst_sel:BYTE_1 dst_unused:UNUSED_PAD src0_sel:DWORD src1_sel:DWORD
	v_ffbh_u32_e32 v6, v4
	v_or_b32_sdwa v3, v5, v3 dst_sel:DWORD dst_unused:UNUSED_PAD src0_sel:BYTE_0 src1_sel:DWORD
	v_min_u32_e32 v6, 32, v6
	v_lshrrev_b16_e32 v3, 3, v3
	v_subrev_u32_e32 v7, 28, v6
	v_and_b32_e32 v3, 15, v3
	v_lshlrev_b32_e32 v7, v7, v5
	v_sub_u32_e32 v6, 29, v6
	v_and_b32_e32 v7, 7, v7
	v_cmp_eq_u16_e32 vcc, 0, v3
	v_cndmask_b32_e32 v4, v4, v7, vcc
	v_cndmask_b32_e32 v3, v3, v6, vcc
	v_lshlrev_b32_e32 v6, 24, v5
	v_mov_b32_e32 v7, 0x3b800000
	v_lshlrev_b32_e32 v4, 20, v4
	v_and_b32_e32 v6, 0x80000000, v6
	v_lshl_add_u32 v3, v3, 23, v7
	v_or3_b32 v3, v6, v3, v4
.LBB1_1512:
	s_or_b64 exec, exec, s[6:7]
	s_nop 0
	v_mfma_f32_16x16x4f32 a[0:3], v2, v3, a[0:3]
	v_lshrrev_b32_e32 v3, 8, v9
	s_movk_i32 s4, 0x7f
	v_cmp_gt_i16_sdwa s[6:7], v3, s4 src0_sel:BYTE_0 src1_sel:DWORD
	s_mov_b64 s[4:5], 0
                                        ; implicit-def: $sgpr10
	s_and_saveexec_b64 s[8:9], s[6:7]
	s_xor_b64 s[6:7], exec, s[8:9]
	s_cbranch_execz .LBB1_1513
; %bb.37353:
	s_getpc_b64 s[14:15]
.Lpost_getpc4340:
	s_add_u32 s14, s14, (.LBB1_15849-.Lpost_getpc4340)&4294967295
	s_addc_u32 s15, s15, (.LBB1_15849-.Lpost_getpc4340)>>32
	s_setpc_b64 s[14:15]
.LBB1_1513:
	s_or_saveexec_b64 s[6:7], s[6:7]
	v_mov_b32_e32 v2, s10
	s_xor_b64 exec, exec, s[6:7]
	s_cbranch_execz .LBB1_1514
; %bb.37355:
	s_getpc_b64 s[14:15]
.Lpost_getpc4341:
	s_add_u32 s14, s14, (.LBB1_15852-.Lpost_getpc4341)&4294967295
	s_addc_u32 s15, s15, (.LBB1_15852-.Lpost_getpc4341)>>32
	s_setpc_b64 s[14:15]
.LBB1_1514:
	s_or_b64 exec, exec, s[6:7]
	s_and_saveexec_b64 s[6:7], s[4:5]
	s_cbranch_execz .LBB1_1516
.LBB1_1515:
	v_bfe_u32 v2, v9, 8, 3
	v_ffbh_u32_e32 v6, v2
	v_min_u32_e32 v6, 32, v6
	v_lshrrev_b16_e32 v4, 3, v3
	v_subrev_u32_e32 v7, 28, v6
	v_and_b32_e32 v4, 15, v4
	v_lshlrev_b32_e32 v3, v7, v3
	v_sub_u32_e32 v6, 29, v6
	v_and_b32_e32 v3, 7, v3
	v_cmp_eq_u16_e32 vcc, 0, v4
	v_cndmask_b32_e32 v2, v2, v3, vcc
	v_cndmask_b32_e32 v3, v4, v6, vcc
	v_lshlrev_b32_e32 v4, 16, v9
	v_mov_b32_e32 v6, 0x3b800000
	v_lshlrev_b32_e32 v2, 20, v2
	v_and_b32_e32 v4, 0x80000000, v4
	v_lshl_add_u32 v3, v3, 23, v6
	v_or3_b32 v2, v4, v3, v2
.LBB1_1516:
	s_or_b64 exec, exec, s[6:7]
	v_lshrrev_b32_e32 v3, 8, v5
	s_movk_i32 s4, 0x7f
	v_cmp_gt_i16_sdwa s[6:7], v3, s4 src0_sel:BYTE_0 src1_sel:DWORD
	s_mov_b64 s[4:5], 0
                                        ; implicit-def: $sgpr10
	s_and_saveexec_b64 s[8:9], s[6:7]
	s_xor_b64 s[6:7], exec, s[8:9]
	s_cbranch_execz .LBB1_1517
; %bb.37357:
	s_getpc_b64 s[14:15]
.Lpost_getpc4342:
	s_add_u32 s14, s14, (.LBB1_15853-.Lpost_getpc4342)&4294967295
	s_addc_u32 s15, s15, (.LBB1_15853-.Lpost_getpc4342)>>32
	s_setpc_b64 s[14:15]
.LBB1_1517:
	s_or_saveexec_b64 s[6:7], s[6:7]
	v_mov_b32_e32 v4, s10
	s_xor_b64 exec, exec, s[6:7]
	s_cbranch_execz .LBB1_1518
; %bb.37359:
	s_getpc_b64 s[14:15]
.Lpost_getpc4343:
	s_add_u32 s14, s14, (.LBB1_15856-.Lpost_getpc4343)&4294967295
	s_addc_u32 s15, s15, (.LBB1_15856-.Lpost_getpc4343)>>32
	s_setpc_b64 s[14:15]
.LBB1_1518:
	s_or_b64 exec, exec, s[6:7]
	s_and_saveexec_b64 s[6:7], s[4:5]
	s_cbranch_execz .LBB1_1520
.LBB1_1519:
	v_bfe_u32 v4, v5, 8, 3
	v_ffbh_u32_e32 v7, v4
	v_min_u32_e32 v7, 32, v7
	v_lshrrev_b16_e32 v6, 3, v3
	v_subrev_u32_e32 v8, 28, v7
	v_and_b32_e32 v6, 15, v6
	v_lshlrev_b32_e32 v3, v8, v3
	v_sub_u32_e32 v7, 29, v7
	v_and_b32_e32 v3, 7, v3
	v_cmp_eq_u16_e32 vcc, 0, v6
	v_cndmask_b32_e32 v3, v4, v3, vcc
	v_cndmask_b32_e32 v4, v6, v7, vcc
	v_lshlrev_b32_e32 v6, 16, v5
	v_mov_b32_e32 v7, 0x3b800000
	v_lshlrev_b32_e32 v3, 20, v3
	v_and_b32_e32 v6, 0x80000000, v6
	v_lshl_add_u32 v4, v4, 23, v7
	v_or3_b32 v4, v6, v4, v3
.LBB1_1520:
	s_or_b64 exec, exec, s[6:7]
	s_nop 0
	v_mfma_f32_16x16x4f32 a[0:3], v2, v4, a[0:3]
	s_movk_i32 s4, 0xff
	v_and_b32_sdwa v3, v9, s4 dst_sel:DWORD dst_unused:UNUSED_PAD src0_sel:WORD_1 src1_sel:DWORD
	s_movk_i32 s4, 0x7f
	v_cmp_lt_i16_e32 vcc, s4, v3
	s_mov_b64 s[4:5], 0
                                        ; implicit-def: $sgpr10
	s_and_saveexec_b64 s[6:7], vcc
	s_xor_b64 s[6:7], exec, s[6:7]
	s_cbranch_execz .LBB1_1521
; %bb.37361:
	s_getpc_b64 s[14:15]
.Lpost_getpc4344:
	s_add_u32 s14, s14, (.LBB1_15857-.Lpost_getpc4344)&4294967295
	s_addc_u32 s15, s15, (.LBB1_15857-.Lpost_getpc4344)>>32
	s_setpc_b64 s[14:15]
.LBB1_1521:
	s_or_saveexec_b64 s[6:7], s[6:7]
	v_mov_b32_e32 v2, s10
	s_xor_b64 exec, exec, s[6:7]
	s_cbranch_execz .LBB1_1522
; %bb.37363:
	s_getpc_b64 s[14:15]
.Lpost_getpc4345:
	s_add_u32 s14, s14, (.LBB1_15860-.Lpost_getpc4345)&4294967295
	s_addc_u32 s15, s15, (.LBB1_15860-.Lpost_getpc4345)>>32
	s_setpc_b64 s[14:15]
.LBB1_1522:
	s_or_b64 exec, exec, s[6:7]
	s_and_saveexec_b64 s[6:7], s[4:5]
	s_cbranch_execz .LBB1_1524
.LBB1_1523:
	v_bfe_u32 v2, v9, 16, 3
	v_ffbh_u32_e32 v6, v2
	v_min_u32_e32 v6, 32, v6
	v_lshrrev_b32_e32 v3, 19, v9
	v_subrev_u32_e32 v7, 28, v6
	v_and_b32_e32 v3, 15, v3
	v_lshlrev_b32_sdwa v7, v7, v9 dst_sel:DWORD dst_unused:UNUSED_PAD src0_sel:DWORD src1_sel:WORD_1
	v_bfe_u32 v4, v9, 19, 4
	v_sub_u32_e32 v6, 29, v6
	v_and_b32_e32 v7, 7, v7
	v_cmp_eq_u16_e32 vcc, 0, v3
	v_cndmask_b32_e32 v2, v2, v7, vcc
	v_cndmask_b32_e32 v3, v4, v6, vcc
	v_lshlrev_b32_e32 v4, 8, v9
	v_mov_b32_e32 v6, 0x3b800000
	v_lshlrev_b32_e32 v2, 20, v2
	v_and_b32_e32 v4, 0x80000000, v4
	v_lshl_add_u32 v3, v3, 23, v6
	v_or3_b32 v2, v4, v3, v2
.LBB1_1524:
	s_or_b64 exec, exec, s[6:7]
	s_movk_i32 s4, 0xff
	v_and_b32_sdwa v3, v5, s4 dst_sel:DWORD dst_unused:UNUSED_PAD src0_sel:WORD_1 src1_sel:DWORD
	s_movk_i32 s4, 0x7f
	v_cmp_lt_i16_e32 vcc, s4, v3
	s_mov_b64 s[4:5], 0
                                        ; implicit-def: $sgpr10
	s_and_saveexec_b64 s[6:7], vcc
	s_xor_b64 s[6:7], exec, s[6:7]
	s_cbranch_execz .LBB1_1525
; %bb.37365:
	s_getpc_b64 s[14:15]
.Lpost_getpc4346:
	s_add_u32 s14, s14, (.LBB1_15861-.Lpost_getpc4346)&4294967295
	s_addc_u32 s15, s15, (.LBB1_15861-.Lpost_getpc4346)>>32
	s_setpc_b64 s[14:15]
.LBB1_1525:
	s_or_saveexec_b64 s[6:7], s[6:7]
	v_mov_b32_e32 v4, s10
	s_xor_b64 exec, exec, s[6:7]
	s_cbranch_execz .LBB1_1526
; %bb.37367:
	s_getpc_b64 s[14:15]
.Lpost_getpc4347:
	s_add_u32 s14, s14, (.LBB1_15864-.Lpost_getpc4347)&4294967295
	s_addc_u32 s15, s15, (.LBB1_15864-.Lpost_getpc4347)>>32
	s_setpc_b64 s[14:15]
.LBB1_1526:
	s_or_b64 exec, exec, s[6:7]
	s_and_saveexec_b64 s[6:7], s[4:5]
	s_cbranch_execz .LBB1_1528
.LBB1_1527:
	v_bfe_u32 v3, v5, 16, 3
	v_ffbh_u32_e32 v7, v3
	v_min_u32_e32 v7, 32, v7
	v_lshrrev_b32_e32 v4, 19, v5
	v_subrev_u32_e32 v8, 28, v7
	v_and_b32_e32 v4, 15, v4
	v_lshlrev_b32_sdwa v8, v8, v5 dst_sel:DWORD dst_unused:UNUSED_PAD src0_sel:DWORD src1_sel:WORD_1
	v_bfe_u32 v6, v5, 19, 4
	v_sub_u32_e32 v7, 29, v7
	v_and_b32_e32 v8, 7, v8
	v_cmp_eq_u16_e32 vcc, 0, v4
	v_cndmask_b32_e32 v3, v3, v8, vcc
	v_cndmask_b32_e32 v4, v6, v7, vcc
	v_lshlrev_b32_e32 v6, 8, v5
	v_mov_b32_e32 v7, 0x3b800000
	v_lshlrev_b32_e32 v3, 20, v3
	v_and_b32_e32 v6, 0x80000000, v6
	v_lshl_add_u32 v4, v4, 23, v7
	v_or3_b32 v4, v6, v4, v3
.LBB1_1528:
	s_or_b64 exec, exec, s[6:7]
	s_nop 0
	v_mfma_f32_16x16x4f32 a[0:3], v2, v4, a[0:3]
	s_movk_i32 s4, 0x7f
	v_cmp_gt_i16_sdwa s[6:7], v9, s4 src0_sel:BYTE_3 src1_sel:DWORD
	s_mov_b64 s[4:5], 0
                                        ; implicit-def: $sgpr10
	s_and_saveexec_b64 s[8:9], s[6:7]
	s_xor_b64 s[6:7], exec, s[8:9]
	s_cbranch_execz .LBB1_1529
; %bb.37369:
	s_getpc_b64 s[14:15]
.Lpost_getpc4348:
	s_add_u32 s14, s14, (.LBB1_15865-.Lpost_getpc4348)&4294967295
	s_addc_u32 s15, s15, (.LBB1_15865-.Lpost_getpc4348)>>32
	s_setpc_b64 s[14:15]
.LBB1_1529:
	s_or_saveexec_b64 s[6:7], s[6:7]
	v_mov_b32_e32 v2, s10
	s_xor_b64 exec, exec, s[6:7]
	s_cbranch_execz .LBB1_1530
; %bb.37371:
	s_getpc_b64 s[14:15]
.Lpost_getpc4349:
	s_add_u32 s14, s14, (.LBB1_15868-.Lpost_getpc4349)&4294967295
	s_addc_u32 s15, s15, (.LBB1_15868-.Lpost_getpc4349)>>32
	s_setpc_b64 s[14:15]
.LBB1_1530:
	s_or_b64 exec, exec, s[6:7]
	s_and_saveexec_b64 s[6:7], s[4:5]
	s_cbranch_execz .LBB1_1532
.LBB1_1531:
	v_bfe_u32 v2, v9, 24, 3
	v_ffbh_u32_e32 v7, v2
	v_min_u32_e32 v7, 32, v7
	v_lshrrev_b32_e32 v4, 27, v9
	v_subrev_u32_e32 v8, 28, v7
	v_and_b32_e32 v4, 15, v4
	v_lshlrev_b32_sdwa v8, v8, v9 dst_sel:DWORD dst_unused:UNUSED_PAD src0_sel:DWORD src1_sel:BYTE_3
	v_bfe_u32 v6, v9, 27, 4
	v_sub_u32_e32 v7, 29, v7
	v_and_b32_e32 v8, 7, v8
	v_cmp_eq_u16_e32 vcc, 0, v4
	v_cndmask_b32_e32 v2, v2, v8, vcc
	v_cndmask_b32_e32 v4, v6, v7, vcc
	v_mov_b32_e32 v6, 0x3b800000
	v_and_b32_e32 v3, 0x80000000, v9
	v_lshlrev_b32_e32 v2, 20, v2
	v_lshl_add_u32 v4, v4, 23, v6
	v_or3_b32 v2, v3, v4, v2
.LBB1_1532:
	s_or_b64 exec, exec, s[6:7]
	s_movk_i32 s4, 0x7f
	v_cmp_gt_i16_sdwa s[6:7], v5, s4 src0_sel:BYTE_3 src1_sel:DWORD
	s_mov_b64 s[4:5], 0
                                        ; implicit-def: $sgpr10
	s_and_saveexec_b64 s[8:9], s[6:7]
	s_xor_b64 s[6:7], exec, s[8:9]
	s_cbranch_execz .LBB1_1533
; %bb.37373:
	s_getpc_b64 s[14:15]
.Lpost_getpc4350:
	s_add_u32 s14, s14, (.LBB1_15869-.Lpost_getpc4350)&4294967295
	s_addc_u32 s15, s15, (.LBB1_15869-.Lpost_getpc4350)>>32
	s_setpc_b64 s[14:15]
.LBB1_1533:
	s_or_saveexec_b64 s[6:7], s[6:7]
	v_mov_b32_e32 v3, s10
	s_xor_b64 exec, exec, s[6:7]
	s_cbranch_execz .LBB1_1534
; %bb.37375:
	s_getpc_b64 s[14:15]
.Lpost_getpc4351:
	s_add_u32 s14, s14, (.LBB1_15872-.Lpost_getpc4351)&4294967295
	s_addc_u32 s15, s15, (.LBB1_15872-.Lpost_getpc4351)>>32
	s_setpc_b64 s[14:15]
.LBB1_1534:
	s_or_b64 exec, exec, s[6:7]
	s_and_saveexec_b64 s[6:7], s[4:5]
	s_cbranch_execz .LBB1_1536
.LBB1_1535:
	v_bfe_u32 v3, v5, 24, 3
	v_ffbh_u32_e32 v8, v3
	v_min_u32_e32 v8, 32, v8
	v_lshrrev_b32_e32 v6, 27, v5
	v_subrev_u32_e32 v9, 28, v8
	v_and_b32_e32 v4, 0x80000000, v5
	v_and_b32_e32 v6, 15, v6
	v_bfe_u32 v7, v5, 27, 4
	v_lshlrev_b32_sdwa v5, v9, v5 dst_sel:DWORD dst_unused:UNUSED_PAD src0_sel:DWORD src1_sel:BYTE_3
	v_sub_u32_e32 v8, 29, v8
	v_and_b32_e32 v5, 7, v5
	v_cmp_eq_u16_e32 vcc, 0, v6
	v_cndmask_b32_e32 v3, v3, v5, vcc
	v_cndmask_b32_e32 v5, v7, v8, vcc
	v_mov_b32_e32 v6, 0x3b800000
	v_lshlrev_b32_e32 v3, 20, v3
	v_lshl_add_u32 v5, v5, 23, v6
	v_or3_b32 v3, v4, v5, v3
.LBB1_1536:
	s_or_b64 exec, exec, s[6:7]
	s_nop 0
	v_mfma_f32_16x16x4f32 a[0:3], v2, v3, a[0:3]
	s_movk_i32 s4, 0x7f
                                        ; implicit-def: $sgpr10
	s_nop 7
	s_nop 1
	flat_store_dwordx4 v[10:11], a[0:3] offset:176
	flat_load_dwordx4 v[12:15], v[0:1]
	s_nop 0
	flat_load_dwordx2 v[10:11], v[0:1] offset:16
	s_waitcnt vmcnt(0) lgkmcnt(0)
	flat_load_dwordx4 v[6:9], v[12:13] offset:16
	flat_load_dwordx4 v[2:5], v[14:15] offset:64
	s_waitcnt vmcnt(0) lgkmcnt(0)
	v_cmp_gt_i16_sdwa s[6:7], v6, s4 src0_sel:BYTE_0 src1_sel:DWORD
	s_mov_b64 s[4:5], 0
	s_and_saveexec_b64 s[8:9], s[6:7]
	s_xor_b64 s[6:7], exec, s[8:9]
	s_cbranch_execz .LBB1_1537
; %bb.37377:
	s_getpc_b64 s[14:15]
.Lpost_getpc4352:
	s_add_u32 s14, s14, (.LBB1_15873-.Lpost_getpc4352)&4294967295
	s_addc_u32 s15, s15, (.LBB1_15873-.Lpost_getpc4352)>>32
	s_setpc_b64 s[14:15]
.LBB1_1537:
	s_or_saveexec_b64 s[6:7], s[6:7]
	v_mov_b32_e32 v12, s10
	s_xor_b64 exec, exec, s[6:7]
	s_cbranch_execz .LBB1_1538
; %bb.37379:
	s_getpc_b64 s[14:15]
.Lpost_getpc4353:
	s_add_u32 s14, s14, (.LBB1_15876-.Lpost_getpc4353)&4294967295
	s_addc_u32 s15, s15, (.LBB1_15876-.Lpost_getpc4353)>>32
	s_setpc_b64 s[14:15]
.LBB1_1538:
	s_or_b64 exec, exec, s[6:7]
	s_and_saveexec_b64 s[6:7], s[4:5]
	s_cbranch_execz .LBB1_1540
.LBB1_1539:
	v_and_b32_e32 v12, 7, v6
	v_ffbh_u32_e32 v14, v12
	v_min_u32_e32 v14, 32, v14
	v_lshrrev_b16_e32 v13, 3, v6
	v_subrev_u32_e32 v15, 28, v14
	v_and_b32_e32 v13, 15, v13
	v_lshlrev_b32_e32 v15, v15, v6
	v_sub_u32_e32 v14, 29, v14
	v_and_b32_e32 v15, 7, v15
	v_cmp_eq_u16_e32 vcc, 0, v13
	v_cndmask_b32_e32 v12, v12, v15, vcc
	v_cndmask_b32_e32 v13, v13, v14, vcc
	v_lshlrev_b32_e32 v14, 24, v6
	v_mov_b32_e32 v15, 0x3b800000
	v_lshlrev_b32_e32 v12, 20, v12
	v_and_b32_e32 v14, 0x80000000, v14
	v_lshl_add_u32 v13, v13, 23, v15
	v_or3_b32 v12, v14, v13, v12
.LBB1_1540:
	s_or_b64 exec, exec, s[6:7]
	s_movk_i32 s4, 0x7f
	v_cmp_gt_i16_sdwa s[6:7], v2, s4 src0_sel:BYTE_0 src1_sel:DWORD
	s_mov_b64 s[4:5], 0
                                        ; implicit-def: $sgpr10
	s_and_saveexec_b64 s[8:9], s[6:7]
	s_xor_b64 s[6:7], exec, s[8:9]
	s_cbranch_execz .LBB1_1541
; %bb.37381:
	s_getpc_b64 s[14:15]
.Lpost_getpc4354:
	s_add_u32 s14, s14, (.LBB1_15877-.Lpost_getpc4354)&4294967295
	s_addc_u32 s15, s15, (.LBB1_15877-.Lpost_getpc4354)>>32
	s_setpc_b64 s[14:15]
.LBB1_1541:
	s_or_saveexec_b64 s[6:7], s[6:7]
	v_mov_b32_e32 v13, s10
	s_xor_b64 exec, exec, s[6:7]
	s_cbranch_execz .LBB1_1542
; %bb.37383:
	s_getpc_b64 s[14:15]
.Lpost_getpc4355:
	s_add_u32 s14, s14, (.LBB1_15880-.Lpost_getpc4355)&4294967295
	s_addc_u32 s15, s15, (.LBB1_15880-.Lpost_getpc4355)>>32
	s_setpc_b64 s[14:15]
.LBB1_1542:
	s_or_b64 exec, exec, s[6:7]
	s_and_saveexec_b64 s[6:7], s[4:5]
	s_cbranch_execz .LBB1_1544
.LBB1_1543:
	v_and_b32_e32 v13, 7, v2
	v_ffbh_u32_e32 v15, v13
	v_min_u32_e32 v15, 32, v15
	v_lshrrev_b16_e32 v14, 3, v2
	v_subrev_u32_e32 v16, 28, v15
	v_and_b32_e32 v14, 15, v14
	v_lshlrev_b32_e32 v16, v16, v2
	v_sub_u32_e32 v15, 29, v15
	v_and_b32_e32 v16, 7, v16
	v_cmp_eq_u16_e32 vcc, 0, v14
	v_cndmask_b32_e32 v13, v13, v16, vcc
	v_cndmask_b32_e32 v14, v14, v15, vcc
	v_lshlrev_b32_e32 v15, 24, v2
	v_mov_b32_e32 v16, 0x3b800000
	v_lshlrev_b32_e32 v13, 20, v13
	v_and_b32_e32 v15, 0x80000000, v15
	v_lshl_add_u32 v14, v14, 23, v16
	v_or3_b32 v13, v15, v14, v13
.LBB1_1544:
	s_or_b64 exec, exec, s[6:7]
	flat_load_dwordx4 a[0:3], v[10:11] offset:192
	s_movk_i32 s4, 0x7f
                                        ; implicit-def: $sgpr10
	s_waitcnt vmcnt(0) lgkmcnt(0)
	v_mfma_f32_16x16x4f32 a[0:3], v12, v13, a[0:3]
	v_lshrrev_b32_e32 v13, 8, v6
	v_cmp_gt_i16_sdwa s[6:7], v13, s4 src0_sel:BYTE_0 src1_sel:DWORD
	s_mov_b64 s[4:5], 0
	s_and_saveexec_b64 s[8:9], s[6:7]
	s_xor_b64 s[6:7], exec, s[8:9]
	s_cbranch_execz .LBB1_1545
; %bb.37385:
	s_getpc_b64 s[14:15]
.Lpost_getpc4356:
	s_add_u32 s14, s14, (.LBB1_15881-.Lpost_getpc4356)&4294967295
	s_addc_u32 s15, s15, (.LBB1_15881-.Lpost_getpc4356)>>32
	s_setpc_b64 s[14:15]
.LBB1_1545:
	s_or_saveexec_b64 s[6:7], s[6:7]
	v_mov_b32_e32 v12, s10
	s_xor_b64 exec, exec, s[6:7]
	s_cbranch_execz .LBB1_1546
; %bb.37387:
	s_getpc_b64 s[14:15]
.Lpost_getpc4357:
	s_add_u32 s14, s14, (.LBB1_15884-.Lpost_getpc4357)&4294967295
	s_addc_u32 s15, s15, (.LBB1_15884-.Lpost_getpc4357)>>32
	s_setpc_b64 s[14:15]
.LBB1_1546:
	s_or_b64 exec, exec, s[6:7]
	s_and_saveexec_b64 s[6:7], s[4:5]
	s_cbranch_execz .LBB1_1548
.LBB1_1547:
	v_bfe_u32 v12, v6, 8, 3
	v_ffbh_u32_e32 v15, v12
	v_min_u32_e32 v15, 32, v15
	v_lshrrev_b16_e32 v14, 3, v13
	v_subrev_u32_e32 v16, 28, v15
	v_and_b32_e32 v14, 15, v14
	v_lshlrev_b32_e32 v13, v16, v13
	v_sub_u32_e32 v15, 29, v15
	v_and_b32_e32 v13, 7, v13
	v_cmp_eq_u16_e32 vcc, 0, v14
	v_cndmask_b32_e32 v12, v12, v13, vcc
	v_cndmask_b32_e32 v13, v14, v15, vcc
	v_lshlrev_b32_e32 v14, 16, v6
	v_mov_b32_e32 v15, 0x3b800000
	v_lshlrev_b32_e32 v12, 20, v12
	v_and_b32_e32 v14, 0x80000000, v14
	v_lshl_add_u32 v13, v13, 23, v15
	v_or3_b32 v12, v14, v13, v12
.LBB1_1548:
	s_or_b64 exec, exec, s[6:7]
	v_lshrrev_b32_e32 v13, 8, v2
	s_movk_i32 s4, 0x7f
	v_cmp_gt_i16_sdwa s[6:7], v13, s4 src0_sel:BYTE_0 src1_sel:DWORD
	s_mov_b64 s[4:5], 0
                                        ; implicit-def: $sgpr10
	s_and_saveexec_b64 s[8:9], s[6:7]
	s_xor_b64 s[6:7], exec, s[8:9]
	s_cbranch_execz .LBB1_1549
; %bb.37389:
	s_getpc_b64 s[14:15]
.Lpost_getpc4358:
	s_add_u32 s14, s14, (.LBB1_15885-.Lpost_getpc4358)&4294967295
	s_addc_u32 s15, s15, (.LBB1_15885-.Lpost_getpc4358)>>32
	s_setpc_b64 s[14:15]
.LBB1_1549:
	s_or_saveexec_b64 s[6:7], s[6:7]
	v_mov_b32_e32 v14, s10
	s_xor_b64 exec, exec, s[6:7]
	s_cbranch_execz .LBB1_1550
; %bb.37391:
	s_getpc_b64 s[14:15]
.Lpost_getpc4359:
	s_add_u32 s14, s14, (.LBB1_15888-.Lpost_getpc4359)&4294967295
	s_addc_u32 s15, s15, (.LBB1_15888-.Lpost_getpc4359)>>32
	s_setpc_b64 s[14:15]
.LBB1_1550:
	s_or_b64 exec, exec, s[6:7]
	s_and_saveexec_b64 s[6:7], s[4:5]
	s_cbranch_execz .LBB1_1552
.LBB1_1551:
	v_bfe_u32 v14, v2, 8, 3
	v_ffbh_u32_e32 v16, v14
	v_min_u32_e32 v16, 32, v16
	v_lshrrev_b16_e32 v15, 3, v13
	v_subrev_u32_e32 v17, 28, v16
	v_and_b32_e32 v15, 15, v15
	v_lshlrev_b32_e32 v13, v17, v13
	v_sub_u32_e32 v16, 29, v16
	v_and_b32_e32 v13, 7, v13
	v_cmp_eq_u16_e32 vcc, 0, v15
	v_cndmask_b32_e32 v13, v14, v13, vcc
	v_cndmask_b32_e32 v14, v15, v16, vcc
	v_lshlrev_b32_e32 v15, 16, v2
	v_mov_b32_e32 v16, 0x3b800000
	v_lshlrev_b32_e32 v13, 20, v13
	v_and_b32_e32 v15, 0x80000000, v15
	v_lshl_add_u32 v14, v14, 23, v16
	v_or3_b32 v14, v15, v14, v13
.LBB1_1552:
	s_or_b64 exec, exec, s[6:7]
	s_nop 0
	v_mfma_f32_16x16x4f32 a[0:3], v12, v14, a[0:3]
	s_movk_i32 s4, 0xff
	v_and_b32_sdwa v13, v6, s4 dst_sel:DWORD dst_unused:UNUSED_PAD src0_sel:WORD_1 src1_sel:DWORD
	s_movk_i32 s4, 0x7f
	v_cmp_lt_i16_e32 vcc, s4, v13
	s_mov_b64 s[4:5], 0
                                        ; implicit-def: $sgpr10
	s_and_saveexec_b64 s[6:7], vcc
	s_xor_b64 s[6:7], exec, s[6:7]
	s_cbranch_execz .LBB1_1553
; %bb.37393:
	s_getpc_b64 s[14:15]
.Lpost_getpc4360:
	s_add_u32 s14, s14, (.LBB1_15889-.Lpost_getpc4360)&4294967295
	s_addc_u32 s15, s15, (.LBB1_15889-.Lpost_getpc4360)>>32
	s_setpc_b64 s[14:15]
.LBB1_1553:
	s_or_saveexec_b64 s[6:7], s[6:7]
	v_mov_b32_e32 v12, s10
	s_xor_b64 exec, exec, s[6:7]
	s_cbranch_execz .LBB1_1554
; %bb.37395:
	s_getpc_b64 s[14:15]
.Lpost_getpc4361:
	s_add_u32 s14, s14, (.LBB1_15892-.Lpost_getpc4361)&4294967295
	s_addc_u32 s15, s15, (.LBB1_15892-.Lpost_getpc4361)>>32
	s_setpc_b64 s[14:15]
.LBB1_1554:
	s_or_b64 exec, exec, s[6:7]
	s_and_saveexec_b64 s[6:7], s[4:5]
	s_cbranch_execz .LBB1_1556
.LBB1_1555:
	v_bfe_u32 v12, v6, 16, 3
	v_ffbh_u32_e32 v15, v12
	v_min_u32_e32 v15, 32, v15
	v_lshrrev_b32_e32 v13, 19, v6
	v_subrev_u32_e32 v16, 28, v15
	v_and_b32_e32 v13, 15, v13
	v_lshlrev_b32_sdwa v16, v16, v6 dst_sel:DWORD dst_unused:UNUSED_PAD src0_sel:DWORD src1_sel:WORD_1
	v_bfe_u32 v14, v6, 19, 4
	v_sub_u32_e32 v15, 29, v15
	v_and_b32_e32 v16, 7, v16
	v_cmp_eq_u16_e32 vcc, 0, v13
	v_cndmask_b32_e32 v12, v12, v16, vcc
	v_cndmask_b32_e32 v13, v14, v15, vcc
	v_lshlrev_b32_e32 v14, 8, v6
	v_mov_b32_e32 v15, 0x3b800000
	v_lshlrev_b32_e32 v12, 20, v12
	v_and_b32_e32 v14, 0x80000000, v14
	v_lshl_add_u32 v13, v13, 23, v15
	v_or3_b32 v12, v14, v13, v12
.LBB1_1556:
	s_or_b64 exec, exec, s[6:7]
	s_movk_i32 s4, 0xff
	v_and_b32_sdwa v13, v2, s4 dst_sel:DWORD dst_unused:UNUSED_PAD src0_sel:WORD_1 src1_sel:DWORD
	s_movk_i32 s4, 0x7f
	v_cmp_lt_i16_e32 vcc, s4, v13
	s_mov_b64 s[4:5], 0
                                        ; implicit-def: $sgpr10
	s_and_saveexec_b64 s[6:7], vcc
	s_xor_b64 s[6:7], exec, s[6:7]
	s_cbranch_execz .LBB1_1557
; %bb.37397:
	s_getpc_b64 s[14:15]
.Lpost_getpc4362:
	s_add_u32 s14, s14, (.LBB1_15893-.Lpost_getpc4362)&4294967295
	s_addc_u32 s15, s15, (.LBB1_15893-.Lpost_getpc4362)>>32
	s_setpc_b64 s[14:15]
.LBB1_1557:
	s_or_saveexec_b64 s[6:7], s[6:7]
	v_mov_b32_e32 v14, s10
	s_xor_b64 exec, exec, s[6:7]
	s_cbranch_execz .LBB1_1558
; %bb.37399:
	s_getpc_b64 s[14:15]
.Lpost_getpc4363:
	s_add_u32 s14, s14, (.LBB1_15896-.Lpost_getpc4363)&4294967295
	s_addc_u32 s15, s15, (.LBB1_15896-.Lpost_getpc4363)>>32
	s_setpc_b64 s[14:15]
.LBB1_1558:
	s_or_b64 exec, exec, s[6:7]
	s_and_saveexec_b64 s[6:7], s[4:5]
	s_cbranch_execz .LBB1_1560
.LBB1_1559:
	v_bfe_u32 v13, v2, 16, 3
	v_ffbh_u32_e32 v16, v13
	v_min_u32_e32 v16, 32, v16
	v_lshrrev_b32_e32 v14, 19, v2
	v_subrev_u32_e32 v17, 28, v16
	v_and_b32_e32 v14, 15, v14
	v_lshlrev_b32_sdwa v17, v17, v2 dst_sel:DWORD dst_unused:UNUSED_PAD src0_sel:DWORD src1_sel:WORD_1
	v_bfe_u32 v15, v2, 19, 4
	v_sub_u32_e32 v16, 29, v16
	v_and_b32_e32 v17, 7, v17
	v_cmp_eq_u16_e32 vcc, 0, v14
	v_cndmask_b32_e32 v13, v13, v17, vcc
	v_cndmask_b32_e32 v14, v15, v16, vcc
	v_lshlrev_b32_e32 v15, 8, v2
	v_mov_b32_e32 v16, 0x3b800000
	v_lshlrev_b32_e32 v13, 20, v13
	v_and_b32_e32 v15, 0x80000000, v15
	v_lshl_add_u32 v14, v14, 23, v16
	v_or3_b32 v14, v15, v14, v13
.LBB1_1560:
	s_or_b64 exec, exec, s[6:7]
	s_nop 0
	v_mfma_f32_16x16x4f32 a[0:3], v12, v14, a[0:3]
	s_movk_i32 s4, 0x7f
	v_cmp_gt_i16_sdwa s[6:7], v6, s4 src0_sel:BYTE_3 src1_sel:DWORD
	s_mov_b64 s[4:5], 0
                                        ; implicit-def: $sgpr10
	s_and_saveexec_b64 s[8:9], s[6:7]
	s_xor_b64 s[6:7], exec, s[8:9]
	s_cbranch_execz .LBB1_1561
; %bb.37401:
	s_getpc_b64 s[14:15]
.Lpost_getpc4364:
	s_add_u32 s14, s14, (.LBB1_15897-.Lpost_getpc4364)&4294967295
	s_addc_u32 s15, s15, (.LBB1_15897-.Lpost_getpc4364)>>32
	s_setpc_b64 s[14:15]
.LBB1_1561:
	s_or_saveexec_b64 s[6:7], s[6:7]
	v_mov_b32_e32 v12, s10
	s_xor_b64 exec, exec, s[6:7]
	s_cbranch_execz .LBB1_1562
; %bb.37403:
	s_getpc_b64 s[14:15]
.Lpost_getpc4365:
	s_add_u32 s14, s14, (.LBB1_15900-.Lpost_getpc4365)&4294967295
	s_addc_u32 s15, s15, (.LBB1_15900-.Lpost_getpc4365)>>32
	s_setpc_b64 s[14:15]
.LBB1_1562:
	s_or_b64 exec, exec, s[6:7]
	s_and_saveexec_b64 s[6:7], s[4:5]
	s_cbranch_execz .LBB1_1564
.LBB1_1563:
	v_bfe_u32 v12, v6, 24, 3
	v_ffbh_u32_e32 v16, v12
	v_min_u32_e32 v16, 32, v16
	v_lshrrev_b32_e32 v14, 27, v6
	v_subrev_u32_e32 v17, 28, v16
	v_and_b32_e32 v13, 0x80000000, v6
	v_and_b32_e32 v14, 15, v14
	v_bfe_u32 v15, v6, 27, 4
	v_lshlrev_b32_sdwa v6, v17, v6 dst_sel:DWORD dst_unused:UNUSED_PAD src0_sel:DWORD src1_sel:BYTE_3
	v_sub_u32_e32 v16, 29, v16
	v_and_b32_e32 v6, 7, v6
	v_cmp_eq_u16_e32 vcc, 0, v14
	v_cndmask_b32_e32 v6, v12, v6, vcc
	v_cndmask_b32_e32 v12, v15, v16, vcc
	v_mov_b32_e32 v14, 0x3b800000
	v_lshlrev_b32_e32 v6, 20, v6
	v_lshl_add_u32 v12, v12, 23, v14
	v_or3_b32 v12, v13, v12, v6
.LBB1_1564:
	s_or_b64 exec, exec, s[6:7]
	s_movk_i32 s4, 0x7f
	v_cmp_gt_i16_sdwa s[6:7], v2, s4 src0_sel:BYTE_3 src1_sel:DWORD
	s_mov_b64 s[4:5], 0
                                        ; implicit-def: $sgpr10
	s_and_saveexec_b64 s[8:9], s[6:7]
	s_xor_b64 s[6:7], exec, s[8:9]
	s_cbranch_execz .LBB1_1565
; %bb.37405:
	s_getpc_b64 s[14:15]
.Lpost_getpc4366:
	s_add_u32 s14, s14, (.LBB1_15901-.Lpost_getpc4366)&4294967295
	s_addc_u32 s15, s15, (.LBB1_15901-.Lpost_getpc4366)>>32
	s_setpc_b64 s[14:15]
.LBB1_1565:
	s_or_saveexec_b64 s[6:7], s[6:7]
	v_mov_b32_e32 v6, s10
	s_xor_b64 exec, exec, s[6:7]
	s_cbranch_execz .LBB1_1566
; %bb.37407:
	s_getpc_b64 s[14:15]
.Lpost_getpc4367:
	s_add_u32 s14, s14, (.LBB1_15904-.Lpost_getpc4367)&4294967295
	s_addc_u32 s15, s15, (.LBB1_15904-.Lpost_getpc4367)>>32
	s_setpc_b64 s[14:15]
.LBB1_1566:
	s_or_b64 exec, exec, s[6:7]
	s_and_saveexec_b64 s[6:7], s[4:5]
	s_cbranch_execz .LBB1_1568
.LBB1_1567:
	v_bfe_u32 v6, v2, 24, 3
	v_ffbh_u32_e32 v16, v6
	v_min_u32_e32 v16, 32, v16
	v_lshrrev_b32_e32 v14, 27, v2
	v_subrev_u32_e32 v17, 28, v16
	v_and_b32_e32 v13, 0x80000000, v2
	v_and_b32_e32 v14, 15, v14
	v_bfe_u32 v15, v2, 27, 4
	v_lshlrev_b32_sdwa v2, v17, v2 dst_sel:DWORD dst_unused:UNUSED_PAD src0_sel:DWORD src1_sel:BYTE_3
	v_sub_u32_e32 v16, 29, v16
	v_and_b32_e32 v2, 7, v2
	v_cmp_eq_u16_e32 vcc, 0, v14
	v_cndmask_b32_e32 v2, v6, v2, vcc
	v_cndmask_b32_e32 v6, v15, v16, vcc
	v_mov_b32_e32 v14, 0x3b800000
	v_lshlrev_b32_e32 v2, 20, v2
	v_lshl_add_u32 v6, v6, 23, v14
	v_or3_b32 v6, v13, v6, v2
.LBB1_1568:
	s_or_b64 exec, exec, s[6:7]
	s_nop 0
	v_mfma_f32_16x16x4f32 a[0:3], v12, v6, a[0:3]
	s_movk_i32 s4, 0x7f
	v_cmp_gt_i16_sdwa s[6:7], v7, s4 src0_sel:BYTE_0 src1_sel:DWORD
	s_mov_b64 s[4:5], 0
                                        ; implicit-def: $sgpr10
	s_and_saveexec_b64 s[8:9], s[6:7]
	s_xor_b64 s[6:7], exec, s[8:9]
	s_cbranch_execz .LBB1_1569
; %bb.37409:
	s_getpc_b64 s[14:15]
.Lpost_getpc4368:
	s_add_u32 s14, s14, (.LBB1_15905-.Lpost_getpc4368)&4294967295
	s_addc_u32 s15, s15, (.LBB1_15905-.Lpost_getpc4368)>>32
	s_setpc_b64 s[14:15]
.LBB1_1569:
	s_or_saveexec_b64 s[6:7], s[6:7]
	v_mov_b32_e32 v2, s10
	s_xor_b64 exec, exec, s[6:7]
	s_cbranch_execz .LBB1_1570
; %bb.37411:
	s_getpc_b64 s[14:15]
.Lpost_getpc4369:
	s_add_u32 s14, s14, (.LBB1_15908-.Lpost_getpc4369)&4294967295
	s_addc_u32 s15, s15, (.LBB1_15908-.Lpost_getpc4369)>>32
	s_setpc_b64 s[14:15]
.LBB1_1570:
	s_or_b64 exec, exec, s[6:7]
	s_and_saveexec_b64 s[6:7], s[4:5]
	s_cbranch_execz .LBB1_1572
.LBB1_1571:
	v_and_b32_e32 v2, 7, v7
	v_ffbh_u32_e32 v12, v2
	v_min_u32_e32 v12, 32, v12
	v_lshrrev_b16_e32 v6, 3, v7
	v_subrev_u32_e32 v13, 28, v12
	v_and_b32_e32 v6, 15, v6
	v_lshlrev_b32_e32 v13, v13, v7
	v_sub_u32_e32 v12, 29, v12
	v_and_b32_e32 v13, 7, v13
	v_cmp_eq_u16_e32 vcc, 0, v6
	v_cndmask_b32_e32 v2, v2, v13, vcc
	v_cndmask_b32_e32 v6, v6, v12, vcc
	v_lshlrev_b32_e32 v12, 24, v7
	v_mov_b32_e32 v13, 0x3b800000
	v_lshlrev_b32_e32 v2, 20, v2
	v_and_b32_e32 v12, 0x80000000, v12
	v_lshl_add_u32 v6, v6, 23, v13
	v_or3_b32 v2, v12, v6, v2
.LBB1_1572:
	s_or_b64 exec, exec, s[6:7]
	s_movk_i32 s4, 0x7f
	v_cmp_gt_i16_sdwa s[6:7], v3, s4 src0_sel:BYTE_0 src1_sel:DWORD
	s_mov_b64 s[4:5], 0
                                        ; implicit-def: $sgpr10
	s_and_saveexec_b64 s[8:9], s[6:7]
	s_xor_b64 s[6:7], exec, s[8:9]
	s_cbranch_execz .LBB1_1573
; %bb.37413:
	s_getpc_b64 s[14:15]
.Lpost_getpc4370:
	s_add_u32 s14, s14, (.LBB1_15909-.Lpost_getpc4370)&4294967295
	s_addc_u32 s15, s15, (.LBB1_15909-.Lpost_getpc4370)>>32
	s_setpc_b64 s[14:15]
.LBB1_1573:
	s_or_saveexec_b64 s[6:7], s[6:7]
	v_mov_b32_e32 v6, s10
	s_xor_b64 exec, exec, s[6:7]
	s_cbranch_execz .LBB1_1574
; %bb.37415:
	s_getpc_b64 s[14:15]
.Lpost_getpc4371:
	s_add_u32 s14, s14, (.LBB1_15912-.Lpost_getpc4371)&4294967295
	s_addc_u32 s15, s15, (.LBB1_15912-.Lpost_getpc4371)>>32
	s_setpc_b64 s[14:15]
.LBB1_1574:
	s_or_b64 exec, exec, s[6:7]
	s_and_saveexec_b64 s[6:7], s[4:5]
	s_cbranch_execz .LBB1_1576
.LBB1_1575:
	v_and_b32_e32 v6, 7, v3
	v_ffbh_u32_e32 v13, v6
	v_min_u32_e32 v13, 32, v13
	v_lshrrev_b16_e32 v12, 3, v3
	v_subrev_u32_e32 v14, 28, v13
	v_and_b32_e32 v12, 15, v12
	v_lshlrev_b32_e32 v14, v14, v3
	v_sub_u32_e32 v13, 29, v13
	v_and_b32_e32 v14, 7, v14
	v_cmp_eq_u16_e32 vcc, 0, v12
	v_cndmask_b32_e32 v6, v6, v14, vcc
	v_cndmask_b32_e32 v12, v12, v13, vcc
	v_lshlrev_b32_e32 v13, 24, v3
	v_mov_b32_e32 v14, 0x3b800000
	v_lshlrev_b32_e32 v6, 20, v6
	v_and_b32_e32 v13, 0x80000000, v13
	v_lshl_add_u32 v12, v12, 23, v14
	v_or3_b32 v6, v13, v12, v6
.LBB1_1576:
	s_or_b64 exec, exec, s[6:7]
	s_nop 0
	v_mfma_f32_16x16x4f32 a[0:3], v2, v6, a[0:3]
	v_lshrrev_b32_e32 v6, 8, v7
	s_movk_i32 s4, 0x7f
	v_cmp_gt_i16_sdwa s[6:7], v6, s4 src0_sel:BYTE_0 src1_sel:DWORD
	s_mov_b64 s[4:5], 0
                                        ; implicit-def: $sgpr10
	s_and_saveexec_b64 s[8:9], s[6:7]
	s_xor_b64 s[6:7], exec, s[8:9]
	s_cbranch_execz .LBB1_1577
; %bb.37417:
	s_getpc_b64 s[14:15]
.Lpost_getpc4372:
	s_add_u32 s14, s14, (.LBB1_15913-.Lpost_getpc4372)&4294967295
	s_addc_u32 s15, s15, (.LBB1_15913-.Lpost_getpc4372)>>32
	s_setpc_b64 s[14:15]
.LBB1_1577:
	s_or_saveexec_b64 s[6:7], s[6:7]
	v_mov_b32_e32 v2, s10
	s_xor_b64 exec, exec, s[6:7]
	s_cbranch_execz .LBB1_1578
; %bb.37419:
	s_getpc_b64 s[14:15]
.Lpost_getpc4373:
	s_add_u32 s14, s14, (.LBB1_15916-.Lpost_getpc4373)&4294967295
	s_addc_u32 s15, s15, (.LBB1_15916-.Lpost_getpc4373)>>32
	s_setpc_b64 s[14:15]
.LBB1_1578:
	s_or_b64 exec, exec, s[6:7]
	s_and_saveexec_b64 s[6:7], s[4:5]
	s_cbranch_execz .LBB1_1580
.LBB1_1579:
	v_bfe_u32 v2, v7, 8, 3
	v_ffbh_u32_e32 v13, v2
	v_min_u32_e32 v13, 32, v13
	v_lshrrev_b16_e32 v12, 3, v6
	v_subrev_u32_e32 v14, 28, v13
	v_and_b32_e32 v12, 15, v12
	v_lshlrev_b32_e32 v6, v14, v6
	v_sub_u32_e32 v13, 29, v13
	v_and_b32_e32 v6, 7, v6
	v_cmp_eq_u16_e32 vcc, 0, v12
	v_cndmask_b32_e32 v2, v2, v6, vcc
	v_cndmask_b32_e32 v6, v12, v13, vcc
	v_lshlrev_b32_e32 v12, 16, v7
	v_mov_b32_e32 v13, 0x3b800000
	v_lshlrev_b32_e32 v2, 20, v2
	v_and_b32_e32 v12, 0x80000000, v12
	v_lshl_add_u32 v6, v6, 23, v13
	v_or3_b32 v2, v12, v6, v2
.LBB1_1580:
	s_or_b64 exec, exec, s[6:7]
	v_lshrrev_b32_e32 v6, 8, v3
	s_movk_i32 s4, 0x7f
	v_cmp_gt_i16_sdwa s[6:7], v6, s4 src0_sel:BYTE_0 src1_sel:DWORD
	s_mov_b64 s[4:5], 0
                                        ; implicit-def: $sgpr10
	s_and_saveexec_b64 s[8:9], s[6:7]
	s_xor_b64 s[6:7], exec, s[8:9]
	s_cbranch_execz .LBB1_1581
; %bb.37421:
	s_getpc_b64 s[14:15]
.Lpost_getpc4374:
	s_add_u32 s14, s14, (.LBB1_15917-.Lpost_getpc4374)&4294967295
	s_addc_u32 s15, s15, (.LBB1_15917-.Lpost_getpc4374)>>32
	s_setpc_b64 s[14:15]
.LBB1_1581:
	s_or_saveexec_b64 s[6:7], s[6:7]
	v_mov_b32_e32 v12, s10
	s_xor_b64 exec, exec, s[6:7]
	s_cbranch_execz .LBB1_1582
; %bb.37423:
	s_getpc_b64 s[14:15]
.Lpost_getpc4375:
	s_add_u32 s14, s14, (.LBB1_15920-.Lpost_getpc4375)&4294967295
	s_addc_u32 s15, s15, (.LBB1_15920-.Lpost_getpc4375)>>32
	s_setpc_b64 s[14:15]
.LBB1_1582:
	s_or_b64 exec, exec, s[6:7]
	s_and_saveexec_b64 s[6:7], s[4:5]
	s_cbranch_execz .LBB1_1584
.LBB1_1583:
	v_bfe_u32 v12, v3, 8, 3
	v_ffbh_u32_e32 v14, v12
	v_min_u32_e32 v14, 32, v14
	v_lshrrev_b16_e32 v13, 3, v6
	v_subrev_u32_e32 v15, 28, v14
	v_and_b32_e32 v13, 15, v13
	v_lshlrev_b32_e32 v6, v15, v6
	v_sub_u32_e32 v14, 29, v14
	v_and_b32_e32 v6, 7, v6
	v_cmp_eq_u16_e32 vcc, 0, v13
	v_cndmask_b32_e32 v6, v12, v6, vcc
	v_cndmask_b32_e32 v12, v13, v14, vcc
	v_lshlrev_b32_e32 v13, 16, v3
	v_mov_b32_e32 v14, 0x3b800000
	v_lshlrev_b32_e32 v6, 20, v6
	v_and_b32_e32 v13, 0x80000000, v13
	v_lshl_add_u32 v12, v12, 23, v14
	v_or3_b32 v12, v13, v12, v6
.LBB1_1584:
	s_or_b64 exec, exec, s[6:7]
	s_nop 0
	v_mfma_f32_16x16x4f32 a[0:3], v2, v12, a[0:3]
	s_movk_i32 s4, 0xff
	v_and_b32_sdwa v6, v7, s4 dst_sel:DWORD dst_unused:UNUSED_PAD src0_sel:WORD_1 src1_sel:DWORD
	s_movk_i32 s4, 0x7f
	v_cmp_lt_i16_e32 vcc, s4, v6
	s_mov_b64 s[4:5], 0
                                        ; implicit-def: $sgpr10
	s_and_saveexec_b64 s[6:7], vcc
	s_xor_b64 s[6:7], exec, s[6:7]
	s_cbranch_execz .LBB1_1585
; %bb.37425:
	s_getpc_b64 s[14:15]
.Lpost_getpc4376:
	s_add_u32 s14, s14, (.LBB1_15921-.Lpost_getpc4376)&4294967295
	s_addc_u32 s15, s15, (.LBB1_15921-.Lpost_getpc4376)>>32
	s_setpc_b64 s[14:15]
.LBB1_1585:
	s_or_saveexec_b64 s[6:7], s[6:7]
	v_mov_b32_e32 v2, s10
	s_xor_b64 exec, exec, s[6:7]
	s_cbranch_execz .LBB1_1586
; %bb.37427:
	s_getpc_b64 s[14:15]
.Lpost_getpc4377:
	s_add_u32 s14, s14, (.LBB1_15924-.Lpost_getpc4377)&4294967295
	s_addc_u32 s15, s15, (.LBB1_15924-.Lpost_getpc4377)>>32
	s_setpc_b64 s[14:15]
.LBB1_1586:
	s_or_b64 exec, exec, s[6:7]
	s_and_saveexec_b64 s[6:7], s[4:5]
	s_cbranch_execz .LBB1_1588
.LBB1_1587:
	v_bfe_u32 v2, v7, 16, 3
	v_ffbh_u32_e32 v13, v2
	v_min_u32_e32 v13, 32, v13
	v_lshrrev_b32_e32 v6, 19, v7
	v_subrev_u32_e32 v14, 28, v13
	v_and_b32_e32 v6, 15, v6
	v_lshlrev_b32_sdwa v14, v14, v7 dst_sel:DWORD dst_unused:UNUSED_PAD src0_sel:DWORD src1_sel:WORD_1
	v_bfe_u32 v12, v7, 19, 4
	v_sub_u32_e32 v13, 29, v13
	v_and_b32_e32 v14, 7, v14
	v_cmp_eq_u16_e32 vcc, 0, v6
	v_cndmask_b32_e32 v2, v2, v14, vcc
	v_cndmask_b32_e32 v6, v12, v13, vcc
	v_lshlrev_b32_e32 v12, 8, v7
	v_mov_b32_e32 v13, 0x3b800000
	v_lshlrev_b32_e32 v2, 20, v2
	v_and_b32_e32 v12, 0x80000000, v12
	v_lshl_add_u32 v6, v6, 23, v13
	v_or3_b32 v2, v12, v6, v2
.LBB1_1588:
	s_or_b64 exec, exec, s[6:7]
	s_movk_i32 s4, 0xff
	v_and_b32_sdwa v6, v3, s4 dst_sel:DWORD dst_unused:UNUSED_PAD src0_sel:WORD_1 src1_sel:DWORD
	s_movk_i32 s4, 0x7f
	v_cmp_lt_i16_e32 vcc, s4, v6
	s_mov_b64 s[4:5], 0
                                        ; implicit-def: $sgpr10
	s_and_saveexec_b64 s[6:7], vcc
	s_xor_b64 s[6:7], exec, s[6:7]
	s_cbranch_execz .LBB1_1589
; %bb.37429:
	s_getpc_b64 s[14:15]
.Lpost_getpc4378:
	s_add_u32 s14, s14, (.LBB1_15925-.Lpost_getpc4378)&4294967295
	s_addc_u32 s15, s15, (.LBB1_15925-.Lpost_getpc4378)>>32
	s_setpc_b64 s[14:15]
.LBB1_1589:
	s_or_saveexec_b64 s[6:7], s[6:7]
	v_mov_b32_e32 v12, s10
	s_xor_b64 exec, exec, s[6:7]
	s_cbranch_execz .LBB1_1590
; %bb.37431:
	s_getpc_b64 s[14:15]
.Lpost_getpc4379:
	s_add_u32 s14, s14, (.LBB1_15928-.Lpost_getpc4379)&4294967295
	s_addc_u32 s15, s15, (.LBB1_15928-.Lpost_getpc4379)>>32
	s_setpc_b64 s[14:15]
.LBB1_1590:
	s_or_b64 exec, exec, s[6:7]
	s_and_saveexec_b64 s[6:7], s[4:5]
	s_cbranch_execz .LBB1_1592
.LBB1_1591:
	v_bfe_u32 v6, v3, 16, 3
	v_ffbh_u32_e32 v14, v6
	v_min_u32_e32 v14, 32, v14
	v_lshrrev_b32_e32 v12, 19, v3
	v_subrev_u32_e32 v15, 28, v14
	v_and_b32_e32 v12, 15, v12
	v_lshlrev_b32_sdwa v15, v15, v3 dst_sel:DWORD dst_unused:UNUSED_PAD src0_sel:DWORD src1_sel:WORD_1
	v_bfe_u32 v13, v3, 19, 4
	v_sub_u32_e32 v14, 29, v14
	v_and_b32_e32 v15, 7, v15
	v_cmp_eq_u16_e32 vcc, 0, v12
	v_cndmask_b32_e32 v6, v6, v15, vcc
	v_cndmask_b32_e32 v12, v13, v14, vcc
	v_lshlrev_b32_e32 v13, 8, v3
	v_mov_b32_e32 v14, 0x3b800000
	v_lshlrev_b32_e32 v6, 20, v6
	v_and_b32_e32 v13, 0x80000000, v13
	v_lshl_add_u32 v12, v12, 23, v14
	v_or3_b32 v12, v13, v12, v6
.LBB1_1592:
	s_or_b64 exec, exec, s[6:7]
	s_nop 0
	v_mfma_f32_16x16x4f32 a[0:3], v2, v12, a[0:3]
	s_movk_i32 s4, 0x7f
	v_cmp_gt_i16_sdwa s[6:7], v7, s4 src0_sel:BYTE_3 src1_sel:DWORD
	s_mov_b64 s[4:5], 0
                                        ; implicit-def: $sgpr10
	s_and_saveexec_b64 s[8:9], s[6:7]
	s_xor_b64 s[6:7], exec, s[8:9]
	s_cbranch_execz .LBB1_1593
; %bb.37433:
	s_getpc_b64 s[14:15]
.Lpost_getpc4380:
	s_add_u32 s14, s14, (.LBB1_15929-.Lpost_getpc4380)&4294967295
	s_addc_u32 s15, s15, (.LBB1_15929-.Lpost_getpc4380)>>32
	s_setpc_b64 s[14:15]
.LBB1_1593:
	s_or_saveexec_b64 s[6:7], s[6:7]
	v_mov_b32_e32 v2, s10
	s_xor_b64 exec, exec, s[6:7]
	s_cbranch_execz .LBB1_1594
; %bb.37435:
	s_getpc_b64 s[14:15]
.Lpost_getpc4381:
	s_add_u32 s14, s14, (.LBB1_15932-.Lpost_getpc4381)&4294967295
	s_addc_u32 s15, s15, (.LBB1_15932-.Lpost_getpc4381)>>32
	s_setpc_b64 s[14:15]
.LBB1_1594:
	s_or_b64 exec, exec, s[6:7]
	s_and_saveexec_b64 s[6:7], s[4:5]
	s_cbranch_execz .LBB1_1596
.LBB1_1595:
	v_bfe_u32 v2, v7, 24, 3
	v_ffbh_u32_e32 v14, v2
	v_min_u32_e32 v14, 32, v14
	v_lshrrev_b32_e32 v12, 27, v7
	v_subrev_u32_e32 v15, 28, v14
	v_and_b32_e32 v6, 0x80000000, v7
	v_and_b32_e32 v12, 15, v12
	v_bfe_u32 v13, v7, 27, 4
	v_lshlrev_b32_sdwa v7, v15, v7 dst_sel:DWORD dst_unused:UNUSED_PAD src0_sel:DWORD src1_sel:BYTE_3
	v_sub_u32_e32 v14, 29, v14
	v_and_b32_e32 v7, 7, v7
	v_cmp_eq_u16_e32 vcc, 0, v12
	v_cndmask_b32_e32 v2, v2, v7, vcc
	v_cndmask_b32_e32 v7, v13, v14, vcc
	v_mov_b32_e32 v12, 0x3b800000
	v_lshlrev_b32_e32 v2, 20, v2
	v_lshl_add_u32 v7, v7, 23, v12
	v_or3_b32 v2, v6, v7, v2
.LBB1_1596:
	s_or_b64 exec, exec, s[6:7]
	s_movk_i32 s4, 0x7f
	v_cmp_gt_i16_sdwa s[6:7], v3, s4 src0_sel:BYTE_3 src1_sel:DWORD
	s_mov_b64 s[4:5], 0
                                        ; implicit-def: $sgpr10
	s_and_saveexec_b64 s[8:9], s[6:7]
	s_xor_b64 s[6:7], exec, s[8:9]
	s_cbranch_execz .LBB1_1597
; %bb.37437:
	s_getpc_b64 s[14:15]
.Lpost_getpc4382:
	s_add_u32 s14, s14, (.LBB1_15933-.Lpost_getpc4382)&4294967295
	s_addc_u32 s15, s15, (.LBB1_15933-.Lpost_getpc4382)>>32
	s_setpc_b64 s[14:15]
.LBB1_1597:
	s_or_saveexec_b64 s[6:7], s[6:7]
	v_mov_b32_e32 v6, s10
	s_xor_b64 exec, exec, s[6:7]
	s_cbranch_execz .LBB1_1598
; %bb.37439:
	s_getpc_b64 s[14:15]
.Lpost_getpc4383:
	s_add_u32 s14, s14, (.LBB1_15936-.Lpost_getpc4383)&4294967295
	s_addc_u32 s15, s15, (.LBB1_15936-.Lpost_getpc4383)>>32
	s_setpc_b64 s[14:15]
.LBB1_1598:
	s_or_b64 exec, exec, s[6:7]
	s_and_saveexec_b64 s[6:7], s[4:5]
	s_cbranch_execz .LBB1_1600
.LBB1_1599:
	v_bfe_u32 v6, v3, 24, 3
	v_ffbh_u32_e32 v14, v6
	v_min_u32_e32 v14, 32, v14
	v_lshrrev_b32_e32 v12, 27, v3
	v_subrev_u32_e32 v15, 28, v14
	v_and_b32_e32 v7, 0x80000000, v3
	v_and_b32_e32 v12, 15, v12
	v_bfe_u32 v13, v3, 27, 4
	v_lshlrev_b32_sdwa v3, v15, v3 dst_sel:DWORD dst_unused:UNUSED_PAD src0_sel:DWORD src1_sel:BYTE_3
	v_sub_u32_e32 v14, 29, v14
	v_and_b32_e32 v3, 7, v3
	v_cmp_eq_u16_e32 vcc, 0, v12
	v_cndmask_b32_e32 v3, v6, v3, vcc
	v_cndmask_b32_e32 v6, v13, v14, vcc
	v_mov_b32_e32 v12, 0x3b800000
	v_lshlrev_b32_e32 v3, 20, v3
	v_lshl_add_u32 v6, v6, 23, v12
	v_or3_b32 v6, v7, v6, v3
.LBB1_1600:
	s_or_b64 exec, exec, s[6:7]
	s_nop 0
	v_mfma_f32_16x16x4f32 a[0:3], v2, v6, a[0:3]
	s_movk_i32 s4, 0x7f
	v_cmp_gt_i16_sdwa s[6:7], v8, s4 src0_sel:BYTE_0 src1_sel:DWORD
	s_mov_b64 s[4:5], 0
                                        ; implicit-def: $sgpr10
	s_and_saveexec_b64 s[8:9], s[6:7]
	s_xor_b64 s[6:7], exec, s[8:9]
	s_cbranch_execz .LBB1_1601
; %bb.37441:
	s_getpc_b64 s[14:15]
.Lpost_getpc4384:
	s_add_u32 s14, s14, (.LBB1_15937-.Lpost_getpc4384)&4294967295
	s_addc_u32 s15, s15, (.LBB1_15937-.Lpost_getpc4384)>>32
	s_setpc_b64 s[14:15]
.LBB1_1601:
	s_or_saveexec_b64 s[6:7], s[6:7]
	v_mov_b32_e32 v2, s10
	s_xor_b64 exec, exec, s[6:7]
	s_cbranch_execz .LBB1_1602
; %bb.37443:
	s_getpc_b64 s[14:15]
.Lpost_getpc4385:
	s_add_u32 s14, s14, (.LBB1_15940-.Lpost_getpc4385)&4294967295
	s_addc_u32 s15, s15, (.LBB1_15940-.Lpost_getpc4385)>>32
	s_setpc_b64 s[14:15]
.LBB1_1602:
	s_or_b64 exec, exec, s[6:7]
	s_and_saveexec_b64 s[6:7], s[4:5]
	s_cbranch_execz .LBB1_1604
.LBB1_1603:
	v_and_b32_e32 v2, 7, v8
	v_ffbh_u32_e32 v6, v2
	v_min_u32_e32 v6, 32, v6
	v_lshrrev_b16_e32 v3, 3, v8
	v_subrev_u32_e32 v7, 28, v6
	v_and_b32_e32 v3, 15, v3
	v_lshlrev_b32_e32 v7, v7, v8
	v_sub_u32_e32 v6, 29, v6
	v_and_b32_e32 v7, 7, v7
	v_cmp_eq_u16_e32 vcc, 0, v3
	v_cndmask_b32_e32 v2, v2, v7, vcc
	v_cndmask_b32_e32 v3, v3, v6, vcc
	v_lshlrev_b32_e32 v6, 24, v8
	v_mov_b32_e32 v7, 0x3b800000
	v_lshlrev_b32_e32 v2, 20, v2
	v_and_b32_e32 v6, 0x80000000, v6
	v_lshl_add_u32 v3, v3, 23, v7
	v_or3_b32 v2, v6, v3, v2
.LBB1_1604:
	s_or_b64 exec, exec, s[6:7]
	s_movk_i32 s4, 0x7f
	v_cmp_gt_i16_sdwa s[6:7], v4, s4 src0_sel:BYTE_0 src1_sel:DWORD
	s_mov_b64 s[4:5], 0
                                        ; implicit-def: $sgpr10
	s_and_saveexec_b64 s[8:9], s[6:7]
	s_xor_b64 s[6:7], exec, s[8:9]
	s_cbranch_execz .LBB1_1605
; %bb.37445:
	s_getpc_b64 s[14:15]
.Lpost_getpc4386:
	s_add_u32 s14, s14, (.LBB1_15941-.Lpost_getpc4386)&4294967295
	s_addc_u32 s15, s15, (.LBB1_15941-.Lpost_getpc4386)>>32
	s_setpc_b64 s[14:15]
.LBB1_1605:
	s_or_saveexec_b64 s[6:7], s[6:7]
	v_mov_b32_e32 v3, s10
	s_xor_b64 exec, exec, s[6:7]
	s_cbranch_execz .LBB1_1606
; %bb.37447:
	s_getpc_b64 s[14:15]
.Lpost_getpc4387:
	s_add_u32 s14, s14, (.LBB1_15944-.Lpost_getpc4387)&4294967295
	s_addc_u32 s15, s15, (.LBB1_15944-.Lpost_getpc4387)>>32
	s_setpc_b64 s[14:15]
.LBB1_1606:
	s_or_b64 exec, exec, s[6:7]
	s_and_saveexec_b64 s[6:7], s[4:5]
	s_cbranch_execz .LBB1_1608
.LBB1_1607:
	v_and_b32_e32 v3, 7, v4
	v_ffbh_u32_e32 v7, v3
	v_min_u32_e32 v7, 32, v7
	v_lshrrev_b16_e32 v6, 3, v4
	v_subrev_u32_e32 v12, 28, v7
	v_and_b32_e32 v6, 15, v6
	v_lshlrev_b32_e32 v12, v12, v4
	v_sub_u32_e32 v7, 29, v7
	v_and_b32_e32 v12, 7, v12
	v_cmp_eq_u16_e32 vcc, 0, v6
	v_cndmask_b32_e32 v3, v3, v12, vcc
	v_cndmask_b32_e32 v6, v6, v7, vcc
	v_lshlrev_b32_e32 v7, 24, v4
	v_mov_b32_e32 v12, 0x3b800000
	v_lshlrev_b32_e32 v3, 20, v3
	v_and_b32_e32 v7, 0x80000000, v7
	v_lshl_add_u32 v6, v6, 23, v12
	v_or3_b32 v3, v7, v6, v3
.LBB1_1608:
	s_or_b64 exec, exec, s[6:7]
	s_nop 0
	v_mfma_f32_16x16x4f32 a[0:3], v2, v3, a[0:3]
	v_lshrrev_b32_e32 v3, 8, v8
	s_movk_i32 s4, 0x7f
	v_cmp_gt_i16_sdwa s[6:7], v3, s4 src0_sel:BYTE_0 src1_sel:DWORD
	s_mov_b64 s[4:5], 0
                                        ; implicit-def: $sgpr10
	s_and_saveexec_b64 s[8:9], s[6:7]
	s_xor_b64 s[6:7], exec, s[8:9]
	s_cbranch_execz .LBB1_1609
; %bb.37449:
	s_getpc_b64 s[14:15]
.Lpost_getpc4388:
	s_add_u32 s14, s14, (.LBB1_15945-.Lpost_getpc4388)&4294967295
	s_addc_u32 s15, s15, (.LBB1_15945-.Lpost_getpc4388)>>32
	s_setpc_b64 s[14:15]
.LBB1_1609:
	s_or_saveexec_b64 s[6:7], s[6:7]
	v_mov_b32_e32 v2, s10
	s_xor_b64 exec, exec, s[6:7]
	s_cbranch_execz .LBB1_1610
; %bb.37451:
	s_getpc_b64 s[14:15]
.Lpost_getpc4389:
	s_add_u32 s14, s14, (.LBB1_15948-.Lpost_getpc4389)&4294967295
	s_addc_u32 s15, s15, (.LBB1_15948-.Lpost_getpc4389)>>32
	s_setpc_b64 s[14:15]
.LBB1_1610:
	s_or_b64 exec, exec, s[6:7]
	s_and_saveexec_b64 s[6:7], s[4:5]
	s_cbranch_execz .LBB1_1612
.LBB1_1611:
	v_bfe_u32 v2, v8, 8, 3
	v_ffbh_u32_e32 v7, v2
	v_min_u32_e32 v7, 32, v7
	v_lshrrev_b16_e32 v6, 3, v3
	v_subrev_u32_e32 v12, 28, v7
	v_and_b32_e32 v6, 15, v6
	v_lshlrev_b32_e32 v3, v12, v3
	v_sub_u32_e32 v7, 29, v7
	v_and_b32_e32 v3, 7, v3
	v_cmp_eq_u16_e32 vcc, 0, v6
	v_cndmask_b32_e32 v2, v2, v3, vcc
	v_cndmask_b32_e32 v3, v6, v7, vcc
	v_lshlrev_b32_e32 v6, 16, v8
	v_mov_b32_e32 v7, 0x3b800000
	v_lshlrev_b32_e32 v2, 20, v2
	v_and_b32_e32 v6, 0x80000000, v6
	v_lshl_add_u32 v3, v3, 23, v7
	v_or3_b32 v2, v6, v3, v2
.LBB1_1612:
	s_or_b64 exec, exec, s[6:7]
	v_lshrrev_b32_e32 v3, 8, v4
	s_movk_i32 s4, 0x7f
	v_cmp_gt_i16_sdwa s[6:7], v3, s4 src0_sel:BYTE_0 src1_sel:DWORD
	s_mov_b64 s[4:5], 0
                                        ; implicit-def: $sgpr10
	s_and_saveexec_b64 s[8:9], s[6:7]
	s_xor_b64 s[6:7], exec, s[8:9]
	s_cbranch_execz .LBB1_1613
; %bb.37453:
	s_getpc_b64 s[14:15]
.Lpost_getpc4390:
	s_add_u32 s14, s14, (.LBB1_15949-.Lpost_getpc4390)&4294967295
	s_addc_u32 s15, s15, (.LBB1_15949-.Lpost_getpc4390)>>32
	s_setpc_b64 s[14:15]
.LBB1_1613:
	s_or_saveexec_b64 s[6:7], s[6:7]
	v_mov_b32_e32 v6, s10
	s_xor_b64 exec, exec, s[6:7]
	s_cbranch_execz .LBB1_1614
; %bb.37455:
	s_getpc_b64 s[14:15]
.Lpost_getpc4391:
	s_add_u32 s14, s14, (.LBB1_15952-.Lpost_getpc4391)&4294967295
	s_addc_u32 s15, s15, (.LBB1_15952-.Lpost_getpc4391)>>32
	s_setpc_b64 s[14:15]
.LBB1_1614:
	s_or_b64 exec, exec, s[6:7]
	s_and_saveexec_b64 s[6:7], s[4:5]
	s_cbranch_execz .LBB1_1616
.LBB1_1615:
	v_bfe_u32 v6, v4, 8, 3
	v_ffbh_u32_e32 v12, v6
	v_min_u32_e32 v12, 32, v12
	v_lshrrev_b16_e32 v7, 3, v3
	v_subrev_u32_e32 v13, 28, v12
	v_and_b32_e32 v7, 15, v7
	v_lshlrev_b32_e32 v3, v13, v3
	v_sub_u32_e32 v12, 29, v12
	v_and_b32_e32 v3, 7, v3
	v_cmp_eq_u16_e32 vcc, 0, v7
	v_cndmask_b32_e32 v3, v6, v3, vcc
	v_cndmask_b32_e32 v6, v7, v12, vcc
	v_lshlrev_b32_e32 v7, 16, v4
	v_mov_b32_e32 v12, 0x3b800000
	v_lshlrev_b32_e32 v3, 20, v3
	v_and_b32_e32 v7, 0x80000000, v7
	v_lshl_add_u32 v6, v6, 23, v12
	v_or3_b32 v6, v7, v6, v3
.LBB1_1616:
	s_or_b64 exec, exec, s[6:7]
	s_nop 0
	v_mfma_f32_16x16x4f32 a[0:3], v2, v6, a[0:3]
	s_movk_i32 s4, 0xff
	v_and_b32_sdwa v3, v8, s4 dst_sel:DWORD dst_unused:UNUSED_PAD src0_sel:WORD_1 src1_sel:DWORD
	s_movk_i32 s4, 0x7f
	v_cmp_lt_i16_e32 vcc, s4, v3
	s_mov_b64 s[4:5], 0
                                        ; implicit-def: $sgpr10
	s_and_saveexec_b64 s[6:7], vcc
	s_xor_b64 s[6:7], exec, s[6:7]
	s_cbranch_execz .LBB1_1617
; %bb.37457:
	s_getpc_b64 s[14:15]
.Lpost_getpc4392:
	s_add_u32 s14, s14, (.LBB1_15953-.Lpost_getpc4392)&4294967295
	s_addc_u32 s15, s15, (.LBB1_15953-.Lpost_getpc4392)>>32
	s_setpc_b64 s[14:15]
.LBB1_1617:
	s_or_saveexec_b64 s[6:7], s[6:7]
	v_mov_b32_e32 v2, s10
	s_xor_b64 exec, exec, s[6:7]
	s_cbranch_execz .LBB1_1618
; %bb.37459:
	s_getpc_b64 s[14:15]
.Lpost_getpc4393:
	s_add_u32 s14, s14, (.LBB1_15956-.Lpost_getpc4393)&4294967295
	s_addc_u32 s15, s15, (.LBB1_15956-.Lpost_getpc4393)>>32
	s_setpc_b64 s[14:15]
.LBB1_1618:
	s_or_b64 exec, exec, s[6:7]
	s_and_saveexec_b64 s[6:7], s[4:5]
	s_cbranch_execz .LBB1_1620
.LBB1_1619:
	v_bfe_u32 v2, v8, 16, 3
	v_ffbh_u32_e32 v7, v2
	v_min_u32_e32 v7, 32, v7
	v_lshrrev_b32_e32 v3, 19, v8
	v_subrev_u32_e32 v12, 28, v7
	v_and_b32_e32 v3, 15, v3
	v_lshlrev_b32_sdwa v12, v12, v8 dst_sel:DWORD dst_unused:UNUSED_PAD src0_sel:DWORD src1_sel:WORD_1
	v_bfe_u32 v6, v8, 19, 4
	v_sub_u32_e32 v7, 29, v7
	v_and_b32_e32 v12, 7, v12
	v_cmp_eq_u16_e32 vcc, 0, v3
	v_cndmask_b32_e32 v2, v2, v12, vcc
	v_cndmask_b32_e32 v3, v6, v7, vcc
	v_lshlrev_b32_e32 v6, 8, v8
	v_mov_b32_e32 v7, 0x3b800000
	v_lshlrev_b32_e32 v2, 20, v2
	v_and_b32_e32 v6, 0x80000000, v6
	v_lshl_add_u32 v3, v3, 23, v7
	v_or3_b32 v2, v6, v3, v2
.LBB1_1620:
	s_or_b64 exec, exec, s[6:7]
	s_movk_i32 s4, 0xff
	v_and_b32_sdwa v3, v4, s4 dst_sel:DWORD dst_unused:UNUSED_PAD src0_sel:WORD_1 src1_sel:DWORD
	s_movk_i32 s4, 0x7f
	v_cmp_lt_i16_e32 vcc, s4, v3
	s_mov_b64 s[4:5], 0
                                        ; implicit-def: $sgpr10
	s_and_saveexec_b64 s[6:7], vcc
	s_xor_b64 s[6:7], exec, s[6:7]
	s_cbranch_execz .LBB1_1621
; %bb.37461:
	s_getpc_b64 s[14:15]
.Lpost_getpc4394:
	s_add_u32 s14, s14, (.LBB1_15957-.Lpost_getpc4394)&4294967295
	s_addc_u32 s15, s15, (.LBB1_15957-.Lpost_getpc4394)>>32
	s_setpc_b64 s[14:15]
.LBB1_1621:
	s_or_saveexec_b64 s[6:7], s[6:7]
	v_mov_b32_e32 v6, s10
	s_xor_b64 exec, exec, s[6:7]
	s_cbranch_execz .LBB1_1622
; %bb.37463:
	s_getpc_b64 s[14:15]
.Lpost_getpc4395:
	s_add_u32 s14, s14, (.LBB1_15960-.Lpost_getpc4395)&4294967295
	s_addc_u32 s15, s15, (.LBB1_15960-.Lpost_getpc4395)>>32
	s_setpc_b64 s[14:15]
.LBB1_1622:
	s_or_b64 exec, exec, s[6:7]
	s_and_saveexec_b64 s[6:7], s[4:5]
	s_cbranch_execz .LBB1_1624
.LBB1_1623:
	v_bfe_u32 v3, v4, 16, 3
	v_ffbh_u32_e32 v12, v3
	v_min_u32_e32 v12, 32, v12
	v_lshrrev_b32_e32 v6, 19, v4
	v_subrev_u32_e32 v13, 28, v12
	v_and_b32_e32 v6, 15, v6
	v_lshlrev_b32_sdwa v13, v13, v4 dst_sel:DWORD dst_unused:UNUSED_PAD src0_sel:DWORD src1_sel:WORD_1
	v_bfe_u32 v7, v4, 19, 4
	v_sub_u32_e32 v12, 29, v12
	v_and_b32_e32 v13, 7, v13
	v_cmp_eq_u16_e32 vcc, 0, v6
	v_cndmask_b32_e32 v3, v3, v13, vcc
	v_cndmask_b32_e32 v6, v7, v12, vcc
	v_lshlrev_b32_e32 v7, 8, v4
	v_mov_b32_e32 v12, 0x3b800000
	v_lshlrev_b32_e32 v3, 20, v3
	v_and_b32_e32 v7, 0x80000000, v7
	v_lshl_add_u32 v6, v6, 23, v12
	v_or3_b32 v6, v7, v6, v3
.LBB1_1624:
	s_or_b64 exec, exec, s[6:7]
	s_nop 0
	v_mfma_f32_16x16x4f32 a[0:3], v2, v6, a[0:3]
	s_movk_i32 s4, 0x7f
	v_cmp_gt_i16_sdwa s[6:7], v8, s4 src0_sel:BYTE_3 src1_sel:DWORD
	s_mov_b64 s[4:5], 0
                                        ; implicit-def: $sgpr10
	s_and_saveexec_b64 s[8:9], s[6:7]
	s_xor_b64 s[6:7], exec, s[8:9]
	s_cbranch_execz .LBB1_1625
; %bb.37465:
	s_getpc_b64 s[14:15]
.Lpost_getpc4396:
	s_add_u32 s14, s14, (.LBB1_15961-.Lpost_getpc4396)&4294967295
	s_addc_u32 s15, s15, (.LBB1_15961-.Lpost_getpc4396)>>32
	s_setpc_b64 s[14:15]
.LBB1_1625:
	s_or_saveexec_b64 s[6:7], s[6:7]
	v_mov_b32_e32 v2, s10
	s_xor_b64 exec, exec, s[6:7]
	s_cbranch_execz .LBB1_1626
; %bb.37467:
	s_getpc_b64 s[14:15]
.Lpost_getpc4397:
	s_add_u32 s14, s14, (.LBB1_15964-.Lpost_getpc4397)&4294967295
	s_addc_u32 s15, s15, (.LBB1_15964-.Lpost_getpc4397)>>32
	s_setpc_b64 s[14:15]
.LBB1_1626:
	s_or_b64 exec, exec, s[6:7]
	s_and_saveexec_b64 s[6:7], s[4:5]
	s_cbranch_execz .LBB1_1628
.LBB1_1627:
	v_bfe_u32 v2, v8, 24, 3
	v_ffbh_u32_e32 v12, v2
	v_min_u32_e32 v12, 32, v12
	v_lshrrev_b32_e32 v6, 27, v8
	v_subrev_u32_e32 v13, 28, v12
	v_and_b32_e32 v3, 0x80000000, v8
	v_and_b32_e32 v6, 15, v6
	v_bfe_u32 v7, v8, 27, 4
	v_lshlrev_b32_sdwa v8, v13, v8 dst_sel:DWORD dst_unused:UNUSED_PAD src0_sel:DWORD src1_sel:BYTE_3
	v_sub_u32_e32 v12, 29, v12
	v_and_b32_e32 v8, 7, v8
	v_cmp_eq_u16_e32 vcc, 0, v6
	v_cndmask_b32_e32 v2, v2, v8, vcc
	v_cndmask_b32_e32 v6, v7, v12, vcc
	v_mov_b32_e32 v7, 0x3b800000
	v_lshlrev_b32_e32 v2, 20, v2
	v_lshl_add_u32 v6, v6, 23, v7
	v_or3_b32 v2, v3, v6, v2
.LBB1_1628:
	s_or_b64 exec, exec, s[6:7]
	s_movk_i32 s4, 0x7f
	v_cmp_gt_i16_sdwa s[6:7], v4, s4 src0_sel:BYTE_3 src1_sel:DWORD
	s_mov_b64 s[4:5], 0
                                        ; implicit-def: $sgpr10
	s_and_saveexec_b64 s[8:9], s[6:7]
	s_xor_b64 s[6:7], exec, s[8:9]
	s_cbranch_execz .LBB1_1629
; %bb.37469:
	s_getpc_b64 s[14:15]
.Lpost_getpc4398:
	s_add_u32 s14, s14, (.LBB1_15965-.Lpost_getpc4398)&4294967295
	s_addc_u32 s15, s15, (.LBB1_15965-.Lpost_getpc4398)>>32
	s_setpc_b64 s[14:15]
.LBB1_1629:
	s_or_saveexec_b64 s[6:7], s[6:7]
	v_mov_b32_e32 v3, s10
	s_xor_b64 exec, exec, s[6:7]
	s_cbranch_execz .LBB1_1630
; %bb.37471:
	s_getpc_b64 s[14:15]
.Lpost_getpc4399:
	s_add_u32 s14, s14, (.LBB1_15968-.Lpost_getpc4399)&4294967295
	s_addc_u32 s15, s15, (.LBB1_15968-.Lpost_getpc4399)>>32
	s_setpc_b64 s[14:15]
.LBB1_1630:
	s_or_b64 exec, exec, s[6:7]
	s_and_saveexec_b64 s[6:7], s[4:5]
	s_cbranch_execz .LBB1_1632
.LBB1_1631:
	v_bfe_u32 v3, v4, 24, 3
	v_ffbh_u32_e32 v12, v3
	v_min_u32_e32 v12, 32, v12
	v_lshrrev_b32_e32 v7, 27, v4
	v_subrev_u32_e32 v13, 28, v12
	v_and_b32_e32 v6, 0x80000000, v4
	v_and_b32_e32 v7, 15, v7
	v_bfe_u32 v8, v4, 27, 4
	v_lshlrev_b32_sdwa v4, v13, v4 dst_sel:DWORD dst_unused:UNUSED_PAD src0_sel:DWORD src1_sel:BYTE_3
	v_sub_u32_e32 v12, 29, v12
	v_and_b32_e32 v4, 7, v4
	v_cmp_eq_u16_e32 vcc, 0, v7
	v_cndmask_b32_e32 v3, v3, v4, vcc
	v_cndmask_b32_e32 v4, v8, v12, vcc
	v_mov_b32_e32 v7, 0x3b800000
	v_lshlrev_b32_e32 v3, 20, v3
	v_lshl_add_u32 v4, v4, 23, v7
	v_or3_b32 v3, v6, v4, v3
.LBB1_1632:
	s_or_b64 exec, exec, s[6:7]
	s_nop 0
	v_mfma_f32_16x16x4f32 a[0:3], v2, v3, a[0:3]
	s_movk_i32 s4, 0x7f
	v_cmp_gt_i16_sdwa s[6:7], v9, s4 src0_sel:BYTE_0 src1_sel:DWORD
	s_mov_b64 s[4:5], 0
                                        ; implicit-def: $sgpr10
	s_and_saveexec_b64 s[8:9], s[6:7]
	s_xor_b64 s[6:7], exec, s[8:9]
	s_cbranch_execz .LBB1_1633
; %bb.37473:
	s_getpc_b64 s[14:15]
.Lpost_getpc4400:
	s_add_u32 s14, s14, (.LBB1_15969-.Lpost_getpc4400)&4294967295
	s_addc_u32 s15, s15, (.LBB1_15969-.Lpost_getpc4400)>>32
	s_setpc_b64 s[14:15]
.LBB1_1633:
	s_or_saveexec_b64 s[6:7], s[6:7]
	v_mov_b32_e32 v2, s10
	s_xor_b64 exec, exec, s[6:7]
	s_cbranch_execz .LBB1_1634
; %bb.37475:
	s_getpc_b64 s[14:15]
.Lpost_getpc4401:
	s_add_u32 s14, s14, (.LBB1_15972-.Lpost_getpc4401)&4294967295
	s_addc_u32 s15, s15, (.LBB1_15972-.Lpost_getpc4401)>>32
	s_setpc_b64 s[14:15]
.LBB1_1634:
	s_or_b64 exec, exec, s[6:7]
	s_and_saveexec_b64 s[6:7], s[4:5]
	s_cbranch_execz .LBB1_1636
.LBB1_1635:
	v_mov_b32_e32 v2, 8
	v_and_b32_e32 v3, 7, v9
	v_lshrrev_b32_sdwa v2, v2, v9 dst_sel:BYTE_1 dst_unused:UNUSED_PAD src0_sel:DWORD src1_sel:DWORD
	v_ffbh_u32_e32 v4, v3
	v_or_b32_sdwa v2, v9, v2 dst_sel:DWORD dst_unused:UNUSED_PAD src0_sel:BYTE_0 src1_sel:DWORD
	v_min_u32_e32 v4, 32, v4
	v_lshrrev_b16_e32 v2, 3, v2
	v_subrev_u32_e32 v6, 28, v4
	v_and_b32_e32 v2, 15, v2
	v_lshlrev_b32_e32 v6, v6, v9
	v_sub_u32_e32 v4, 29, v4
	v_and_b32_e32 v6, 7, v6
	v_cmp_eq_u16_e32 vcc, 0, v2
	v_cndmask_b32_e32 v3, v3, v6, vcc
	v_cndmask_b32_e32 v2, v2, v4, vcc
	v_lshlrev_b32_e32 v4, 24, v9
	v_mov_b32_e32 v6, 0x3b800000
	v_lshlrev_b32_e32 v3, 20, v3
	v_and_b32_e32 v4, 0x80000000, v4
	v_lshl_add_u32 v2, v2, 23, v6
	v_or3_b32 v2, v4, v2, v3
.LBB1_1636:
	s_or_b64 exec, exec, s[6:7]
	s_movk_i32 s4, 0x7f
	v_cmp_gt_i16_sdwa s[6:7], v5, s4 src0_sel:BYTE_0 src1_sel:DWORD
	s_mov_b64 s[4:5], 0
                                        ; implicit-def: $sgpr10
	s_and_saveexec_b64 s[8:9], s[6:7]
	s_xor_b64 s[6:7], exec, s[8:9]
	s_cbranch_execz .LBB1_1637
; %bb.37477:
	s_getpc_b64 s[14:15]
.Lpost_getpc4402:
	s_add_u32 s14, s14, (.LBB1_15973-.Lpost_getpc4402)&4294967295
	s_addc_u32 s15, s15, (.LBB1_15973-.Lpost_getpc4402)>>32
	s_setpc_b64 s[14:15]
.LBB1_1637:
	s_or_saveexec_b64 s[6:7], s[6:7]
	v_mov_b32_e32 v3, s10
	s_xor_b64 exec, exec, s[6:7]
	s_cbranch_execz .LBB1_1638
; %bb.37479:
	s_getpc_b64 s[14:15]
.Lpost_getpc4403:
	s_add_u32 s14, s14, (.LBB1_15976-.Lpost_getpc4403)&4294967295
	s_addc_u32 s15, s15, (.LBB1_15976-.Lpost_getpc4403)>>32
	s_setpc_b64 s[14:15]
.LBB1_1638:
	s_or_b64 exec, exec, s[6:7]
	s_and_saveexec_b64 s[6:7], s[4:5]
	s_cbranch_execz .LBB1_1640
.LBB1_1639:
	v_mov_b32_e32 v3, 8
	v_and_b32_e32 v4, 7, v5
	v_lshrrev_b32_sdwa v3, v3, v5 dst_sel:BYTE_1 dst_unused:UNUSED_PAD src0_sel:DWORD src1_sel:DWORD
	v_ffbh_u32_e32 v6, v4
	v_or_b32_sdwa v3, v5, v3 dst_sel:DWORD dst_unused:UNUSED_PAD src0_sel:BYTE_0 src1_sel:DWORD
	v_min_u32_e32 v6, 32, v6
	v_lshrrev_b16_e32 v3, 3, v3
	v_subrev_u32_e32 v7, 28, v6
	v_and_b32_e32 v3, 15, v3
	v_lshlrev_b32_e32 v7, v7, v5
	v_sub_u32_e32 v6, 29, v6
	v_and_b32_e32 v7, 7, v7
	v_cmp_eq_u16_e32 vcc, 0, v3
	v_cndmask_b32_e32 v4, v4, v7, vcc
	v_cndmask_b32_e32 v3, v3, v6, vcc
	v_lshlrev_b32_e32 v6, 24, v5
	v_mov_b32_e32 v7, 0x3b800000
	v_lshlrev_b32_e32 v4, 20, v4
	v_and_b32_e32 v6, 0x80000000, v6
	v_lshl_add_u32 v3, v3, 23, v7
	v_or3_b32 v3, v6, v3, v4
.LBB1_1640:
	s_or_b64 exec, exec, s[6:7]
	s_nop 0
	v_mfma_f32_16x16x4f32 a[0:3], v2, v3, a[0:3]
	v_lshrrev_b32_e32 v3, 8, v9
	s_movk_i32 s4, 0x7f
	v_cmp_gt_i16_sdwa s[6:7], v3, s4 src0_sel:BYTE_0 src1_sel:DWORD
	s_mov_b64 s[4:5], 0
                                        ; implicit-def: $sgpr10
	s_and_saveexec_b64 s[8:9], s[6:7]
	s_xor_b64 s[6:7], exec, s[8:9]
	s_cbranch_execz .LBB1_1641
; %bb.37481:
	s_getpc_b64 s[14:15]
.Lpost_getpc4404:
	s_add_u32 s14, s14, (.LBB1_15977-.Lpost_getpc4404)&4294967295
	s_addc_u32 s15, s15, (.LBB1_15977-.Lpost_getpc4404)>>32
	s_setpc_b64 s[14:15]
.LBB1_1641:
	s_or_saveexec_b64 s[6:7], s[6:7]
	v_mov_b32_e32 v2, s10
	s_xor_b64 exec, exec, s[6:7]
	s_cbranch_execz .LBB1_1642
; %bb.37483:
	s_getpc_b64 s[14:15]
.Lpost_getpc4405:
	s_add_u32 s14, s14, (.LBB1_15980-.Lpost_getpc4405)&4294967295
	s_addc_u32 s15, s15, (.LBB1_15980-.Lpost_getpc4405)>>32
	s_setpc_b64 s[14:15]
.LBB1_1642:
	s_or_b64 exec, exec, s[6:7]
	s_and_saveexec_b64 s[6:7], s[4:5]
	s_cbranch_execz .LBB1_1644
.LBB1_1643:
	v_bfe_u32 v2, v9, 8, 3
	v_ffbh_u32_e32 v6, v2
	v_min_u32_e32 v6, 32, v6
	v_lshrrev_b16_e32 v4, 3, v3
	v_subrev_u32_e32 v7, 28, v6
	v_and_b32_e32 v4, 15, v4
	v_lshlrev_b32_e32 v3, v7, v3
	v_sub_u32_e32 v6, 29, v6
	v_and_b32_e32 v3, 7, v3
	v_cmp_eq_u16_e32 vcc, 0, v4
	v_cndmask_b32_e32 v2, v2, v3, vcc
	v_cndmask_b32_e32 v3, v4, v6, vcc
	v_lshlrev_b32_e32 v4, 16, v9
	v_mov_b32_e32 v6, 0x3b800000
	v_lshlrev_b32_e32 v2, 20, v2
	v_and_b32_e32 v4, 0x80000000, v4
	v_lshl_add_u32 v3, v3, 23, v6
	v_or3_b32 v2, v4, v3, v2
.LBB1_1644:
	s_or_b64 exec, exec, s[6:7]
	v_lshrrev_b32_e32 v3, 8, v5
	s_movk_i32 s4, 0x7f
	v_cmp_gt_i16_sdwa s[6:7], v3, s4 src0_sel:BYTE_0 src1_sel:DWORD
	s_mov_b64 s[4:5], 0
                                        ; implicit-def: $sgpr10
	s_and_saveexec_b64 s[8:9], s[6:7]
	s_xor_b64 s[6:7], exec, s[8:9]
	s_cbranch_execz .LBB1_1645
; %bb.37485:
	s_getpc_b64 s[14:15]
.Lpost_getpc4406:
	s_add_u32 s14, s14, (.LBB1_15981-.Lpost_getpc4406)&4294967295
	s_addc_u32 s15, s15, (.LBB1_15981-.Lpost_getpc4406)>>32
	s_setpc_b64 s[14:15]
.LBB1_1645:
	s_or_saveexec_b64 s[6:7], s[6:7]
	v_mov_b32_e32 v4, s10
	s_xor_b64 exec, exec, s[6:7]
	s_cbranch_execz .LBB1_1646
; %bb.37487:
	s_getpc_b64 s[14:15]
.Lpost_getpc4407:
	s_add_u32 s14, s14, (.LBB1_15984-.Lpost_getpc4407)&4294967295
	s_addc_u32 s15, s15, (.LBB1_15984-.Lpost_getpc4407)>>32
	s_setpc_b64 s[14:15]
.LBB1_1646:
	s_or_b64 exec, exec, s[6:7]
	s_and_saveexec_b64 s[6:7], s[4:5]
	s_cbranch_execz .LBB1_1648
.LBB1_1647:
	v_bfe_u32 v4, v5, 8, 3
	v_ffbh_u32_e32 v7, v4
	v_min_u32_e32 v7, 32, v7
	v_lshrrev_b16_e32 v6, 3, v3
	v_subrev_u32_e32 v8, 28, v7
	v_and_b32_e32 v6, 15, v6
	v_lshlrev_b32_e32 v3, v8, v3
	v_sub_u32_e32 v7, 29, v7
	v_and_b32_e32 v3, 7, v3
	v_cmp_eq_u16_e32 vcc, 0, v6
	v_cndmask_b32_e32 v3, v4, v3, vcc
	v_cndmask_b32_e32 v4, v6, v7, vcc
	v_lshlrev_b32_e32 v6, 16, v5
	v_mov_b32_e32 v7, 0x3b800000
	v_lshlrev_b32_e32 v3, 20, v3
	v_and_b32_e32 v6, 0x80000000, v6
	v_lshl_add_u32 v4, v4, 23, v7
	v_or3_b32 v4, v6, v4, v3
.LBB1_1648:
	s_or_b64 exec, exec, s[6:7]
	s_nop 0
	v_mfma_f32_16x16x4f32 a[0:3], v2, v4, a[0:3]
	s_movk_i32 s4, 0xff
	v_and_b32_sdwa v3, v9, s4 dst_sel:DWORD dst_unused:UNUSED_PAD src0_sel:WORD_1 src1_sel:DWORD
	s_movk_i32 s4, 0x7f
	v_cmp_lt_i16_e32 vcc, s4, v3
	s_mov_b64 s[4:5], 0
                                        ; implicit-def: $sgpr10
	s_and_saveexec_b64 s[6:7], vcc
	s_xor_b64 s[6:7], exec, s[6:7]
	s_cbranch_execz .LBB1_1649
; %bb.37489:
	s_getpc_b64 s[14:15]
.Lpost_getpc4408:
	s_add_u32 s14, s14, (.LBB1_15985-.Lpost_getpc4408)&4294967295
	s_addc_u32 s15, s15, (.LBB1_15985-.Lpost_getpc4408)>>32
	s_setpc_b64 s[14:15]
.LBB1_1649:
	s_or_saveexec_b64 s[6:7], s[6:7]
	v_mov_b32_e32 v2, s10
	s_xor_b64 exec, exec, s[6:7]
	s_cbranch_execz .LBB1_1650
; %bb.37491:
	s_getpc_b64 s[14:15]
.Lpost_getpc4409:
	s_add_u32 s14, s14, (.LBB1_15988-.Lpost_getpc4409)&4294967295
	s_addc_u32 s15, s15, (.LBB1_15988-.Lpost_getpc4409)>>32
	s_setpc_b64 s[14:15]
.LBB1_1650:
	s_or_b64 exec, exec, s[6:7]
	s_and_saveexec_b64 s[6:7], s[4:5]
	s_cbranch_execz .LBB1_1652
.LBB1_1651:
	v_bfe_u32 v2, v9, 16, 3
	v_ffbh_u32_e32 v6, v2
	v_min_u32_e32 v6, 32, v6
	v_lshrrev_b32_e32 v3, 19, v9
	v_subrev_u32_e32 v7, 28, v6
	v_and_b32_e32 v3, 15, v3
	v_lshlrev_b32_sdwa v7, v7, v9 dst_sel:DWORD dst_unused:UNUSED_PAD src0_sel:DWORD src1_sel:WORD_1
	v_bfe_u32 v4, v9, 19, 4
	v_sub_u32_e32 v6, 29, v6
	v_and_b32_e32 v7, 7, v7
	v_cmp_eq_u16_e32 vcc, 0, v3
	v_cndmask_b32_e32 v2, v2, v7, vcc
	v_cndmask_b32_e32 v3, v4, v6, vcc
	v_lshlrev_b32_e32 v4, 8, v9
	v_mov_b32_e32 v6, 0x3b800000
	v_lshlrev_b32_e32 v2, 20, v2
	v_and_b32_e32 v4, 0x80000000, v4
	v_lshl_add_u32 v3, v3, 23, v6
	v_or3_b32 v2, v4, v3, v2
.LBB1_1652:
	s_or_b64 exec, exec, s[6:7]
	s_movk_i32 s4, 0xff
	v_and_b32_sdwa v3, v5, s4 dst_sel:DWORD dst_unused:UNUSED_PAD src0_sel:WORD_1 src1_sel:DWORD
	s_movk_i32 s4, 0x7f
	v_cmp_lt_i16_e32 vcc, s4, v3
	s_mov_b64 s[4:5], 0
                                        ; implicit-def: $sgpr10
	s_and_saveexec_b64 s[6:7], vcc
	s_xor_b64 s[6:7], exec, s[6:7]
	s_cbranch_execz .LBB1_1653
; %bb.37493:
	s_getpc_b64 s[14:15]
.Lpost_getpc4410:
	s_add_u32 s14, s14, (.LBB1_15989-.Lpost_getpc4410)&4294967295
	s_addc_u32 s15, s15, (.LBB1_15989-.Lpost_getpc4410)>>32
	s_setpc_b64 s[14:15]
.LBB1_1653:
	s_or_saveexec_b64 s[6:7], s[6:7]
	v_mov_b32_e32 v4, s10
	s_xor_b64 exec, exec, s[6:7]
	s_cbranch_execz .LBB1_1654
; %bb.37495:
	s_getpc_b64 s[14:15]
.Lpost_getpc4411:
	s_add_u32 s14, s14, (.LBB1_15992-.Lpost_getpc4411)&4294967295
	s_addc_u32 s15, s15, (.LBB1_15992-.Lpost_getpc4411)>>32
	s_setpc_b64 s[14:15]
.LBB1_1654:
	s_or_b64 exec, exec, s[6:7]
	s_and_saveexec_b64 s[6:7], s[4:5]
	s_cbranch_execz .LBB1_1656
.LBB1_1655:
	v_bfe_u32 v3, v5, 16, 3
	v_ffbh_u32_e32 v7, v3
	v_min_u32_e32 v7, 32, v7
	v_lshrrev_b32_e32 v4, 19, v5
	v_subrev_u32_e32 v8, 28, v7
	v_and_b32_e32 v4, 15, v4
	v_lshlrev_b32_sdwa v8, v8, v5 dst_sel:DWORD dst_unused:UNUSED_PAD src0_sel:DWORD src1_sel:WORD_1
	v_bfe_u32 v6, v5, 19, 4
	v_sub_u32_e32 v7, 29, v7
	v_and_b32_e32 v8, 7, v8
	v_cmp_eq_u16_e32 vcc, 0, v4
	v_cndmask_b32_e32 v3, v3, v8, vcc
	v_cndmask_b32_e32 v4, v6, v7, vcc
	v_lshlrev_b32_e32 v6, 8, v5
	v_mov_b32_e32 v7, 0x3b800000
	v_lshlrev_b32_e32 v3, 20, v3
	v_and_b32_e32 v6, 0x80000000, v6
	v_lshl_add_u32 v4, v4, 23, v7
	v_or3_b32 v4, v6, v4, v3
.LBB1_1656:
	s_or_b64 exec, exec, s[6:7]
	s_nop 0
	v_mfma_f32_16x16x4f32 a[0:3], v2, v4, a[0:3]
	s_movk_i32 s4, 0x7f
	v_cmp_gt_i16_sdwa s[6:7], v9, s4 src0_sel:BYTE_3 src1_sel:DWORD
	s_mov_b64 s[4:5], 0
                                        ; implicit-def: $sgpr10
	s_and_saveexec_b64 s[8:9], s[6:7]
	s_xor_b64 s[6:7], exec, s[8:9]
	s_cbranch_execz .LBB1_1657
; %bb.37497:
	s_getpc_b64 s[14:15]
.Lpost_getpc4412:
	s_add_u32 s14, s14, (.LBB1_15993-.Lpost_getpc4412)&4294967295
	s_addc_u32 s15, s15, (.LBB1_15993-.Lpost_getpc4412)>>32
	s_setpc_b64 s[14:15]
.LBB1_1657:
	s_or_saveexec_b64 s[6:7], s[6:7]
	v_mov_b32_e32 v2, s10
	s_xor_b64 exec, exec, s[6:7]
	s_cbranch_execz .LBB1_1658
; %bb.37499:
	s_getpc_b64 s[14:15]
.Lpost_getpc4413:
	s_add_u32 s14, s14, (.LBB1_15996-.Lpost_getpc4413)&4294967295
	s_addc_u32 s15, s15, (.LBB1_15996-.Lpost_getpc4413)>>32
	s_setpc_b64 s[14:15]
.LBB1_1658:
	s_or_b64 exec, exec, s[6:7]
	s_and_saveexec_b64 s[6:7], s[4:5]
	s_cbranch_execz .LBB1_1660
.LBB1_1659:
	v_bfe_u32 v2, v9, 24, 3
	v_ffbh_u32_e32 v7, v2
	v_min_u32_e32 v7, 32, v7
	v_lshrrev_b32_e32 v4, 27, v9
	v_subrev_u32_e32 v8, 28, v7
	v_and_b32_e32 v4, 15, v4
	v_lshlrev_b32_sdwa v8, v8, v9 dst_sel:DWORD dst_unused:UNUSED_PAD src0_sel:DWORD src1_sel:BYTE_3
	v_bfe_u32 v6, v9, 27, 4
	v_sub_u32_e32 v7, 29, v7
	v_and_b32_e32 v8, 7, v8
	v_cmp_eq_u16_e32 vcc, 0, v4
	v_cndmask_b32_e32 v2, v2, v8, vcc
	v_cndmask_b32_e32 v4, v6, v7, vcc
	v_mov_b32_e32 v6, 0x3b800000
	v_and_b32_e32 v3, 0x80000000, v9
	v_lshlrev_b32_e32 v2, 20, v2
	v_lshl_add_u32 v4, v4, 23, v6
	v_or3_b32 v2, v3, v4, v2
.LBB1_1660:
	s_or_b64 exec, exec, s[6:7]
	s_movk_i32 s4, 0x7f
	v_cmp_gt_i16_sdwa s[6:7], v5, s4 src0_sel:BYTE_3 src1_sel:DWORD
	s_mov_b64 s[4:5], 0
                                        ; implicit-def: $sgpr10
	s_and_saveexec_b64 s[8:9], s[6:7]
	s_xor_b64 s[6:7], exec, s[8:9]
	s_cbranch_execz .LBB1_1661
; %bb.37501:
	s_getpc_b64 s[14:15]
.Lpost_getpc4414:
	s_add_u32 s14, s14, (.LBB1_15997-.Lpost_getpc4414)&4294967295
	s_addc_u32 s15, s15, (.LBB1_15997-.Lpost_getpc4414)>>32
	s_setpc_b64 s[14:15]
.LBB1_1661:
	s_or_saveexec_b64 s[6:7], s[6:7]
	v_mov_b32_e32 v3, s10
	s_xor_b64 exec, exec, s[6:7]
	s_cbranch_execz .LBB1_1662
; %bb.37503:
	s_getpc_b64 s[14:15]
.Lpost_getpc4415:
	s_add_u32 s14, s14, (.LBB1_16000-.Lpost_getpc4415)&4294967295
	s_addc_u32 s15, s15, (.LBB1_16000-.Lpost_getpc4415)>>32
	s_setpc_b64 s[14:15]
.LBB1_1662:
	s_or_b64 exec, exec, s[6:7]
	s_and_saveexec_b64 s[6:7], s[4:5]
	s_cbranch_execz .LBB1_1664
.LBB1_1663:
	v_bfe_u32 v3, v5, 24, 3
	v_ffbh_u32_e32 v8, v3
	v_min_u32_e32 v8, 32, v8
	v_lshrrev_b32_e32 v6, 27, v5
	v_subrev_u32_e32 v9, 28, v8
	v_and_b32_e32 v4, 0x80000000, v5
	v_and_b32_e32 v6, 15, v6
	v_bfe_u32 v7, v5, 27, 4
	v_lshlrev_b32_sdwa v5, v9, v5 dst_sel:DWORD dst_unused:UNUSED_PAD src0_sel:DWORD src1_sel:BYTE_3
	v_sub_u32_e32 v8, 29, v8
	v_and_b32_e32 v5, 7, v5
	v_cmp_eq_u16_e32 vcc, 0, v6
	v_cndmask_b32_e32 v3, v3, v5, vcc
	v_cndmask_b32_e32 v5, v7, v8, vcc
	v_mov_b32_e32 v6, 0x3b800000
	v_lshlrev_b32_e32 v3, 20, v3
	v_lshl_add_u32 v5, v5, 23, v6
	v_or3_b32 v3, v4, v5, v3
.LBB1_1664:
	s_or_b64 exec, exec, s[6:7]
	s_nop 0
	v_mfma_f32_16x16x4f32 a[0:3], v2, v3, a[0:3]
	s_movk_i32 s4, 0x7f
                                        ; implicit-def: $sgpr10
	s_nop 7
	s_nop 1
	flat_store_dwordx4 v[10:11], a[0:3] offset:192
	flat_load_dwordx4 v[12:15], v[0:1]
	s_nop 0
	flat_load_dwordx2 v[10:11], v[0:1] offset:16
	s_waitcnt vmcnt(0) lgkmcnt(0)
	flat_load_dwordx4 v[6:9], v[12:13] offset:16
	flat_load_dwordx4 v[2:5], v[14:15] offset:80
	s_waitcnt vmcnt(0) lgkmcnt(0)
	v_cmp_gt_i16_sdwa s[6:7], v6, s4 src0_sel:BYTE_0 src1_sel:DWORD
	s_mov_b64 s[4:5], 0
	s_and_saveexec_b64 s[8:9], s[6:7]
	s_xor_b64 s[6:7], exec, s[8:9]
	s_cbranch_execz .LBB1_1665
; %bb.37505:
	s_getpc_b64 s[14:15]
.Lpost_getpc4416:
	s_add_u32 s14, s14, (.LBB1_16001-.Lpost_getpc4416)&4294967295
	s_addc_u32 s15, s15, (.LBB1_16001-.Lpost_getpc4416)>>32
	s_setpc_b64 s[14:15]
.LBB1_1665:
	s_or_saveexec_b64 s[6:7], s[6:7]
	v_mov_b32_e32 v12, s10
	s_xor_b64 exec, exec, s[6:7]
	s_cbranch_execz .LBB1_1666
; %bb.37507:
	s_getpc_b64 s[14:15]
.Lpost_getpc4417:
	s_add_u32 s14, s14, (.LBB1_16004-.Lpost_getpc4417)&4294967295
	s_addc_u32 s15, s15, (.LBB1_16004-.Lpost_getpc4417)>>32
	s_setpc_b64 s[14:15]
.LBB1_1666:
	s_or_b64 exec, exec, s[6:7]
	s_and_saveexec_b64 s[6:7], s[4:5]
	s_cbranch_execz .LBB1_1668
.LBB1_1667:
	v_and_b32_e32 v12, 7, v6
	v_ffbh_u32_e32 v14, v12
	v_min_u32_e32 v14, 32, v14
	v_lshrrev_b16_e32 v13, 3, v6
	v_subrev_u32_e32 v15, 28, v14
	v_and_b32_e32 v13, 15, v13
	v_lshlrev_b32_e32 v15, v15, v6
	v_sub_u32_e32 v14, 29, v14
	v_and_b32_e32 v15, 7, v15
	v_cmp_eq_u16_e32 vcc, 0, v13
	v_cndmask_b32_e32 v12, v12, v15, vcc
	v_cndmask_b32_e32 v13, v13, v14, vcc
	v_lshlrev_b32_e32 v14, 24, v6
	v_mov_b32_e32 v15, 0x3b800000
	v_lshlrev_b32_e32 v12, 20, v12
	v_and_b32_e32 v14, 0x80000000, v14
	v_lshl_add_u32 v13, v13, 23, v15
	v_or3_b32 v12, v14, v13, v12
.LBB1_1668:
	s_or_b64 exec, exec, s[6:7]
	s_movk_i32 s4, 0x7f
	v_cmp_gt_i16_sdwa s[6:7], v2, s4 src0_sel:BYTE_0 src1_sel:DWORD
	s_mov_b64 s[4:5], 0
                                        ; implicit-def: $sgpr10
	s_and_saveexec_b64 s[8:9], s[6:7]
	s_xor_b64 s[6:7], exec, s[8:9]
	s_cbranch_execz .LBB1_1669
; %bb.37509:
	s_getpc_b64 s[14:15]
.Lpost_getpc4418:
	s_add_u32 s14, s14, (.LBB1_16005-.Lpost_getpc4418)&4294967295
	s_addc_u32 s15, s15, (.LBB1_16005-.Lpost_getpc4418)>>32
	s_setpc_b64 s[14:15]
.LBB1_1669:
	s_or_saveexec_b64 s[6:7], s[6:7]
	v_mov_b32_e32 v13, s10
	s_xor_b64 exec, exec, s[6:7]
	s_cbranch_execz .LBB1_1670
; %bb.37511:
	s_getpc_b64 s[14:15]
.Lpost_getpc4419:
	s_add_u32 s14, s14, (.LBB1_16008-.Lpost_getpc4419)&4294967295
	s_addc_u32 s15, s15, (.LBB1_16008-.Lpost_getpc4419)>>32
	s_setpc_b64 s[14:15]
.LBB1_1670:
	s_or_b64 exec, exec, s[6:7]
	s_and_saveexec_b64 s[6:7], s[4:5]
	s_cbranch_execz .LBB1_1672
.LBB1_1671:
	v_and_b32_e32 v13, 7, v2
	v_ffbh_u32_e32 v15, v13
	v_min_u32_e32 v15, 32, v15
	v_lshrrev_b16_e32 v14, 3, v2
	v_subrev_u32_e32 v16, 28, v15
	v_and_b32_e32 v14, 15, v14
	v_lshlrev_b32_e32 v16, v16, v2
	v_sub_u32_e32 v15, 29, v15
	v_and_b32_e32 v16, 7, v16
	v_cmp_eq_u16_e32 vcc, 0, v14
	v_cndmask_b32_e32 v13, v13, v16, vcc
	v_cndmask_b32_e32 v14, v14, v15, vcc
	v_lshlrev_b32_e32 v15, 24, v2
	v_mov_b32_e32 v16, 0x3b800000
	v_lshlrev_b32_e32 v13, 20, v13
	v_and_b32_e32 v15, 0x80000000, v15
	v_lshl_add_u32 v14, v14, 23, v16
	v_or3_b32 v13, v15, v14, v13
.LBB1_1672:
	s_or_b64 exec, exec, s[6:7]
	flat_load_dwordx4 a[0:3], v[10:11] offset:208
	s_movk_i32 s4, 0x7f
                                        ; implicit-def: $sgpr10
	s_waitcnt vmcnt(0) lgkmcnt(0)
	v_mfma_f32_16x16x4f32 a[0:3], v12, v13, a[0:3]
	v_lshrrev_b32_e32 v13, 8, v6
	v_cmp_gt_i16_sdwa s[6:7], v13, s4 src0_sel:BYTE_0 src1_sel:DWORD
	s_mov_b64 s[4:5], 0
	s_and_saveexec_b64 s[8:9], s[6:7]
	s_xor_b64 s[6:7], exec, s[8:9]
	s_cbranch_execz .LBB1_1673
; %bb.37513:
	s_getpc_b64 s[14:15]
.Lpost_getpc4420:
	s_add_u32 s14, s14, (.LBB1_16009-.Lpost_getpc4420)&4294967295
	s_addc_u32 s15, s15, (.LBB1_16009-.Lpost_getpc4420)>>32
	s_setpc_b64 s[14:15]
.LBB1_1673:
	s_or_saveexec_b64 s[6:7], s[6:7]
	v_mov_b32_e32 v12, s10
	s_xor_b64 exec, exec, s[6:7]
	s_cbranch_execz .LBB1_1674
; %bb.37515:
	s_getpc_b64 s[14:15]
.Lpost_getpc4421:
	s_add_u32 s14, s14, (.LBB1_16012-.Lpost_getpc4421)&4294967295
	s_addc_u32 s15, s15, (.LBB1_16012-.Lpost_getpc4421)>>32
	s_setpc_b64 s[14:15]
.LBB1_1674:
	s_or_b64 exec, exec, s[6:7]
	s_and_saveexec_b64 s[6:7], s[4:5]
	s_cbranch_execz .LBB1_1676
.LBB1_1675:
	v_bfe_u32 v12, v6, 8, 3
	v_ffbh_u32_e32 v15, v12
	v_min_u32_e32 v15, 32, v15
	v_lshrrev_b16_e32 v14, 3, v13
	v_subrev_u32_e32 v16, 28, v15
	v_and_b32_e32 v14, 15, v14
	v_lshlrev_b32_e32 v13, v16, v13
	v_sub_u32_e32 v15, 29, v15
	v_and_b32_e32 v13, 7, v13
	v_cmp_eq_u16_e32 vcc, 0, v14
	v_cndmask_b32_e32 v12, v12, v13, vcc
	v_cndmask_b32_e32 v13, v14, v15, vcc
	v_lshlrev_b32_e32 v14, 16, v6
	v_mov_b32_e32 v15, 0x3b800000
	v_lshlrev_b32_e32 v12, 20, v12
	v_and_b32_e32 v14, 0x80000000, v14
	v_lshl_add_u32 v13, v13, 23, v15
	v_or3_b32 v12, v14, v13, v12
.LBB1_1676:
	s_or_b64 exec, exec, s[6:7]
	v_lshrrev_b32_e32 v13, 8, v2
	s_movk_i32 s4, 0x7f
	v_cmp_gt_i16_sdwa s[6:7], v13, s4 src0_sel:BYTE_0 src1_sel:DWORD
	s_mov_b64 s[4:5], 0
                                        ; implicit-def: $sgpr10
	s_and_saveexec_b64 s[8:9], s[6:7]
	s_xor_b64 s[6:7], exec, s[8:9]
	s_cbranch_execz .LBB1_1677
; %bb.37517:
	s_getpc_b64 s[14:15]
.Lpost_getpc4422:
	s_add_u32 s14, s14, (.LBB1_16013-.Lpost_getpc4422)&4294967295
	s_addc_u32 s15, s15, (.LBB1_16013-.Lpost_getpc4422)>>32
	s_setpc_b64 s[14:15]
.LBB1_1677:
	s_or_saveexec_b64 s[6:7], s[6:7]
	v_mov_b32_e32 v14, s10
	s_xor_b64 exec, exec, s[6:7]
	s_cbranch_execz .LBB1_1678
; %bb.37519:
	s_getpc_b64 s[14:15]
.Lpost_getpc4423:
	s_add_u32 s14, s14, (.LBB1_16016-.Lpost_getpc4423)&4294967295
	s_addc_u32 s15, s15, (.LBB1_16016-.Lpost_getpc4423)>>32
	s_setpc_b64 s[14:15]
.LBB1_1678:
	s_or_b64 exec, exec, s[6:7]
	s_and_saveexec_b64 s[6:7], s[4:5]
	s_cbranch_execz .LBB1_1680
.LBB1_1679:
	v_bfe_u32 v14, v2, 8, 3
	v_ffbh_u32_e32 v16, v14
	v_min_u32_e32 v16, 32, v16
	v_lshrrev_b16_e32 v15, 3, v13
	v_subrev_u32_e32 v17, 28, v16
	v_and_b32_e32 v15, 15, v15
	v_lshlrev_b32_e32 v13, v17, v13
	v_sub_u32_e32 v16, 29, v16
	v_and_b32_e32 v13, 7, v13
	v_cmp_eq_u16_e32 vcc, 0, v15
	v_cndmask_b32_e32 v13, v14, v13, vcc
	v_cndmask_b32_e32 v14, v15, v16, vcc
	v_lshlrev_b32_e32 v15, 16, v2
	v_mov_b32_e32 v16, 0x3b800000
	v_lshlrev_b32_e32 v13, 20, v13
	v_and_b32_e32 v15, 0x80000000, v15
	v_lshl_add_u32 v14, v14, 23, v16
	v_or3_b32 v14, v15, v14, v13
.LBB1_1680:
	s_or_b64 exec, exec, s[6:7]
	s_nop 0
	v_mfma_f32_16x16x4f32 a[0:3], v12, v14, a[0:3]
	s_movk_i32 s4, 0xff
	v_and_b32_sdwa v13, v6, s4 dst_sel:DWORD dst_unused:UNUSED_PAD src0_sel:WORD_1 src1_sel:DWORD
	s_movk_i32 s4, 0x7f
	v_cmp_lt_i16_e32 vcc, s4, v13
	s_mov_b64 s[4:5], 0
                                        ; implicit-def: $sgpr10
	s_and_saveexec_b64 s[6:7], vcc
	s_xor_b64 s[6:7], exec, s[6:7]
	s_cbranch_execz .LBB1_1681
; %bb.37521:
	s_getpc_b64 s[14:15]
.Lpost_getpc4424:
	s_add_u32 s14, s14, (.LBB1_16017-.Lpost_getpc4424)&4294967295
	s_addc_u32 s15, s15, (.LBB1_16017-.Lpost_getpc4424)>>32
	s_setpc_b64 s[14:15]
.LBB1_1681:
	s_or_saveexec_b64 s[6:7], s[6:7]
	v_mov_b32_e32 v12, s10
	s_xor_b64 exec, exec, s[6:7]
	s_cbranch_execz .LBB1_1682
; %bb.37523:
	s_getpc_b64 s[14:15]
.Lpost_getpc4425:
	s_add_u32 s14, s14, (.LBB1_16020-.Lpost_getpc4425)&4294967295
	s_addc_u32 s15, s15, (.LBB1_16020-.Lpost_getpc4425)>>32
	s_setpc_b64 s[14:15]
.LBB1_1682:
	s_or_b64 exec, exec, s[6:7]
	s_and_saveexec_b64 s[6:7], s[4:5]
	s_cbranch_execz .LBB1_1684
.LBB1_1683:
	v_bfe_u32 v12, v6, 16, 3
	v_ffbh_u32_e32 v15, v12
	v_min_u32_e32 v15, 32, v15
	v_lshrrev_b32_e32 v13, 19, v6
	v_subrev_u32_e32 v16, 28, v15
	v_and_b32_e32 v13, 15, v13
	v_lshlrev_b32_sdwa v16, v16, v6 dst_sel:DWORD dst_unused:UNUSED_PAD src0_sel:DWORD src1_sel:WORD_1
	v_bfe_u32 v14, v6, 19, 4
	v_sub_u32_e32 v15, 29, v15
	v_and_b32_e32 v16, 7, v16
	v_cmp_eq_u16_e32 vcc, 0, v13
	v_cndmask_b32_e32 v12, v12, v16, vcc
	v_cndmask_b32_e32 v13, v14, v15, vcc
	v_lshlrev_b32_e32 v14, 8, v6
	v_mov_b32_e32 v15, 0x3b800000
	v_lshlrev_b32_e32 v12, 20, v12
	v_and_b32_e32 v14, 0x80000000, v14
	v_lshl_add_u32 v13, v13, 23, v15
	v_or3_b32 v12, v14, v13, v12
.LBB1_1684:
	s_or_b64 exec, exec, s[6:7]
	s_movk_i32 s4, 0xff
	v_and_b32_sdwa v13, v2, s4 dst_sel:DWORD dst_unused:UNUSED_PAD src0_sel:WORD_1 src1_sel:DWORD
	s_movk_i32 s4, 0x7f
	v_cmp_lt_i16_e32 vcc, s4, v13
	s_mov_b64 s[4:5], 0
                                        ; implicit-def: $sgpr10
	s_and_saveexec_b64 s[6:7], vcc
	s_xor_b64 s[6:7], exec, s[6:7]
	s_cbranch_execz .LBB1_1685
; %bb.37525:
	s_getpc_b64 s[14:15]
.Lpost_getpc4426:
	s_add_u32 s14, s14, (.LBB1_16021-.Lpost_getpc4426)&4294967295
	s_addc_u32 s15, s15, (.LBB1_16021-.Lpost_getpc4426)>>32
	s_setpc_b64 s[14:15]
.LBB1_1685:
	s_or_saveexec_b64 s[6:7], s[6:7]
	v_mov_b32_e32 v14, s10
	s_xor_b64 exec, exec, s[6:7]
	s_cbranch_execz .LBB1_1686
; %bb.37527:
	s_getpc_b64 s[14:15]
.Lpost_getpc4427:
	s_add_u32 s14, s14, (.LBB1_16024-.Lpost_getpc4427)&4294967295
	s_addc_u32 s15, s15, (.LBB1_16024-.Lpost_getpc4427)>>32
	s_setpc_b64 s[14:15]
.LBB1_1686:
	s_or_b64 exec, exec, s[6:7]
	s_and_saveexec_b64 s[6:7], s[4:5]
	s_cbranch_execz .LBB1_1688
.LBB1_1687:
	v_bfe_u32 v13, v2, 16, 3
	v_ffbh_u32_e32 v16, v13
	v_min_u32_e32 v16, 32, v16
	v_lshrrev_b32_e32 v14, 19, v2
	v_subrev_u32_e32 v17, 28, v16
	v_and_b32_e32 v14, 15, v14
	v_lshlrev_b32_sdwa v17, v17, v2 dst_sel:DWORD dst_unused:UNUSED_PAD src0_sel:DWORD src1_sel:WORD_1
	v_bfe_u32 v15, v2, 19, 4
	v_sub_u32_e32 v16, 29, v16
	v_and_b32_e32 v17, 7, v17
	v_cmp_eq_u16_e32 vcc, 0, v14
	v_cndmask_b32_e32 v13, v13, v17, vcc
	v_cndmask_b32_e32 v14, v15, v16, vcc
	v_lshlrev_b32_e32 v15, 8, v2
	v_mov_b32_e32 v16, 0x3b800000
	v_lshlrev_b32_e32 v13, 20, v13
	v_and_b32_e32 v15, 0x80000000, v15
	v_lshl_add_u32 v14, v14, 23, v16
	v_or3_b32 v14, v15, v14, v13
.LBB1_1688:
	s_or_b64 exec, exec, s[6:7]
	s_nop 0
	v_mfma_f32_16x16x4f32 a[0:3], v12, v14, a[0:3]
	s_movk_i32 s4, 0x7f
	v_cmp_gt_i16_sdwa s[6:7], v6, s4 src0_sel:BYTE_3 src1_sel:DWORD
	s_mov_b64 s[4:5], 0
                                        ; implicit-def: $sgpr10
	s_and_saveexec_b64 s[8:9], s[6:7]
	s_xor_b64 s[6:7], exec, s[8:9]
	s_cbranch_execz .LBB1_1689
; %bb.37529:
	s_getpc_b64 s[14:15]
.Lpost_getpc4428:
	s_add_u32 s14, s14, (.LBB1_16025-.Lpost_getpc4428)&4294967295
	s_addc_u32 s15, s15, (.LBB1_16025-.Lpost_getpc4428)>>32
	s_setpc_b64 s[14:15]
.LBB1_1689:
	s_or_saveexec_b64 s[6:7], s[6:7]
	v_mov_b32_e32 v12, s10
	s_xor_b64 exec, exec, s[6:7]
	s_cbranch_execz .LBB1_1690
; %bb.37531:
	s_getpc_b64 s[14:15]
.Lpost_getpc4429:
	s_add_u32 s14, s14, (.LBB1_16028-.Lpost_getpc4429)&4294967295
	s_addc_u32 s15, s15, (.LBB1_16028-.Lpost_getpc4429)>>32
	s_setpc_b64 s[14:15]
.LBB1_1690:
	s_or_b64 exec, exec, s[6:7]
	s_and_saveexec_b64 s[6:7], s[4:5]
	s_cbranch_execz .LBB1_1692
.LBB1_1691:
	v_bfe_u32 v12, v6, 24, 3
	v_ffbh_u32_e32 v16, v12
	v_min_u32_e32 v16, 32, v16
	v_lshrrev_b32_e32 v14, 27, v6
	v_subrev_u32_e32 v17, 28, v16
	v_and_b32_e32 v13, 0x80000000, v6
	v_and_b32_e32 v14, 15, v14
	v_bfe_u32 v15, v6, 27, 4
	v_lshlrev_b32_sdwa v6, v17, v6 dst_sel:DWORD dst_unused:UNUSED_PAD src0_sel:DWORD src1_sel:BYTE_3
	v_sub_u32_e32 v16, 29, v16
	v_and_b32_e32 v6, 7, v6
	v_cmp_eq_u16_e32 vcc, 0, v14
	v_cndmask_b32_e32 v6, v12, v6, vcc
	v_cndmask_b32_e32 v12, v15, v16, vcc
	v_mov_b32_e32 v14, 0x3b800000
	v_lshlrev_b32_e32 v6, 20, v6
	v_lshl_add_u32 v12, v12, 23, v14
	v_or3_b32 v12, v13, v12, v6
.LBB1_1692:
	s_or_b64 exec, exec, s[6:7]
	s_movk_i32 s4, 0x7f
	v_cmp_gt_i16_sdwa s[6:7], v2, s4 src0_sel:BYTE_3 src1_sel:DWORD
	s_mov_b64 s[4:5], 0
                                        ; implicit-def: $sgpr10
	s_and_saveexec_b64 s[8:9], s[6:7]
	s_xor_b64 s[6:7], exec, s[8:9]
	s_cbranch_execz .LBB1_1693
; %bb.37533:
	s_getpc_b64 s[14:15]
.Lpost_getpc4430:
	s_add_u32 s14, s14, (.LBB1_16029-.Lpost_getpc4430)&4294967295
	s_addc_u32 s15, s15, (.LBB1_16029-.Lpost_getpc4430)>>32
	s_setpc_b64 s[14:15]
.LBB1_1693:
	s_or_saveexec_b64 s[6:7], s[6:7]
	v_mov_b32_e32 v6, s10
	s_xor_b64 exec, exec, s[6:7]
	s_cbranch_execz .LBB1_1694
; %bb.37535:
	s_getpc_b64 s[14:15]
.Lpost_getpc4431:
	s_add_u32 s14, s14, (.LBB1_16032-.Lpost_getpc4431)&4294967295
	s_addc_u32 s15, s15, (.LBB1_16032-.Lpost_getpc4431)>>32
	s_setpc_b64 s[14:15]
.LBB1_1694:
	s_or_b64 exec, exec, s[6:7]
	s_and_saveexec_b64 s[6:7], s[4:5]
	s_cbranch_execz .LBB1_1696
.LBB1_1695:
	v_bfe_u32 v6, v2, 24, 3
	v_ffbh_u32_e32 v16, v6
	v_min_u32_e32 v16, 32, v16
	v_lshrrev_b32_e32 v14, 27, v2
	v_subrev_u32_e32 v17, 28, v16
	v_and_b32_e32 v13, 0x80000000, v2
	v_and_b32_e32 v14, 15, v14
	v_bfe_u32 v15, v2, 27, 4
	v_lshlrev_b32_sdwa v2, v17, v2 dst_sel:DWORD dst_unused:UNUSED_PAD src0_sel:DWORD src1_sel:BYTE_3
	v_sub_u32_e32 v16, 29, v16
	v_and_b32_e32 v2, 7, v2
	v_cmp_eq_u16_e32 vcc, 0, v14
	v_cndmask_b32_e32 v2, v6, v2, vcc
	v_cndmask_b32_e32 v6, v15, v16, vcc
	v_mov_b32_e32 v14, 0x3b800000
	v_lshlrev_b32_e32 v2, 20, v2
	v_lshl_add_u32 v6, v6, 23, v14
	v_or3_b32 v6, v13, v6, v2
.LBB1_1696:
	s_or_b64 exec, exec, s[6:7]
	s_nop 0
	v_mfma_f32_16x16x4f32 a[0:3], v12, v6, a[0:3]
	s_movk_i32 s4, 0x7f
	v_cmp_gt_i16_sdwa s[6:7], v7, s4 src0_sel:BYTE_0 src1_sel:DWORD
	s_mov_b64 s[4:5], 0
                                        ; implicit-def: $sgpr10
	s_and_saveexec_b64 s[8:9], s[6:7]
	s_xor_b64 s[6:7], exec, s[8:9]
	s_cbranch_execz .LBB1_1697
; %bb.37537:
	s_getpc_b64 s[14:15]
.Lpost_getpc4432:
	s_add_u32 s14, s14, (.LBB1_16033-.Lpost_getpc4432)&4294967295
	s_addc_u32 s15, s15, (.LBB1_16033-.Lpost_getpc4432)>>32
	s_setpc_b64 s[14:15]
.LBB1_1697:
	s_or_saveexec_b64 s[6:7], s[6:7]
	v_mov_b32_e32 v2, s10
	s_xor_b64 exec, exec, s[6:7]
	s_cbranch_execz .LBB1_1698
; %bb.37539:
	s_getpc_b64 s[14:15]
.Lpost_getpc4433:
	s_add_u32 s14, s14, (.LBB1_16036-.Lpost_getpc4433)&4294967295
	s_addc_u32 s15, s15, (.LBB1_16036-.Lpost_getpc4433)>>32
	s_setpc_b64 s[14:15]
.LBB1_1698:
	s_or_b64 exec, exec, s[6:7]
	s_and_saveexec_b64 s[6:7], s[4:5]
	s_cbranch_execz .LBB1_1700
.LBB1_1699:
	v_and_b32_e32 v2, 7, v7
	v_ffbh_u32_e32 v12, v2
	v_min_u32_e32 v12, 32, v12
	v_lshrrev_b16_e32 v6, 3, v7
	v_subrev_u32_e32 v13, 28, v12
	v_and_b32_e32 v6, 15, v6
	v_lshlrev_b32_e32 v13, v13, v7
	v_sub_u32_e32 v12, 29, v12
	v_and_b32_e32 v13, 7, v13
	v_cmp_eq_u16_e32 vcc, 0, v6
	v_cndmask_b32_e32 v2, v2, v13, vcc
	v_cndmask_b32_e32 v6, v6, v12, vcc
	v_lshlrev_b32_e32 v12, 24, v7
	v_mov_b32_e32 v13, 0x3b800000
	v_lshlrev_b32_e32 v2, 20, v2
	v_and_b32_e32 v12, 0x80000000, v12
	v_lshl_add_u32 v6, v6, 23, v13
	v_or3_b32 v2, v12, v6, v2
.LBB1_1700:
	s_or_b64 exec, exec, s[6:7]
	s_movk_i32 s4, 0x7f
	v_cmp_gt_i16_sdwa s[6:7], v3, s4 src0_sel:BYTE_0 src1_sel:DWORD
	s_mov_b64 s[4:5], 0
                                        ; implicit-def: $sgpr10
	s_and_saveexec_b64 s[8:9], s[6:7]
	s_xor_b64 s[6:7], exec, s[8:9]
	s_cbranch_execz .LBB1_1701
; %bb.37541:
	s_getpc_b64 s[14:15]
.Lpost_getpc4434:
	s_add_u32 s14, s14, (.LBB1_16037-.Lpost_getpc4434)&4294967295
	s_addc_u32 s15, s15, (.LBB1_16037-.Lpost_getpc4434)>>32
	s_setpc_b64 s[14:15]
.LBB1_1701:
	s_or_saveexec_b64 s[6:7], s[6:7]
	v_mov_b32_e32 v6, s10
	s_xor_b64 exec, exec, s[6:7]
	s_cbranch_execz .LBB1_1702
; %bb.37543:
	s_getpc_b64 s[14:15]
.Lpost_getpc4435:
	s_add_u32 s14, s14, (.LBB1_16040-.Lpost_getpc4435)&4294967295
	s_addc_u32 s15, s15, (.LBB1_16040-.Lpost_getpc4435)>>32
	s_setpc_b64 s[14:15]
.LBB1_1702:
	s_or_b64 exec, exec, s[6:7]
	s_and_saveexec_b64 s[6:7], s[4:5]
	s_cbranch_execz .LBB1_1704
.LBB1_1703:
	v_and_b32_e32 v6, 7, v3
	v_ffbh_u32_e32 v13, v6
	v_min_u32_e32 v13, 32, v13
	v_lshrrev_b16_e32 v12, 3, v3
	v_subrev_u32_e32 v14, 28, v13
	v_and_b32_e32 v12, 15, v12
	v_lshlrev_b32_e32 v14, v14, v3
	v_sub_u32_e32 v13, 29, v13
	v_and_b32_e32 v14, 7, v14
	v_cmp_eq_u16_e32 vcc, 0, v12
	v_cndmask_b32_e32 v6, v6, v14, vcc
	v_cndmask_b32_e32 v12, v12, v13, vcc
	v_lshlrev_b32_e32 v13, 24, v3
	v_mov_b32_e32 v14, 0x3b800000
	v_lshlrev_b32_e32 v6, 20, v6
	v_and_b32_e32 v13, 0x80000000, v13
	v_lshl_add_u32 v12, v12, 23, v14
	v_or3_b32 v6, v13, v12, v6
.LBB1_1704:
	s_or_b64 exec, exec, s[6:7]
	s_nop 0
	v_mfma_f32_16x16x4f32 a[0:3], v2, v6, a[0:3]
	v_lshrrev_b32_e32 v6, 8, v7
	s_movk_i32 s4, 0x7f
	v_cmp_gt_i16_sdwa s[6:7], v6, s4 src0_sel:BYTE_0 src1_sel:DWORD
	s_mov_b64 s[4:5], 0
                                        ; implicit-def: $sgpr10
	s_and_saveexec_b64 s[8:9], s[6:7]
	s_xor_b64 s[6:7], exec, s[8:9]
	s_cbranch_execz .LBB1_1705
; %bb.37545:
	s_getpc_b64 s[14:15]
.Lpost_getpc4436:
	s_add_u32 s14, s14, (.LBB1_16041-.Lpost_getpc4436)&4294967295
	s_addc_u32 s15, s15, (.LBB1_16041-.Lpost_getpc4436)>>32
	s_setpc_b64 s[14:15]
.LBB1_1705:
	s_or_saveexec_b64 s[6:7], s[6:7]
	v_mov_b32_e32 v2, s10
	s_xor_b64 exec, exec, s[6:7]
	s_cbranch_execz .LBB1_1706
; %bb.37547:
	s_getpc_b64 s[14:15]
.Lpost_getpc4437:
	s_add_u32 s14, s14, (.LBB1_16044-.Lpost_getpc4437)&4294967295
	s_addc_u32 s15, s15, (.LBB1_16044-.Lpost_getpc4437)>>32
	s_setpc_b64 s[14:15]
.LBB1_1706:
	s_or_b64 exec, exec, s[6:7]
	s_and_saveexec_b64 s[6:7], s[4:5]
	s_cbranch_execz .LBB1_1708
.LBB1_1707:
	v_bfe_u32 v2, v7, 8, 3
	v_ffbh_u32_e32 v13, v2
	v_min_u32_e32 v13, 32, v13
	v_lshrrev_b16_e32 v12, 3, v6
	v_subrev_u32_e32 v14, 28, v13
	v_and_b32_e32 v12, 15, v12
	v_lshlrev_b32_e32 v6, v14, v6
	v_sub_u32_e32 v13, 29, v13
	v_and_b32_e32 v6, 7, v6
	v_cmp_eq_u16_e32 vcc, 0, v12
	v_cndmask_b32_e32 v2, v2, v6, vcc
	v_cndmask_b32_e32 v6, v12, v13, vcc
	v_lshlrev_b32_e32 v12, 16, v7
	v_mov_b32_e32 v13, 0x3b800000
	v_lshlrev_b32_e32 v2, 20, v2
	v_and_b32_e32 v12, 0x80000000, v12
	v_lshl_add_u32 v6, v6, 23, v13
	v_or3_b32 v2, v12, v6, v2
.LBB1_1708:
	s_or_b64 exec, exec, s[6:7]
	v_lshrrev_b32_e32 v6, 8, v3
	s_movk_i32 s4, 0x7f
	v_cmp_gt_i16_sdwa s[6:7], v6, s4 src0_sel:BYTE_0 src1_sel:DWORD
	s_mov_b64 s[4:5], 0
                                        ; implicit-def: $sgpr10
	s_and_saveexec_b64 s[8:9], s[6:7]
	s_xor_b64 s[6:7], exec, s[8:9]
	s_cbranch_execz .LBB1_1709
; %bb.37549:
	s_getpc_b64 s[14:15]
.Lpost_getpc4438:
	s_add_u32 s14, s14, (.LBB1_16045-.Lpost_getpc4438)&4294967295
	s_addc_u32 s15, s15, (.LBB1_16045-.Lpost_getpc4438)>>32
	s_setpc_b64 s[14:15]
.LBB1_1709:
	s_or_saveexec_b64 s[6:7], s[6:7]
	v_mov_b32_e32 v12, s10
	s_xor_b64 exec, exec, s[6:7]
	s_cbranch_execz .LBB1_1710
; %bb.37551:
	s_getpc_b64 s[14:15]
.Lpost_getpc4439:
	s_add_u32 s14, s14, (.LBB1_16048-.Lpost_getpc4439)&4294967295
	s_addc_u32 s15, s15, (.LBB1_16048-.Lpost_getpc4439)>>32
	s_setpc_b64 s[14:15]
.LBB1_1710:
	s_or_b64 exec, exec, s[6:7]
	s_and_saveexec_b64 s[6:7], s[4:5]
	s_cbranch_execz .LBB1_1712
.LBB1_1711:
	v_bfe_u32 v12, v3, 8, 3
	v_ffbh_u32_e32 v14, v12
	v_min_u32_e32 v14, 32, v14
	v_lshrrev_b16_e32 v13, 3, v6
	v_subrev_u32_e32 v15, 28, v14
	v_and_b32_e32 v13, 15, v13
	v_lshlrev_b32_e32 v6, v15, v6
	v_sub_u32_e32 v14, 29, v14
	v_and_b32_e32 v6, 7, v6
	v_cmp_eq_u16_e32 vcc, 0, v13
	v_cndmask_b32_e32 v6, v12, v6, vcc
	v_cndmask_b32_e32 v12, v13, v14, vcc
	v_lshlrev_b32_e32 v13, 16, v3
	v_mov_b32_e32 v14, 0x3b800000
	v_lshlrev_b32_e32 v6, 20, v6
	v_and_b32_e32 v13, 0x80000000, v13
	v_lshl_add_u32 v12, v12, 23, v14
	v_or3_b32 v12, v13, v12, v6
.LBB1_1712:
	s_or_b64 exec, exec, s[6:7]
	s_nop 0
	v_mfma_f32_16x16x4f32 a[0:3], v2, v12, a[0:3]
	s_movk_i32 s4, 0xff
	v_and_b32_sdwa v6, v7, s4 dst_sel:DWORD dst_unused:UNUSED_PAD src0_sel:WORD_1 src1_sel:DWORD
	s_movk_i32 s4, 0x7f
	v_cmp_lt_i16_e32 vcc, s4, v6
	s_mov_b64 s[4:5], 0
                                        ; implicit-def: $sgpr10
	s_and_saveexec_b64 s[6:7], vcc
	s_xor_b64 s[6:7], exec, s[6:7]
	s_cbranch_execz .LBB1_1713
; %bb.37553:
	s_getpc_b64 s[14:15]
.Lpost_getpc4440:
	s_add_u32 s14, s14, (.LBB1_16049-.Lpost_getpc4440)&4294967295
	s_addc_u32 s15, s15, (.LBB1_16049-.Lpost_getpc4440)>>32
	s_setpc_b64 s[14:15]
.LBB1_1713:
	s_or_saveexec_b64 s[6:7], s[6:7]
	v_mov_b32_e32 v2, s10
	s_xor_b64 exec, exec, s[6:7]
	s_cbranch_execz .LBB1_1714
; %bb.37555:
	s_getpc_b64 s[14:15]
.Lpost_getpc4441:
	s_add_u32 s14, s14, (.LBB1_16052-.Lpost_getpc4441)&4294967295
	s_addc_u32 s15, s15, (.LBB1_16052-.Lpost_getpc4441)>>32
	s_setpc_b64 s[14:15]
.LBB1_1714:
	s_or_b64 exec, exec, s[6:7]
	s_and_saveexec_b64 s[6:7], s[4:5]
	s_cbranch_execz .LBB1_1716
.LBB1_1715:
	v_bfe_u32 v2, v7, 16, 3
	v_ffbh_u32_e32 v13, v2
	v_min_u32_e32 v13, 32, v13
	v_lshrrev_b32_e32 v6, 19, v7
	v_subrev_u32_e32 v14, 28, v13
	v_and_b32_e32 v6, 15, v6
	v_lshlrev_b32_sdwa v14, v14, v7 dst_sel:DWORD dst_unused:UNUSED_PAD src0_sel:DWORD src1_sel:WORD_1
	v_bfe_u32 v12, v7, 19, 4
	v_sub_u32_e32 v13, 29, v13
	v_and_b32_e32 v14, 7, v14
	v_cmp_eq_u16_e32 vcc, 0, v6
	v_cndmask_b32_e32 v2, v2, v14, vcc
	v_cndmask_b32_e32 v6, v12, v13, vcc
	v_lshlrev_b32_e32 v12, 8, v7
	v_mov_b32_e32 v13, 0x3b800000
	v_lshlrev_b32_e32 v2, 20, v2
	v_and_b32_e32 v12, 0x80000000, v12
	v_lshl_add_u32 v6, v6, 23, v13
	v_or3_b32 v2, v12, v6, v2
.LBB1_1716:
	s_or_b64 exec, exec, s[6:7]
	s_movk_i32 s4, 0xff
	v_and_b32_sdwa v6, v3, s4 dst_sel:DWORD dst_unused:UNUSED_PAD src0_sel:WORD_1 src1_sel:DWORD
	s_movk_i32 s4, 0x7f
	v_cmp_lt_i16_e32 vcc, s4, v6
	s_mov_b64 s[4:5], 0
                                        ; implicit-def: $sgpr10
	s_and_saveexec_b64 s[6:7], vcc
	s_xor_b64 s[6:7], exec, s[6:7]
	s_cbranch_execz .LBB1_1717
; %bb.37557:
	s_getpc_b64 s[14:15]
.Lpost_getpc4442:
	s_add_u32 s14, s14, (.LBB1_16053-.Lpost_getpc4442)&4294967295
	s_addc_u32 s15, s15, (.LBB1_16053-.Lpost_getpc4442)>>32
	s_setpc_b64 s[14:15]
.LBB1_1717:
	s_or_saveexec_b64 s[6:7], s[6:7]
	v_mov_b32_e32 v12, s10
	s_xor_b64 exec, exec, s[6:7]
	s_cbranch_execz .LBB1_1718
; %bb.37559:
	s_getpc_b64 s[14:15]
.Lpost_getpc4443:
	s_add_u32 s14, s14, (.LBB1_16056-.Lpost_getpc4443)&4294967295
	s_addc_u32 s15, s15, (.LBB1_16056-.Lpost_getpc4443)>>32
	s_setpc_b64 s[14:15]
.LBB1_1718:
	s_or_b64 exec, exec, s[6:7]
	s_and_saveexec_b64 s[6:7], s[4:5]
	s_cbranch_execz .LBB1_1720
.LBB1_1719:
	v_bfe_u32 v6, v3, 16, 3
	v_ffbh_u32_e32 v14, v6
	v_min_u32_e32 v14, 32, v14
	v_lshrrev_b32_e32 v12, 19, v3
	v_subrev_u32_e32 v15, 28, v14
	v_and_b32_e32 v12, 15, v12
	v_lshlrev_b32_sdwa v15, v15, v3 dst_sel:DWORD dst_unused:UNUSED_PAD src0_sel:DWORD src1_sel:WORD_1
	v_bfe_u32 v13, v3, 19, 4
	v_sub_u32_e32 v14, 29, v14
	v_and_b32_e32 v15, 7, v15
	v_cmp_eq_u16_e32 vcc, 0, v12
	v_cndmask_b32_e32 v6, v6, v15, vcc
	v_cndmask_b32_e32 v12, v13, v14, vcc
	v_lshlrev_b32_e32 v13, 8, v3
	v_mov_b32_e32 v14, 0x3b800000
	v_lshlrev_b32_e32 v6, 20, v6
	v_and_b32_e32 v13, 0x80000000, v13
	v_lshl_add_u32 v12, v12, 23, v14
	v_or3_b32 v12, v13, v12, v6
.LBB1_1720:
	s_or_b64 exec, exec, s[6:7]
	s_nop 0
	v_mfma_f32_16x16x4f32 a[0:3], v2, v12, a[0:3]
	s_movk_i32 s4, 0x7f
	v_cmp_gt_i16_sdwa s[6:7], v7, s4 src0_sel:BYTE_3 src1_sel:DWORD
	s_mov_b64 s[4:5], 0
                                        ; implicit-def: $sgpr10
	s_and_saveexec_b64 s[8:9], s[6:7]
	s_xor_b64 s[6:7], exec, s[8:9]
	s_cbranch_execz .LBB1_1721
; %bb.37561:
	s_getpc_b64 s[14:15]
.Lpost_getpc4444:
	s_add_u32 s14, s14, (.LBB1_16057-.Lpost_getpc4444)&4294967295
	s_addc_u32 s15, s15, (.LBB1_16057-.Lpost_getpc4444)>>32
	s_setpc_b64 s[14:15]
.LBB1_1721:
	s_or_saveexec_b64 s[6:7], s[6:7]
	v_mov_b32_e32 v2, s10
	s_xor_b64 exec, exec, s[6:7]
	s_cbranch_execz .LBB1_1722
; %bb.37563:
	s_getpc_b64 s[14:15]
.Lpost_getpc4445:
	s_add_u32 s14, s14, (.LBB1_16060-.Lpost_getpc4445)&4294967295
	s_addc_u32 s15, s15, (.LBB1_16060-.Lpost_getpc4445)>>32
	s_setpc_b64 s[14:15]
.LBB1_1722:
	s_or_b64 exec, exec, s[6:7]
	s_and_saveexec_b64 s[6:7], s[4:5]
	s_cbranch_execz .LBB1_1724
.LBB1_1723:
	v_bfe_u32 v2, v7, 24, 3
	v_ffbh_u32_e32 v14, v2
	v_min_u32_e32 v14, 32, v14
	v_lshrrev_b32_e32 v12, 27, v7
	v_subrev_u32_e32 v15, 28, v14
	v_and_b32_e32 v6, 0x80000000, v7
	v_and_b32_e32 v12, 15, v12
	v_bfe_u32 v13, v7, 27, 4
	v_lshlrev_b32_sdwa v7, v15, v7 dst_sel:DWORD dst_unused:UNUSED_PAD src0_sel:DWORD src1_sel:BYTE_3
	v_sub_u32_e32 v14, 29, v14
	v_and_b32_e32 v7, 7, v7
	v_cmp_eq_u16_e32 vcc, 0, v12
	v_cndmask_b32_e32 v2, v2, v7, vcc
	v_cndmask_b32_e32 v7, v13, v14, vcc
	v_mov_b32_e32 v12, 0x3b800000
	v_lshlrev_b32_e32 v2, 20, v2
	v_lshl_add_u32 v7, v7, 23, v12
	v_or3_b32 v2, v6, v7, v2
.LBB1_1724:
	s_or_b64 exec, exec, s[6:7]
	s_movk_i32 s4, 0x7f
	v_cmp_gt_i16_sdwa s[6:7], v3, s4 src0_sel:BYTE_3 src1_sel:DWORD
	s_mov_b64 s[4:5], 0
                                        ; implicit-def: $sgpr10
	s_and_saveexec_b64 s[8:9], s[6:7]
	s_xor_b64 s[6:7], exec, s[8:9]
	s_cbranch_execz .LBB1_1725
; %bb.37565:
	s_getpc_b64 s[14:15]
.Lpost_getpc4446:
	s_add_u32 s14, s14, (.LBB1_16061-.Lpost_getpc4446)&4294967295
	s_addc_u32 s15, s15, (.LBB1_16061-.Lpost_getpc4446)>>32
	s_setpc_b64 s[14:15]
.LBB1_1725:
	s_or_saveexec_b64 s[6:7], s[6:7]
	v_mov_b32_e32 v6, s10
	s_xor_b64 exec, exec, s[6:7]
	s_cbranch_execz .LBB1_1726
; %bb.37567:
	s_getpc_b64 s[14:15]
.Lpost_getpc4447:
	s_add_u32 s14, s14, (.LBB1_16064-.Lpost_getpc4447)&4294967295
	s_addc_u32 s15, s15, (.LBB1_16064-.Lpost_getpc4447)>>32
	s_setpc_b64 s[14:15]
.LBB1_1726:
	s_or_b64 exec, exec, s[6:7]
	s_and_saveexec_b64 s[6:7], s[4:5]
	s_cbranch_execz .LBB1_1728
.LBB1_1727:
	v_bfe_u32 v6, v3, 24, 3
	v_ffbh_u32_e32 v14, v6
	v_min_u32_e32 v14, 32, v14
	v_lshrrev_b32_e32 v12, 27, v3
	v_subrev_u32_e32 v15, 28, v14
	v_and_b32_e32 v7, 0x80000000, v3
	v_and_b32_e32 v12, 15, v12
	v_bfe_u32 v13, v3, 27, 4
	v_lshlrev_b32_sdwa v3, v15, v3 dst_sel:DWORD dst_unused:UNUSED_PAD src0_sel:DWORD src1_sel:BYTE_3
	v_sub_u32_e32 v14, 29, v14
	v_and_b32_e32 v3, 7, v3
	v_cmp_eq_u16_e32 vcc, 0, v12
	v_cndmask_b32_e32 v3, v6, v3, vcc
	v_cndmask_b32_e32 v6, v13, v14, vcc
	v_mov_b32_e32 v12, 0x3b800000
	v_lshlrev_b32_e32 v3, 20, v3
	v_lshl_add_u32 v6, v6, 23, v12
	v_or3_b32 v6, v7, v6, v3
.LBB1_1728:
	s_or_b64 exec, exec, s[6:7]
	s_nop 0
	v_mfma_f32_16x16x4f32 a[0:3], v2, v6, a[0:3]
	s_movk_i32 s4, 0x7f
	v_cmp_gt_i16_sdwa s[6:7], v8, s4 src0_sel:BYTE_0 src1_sel:DWORD
	s_mov_b64 s[4:5], 0
                                        ; implicit-def: $sgpr10
	s_and_saveexec_b64 s[8:9], s[6:7]
	s_xor_b64 s[6:7], exec, s[8:9]
	s_cbranch_execz .LBB1_1729
; %bb.37569:
	s_getpc_b64 s[14:15]
.Lpost_getpc4448:
	s_add_u32 s14, s14, (.LBB1_16065-.Lpost_getpc4448)&4294967295
	s_addc_u32 s15, s15, (.LBB1_16065-.Lpost_getpc4448)>>32
	s_setpc_b64 s[14:15]
.LBB1_1729:
	s_or_saveexec_b64 s[6:7], s[6:7]
	v_mov_b32_e32 v2, s10
	s_xor_b64 exec, exec, s[6:7]
	s_cbranch_execz .LBB1_1730
; %bb.37571:
	s_getpc_b64 s[14:15]
.Lpost_getpc4449:
	s_add_u32 s14, s14, (.LBB1_16068-.Lpost_getpc4449)&4294967295
	s_addc_u32 s15, s15, (.LBB1_16068-.Lpost_getpc4449)>>32
	s_setpc_b64 s[14:15]
.LBB1_1730:
	s_or_b64 exec, exec, s[6:7]
	s_and_saveexec_b64 s[6:7], s[4:5]
	s_cbranch_execz .LBB1_1732
.LBB1_1731:
	v_and_b32_e32 v2, 7, v8
	v_ffbh_u32_e32 v6, v2
	v_min_u32_e32 v6, 32, v6
	v_lshrrev_b16_e32 v3, 3, v8
	v_subrev_u32_e32 v7, 28, v6
	v_and_b32_e32 v3, 15, v3
	v_lshlrev_b32_e32 v7, v7, v8
	v_sub_u32_e32 v6, 29, v6
	v_and_b32_e32 v7, 7, v7
	v_cmp_eq_u16_e32 vcc, 0, v3
	v_cndmask_b32_e32 v2, v2, v7, vcc
	v_cndmask_b32_e32 v3, v3, v6, vcc
	v_lshlrev_b32_e32 v6, 24, v8
	v_mov_b32_e32 v7, 0x3b800000
	v_lshlrev_b32_e32 v2, 20, v2
	v_and_b32_e32 v6, 0x80000000, v6
	v_lshl_add_u32 v3, v3, 23, v7
	v_or3_b32 v2, v6, v3, v2
.LBB1_1732:
	s_or_b64 exec, exec, s[6:7]
	s_movk_i32 s4, 0x7f
	v_cmp_gt_i16_sdwa s[6:7], v4, s4 src0_sel:BYTE_0 src1_sel:DWORD
	s_mov_b64 s[4:5], 0
                                        ; implicit-def: $sgpr10
	s_and_saveexec_b64 s[8:9], s[6:7]
	s_xor_b64 s[6:7], exec, s[8:9]
	s_cbranch_execz .LBB1_1733
; %bb.37573:
	s_getpc_b64 s[14:15]
.Lpost_getpc4450:
	s_add_u32 s14, s14, (.LBB1_16069-.Lpost_getpc4450)&4294967295
	s_addc_u32 s15, s15, (.LBB1_16069-.Lpost_getpc4450)>>32
	s_setpc_b64 s[14:15]
.LBB1_1733:
	s_or_saveexec_b64 s[6:7], s[6:7]
	v_mov_b32_e32 v3, s10
	s_xor_b64 exec, exec, s[6:7]
	s_cbranch_execz .LBB1_1734
; %bb.37575:
	s_getpc_b64 s[14:15]
.Lpost_getpc4451:
	s_add_u32 s14, s14, (.LBB1_16072-.Lpost_getpc4451)&4294967295
	s_addc_u32 s15, s15, (.LBB1_16072-.Lpost_getpc4451)>>32
	s_setpc_b64 s[14:15]
.LBB1_1734:
	s_or_b64 exec, exec, s[6:7]
	s_and_saveexec_b64 s[6:7], s[4:5]
	s_cbranch_execz .LBB1_1736
.LBB1_1735:
	v_and_b32_e32 v3, 7, v4
	v_ffbh_u32_e32 v7, v3
	v_min_u32_e32 v7, 32, v7
	v_lshrrev_b16_e32 v6, 3, v4
	v_subrev_u32_e32 v12, 28, v7
	v_and_b32_e32 v6, 15, v6
	v_lshlrev_b32_e32 v12, v12, v4
	v_sub_u32_e32 v7, 29, v7
	v_and_b32_e32 v12, 7, v12
	v_cmp_eq_u16_e32 vcc, 0, v6
	v_cndmask_b32_e32 v3, v3, v12, vcc
	v_cndmask_b32_e32 v6, v6, v7, vcc
	v_lshlrev_b32_e32 v7, 24, v4
	v_mov_b32_e32 v12, 0x3b800000
	v_lshlrev_b32_e32 v3, 20, v3
	v_and_b32_e32 v7, 0x80000000, v7
	v_lshl_add_u32 v6, v6, 23, v12
	v_or3_b32 v3, v7, v6, v3
.LBB1_1736:
	s_or_b64 exec, exec, s[6:7]
	s_nop 0
	v_mfma_f32_16x16x4f32 a[0:3], v2, v3, a[0:3]
	v_lshrrev_b32_e32 v3, 8, v8
	s_movk_i32 s4, 0x7f
	v_cmp_gt_i16_sdwa s[6:7], v3, s4 src0_sel:BYTE_0 src1_sel:DWORD
	s_mov_b64 s[4:5], 0
                                        ; implicit-def: $sgpr10
	s_and_saveexec_b64 s[8:9], s[6:7]
	s_xor_b64 s[6:7], exec, s[8:9]
	s_cbranch_execz .LBB1_1737
; %bb.37577:
	s_getpc_b64 s[14:15]
.Lpost_getpc4452:
	s_add_u32 s14, s14, (.LBB1_16073-.Lpost_getpc4452)&4294967295
	s_addc_u32 s15, s15, (.LBB1_16073-.Lpost_getpc4452)>>32
	s_setpc_b64 s[14:15]
.LBB1_1737:
	s_or_saveexec_b64 s[6:7], s[6:7]
	v_mov_b32_e32 v2, s10
	s_xor_b64 exec, exec, s[6:7]
	s_cbranch_execz .LBB1_1738
; %bb.37579:
	s_getpc_b64 s[14:15]
.Lpost_getpc4453:
	s_add_u32 s14, s14, (.LBB1_16076-.Lpost_getpc4453)&4294967295
	s_addc_u32 s15, s15, (.LBB1_16076-.Lpost_getpc4453)>>32
	s_setpc_b64 s[14:15]
.LBB1_1738:
	s_or_b64 exec, exec, s[6:7]
	s_and_saveexec_b64 s[6:7], s[4:5]
	s_cbranch_execz .LBB1_1740
.LBB1_1739:
	v_bfe_u32 v2, v8, 8, 3
	v_ffbh_u32_e32 v7, v2
	v_min_u32_e32 v7, 32, v7
	v_lshrrev_b16_e32 v6, 3, v3
	v_subrev_u32_e32 v12, 28, v7
	v_and_b32_e32 v6, 15, v6
	v_lshlrev_b32_e32 v3, v12, v3
	v_sub_u32_e32 v7, 29, v7
	v_and_b32_e32 v3, 7, v3
	v_cmp_eq_u16_e32 vcc, 0, v6
	v_cndmask_b32_e32 v2, v2, v3, vcc
	v_cndmask_b32_e32 v3, v6, v7, vcc
	v_lshlrev_b32_e32 v6, 16, v8
	v_mov_b32_e32 v7, 0x3b800000
	v_lshlrev_b32_e32 v2, 20, v2
	v_and_b32_e32 v6, 0x80000000, v6
	v_lshl_add_u32 v3, v3, 23, v7
	v_or3_b32 v2, v6, v3, v2
.LBB1_1740:
	s_or_b64 exec, exec, s[6:7]
	v_lshrrev_b32_e32 v3, 8, v4
	s_movk_i32 s4, 0x7f
	v_cmp_gt_i16_sdwa s[6:7], v3, s4 src0_sel:BYTE_0 src1_sel:DWORD
	s_mov_b64 s[4:5], 0
                                        ; implicit-def: $sgpr10
	s_and_saveexec_b64 s[8:9], s[6:7]
	s_xor_b64 s[6:7], exec, s[8:9]
	s_cbranch_execz .LBB1_1741
; %bb.37581:
	s_getpc_b64 s[14:15]
.Lpost_getpc4454:
	s_add_u32 s14, s14, (.LBB1_16077-.Lpost_getpc4454)&4294967295
	s_addc_u32 s15, s15, (.LBB1_16077-.Lpost_getpc4454)>>32
	s_setpc_b64 s[14:15]
.LBB1_1741:
	s_or_saveexec_b64 s[6:7], s[6:7]
	v_mov_b32_e32 v6, s10
	s_xor_b64 exec, exec, s[6:7]
	s_cbranch_execz .LBB1_1742
; %bb.37583:
	s_getpc_b64 s[14:15]
.Lpost_getpc4455:
	s_add_u32 s14, s14, (.LBB1_16080-.Lpost_getpc4455)&4294967295
	s_addc_u32 s15, s15, (.LBB1_16080-.Lpost_getpc4455)>>32
	s_setpc_b64 s[14:15]
.LBB1_1742:
	s_or_b64 exec, exec, s[6:7]
	s_and_saveexec_b64 s[6:7], s[4:5]
	s_cbranch_execz .LBB1_1744
.LBB1_1743:
	v_bfe_u32 v6, v4, 8, 3
	v_ffbh_u32_e32 v12, v6
	v_min_u32_e32 v12, 32, v12
	v_lshrrev_b16_e32 v7, 3, v3
	v_subrev_u32_e32 v13, 28, v12
	v_and_b32_e32 v7, 15, v7
	v_lshlrev_b32_e32 v3, v13, v3
	v_sub_u32_e32 v12, 29, v12
	v_and_b32_e32 v3, 7, v3
	v_cmp_eq_u16_e32 vcc, 0, v7
	v_cndmask_b32_e32 v3, v6, v3, vcc
	v_cndmask_b32_e32 v6, v7, v12, vcc
	v_lshlrev_b32_e32 v7, 16, v4
	v_mov_b32_e32 v12, 0x3b800000
	v_lshlrev_b32_e32 v3, 20, v3
	v_and_b32_e32 v7, 0x80000000, v7
	v_lshl_add_u32 v6, v6, 23, v12
	v_or3_b32 v6, v7, v6, v3
.LBB1_1744:
	s_or_b64 exec, exec, s[6:7]
	s_nop 0
	v_mfma_f32_16x16x4f32 a[0:3], v2, v6, a[0:3]
	s_movk_i32 s4, 0xff
	v_and_b32_sdwa v3, v8, s4 dst_sel:DWORD dst_unused:UNUSED_PAD src0_sel:WORD_1 src1_sel:DWORD
	s_movk_i32 s4, 0x7f
	v_cmp_lt_i16_e32 vcc, s4, v3
	s_mov_b64 s[4:5], 0
                                        ; implicit-def: $sgpr10
	s_and_saveexec_b64 s[6:7], vcc
	s_xor_b64 s[6:7], exec, s[6:7]
	s_cbranch_execz .LBB1_1745
; %bb.37585:
	s_getpc_b64 s[14:15]
.Lpost_getpc4456:
	s_add_u32 s14, s14, (.LBB1_16081-.Lpost_getpc4456)&4294967295
	s_addc_u32 s15, s15, (.LBB1_16081-.Lpost_getpc4456)>>32
	s_setpc_b64 s[14:15]
.LBB1_1745:
	s_or_saveexec_b64 s[6:7], s[6:7]
	v_mov_b32_e32 v2, s10
	s_xor_b64 exec, exec, s[6:7]
	s_cbranch_execz .LBB1_1746
; %bb.37587:
	s_getpc_b64 s[14:15]
.Lpost_getpc4457:
	s_add_u32 s14, s14, (.LBB1_16084-.Lpost_getpc4457)&4294967295
	s_addc_u32 s15, s15, (.LBB1_16084-.Lpost_getpc4457)>>32
	s_setpc_b64 s[14:15]
.LBB1_1746:
	s_or_b64 exec, exec, s[6:7]
	s_and_saveexec_b64 s[6:7], s[4:5]
	s_cbranch_execz .LBB1_1748
.LBB1_1747:
	v_bfe_u32 v2, v8, 16, 3
	v_ffbh_u32_e32 v7, v2
	v_min_u32_e32 v7, 32, v7
	v_lshrrev_b32_e32 v3, 19, v8
	v_subrev_u32_e32 v12, 28, v7
	v_and_b32_e32 v3, 15, v3
	v_lshlrev_b32_sdwa v12, v12, v8 dst_sel:DWORD dst_unused:UNUSED_PAD src0_sel:DWORD src1_sel:WORD_1
	v_bfe_u32 v6, v8, 19, 4
	v_sub_u32_e32 v7, 29, v7
	v_and_b32_e32 v12, 7, v12
	v_cmp_eq_u16_e32 vcc, 0, v3
	v_cndmask_b32_e32 v2, v2, v12, vcc
	v_cndmask_b32_e32 v3, v6, v7, vcc
	v_lshlrev_b32_e32 v6, 8, v8
	v_mov_b32_e32 v7, 0x3b800000
	v_lshlrev_b32_e32 v2, 20, v2
	v_and_b32_e32 v6, 0x80000000, v6
	v_lshl_add_u32 v3, v3, 23, v7
	v_or3_b32 v2, v6, v3, v2
.LBB1_1748:
	s_or_b64 exec, exec, s[6:7]
	s_movk_i32 s4, 0xff
	v_and_b32_sdwa v3, v4, s4 dst_sel:DWORD dst_unused:UNUSED_PAD src0_sel:WORD_1 src1_sel:DWORD
	s_movk_i32 s4, 0x7f
	v_cmp_lt_i16_e32 vcc, s4, v3
	s_mov_b64 s[4:5], 0
                                        ; implicit-def: $sgpr10
	s_and_saveexec_b64 s[6:7], vcc
	s_xor_b64 s[6:7], exec, s[6:7]
	s_cbranch_execz .LBB1_1749
; %bb.37589:
	s_getpc_b64 s[14:15]
.Lpost_getpc4458:
	s_add_u32 s14, s14, (.LBB1_16085-.Lpost_getpc4458)&4294967295
	s_addc_u32 s15, s15, (.LBB1_16085-.Lpost_getpc4458)>>32
	s_setpc_b64 s[14:15]
.LBB1_1749:
	s_or_saveexec_b64 s[6:7], s[6:7]
	v_mov_b32_e32 v6, s10
	s_xor_b64 exec, exec, s[6:7]
	s_cbranch_execz .LBB1_1750
; %bb.37591:
	s_getpc_b64 s[14:15]
.Lpost_getpc4459:
	s_add_u32 s14, s14, (.LBB1_16088-.Lpost_getpc4459)&4294967295
	s_addc_u32 s15, s15, (.LBB1_16088-.Lpost_getpc4459)>>32
	s_setpc_b64 s[14:15]
.LBB1_1750:
	s_or_b64 exec, exec, s[6:7]
	s_and_saveexec_b64 s[6:7], s[4:5]
	s_cbranch_execz .LBB1_1752
.LBB1_1751:
	v_bfe_u32 v3, v4, 16, 3
	v_ffbh_u32_e32 v12, v3
	v_min_u32_e32 v12, 32, v12
	v_lshrrev_b32_e32 v6, 19, v4
	v_subrev_u32_e32 v13, 28, v12
	v_and_b32_e32 v6, 15, v6
	v_lshlrev_b32_sdwa v13, v13, v4 dst_sel:DWORD dst_unused:UNUSED_PAD src0_sel:DWORD src1_sel:WORD_1
	v_bfe_u32 v7, v4, 19, 4
	v_sub_u32_e32 v12, 29, v12
	v_and_b32_e32 v13, 7, v13
	v_cmp_eq_u16_e32 vcc, 0, v6
	v_cndmask_b32_e32 v3, v3, v13, vcc
	v_cndmask_b32_e32 v6, v7, v12, vcc
	v_lshlrev_b32_e32 v7, 8, v4
	v_mov_b32_e32 v12, 0x3b800000
	v_lshlrev_b32_e32 v3, 20, v3
	v_and_b32_e32 v7, 0x80000000, v7
	v_lshl_add_u32 v6, v6, 23, v12
	v_or3_b32 v6, v7, v6, v3
.LBB1_1752:
	s_or_b64 exec, exec, s[6:7]
	s_nop 0
	v_mfma_f32_16x16x4f32 a[0:3], v2, v6, a[0:3]
	s_movk_i32 s4, 0x7f
	v_cmp_gt_i16_sdwa s[6:7], v8, s4 src0_sel:BYTE_3 src1_sel:DWORD
	s_mov_b64 s[4:5], 0
                                        ; implicit-def: $sgpr10
	s_and_saveexec_b64 s[8:9], s[6:7]
	s_xor_b64 s[6:7], exec, s[8:9]
	s_cbranch_execz .LBB1_1753
; %bb.37593:
	s_getpc_b64 s[14:15]
.Lpost_getpc4460:
	s_add_u32 s14, s14, (.LBB1_16089-.Lpost_getpc4460)&4294967295
	s_addc_u32 s15, s15, (.LBB1_16089-.Lpost_getpc4460)>>32
	s_setpc_b64 s[14:15]
.LBB1_1753:
	s_or_saveexec_b64 s[6:7], s[6:7]
	v_mov_b32_e32 v2, s10
	s_xor_b64 exec, exec, s[6:7]
	s_cbranch_execz .LBB1_1754
; %bb.37595:
	s_getpc_b64 s[14:15]
.Lpost_getpc4461:
	s_add_u32 s14, s14, (.LBB1_16092-.Lpost_getpc4461)&4294967295
	s_addc_u32 s15, s15, (.LBB1_16092-.Lpost_getpc4461)>>32
	s_setpc_b64 s[14:15]
.LBB1_1754:
	s_or_b64 exec, exec, s[6:7]
	s_and_saveexec_b64 s[6:7], s[4:5]
	s_cbranch_execz .LBB1_1756
.LBB1_1755:
	v_bfe_u32 v2, v8, 24, 3
	v_ffbh_u32_e32 v12, v2
	v_min_u32_e32 v12, 32, v12
	v_lshrrev_b32_e32 v6, 27, v8
	v_subrev_u32_e32 v13, 28, v12
	v_and_b32_e32 v3, 0x80000000, v8
	v_and_b32_e32 v6, 15, v6
	v_bfe_u32 v7, v8, 27, 4
	v_lshlrev_b32_sdwa v8, v13, v8 dst_sel:DWORD dst_unused:UNUSED_PAD src0_sel:DWORD src1_sel:BYTE_3
	v_sub_u32_e32 v12, 29, v12
	v_and_b32_e32 v8, 7, v8
	v_cmp_eq_u16_e32 vcc, 0, v6
	v_cndmask_b32_e32 v2, v2, v8, vcc
	v_cndmask_b32_e32 v6, v7, v12, vcc
	v_mov_b32_e32 v7, 0x3b800000
	v_lshlrev_b32_e32 v2, 20, v2
	v_lshl_add_u32 v6, v6, 23, v7
	v_or3_b32 v2, v3, v6, v2
.LBB1_1756:
	s_or_b64 exec, exec, s[6:7]
	s_movk_i32 s4, 0x7f
	v_cmp_gt_i16_sdwa s[6:7], v4, s4 src0_sel:BYTE_3 src1_sel:DWORD
	s_mov_b64 s[4:5], 0
                                        ; implicit-def: $sgpr10
	s_and_saveexec_b64 s[8:9], s[6:7]
	s_xor_b64 s[6:7], exec, s[8:9]
	s_cbranch_execz .LBB1_1757
; %bb.37597:
	s_getpc_b64 s[14:15]
.Lpost_getpc4462:
	s_add_u32 s14, s14, (.LBB1_16093-.Lpost_getpc4462)&4294967295
	s_addc_u32 s15, s15, (.LBB1_16093-.Lpost_getpc4462)>>32
	s_setpc_b64 s[14:15]
.LBB1_1757:
	s_or_saveexec_b64 s[6:7], s[6:7]
	v_mov_b32_e32 v3, s10
	s_xor_b64 exec, exec, s[6:7]
	s_cbranch_execz .LBB1_1758
; %bb.37599:
	s_getpc_b64 s[14:15]
.Lpost_getpc4463:
	s_add_u32 s14, s14, (.LBB1_16096-.Lpost_getpc4463)&4294967295
	s_addc_u32 s15, s15, (.LBB1_16096-.Lpost_getpc4463)>>32
	s_setpc_b64 s[14:15]
.LBB1_1758:
	s_or_b64 exec, exec, s[6:7]
	s_and_saveexec_b64 s[6:7], s[4:5]
	s_cbranch_execz .LBB1_1760
.LBB1_1759:
	v_bfe_u32 v3, v4, 24, 3
	v_ffbh_u32_e32 v12, v3
	v_min_u32_e32 v12, 32, v12
	v_lshrrev_b32_e32 v7, 27, v4
	v_subrev_u32_e32 v13, 28, v12
	v_and_b32_e32 v6, 0x80000000, v4
	v_and_b32_e32 v7, 15, v7
	v_bfe_u32 v8, v4, 27, 4
	v_lshlrev_b32_sdwa v4, v13, v4 dst_sel:DWORD dst_unused:UNUSED_PAD src0_sel:DWORD src1_sel:BYTE_3
	v_sub_u32_e32 v12, 29, v12
	v_and_b32_e32 v4, 7, v4
	v_cmp_eq_u16_e32 vcc, 0, v7
	v_cndmask_b32_e32 v3, v3, v4, vcc
	v_cndmask_b32_e32 v4, v8, v12, vcc
	v_mov_b32_e32 v7, 0x3b800000
	v_lshlrev_b32_e32 v3, 20, v3
	v_lshl_add_u32 v4, v4, 23, v7
	v_or3_b32 v3, v6, v4, v3
.LBB1_1760:
	s_or_b64 exec, exec, s[6:7]
	s_nop 0
	v_mfma_f32_16x16x4f32 a[0:3], v2, v3, a[0:3]
	s_movk_i32 s4, 0x7f
	v_cmp_gt_i16_sdwa s[6:7], v9, s4 src0_sel:BYTE_0 src1_sel:DWORD
	s_mov_b64 s[4:5], 0
                                        ; implicit-def: $sgpr10
	s_and_saveexec_b64 s[8:9], s[6:7]
	s_xor_b64 s[6:7], exec, s[8:9]
	s_cbranch_execz .LBB1_1761
; %bb.37601:
	s_getpc_b64 s[14:15]
.Lpost_getpc4464:
	s_add_u32 s14, s14, (.LBB1_16097-.Lpost_getpc4464)&4294967295
	s_addc_u32 s15, s15, (.LBB1_16097-.Lpost_getpc4464)>>32
	s_setpc_b64 s[14:15]
.LBB1_1761:
	s_or_saveexec_b64 s[6:7], s[6:7]
	v_mov_b32_e32 v2, s10
	s_xor_b64 exec, exec, s[6:7]
	s_cbranch_execz .LBB1_1762
; %bb.37603:
	s_getpc_b64 s[14:15]
.Lpost_getpc4465:
	s_add_u32 s14, s14, (.LBB1_16100-.Lpost_getpc4465)&4294967295
	s_addc_u32 s15, s15, (.LBB1_16100-.Lpost_getpc4465)>>32
	s_setpc_b64 s[14:15]
.LBB1_1762:
	s_or_b64 exec, exec, s[6:7]
	s_and_saveexec_b64 s[6:7], s[4:5]
	s_cbranch_execz .LBB1_1764
.LBB1_1763:
	v_mov_b32_e32 v2, 8
	v_and_b32_e32 v3, 7, v9
	v_lshrrev_b32_sdwa v2, v2, v9 dst_sel:BYTE_1 dst_unused:UNUSED_PAD src0_sel:DWORD src1_sel:DWORD
	v_ffbh_u32_e32 v4, v3
	v_or_b32_sdwa v2, v9, v2 dst_sel:DWORD dst_unused:UNUSED_PAD src0_sel:BYTE_0 src1_sel:DWORD
	v_min_u32_e32 v4, 32, v4
	v_lshrrev_b16_e32 v2, 3, v2
	v_subrev_u32_e32 v6, 28, v4
	v_and_b32_e32 v2, 15, v2
	v_lshlrev_b32_e32 v6, v6, v9
	v_sub_u32_e32 v4, 29, v4
	v_and_b32_e32 v6, 7, v6
	v_cmp_eq_u16_e32 vcc, 0, v2
	v_cndmask_b32_e32 v3, v3, v6, vcc
	v_cndmask_b32_e32 v2, v2, v4, vcc
	v_lshlrev_b32_e32 v4, 24, v9
	v_mov_b32_e32 v6, 0x3b800000
	v_lshlrev_b32_e32 v3, 20, v3
	v_and_b32_e32 v4, 0x80000000, v4
	v_lshl_add_u32 v2, v2, 23, v6
	v_or3_b32 v2, v4, v2, v3
.LBB1_1764:
	s_or_b64 exec, exec, s[6:7]
	s_movk_i32 s4, 0x7f
	v_cmp_gt_i16_sdwa s[6:7], v5, s4 src0_sel:BYTE_0 src1_sel:DWORD
	s_mov_b64 s[4:5], 0
                                        ; implicit-def: $sgpr10
	s_and_saveexec_b64 s[8:9], s[6:7]
	s_xor_b64 s[6:7], exec, s[8:9]
	s_cbranch_execz .LBB1_1765
; %bb.37605:
	s_getpc_b64 s[14:15]
.Lpost_getpc4466:
	s_add_u32 s14, s14, (.LBB1_16101-.Lpost_getpc4466)&4294967295
	s_addc_u32 s15, s15, (.LBB1_16101-.Lpost_getpc4466)>>32
	s_setpc_b64 s[14:15]
.LBB1_1765:
	s_or_saveexec_b64 s[6:7], s[6:7]
	v_mov_b32_e32 v3, s10
	s_xor_b64 exec, exec, s[6:7]
	s_cbranch_execz .LBB1_1766
; %bb.37607:
	s_getpc_b64 s[14:15]
.Lpost_getpc4467:
	s_add_u32 s14, s14, (.LBB1_16104-.Lpost_getpc4467)&4294967295
	s_addc_u32 s15, s15, (.LBB1_16104-.Lpost_getpc4467)>>32
	s_setpc_b64 s[14:15]
.LBB1_1766:
	s_or_b64 exec, exec, s[6:7]
	s_and_saveexec_b64 s[6:7], s[4:5]
	s_cbranch_execz .LBB1_1768
.LBB1_1767:
	v_mov_b32_e32 v3, 8
	v_and_b32_e32 v4, 7, v5
	v_lshrrev_b32_sdwa v3, v3, v5 dst_sel:BYTE_1 dst_unused:UNUSED_PAD src0_sel:DWORD src1_sel:DWORD
	v_ffbh_u32_e32 v6, v4
	v_or_b32_sdwa v3, v5, v3 dst_sel:DWORD dst_unused:UNUSED_PAD src0_sel:BYTE_0 src1_sel:DWORD
	v_min_u32_e32 v6, 32, v6
	v_lshrrev_b16_e32 v3, 3, v3
	v_subrev_u32_e32 v7, 28, v6
	v_and_b32_e32 v3, 15, v3
	v_lshlrev_b32_e32 v7, v7, v5
	v_sub_u32_e32 v6, 29, v6
	v_and_b32_e32 v7, 7, v7
	v_cmp_eq_u16_e32 vcc, 0, v3
	v_cndmask_b32_e32 v4, v4, v7, vcc
	v_cndmask_b32_e32 v3, v3, v6, vcc
	v_lshlrev_b32_e32 v6, 24, v5
	v_mov_b32_e32 v7, 0x3b800000
	v_lshlrev_b32_e32 v4, 20, v4
	v_and_b32_e32 v6, 0x80000000, v6
	v_lshl_add_u32 v3, v3, 23, v7
	v_or3_b32 v3, v6, v3, v4
.LBB1_1768:
	s_or_b64 exec, exec, s[6:7]
	s_nop 0
	v_mfma_f32_16x16x4f32 a[0:3], v2, v3, a[0:3]
	v_lshrrev_b32_e32 v3, 8, v9
	s_movk_i32 s4, 0x7f
	v_cmp_gt_i16_sdwa s[6:7], v3, s4 src0_sel:BYTE_0 src1_sel:DWORD
	s_mov_b64 s[4:5], 0
                                        ; implicit-def: $sgpr10
	s_and_saveexec_b64 s[8:9], s[6:7]
	s_xor_b64 s[6:7], exec, s[8:9]
	s_cbranch_execz .LBB1_1769
; %bb.37609:
	s_getpc_b64 s[14:15]
.Lpost_getpc4468:
	s_add_u32 s14, s14, (.LBB1_16105-.Lpost_getpc4468)&4294967295
	s_addc_u32 s15, s15, (.LBB1_16105-.Lpost_getpc4468)>>32
	s_setpc_b64 s[14:15]
.LBB1_1769:
	s_or_saveexec_b64 s[6:7], s[6:7]
	v_mov_b32_e32 v2, s10
	s_xor_b64 exec, exec, s[6:7]
	s_cbranch_execz .LBB1_1770
; %bb.37611:
	s_getpc_b64 s[14:15]
.Lpost_getpc4469:
	s_add_u32 s14, s14, (.LBB1_16108-.Lpost_getpc4469)&4294967295
	s_addc_u32 s15, s15, (.LBB1_16108-.Lpost_getpc4469)>>32
	s_setpc_b64 s[14:15]
.LBB1_1770:
	s_or_b64 exec, exec, s[6:7]
	s_and_saveexec_b64 s[6:7], s[4:5]
	s_cbranch_execz .LBB1_1772
.LBB1_1771:
	v_bfe_u32 v2, v9, 8, 3
	v_ffbh_u32_e32 v6, v2
	v_min_u32_e32 v6, 32, v6
	v_lshrrev_b16_e32 v4, 3, v3
	v_subrev_u32_e32 v7, 28, v6
	v_and_b32_e32 v4, 15, v4
	v_lshlrev_b32_e32 v3, v7, v3
	v_sub_u32_e32 v6, 29, v6
	v_and_b32_e32 v3, 7, v3
	v_cmp_eq_u16_e32 vcc, 0, v4
	v_cndmask_b32_e32 v2, v2, v3, vcc
	v_cndmask_b32_e32 v3, v4, v6, vcc
	v_lshlrev_b32_e32 v4, 16, v9
	v_mov_b32_e32 v6, 0x3b800000
	v_lshlrev_b32_e32 v2, 20, v2
	v_and_b32_e32 v4, 0x80000000, v4
	v_lshl_add_u32 v3, v3, 23, v6
	v_or3_b32 v2, v4, v3, v2
.LBB1_1772:
	s_or_b64 exec, exec, s[6:7]
	v_lshrrev_b32_e32 v3, 8, v5
	s_movk_i32 s4, 0x7f
	v_cmp_gt_i16_sdwa s[6:7], v3, s4 src0_sel:BYTE_0 src1_sel:DWORD
	s_mov_b64 s[4:5], 0
                                        ; implicit-def: $sgpr10
	s_and_saveexec_b64 s[8:9], s[6:7]
	s_xor_b64 s[6:7], exec, s[8:9]
	s_cbranch_execz .LBB1_1773
; %bb.37613:
	s_getpc_b64 s[14:15]
.Lpost_getpc4470:
	s_add_u32 s14, s14, (.LBB1_16109-.Lpost_getpc4470)&4294967295
	s_addc_u32 s15, s15, (.LBB1_16109-.Lpost_getpc4470)>>32
	s_setpc_b64 s[14:15]
.LBB1_1773:
	s_or_saveexec_b64 s[6:7], s[6:7]
	v_mov_b32_e32 v4, s10
	s_xor_b64 exec, exec, s[6:7]
	s_cbranch_execz .LBB1_1774
; %bb.37615:
	s_getpc_b64 s[14:15]
.Lpost_getpc4471:
	s_add_u32 s14, s14, (.LBB1_16112-.Lpost_getpc4471)&4294967295
	s_addc_u32 s15, s15, (.LBB1_16112-.Lpost_getpc4471)>>32
	s_setpc_b64 s[14:15]
.LBB1_1774:
	s_or_b64 exec, exec, s[6:7]
	s_and_saveexec_b64 s[6:7], s[4:5]
	s_cbranch_execz .LBB1_1776
.LBB1_1775:
	v_bfe_u32 v4, v5, 8, 3
	v_ffbh_u32_e32 v7, v4
	v_min_u32_e32 v7, 32, v7
	v_lshrrev_b16_e32 v6, 3, v3
	v_subrev_u32_e32 v8, 28, v7
	v_and_b32_e32 v6, 15, v6
	v_lshlrev_b32_e32 v3, v8, v3
	v_sub_u32_e32 v7, 29, v7
	v_and_b32_e32 v3, 7, v3
	v_cmp_eq_u16_e32 vcc, 0, v6
	v_cndmask_b32_e32 v3, v4, v3, vcc
	v_cndmask_b32_e32 v4, v6, v7, vcc
	v_lshlrev_b32_e32 v6, 16, v5
	v_mov_b32_e32 v7, 0x3b800000
	v_lshlrev_b32_e32 v3, 20, v3
	v_and_b32_e32 v6, 0x80000000, v6
	v_lshl_add_u32 v4, v4, 23, v7
	v_or3_b32 v4, v6, v4, v3
.LBB1_1776:
	s_or_b64 exec, exec, s[6:7]
	s_nop 0
	v_mfma_f32_16x16x4f32 a[0:3], v2, v4, a[0:3]
	s_movk_i32 s4, 0xff
	v_and_b32_sdwa v3, v9, s4 dst_sel:DWORD dst_unused:UNUSED_PAD src0_sel:WORD_1 src1_sel:DWORD
	s_movk_i32 s4, 0x7f
	v_cmp_lt_i16_e32 vcc, s4, v3
	s_mov_b64 s[4:5], 0
                                        ; implicit-def: $sgpr10
	s_and_saveexec_b64 s[6:7], vcc
	s_xor_b64 s[6:7], exec, s[6:7]
	s_cbranch_execz .LBB1_1777
; %bb.37617:
	s_getpc_b64 s[14:15]
.Lpost_getpc4472:
	s_add_u32 s14, s14, (.LBB1_16113-.Lpost_getpc4472)&4294967295
	s_addc_u32 s15, s15, (.LBB1_16113-.Lpost_getpc4472)>>32
	s_setpc_b64 s[14:15]
.LBB1_1777:
	s_or_saveexec_b64 s[6:7], s[6:7]
	v_mov_b32_e32 v2, s10
	s_xor_b64 exec, exec, s[6:7]
	s_cbranch_execz .LBB1_1778
; %bb.37619:
	s_getpc_b64 s[14:15]
.Lpost_getpc4473:
	s_add_u32 s14, s14, (.LBB1_16116-.Lpost_getpc4473)&4294967295
	s_addc_u32 s15, s15, (.LBB1_16116-.Lpost_getpc4473)>>32
	s_setpc_b64 s[14:15]
.LBB1_1778:
	s_or_b64 exec, exec, s[6:7]
	s_and_saveexec_b64 s[6:7], s[4:5]
	s_cbranch_execz .LBB1_1780
.LBB1_1779:
	v_bfe_u32 v2, v9, 16, 3
	v_ffbh_u32_e32 v6, v2
	v_min_u32_e32 v6, 32, v6
	v_lshrrev_b32_e32 v3, 19, v9
	v_subrev_u32_e32 v7, 28, v6
	v_and_b32_e32 v3, 15, v3
	v_lshlrev_b32_sdwa v7, v7, v9 dst_sel:DWORD dst_unused:UNUSED_PAD src0_sel:DWORD src1_sel:WORD_1
	v_bfe_u32 v4, v9, 19, 4
	v_sub_u32_e32 v6, 29, v6
	v_and_b32_e32 v7, 7, v7
	v_cmp_eq_u16_e32 vcc, 0, v3
	v_cndmask_b32_e32 v2, v2, v7, vcc
	v_cndmask_b32_e32 v3, v4, v6, vcc
	v_lshlrev_b32_e32 v4, 8, v9
	v_mov_b32_e32 v6, 0x3b800000
	v_lshlrev_b32_e32 v2, 20, v2
	v_and_b32_e32 v4, 0x80000000, v4
	v_lshl_add_u32 v3, v3, 23, v6
	v_or3_b32 v2, v4, v3, v2
.LBB1_1780:
	s_or_b64 exec, exec, s[6:7]
	s_movk_i32 s4, 0xff
	v_and_b32_sdwa v3, v5, s4 dst_sel:DWORD dst_unused:UNUSED_PAD src0_sel:WORD_1 src1_sel:DWORD
	s_movk_i32 s4, 0x7f
	v_cmp_lt_i16_e32 vcc, s4, v3
	s_mov_b64 s[4:5], 0
                                        ; implicit-def: $sgpr10
	s_and_saveexec_b64 s[6:7], vcc
	s_xor_b64 s[6:7], exec, s[6:7]
	s_cbranch_execz .LBB1_1781
; %bb.37621:
	s_getpc_b64 s[14:15]
.Lpost_getpc4474:
	s_add_u32 s14, s14, (.LBB1_16117-.Lpost_getpc4474)&4294967295
	s_addc_u32 s15, s15, (.LBB1_16117-.Lpost_getpc4474)>>32
	s_setpc_b64 s[14:15]
.LBB1_1781:
	s_or_saveexec_b64 s[6:7], s[6:7]
	v_mov_b32_e32 v4, s10
	s_xor_b64 exec, exec, s[6:7]
	s_cbranch_execz .LBB1_1782
; %bb.37623:
	s_getpc_b64 s[14:15]
.Lpost_getpc4475:
	s_add_u32 s14, s14, (.LBB1_16120-.Lpost_getpc4475)&4294967295
	s_addc_u32 s15, s15, (.LBB1_16120-.Lpost_getpc4475)>>32
	s_setpc_b64 s[14:15]
.LBB1_1782:
	s_or_b64 exec, exec, s[6:7]
	s_and_saveexec_b64 s[6:7], s[4:5]
	s_cbranch_execz .LBB1_1784
.LBB1_1783:
	v_bfe_u32 v3, v5, 16, 3
	v_ffbh_u32_e32 v7, v3
	v_min_u32_e32 v7, 32, v7
	v_lshrrev_b32_e32 v4, 19, v5
	v_subrev_u32_e32 v8, 28, v7
	v_and_b32_e32 v4, 15, v4
	v_lshlrev_b32_sdwa v8, v8, v5 dst_sel:DWORD dst_unused:UNUSED_PAD src0_sel:DWORD src1_sel:WORD_1
	v_bfe_u32 v6, v5, 19, 4
	v_sub_u32_e32 v7, 29, v7
	v_and_b32_e32 v8, 7, v8
	v_cmp_eq_u16_e32 vcc, 0, v4
	v_cndmask_b32_e32 v3, v3, v8, vcc
	v_cndmask_b32_e32 v4, v6, v7, vcc
	v_lshlrev_b32_e32 v6, 8, v5
	v_mov_b32_e32 v7, 0x3b800000
	v_lshlrev_b32_e32 v3, 20, v3
	v_and_b32_e32 v6, 0x80000000, v6
	v_lshl_add_u32 v4, v4, 23, v7
	v_or3_b32 v4, v6, v4, v3
.LBB1_1784:
	s_or_b64 exec, exec, s[6:7]
	s_nop 0
	v_mfma_f32_16x16x4f32 a[0:3], v2, v4, a[0:3]
	s_movk_i32 s4, 0x7f
	v_cmp_gt_i16_sdwa s[6:7], v9, s4 src0_sel:BYTE_3 src1_sel:DWORD
	s_mov_b64 s[4:5], 0
                                        ; implicit-def: $sgpr10
	s_and_saveexec_b64 s[8:9], s[6:7]
	s_xor_b64 s[6:7], exec, s[8:9]
	s_cbranch_execz .LBB1_1785
; %bb.37625:
	s_getpc_b64 s[14:15]
.Lpost_getpc4476:
	s_add_u32 s14, s14, (.LBB1_16121-.Lpost_getpc4476)&4294967295
	s_addc_u32 s15, s15, (.LBB1_16121-.Lpost_getpc4476)>>32
	s_setpc_b64 s[14:15]
.LBB1_1785:
	s_or_saveexec_b64 s[6:7], s[6:7]
	v_mov_b32_e32 v2, s10
	s_xor_b64 exec, exec, s[6:7]
	s_cbranch_execz .LBB1_1786
; %bb.37627:
	s_getpc_b64 s[14:15]
.Lpost_getpc4477:
	s_add_u32 s14, s14, (.LBB1_16124-.Lpost_getpc4477)&4294967295
	s_addc_u32 s15, s15, (.LBB1_16124-.Lpost_getpc4477)>>32
	s_setpc_b64 s[14:15]
.LBB1_1786:
	s_or_b64 exec, exec, s[6:7]
	s_and_saveexec_b64 s[6:7], s[4:5]
	s_cbranch_execz .LBB1_1788
.LBB1_1787:
	v_bfe_u32 v2, v9, 24, 3
	v_ffbh_u32_e32 v7, v2
	v_min_u32_e32 v7, 32, v7
	v_lshrrev_b32_e32 v4, 27, v9
	v_subrev_u32_e32 v8, 28, v7
	v_and_b32_e32 v4, 15, v4
	v_lshlrev_b32_sdwa v8, v8, v9 dst_sel:DWORD dst_unused:UNUSED_PAD src0_sel:DWORD src1_sel:BYTE_3
	v_bfe_u32 v6, v9, 27, 4
	v_sub_u32_e32 v7, 29, v7
	v_and_b32_e32 v8, 7, v8
	v_cmp_eq_u16_e32 vcc, 0, v4
	v_cndmask_b32_e32 v2, v2, v8, vcc
	v_cndmask_b32_e32 v4, v6, v7, vcc
	v_mov_b32_e32 v6, 0x3b800000
	v_and_b32_e32 v3, 0x80000000, v9
	v_lshlrev_b32_e32 v2, 20, v2
	v_lshl_add_u32 v4, v4, 23, v6
	v_or3_b32 v2, v3, v4, v2
.LBB1_1788:
	s_or_b64 exec, exec, s[6:7]
	s_movk_i32 s4, 0x7f
	v_cmp_gt_i16_sdwa s[6:7], v5, s4 src0_sel:BYTE_3 src1_sel:DWORD
	s_mov_b64 s[4:5], 0
                                        ; implicit-def: $sgpr10
	s_and_saveexec_b64 s[8:9], s[6:7]
	s_xor_b64 s[6:7], exec, s[8:9]
	s_cbranch_execz .LBB1_1789
; %bb.37629:
	s_getpc_b64 s[14:15]
.Lpost_getpc4478:
	s_add_u32 s14, s14, (.LBB1_16125-.Lpost_getpc4478)&4294967295
	s_addc_u32 s15, s15, (.LBB1_16125-.Lpost_getpc4478)>>32
	s_setpc_b64 s[14:15]
.LBB1_1789:
	s_or_saveexec_b64 s[6:7], s[6:7]
	v_mov_b32_e32 v3, s10
	s_xor_b64 exec, exec, s[6:7]
	s_cbranch_execz .LBB1_1790
; %bb.37631:
	s_getpc_b64 s[14:15]
.Lpost_getpc4479:
	s_add_u32 s14, s14, (.LBB1_16128-.Lpost_getpc4479)&4294967295
	s_addc_u32 s15, s15, (.LBB1_16128-.Lpost_getpc4479)>>32
	s_setpc_b64 s[14:15]
.LBB1_1790:
	s_or_b64 exec, exec, s[6:7]
	s_and_saveexec_b64 s[6:7], s[4:5]
	s_cbranch_execz .LBB1_1792
.LBB1_1791:
	v_bfe_u32 v3, v5, 24, 3
	v_ffbh_u32_e32 v8, v3
	v_min_u32_e32 v8, 32, v8
	v_lshrrev_b32_e32 v6, 27, v5
	v_subrev_u32_e32 v9, 28, v8
	v_and_b32_e32 v4, 0x80000000, v5
	v_and_b32_e32 v6, 15, v6
	v_bfe_u32 v7, v5, 27, 4
	v_lshlrev_b32_sdwa v5, v9, v5 dst_sel:DWORD dst_unused:UNUSED_PAD src0_sel:DWORD src1_sel:BYTE_3
	v_sub_u32_e32 v8, 29, v8
	v_and_b32_e32 v5, 7, v5
	v_cmp_eq_u16_e32 vcc, 0, v6
	v_cndmask_b32_e32 v3, v3, v5, vcc
	v_cndmask_b32_e32 v5, v7, v8, vcc
	v_mov_b32_e32 v6, 0x3b800000
	v_lshlrev_b32_e32 v3, 20, v3
	v_lshl_add_u32 v5, v5, 23, v6
	v_or3_b32 v3, v4, v5, v3
.LBB1_1792:
	s_or_b64 exec, exec, s[6:7]
	s_nop 0
	v_mfma_f32_16x16x4f32 a[0:3], v2, v3, a[0:3]
	s_movk_i32 s4, 0x7f
                                        ; implicit-def: $sgpr10
	s_nop 7
	s_nop 1
	flat_store_dwordx4 v[10:11], a[0:3] offset:208
	flat_load_dwordx4 v[12:15], v[0:1]
	s_nop 0
	flat_load_dwordx2 v[10:11], v[0:1] offset:16
	s_waitcnt vmcnt(0) lgkmcnt(0)
	flat_load_dwordx4 v[6:9], v[12:13] offset:16
	flat_load_dwordx4 v[2:5], v[14:15] offset:96
	s_waitcnt vmcnt(0) lgkmcnt(0)
	v_cmp_gt_i16_sdwa s[6:7], v6, s4 src0_sel:BYTE_0 src1_sel:DWORD
	s_mov_b64 s[4:5], 0
	s_and_saveexec_b64 s[8:9], s[6:7]
	s_xor_b64 s[6:7], exec, s[8:9]
	s_cbranch_execz .LBB1_1793
; %bb.37633:
	s_getpc_b64 s[14:15]
.Lpost_getpc4480:
	s_add_u32 s14, s14, (.LBB1_16129-.Lpost_getpc4480)&4294967295
	s_addc_u32 s15, s15, (.LBB1_16129-.Lpost_getpc4480)>>32
	s_setpc_b64 s[14:15]
.LBB1_1793:
	s_or_saveexec_b64 s[6:7], s[6:7]
	v_mov_b32_e32 v12, s10
	s_xor_b64 exec, exec, s[6:7]
	s_cbranch_execz .LBB1_1794
; %bb.37635:
	s_getpc_b64 s[14:15]
.Lpost_getpc4481:
	s_add_u32 s14, s14, (.LBB1_16132-.Lpost_getpc4481)&4294967295
	s_addc_u32 s15, s15, (.LBB1_16132-.Lpost_getpc4481)>>32
	s_setpc_b64 s[14:15]
.LBB1_1794:
	s_or_b64 exec, exec, s[6:7]
	s_and_saveexec_b64 s[6:7], s[4:5]
	s_cbranch_execz .LBB1_1796
.LBB1_1795:
	v_and_b32_e32 v12, 7, v6
	v_ffbh_u32_e32 v14, v12
	v_min_u32_e32 v14, 32, v14
	v_lshrrev_b16_e32 v13, 3, v6
	v_subrev_u32_e32 v15, 28, v14
	v_and_b32_e32 v13, 15, v13
	v_lshlrev_b32_e32 v15, v15, v6
	v_sub_u32_e32 v14, 29, v14
	v_and_b32_e32 v15, 7, v15
	v_cmp_eq_u16_e32 vcc, 0, v13
	v_cndmask_b32_e32 v12, v12, v15, vcc
	v_cndmask_b32_e32 v13, v13, v14, vcc
	v_lshlrev_b32_e32 v14, 24, v6
	v_mov_b32_e32 v15, 0x3b800000
	v_lshlrev_b32_e32 v12, 20, v12
	v_and_b32_e32 v14, 0x80000000, v14
	v_lshl_add_u32 v13, v13, 23, v15
	v_or3_b32 v12, v14, v13, v12
.LBB1_1796:
	s_or_b64 exec, exec, s[6:7]
	s_movk_i32 s4, 0x7f
	v_cmp_gt_i16_sdwa s[6:7], v2, s4 src0_sel:BYTE_0 src1_sel:DWORD
	s_mov_b64 s[4:5], 0
                                        ; implicit-def: $sgpr10
	s_and_saveexec_b64 s[8:9], s[6:7]
	s_xor_b64 s[6:7], exec, s[8:9]
	s_cbranch_execz .LBB1_1797
; %bb.37637:
	s_getpc_b64 s[14:15]
.Lpost_getpc4482:
	s_add_u32 s14, s14, (.LBB1_16133-.Lpost_getpc4482)&4294967295
	s_addc_u32 s15, s15, (.LBB1_16133-.Lpost_getpc4482)>>32
	s_setpc_b64 s[14:15]
.LBB1_1797:
	s_or_saveexec_b64 s[6:7], s[6:7]
	v_mov_b32_e32 v13, s10
	s_xor_b64 exec, exec, s[6:7]
	s_cbranch_execz .LBB1_1798
; %bb.37639:
	s_getpc_b64 s[14:15]
.Lpost_getpc4483:
	s_add_u32 s14, s14, (.LBB1_16136-.Lpost_getpc4483)&4294967295
	s_addc_u32 s15, s15, (.LBB1_16136-.Lpost_getpc4483)>>32
	s_setpc_b64 s[14:15]
.LBB1_1798:
	s_or_b64 exec, exec, s[6:7]
	s_and_saveexec_b64 s[6:7], s[4:5]
	s_cbranch_execz .LBB1_1800
.LBB1_1799:
	v_and_b32_e32 v13, 7, v2
	v_ffbh_u32_e32 v15, v13
	v_min_u32_e32 v15, 32, v15
	v_lshrrev_b16_e32 v14, 3, v2
	v_subrev_u32_e32 v16, 28, v15
	v_and_b32_e32 v14, 15, v14
	v_lshlrev_b32_e32 v16, v16, v2
	v_sub_u32_e32 v15, 29, v15
	v_and_b32_e32 v16, 7, v16
	v_cmp_eq_u16_e32 vcc, 0, v14
	v_cndmask_b32_e32 v13, v13, v16, vcc
	v_cndmask_b32_e32 v14, v14, v15, vcc
	v_lshlrev_b32_e32 v15, 24, v2
	v_mov_b32_e32 v16, 0x3b800000
	v_lshlrev_b32_e32 v13, 20, v13
	v_and_b32_e32 v15, 0x80000000, v15
	v_lshl_add_u32 v14, v14, 23, v16
	v_or3_b32 v13, v15, v14, v13
.LBB1_1800:
	s_or_b64 exec, exec, s[6:7]
	flat_load_dwordx4 a[0:3], v[10:11] offset:224
	s_movk_i32 s4, 0x7f
                                        ; implicit-def: $sgpr10
	s_waitcnt vmcnt(0) lgkmcnt(0)
	v_mfma_f32_16x16x4f32 a[0:3], v12, v13, a[0:3]
	v_lshrrev_b32_e32 v13, 8, v6
	v_cmp_gt_i16_sdwa s[6:7], v13, s4 src0_sel:BYTE_0 src1_sel:DWORD
	s_mov_b64 s[4:5], 0
	s_and_saveexec_b64 s[8:9], s[6:7]
	s_xor_b64 s[6:7], exec, s[8:9]
	s_cbranch_execz .LBB1_1801
; %bb.37641:
	s_getpc_b64 s[14:15]
.Lpost_getpc4484:
	s_add_u32 s14, s14, (.LBB1_16137-.Lpost_getpc4484)&4294967295
	s_addc_u32 s15, s15, (.LBB1_16137-.Lpost_getpc4484)>>32
	s_setpc_b64 s[14:15]
.LBB1_1801:
	s_or_saveexec_b64 s[6:7], s[6:7]
	v_mov_b32_e32 v12, s10
	s_xor_b64 exec, exec, s[6:7]
	s_cbranch_execz .LBB1_1802
; %bb.37643:
	s_getpc_b64 s[14:15]
.Lpost_getpc4485:
	s_add_u32 s14, s14, (.LBB1_16140-.Lpost_getpc4485)&4294967295
	s_addc_u32 s15, s15, (.LBB1_16140-.Lpost_getpc4485)>>32
	s_setpc_b64 s[14:15]
.LBB1_1802:
	s_or_b64 exec, exec, s[6:7]
	s_and_saveexec_b64 s[6:7], s[4:5]
	s_cbranch_execz .LBB1_1804
.LBB1_1803:
	v_bfe_u32 v12, v6, 8, 3
	v_ffbh_u32_e32 v15, v12
	v_min_u32_e32 v15, 32, v15
	v_lshrrev_b16_e32 v14, 3, v13
	v_subrev_u32_e32 v16, 28, v15
	v_and_b32_e32 v14, 15, v14
	v_lshlrev_b32_e32 v13, v16, v13
	v_sub_u32_e32 v15, 29, v15
	v_and_b32_e32 v13, 7, v13
	v_cmp_eq_u16_e32 vcc, 0, v14
	v_cndmask_b32_e32 v12, v12, v13, vcc
	v_cndmask_b32_e32 v13, v14, v15, vcc
	v_lshlrev_b32_e32 v14, 16, v6
	v_mov_b32_e32 v15, 0x3b800000
	v_lshlrev_b32_e32 v12, 20, v12
	v_and_b32_e32 v14, 0x80000000, v14
	v_lshl_add_u32 v13, v13, 23, v15
	v_or3_b32 v12, v14, v13, v12
.LBB1_1804:
	s_or_b64 exec, exec, s[6:7]
	v_lshrrev_b32_e32 v13, 8, v2
	s_movk_i32 s4, 0x7f
	v_cmp_gt_i16_sdwa s[6:7], v13, s4 src0_sel:BYTE_0 src1_sel:DWORD
	s_mov_b64 s[4:5], 0
                                        ; implicit-def: $sgpr10
	s_and_saveexec_b64 s[8:9], s[6:7]
	s_xor_b64 s[6:7], exec, s[8:9]
	s_cbranch_execz .LBB1_1805
; %bb.37645:
	s_getpc_b64 s[14:15]
.Lpost_getpc4486:
	s_add_u32 s14, s14, (.LBB1_16141-.Lpost_getpc4486)&4294967295
	s_addc_u32 s15, s15, (.LBB1_16141-.Lpost_getpc4486)>>32
	s_setpc_b64 s[14:15]
.LBB1_1805:
	s_or_saveexec_b64 s[6:7], s[6:7]
	v_mov_b32_e32 v14, s10
	s_xor_b64 exec, exec, s[6:7]
	s_cbranch_execz .LBB1_1806
; %bb.37647:
	s_getpc_b64 s[14:15]
.Lpost_getpc4487:
	s_add_u32 s14, s14, (.LBB1_16144-.Lpost_getpc4487)&4294967295
	s_addc_u32 s15, s15, (.LBB1_16144-.Lpost_getpc4487)>>32
	s_setpc_b64 s[14:15]
.LBB1_1806:
	s_or_b64 exec, exec, s[6:7]
	s_and_saveexec_b64 s[6:7], s[4:5]
	s_cbranch_execz .LBB1_1808
.LBB1_1807:
	v_bfe_u32 v14, v2, 8, 3
	v_ffbh_u32_e32 v16, v14
	v_min_u32_e32 v16, 32, v16
	v_lshrrev_b16_e32 v15, 3, v13
	v_subrev_u32_e32 v17, 28, v16
	v_and_b32_e32 v15, 15, v15
	v_lshlrev_b32_e32 v13, v17, v13
	v_sub_u32_e32 v16, 29, v16
	v_and_b32_e32 v13, 7, v13
	v_cmp_eq_u16_e32 vcc, 0, v15
	v_cndmask_b32_e32 v13, v14, v13, vcc
	v_cndmask_b32_e32 v14, v15, v16, vcc
	v_lshlrev_b32_e32 v15, 16, v2
	v_mov_b32_e32 v16, 0x3b800000
	v_lshlrev_b32_e32 v13, 20, v13
	v_and_b32_e32 v15, 0x80000000, v15
	v_lshl_add_u32 v14, v14, 23, v16
	v_or3_b32 v14, v15, v14, v13
.LBB1_1808:
	s_or_b64 exec, exec, s[6:7]
	s_nop 0
	v_mfma_f32_16x16x4f32 a[0:3], v12, v14, a[0:3]
	s_movk_i32 s4, 0xff
	v_and_b32_sdwa v13, v6, s4 dst_sel:DWORD dst_unused:UNUSED_PAD src0_sel:WORD_1 src1_sel:DWORD
	s_movk_i32 s4, 0x7f
	v_cmp_lt_i16_e32 vcc, s4, v13
	s_mov_b64 s[4:5], 0
                                        ; implicit-def: $sgpr10
	s_and_saveexec_b64 s[6:7], vcc
	s_xor_b64 s[6:7], exec, s[6:7]
	s_cbranch_execz .LBB1_1809
; %bb.37649:
	s_getpc_b64 s[14:15]
.Lpost_getpc4488:
	s_add_u32 s14, s14, (.LBB1_16145-.Lpost_getpc4488)&4294967295
	s_addc_u32 s15, s15, (.LBB1_16145-.Lpost_getpc4488)>>32
	s_setpc_b64 s[14:15]
.LBB1_1809:
	s_or_saveexec_b64 s[6:7], s[6:7]
	v_mov_b32_e32 v12, s10
	s_xor_b64 exec, exec, s[6:7]
	s_cbranch_execz .LBB1_1810
; %bb.37651:
	s_getpc_b64 s[14:15]
.Lpost_getpc4489:
	s_add_u32 s14, s14, (.LBB1_16148-.Lpost_getpc4489)&4294967295
	s_addc_u32 s15, s15, (.LBB1_16148-.Lpost_getpc4489)>>32
	s_setpc_b64 s[14:15]
.LBB1_1810:
	s_or_b64 exec, exec, s[6:7]
	s_and_saveexec_b64 s[6:7], s[4:5]
	s_cbranch_execz .LBB1_1812
.LBB1_1811:
	v_bfe_u32 v12, v6, 16, 3
	v_ffbh_u32_e32 v15, v12
	v_min_u32_e32 v15, 32, v15
	v_lshrrev_b32_e32 v13, 19, v6
	v_subrev_u32_e32 v16, 28, v15
	v_and_b32_e32 v13, 15, v13
	v_lshlrev_b32_sdwa v16, v16, v6 dst_sel:DWORD dst_unused:UNUSED_PAD src0_sel:DWORD src1_sel:WORD_1
	v_bfe_u32 v14, v6, 19, 4
	v_sub_u32_e32 v15, 29, v15
	v_and_b32_e32 v16, 7, v16
	v_cmp_eq_u16_e32 vcc, 0, v13
	v_cndmask_b32_e32 v12, v12, v16, vcc
	v_cndmask_b32_e32 v13, v14, v15, vcc
	v_lshlrev_b32_e32 v14, 8, v6
	v_mov_b32_e32 v15, 0x3b800000
	v_lshlrev_b32_e32 v12, 20, v12
	v_and_b32_e32 v14, 0x80000000, v14
	v_lshl_add_u32 v13, v13, 23, v15
	v_or3_b32 v12, v14, v13, v12
.LBB1_1812:
	s_or_b64 exec, exec, s[6:7]
	s_movk_i32 s4, 0xff
	v_and_b32_sdwa v13, v2, s4 dst_sel:DWORD dst_unused:UNUSED_PAD src0_sel:WORD_1 src1_sel:DWORD
	s_movk_i32 s4, 0x7f
	v_cmp_lt_i16_e32 vcc, s4, v13
	s_mov_b64 s[4:5], 0
                                        ; implicit-def: $sgpr10
	s_and_saveexec_b64 s[6:7], vcc
	s_xor_b64 s[6:7], exec, s[6:7]
	s_cbranch_execz .LBB1_1813
; %bb.37653:
	s_getpc_b64 s[14:15]
.Lpost_getpc4490:
	s_add_u32 s14, s14, (.LBB1_16149-.Lpost_getpc4490)&4294967295
	s_addc_u32 s15, s15, (.LBB1_16149-.Lpost_getpc4490)>>32
	s_setpc_b64 s[14:15]
.LBB1_1813:
	s_or_saveexec_b64 s[6:7], s[6:7]
	v_mov_b32_e32 v14, s10
	s_xor_b64 exec, exec, s[6:7]
	s_cbranch_execz .LBB1_1814
; %bb.37655:
	s_getpc_b64 s[14:15]
.Lpost_getpc4491:
	s_add_u32 s14, s14, (.LBB1_16152-.Lpost_getpc4491)&4294967295
	s_addc_u32 s15, s15, (.LBB1_16152-.Lpost_getpc4491)>>32
	s_setpc_b64 s[14:15]
.LBB1_1814:
	s_or_b64 exec, exec, s[6:7]
	s_and_saveexec_b64 s[6:7], s[4:5]
	s_cbranch_execz .LBB1_1816
.LBB1_1815:
	v_bfe_u32 v13, v2, 16, 3
	v_ffbh_u32_e32 v16, v13
	v_min_u32_e32 v16, 32, v16
	v_lshrrev_b32_e32 v14, 19, v2
	v_subrev_u32_e32 v17, 28, v16
	v_and_b32_e32 v14, 15, v14
	v_lshlrev_b32_sdwa v17, v17, v2 dst_sel:DWORD dst_unused:UNUSED_PAD src0_sel:DWORD src1_sel:WORD_1
	v_bfe_u32 v15, v2, 19, 4
	v_sub_u32_e32 v16, 29, v16
	v_and_b32_e32 v17, 7, v17
	v_cmp_eq_u16_e32 vcc, 0, v14
	v_cndmask_b32_e32 v13, v13, v17, vcc
	v_cndmask_b32_e32 v14, v15, v16, vcc
	v_lshlrev_b32_e32 v15, 8, v2
	v_mov_b32_e32 v16, 0x3b800000
	v_lshlrev_b32_e32 v13, 20, v13
	v_and_b32_e32 v15, 0x80000000, v15
	v_lshl_add_u32 v14, v14, 23, v16
	v_or3_b32 v14, v15, v14, v13
.LBB1_1816:
	s_or_b64 exec, exec, s[6:7]
	s_nop 0
	v_mfma_f32_16x16x4f32 a[0:3], v12, v14, a[0:3]
	s_movk_i32 s4, 0x7f
	v_cmp_gt_i16_sdwa s[6:7], v6, s4 src0_sel:BYTE_3 src1_sel:DWORD
	s_mov_b64 s[4:5], 0
                                        ; implicit-def: $sgpr10
	s_and_saveexec_b64 s[8:9], s[6:7]
	s_xor_b64 s[6:7], exec, s[8:9]
	s_cbranch_execz .LBB1_1817
; %bb.37657:
	s_getpc_b64 s[14:15]
.Lpost_getpc4492:
	s_add_u32 s14, s14, (.LBB1_16153-.Lpost_getpc4492)&4294967295
	s_addc_u32 s15, s15, (.LBB1_16153-.Lpost_getpc4492)>>32
	s_setpc_b64 s[14:15]
.LBB1_1817:
	s_or_saveexec_b64 s[6:7], s[6:7]
	v_mov_b32_e32 v12, s10
	s_xor_b64 exec, exec, s[6:7]
	s_cbranch_execz .LBB1_1818
; %bb.37659:
	s_getpc_b64 s[14:15]
.Lpost_getpc4493:
	s_add_u32 s14, s14, (.LBB1_16156-.Lpost_getpc4493)&4294967295
	s_addc_u32 s15, s15, (.LBB1_16156-.Lpost_getpc4493)>>32
	s_setpc_b64 s[14:15]
.LBB1_1818:
	s_or_b64 exec, exec, s[6:7]
	s_and_saveexec_b64 s[6:7], s[4:5]
	s_cbranch_execz .LBB1_1820
.LBB1_1819:
	v_bfe_u32 v12, v6, 24, 3
	v_ffbh_u32_e32 v16, v12
	v_min_u32_e32 v16, 32, v16
	v_lshrrev_b32_e32 v14, 27, v6
	v_subrev_u32_e32 v17, 28, v16
	v_and_b32_e32 v13, 0x80000000, v6
	v_and_b32_e32 v14, 15, v14
	v_bfe_u32 v15, v6, 27, 4
	v_lshlrev_b32_sdwa v6, v17, v6 dst_sel:DWORD dst_unused:UNUSED_PAD src0_sel:DWORD src1_sel:BYTE_3
	v_sub_u32_e32 v16, 29, v16
	v_and_b32_e32 v6, 7, v6
	v_cmp_eq_u16_e32 vcc, 0, v14
	v_cndmask_b32_e32 v6, v12, v6, vcc
	v_cndmask_b32_e32 v12, v15, v16, vcc
	v_mov_b32_e32 v14, 0x3b800000
	v_lshlrev_b32_e32 v6, 20, v6
	v_lshl_add_u32 v12, v12, 23, v14
	v_or3_b32 v12, v13, v12, v6
.LBB1_1820:
	s_or_b64 exec, exec, s[6:7]
	s_movk_i32 s4, 0x7f
	v_cmp_gt_i16_sdwa s[6:7], v2, s4 src0_sel:BYTE_3 src1_sel:DWORD
	s_mov_b64 s[4:5], 0
                                        ; implicit-def: $sgpr10
	s_and_saveexec_b64 s[8:9], s[6:7]
	s_xor_b64 s[6:7], exec, s[8:9]
	s_cbranch_execz .LBB1_1821
; %bb.37661:
	s_getpc_b64 s[14:15]
.Lpost_getpc4494:
	s_add_u32 s14, s14, (.LBB1_16157-.Lpost_getpc4494)&4294967295
	s_addc_u32 s15, s15, (.LBB1_16157-.Lpost_getpc4494)>>32
	s_setpc_b64 s[14:15]
.LBB1_1821:
	s_or_saveexec_b64 s[6:7], s[6:7]
	v_mov_b32_e32 v6, s10
	s_xor_b64 exec, exec, s[6:7]
	s_cbranch_execz .LBB1_1822
; %bb.37663:
	s_getpc_b64 s[14:15]
.Lpost_getpc4495:
	s_add_u32 s14, s14, (.LBB1_16160-.Lpost_getpc4495)&4294967295
	s_addc_u32 s15, s15, (.LBB1_16160-.Lpost_getpc4495)>>32
	s_setpc_b64 s[14:15]
.LBB1_1822:
	s_or_b64 exec, exec, s[6:7]
	s_and_saveexec_b64 s[6:7], s[4:5]
	s_cbranch_execz .LBB1_1824
.LBB1_1823:
	v_bfe_u32 v6, v2, 24, 3
	v_ffbh_u32_e32 v16, v6
	v_min_u32_e32 v16, 32, v16
	v_lshrrev_b32_e32 v14, 27, v2
	v_subrev_u32_e32 v17, 28, v16
	v_and_b32_e32 v13, 0x80000000, v2
	v_and_b32_e32 v14, 15, v14
	v_bfe_u32 v15, v2, 27, 4
	v_lshlrev_b32_sdwa v2, v17, v2 dst_sel:DWORD dst_unused:UNUSED_PAD src0_sel:DWORD src1_sel:BYTE_3
	v_sub_u32_e32 v16, 29, v16
	v_and_b32_e32 v2, 7, v2
	v_cmp_eq_u16_e32 vcc, 0, v14
	v_cndmask_b32_e32 v2, v6, v2, vcc
	v_cndmask_b32_e32 v6, v15, v16, vcc
	v_mov_b32_e32 v14, 0x3b800000
	v_lshlrev_b32_e32 v2, 20, v2
	v_lshl_add_u32 v6, v6, 23, v14
	v_or3_b32 v6, v13, v6, v2
.LBB1_1824:
	s_or_b64 exec, exec, s[6:7]
	s_nop 0
	v_mfma_f32_16x16x4f32 a[0:3], v12, v6, a[0:3]
	s_movk_i32 s4, 0x7f
	v_cmp_gt_i16_sdwa s[6:7], v7, s4 src0_sel:BYTE_0 src1_sel:DWORD
	s_mov_b64 s[4:5], 0
                                        ; implicit-def: $sgpr10
	s_and_saveexec_b64 s[8:9], s[6:7]
	s_xor_b64 s[6:7], exec, s[8:9]
	s_cbranch_execz .LBB1_1825
; %bb.37665:
	s_getpc_b64 s[14:15]
.Lpost_getpc4496:
	s_add_u32 s14, s14, (.LBB1_16161-.Lpost_getpc4496)&4294967295
	s_addc_u32 s15, s15, (.LBB1_16161-.Lpost_getpc4496)>>32
	s_setpc_b64 s[14:15]
.LBB1_1825:
	s_or_saveexec_b64 s[6:7], s[6:7]
	v_mov_b32_e32 v2, s10
	s_xor_b64 exec, exec, s[6:7]
	s_cbranch_execz .LBB1_1826
; %bb.37667:
	s_getpc_b64 s[14:15]
.Lpost_getpc4497:
	s_add_u32 s14, s14, (.LBB1_16164-.Lpost_getpc4497)&4294967295
	s_addc_u32 s15, s15, (.LBB1_16164-.Lpost_getpc4497)>>32
	s_setpc_b64 s[14:15]
.LBB1_1826:
	s_or_b64 exec, exec, s[6:7]
	s_and_saveexec_b64 s[6:7], s[4:5]
	s_cbranch_execz .LBB1_1828
.LBB1_1827:
	v_and_b32_e32 v2, 7, v7
	v_ffbh_u32_e32 v12, v2
	v_min_u32_e32 v12, 32, v12
	v_lshrrev_b16_e32 v6, 3, v7
	v_subrev_u32_e32 v13, 28, v12
	v_and_b32_e32 v6, 15, v6
	v_lshlrev_b32_e32 v13, v13, v7
	v_sub_u32_e32 v12, 29, v12
	v_and_b32_e32 v13, 7, v13
	v_cmp_eq_u16_e32 vcc, 0, v6
	v_cndmask_b32_e32 v2, v2, v13, vcc
	v_cndmask_b32_e32 v6, v6, v12, vcc
	v_lshlrev_b32_e32 v12, 24, v7
	v_mov_b32_e32 v13, 0x3b800000
	v_lshlrev_b32_e32 v2, 20, v2
	v_and_b32_e32 v12, 0x80000000, v12
	v_lshl_add_u32 v6, v6, 23, v13
	v_or3_b32 v2, v12, v6, v2
.LBB1_1828:
	s_or_b64 exec, exec, s[6:7]
	s_movk_i32 s4, 0x7f
	v_cmp_gt_i16_sdwa s[6:7], v3, s4 src0_sel:BYTE_0 src1_sel:DWORD
	s_mov_b64 s[4:5], 0
                                        ; implicit-def: $sgpr10
	s_and_saveexec_b64 s[8:9], s[6:7]
	s_xor_b64 s[6:7], exec, s[8:9]
	s_cbranch_execz .LBB1_1829
; %bb.37669:
	s_getpc_b64 s[14:15]
.Lpost_getpc4498:
	s_add_u32 s14, s14, (.LBB1_16165-.Lpost_getpc4498)&4294967295
	s_addc_u32 s15, s15, (.LBB1_16165-.Lpost_getpc4498)>>32
	s_setpc_b64 s[14:15]
.LBB1_1829:
	s_or_saveexec_b64 s[6:7], s[6:7]
	v_mov_b32_e32 v6, s10
	s_xor_b64 exec, exec, s[6:7]
	s_cbranch_execz .LBB1_1830
; %bb.37671:
	s_getpc_b64 s[14:15]
.Lpost_getpc4499:
	s_add_u32 s14, s14, (.LBB1_16168-.Lpost_getpc4499)&4294967295
	s_addc_u32 s15, s15, (.LBB1_16168-.Lpost_getpc4499)>>32
	s_setpc_b64 s[14:15]
.LBB1_1830:
	s_or_b64 exec, exec, s[6:7]
	s_and_saveexec_b64 s[6:7], s[4:5]
	s_cbranch_execz .LBB1_1832
.LBB1_1831:
	v_and_b32_e32 v6, 7, v3
	v_ffbh_u32_e32 v13, v6
	v_min_u32_e32 v13, 32, v13
	v_lshrrev_b16_e32 v12, 3, v3
	v_subrev_u32_e32 v14, 28, v13
	v_and_b32_e32 v12, 15, v12
	v_lshlrev_b32_e32 v14, v14, v3
	v_sub_u32_e32 v13, 29, v13
	v_and_b32_e32 v14, 7, v14
	v_cmp_eq_u16_e32 vcc, 0, v12
	v_cndmask_b32_e32 v6, v6, v14, vcc
	v_cndmask_b32_e32 v12, v12, v13, vcc
	v_lshlrev_b32_e32 v13, 24, v3
	v_mov_b32_e32 v14, 0x3b800000
	v_lshlrev_b32_e32 v6, 20, v6
	v_and_b32_e32 v13, 0x80000000, v13
	v_lshl_add_u32 v12, v12, 23, v14
	v_or3_b32 v6, v13, v12, v6
.LBB1_1832:
	s_or_b64 exec, exec, s[6:7]
	s_nop 0
	v_mfma_f32_16x16x4f32 a[0:3], v2, v6, a[0:3]
	v_lshrrev_b32_e32 v6, 8, v7
	s_movk_i32 s4, 0x7f
	v_cmp_gt_i16_sdwa s[6:7], v6, s4 src0_sel:BYTE_0 src1_sel:DWORD
	s_mov_b64 s[4:5], 0
                                        ; implicit-def: $sgpr10
	s_and_saveexec_b64 s[8:9], s[6:7]
	s_xor_b64 s[6:7], exec, s[8:9]
	s_cbranch_execz .LBB1_1833
; %bb.37673:
	s_getpc_b64 s[14:15]
.Lpost_getpc4500:
	s_add_u32 s14, s14, (.LBB1_16169-.Lpost_getpc4500)&4294967295
	s_addc_u32 s15, s15, (.LBB1_16169-.Lpost_getpc4500)>>32
	s_setpc_b64 s[14:15]
.LBB1_1833:
	s_or_saveexec_b64 s[6:7], s[6:7]
	v_mov_b32_e32 v2, s10
	s_xor_b64 exec, exec, s[6:7]
	s_cbranch_execz .LBB1_1834
; %bb.37675:
	s_getpc_b64 s[14:15]
.Lpost_getpc4501:
	s_add_u32 s14, s14, (.LBB1_16172-.Lpost_getpc4501)&4294967295
	s_addc_u32 s15, s15, (.LBB1_16172-.Lpost_getpc4501)>>32
	s_setpc_b64 s[14:15]
.LBB1_1834:
	s_or_b64 exec, exec, s[6:7]
	s_and_saveexec_b64 s[6:7], s[4:5]
	s_cbranch_execz .LBB1_1836
.LBB1_1835:
	v_bfe_u32 v2, v7, 8, 3
	v_ffbh_u32_e32 v13, v2
	v_min_u32_e32 v13, 32, v13
	v_lshrrev_b16_e32 v12, 3, v6
	v_subrev_u32_e32 v14, 28, v13
	v_and_b32_e32 v12, 15, v12
	v_lshlrev_b32_e32 v6, v14, v6
	v_sub_u32_e32 v13, 29, v13
	v_and_b32_e32 v6, 7, v6
	v_cmp_eq_u16_e32 vcc, 0, v12
	v_cndmask_b32_e32 v2, v2, v6, vcc
	v_cndmask_b32_e32 v6, v12, v13, vcc
	v_lshlrev_b32_e32 v12, 16, v7
	v_mov_b32_e32 v13, 0x3b800000
	v_lshlrev_b32_e32 v2, 20, v2
	v_and_b32_e32 v12, 0x80000000, v12
	v_lshl_add_u32 v6, v6, 23, v13
	v_or3_b32 v2, v12, v6, v2
.LBB1_1836:
	s_or_b64 exec, exec, s[6:7]
	v_lshrrev_b32_e32 v6, 8, v3
	s_movk_i32 s4, 0x7f
	v_cmp_gt_i16_sdwa s[6:7], v6, s4 src0_sel:BYTE_0 src1_sel:DWORD
	s_mov_b64 s[4:5], 0
                                        ; implicit-def: $sgpr10
	s_and_saveexec_b64 s[8:9], s[6:7]
	s_xor_b64 s[6:7], exec, s[8:9]
	s_cbranch_execz .LBB1_1837
; %bb.37677:
	s_getpc_b64 s[14:15]
.Lpost_getpc4502:
	s_add_u32 s14, s14, (.LBB1_16173-.Lpost_getpc4502)&4294967295
	s_addc_u32 s15, s15, (.LBB1_16173-.Lpost_getpc4502)>>32
	s_setpc_b64 s[14:15]
.LBB1_1837:
	s_or_saveexec_b64 s[6:7], s[6:7]
	v_mov_b32_e32 v12, s10
	s_xor_b64 exec, exec, s[6:7]
	s_cbranch_execz .LBB1_1838
; %bb.37679:
	s_getpc_b64 s[14:15]
.Lpost_getpc4503:
	s_add_u32 s14, s14, (.LBB1_16176-.Lpost_getpc4503)&4294967295
	s_addc_u32 s15, s15, (.LBB1_16176-.Lpost_getpc4503)>>32
	s_setpc_b64 s[14:15]
.LBB1_1838:
	s_or_b64 exec, exec, s[6:7]
	s_and_saveexec_b64 s[6:7], s[4:5]
	s_cbranch_execz .LBB1_1840
.LBB1_1839:
	v_bfe_u32 v12, v3, 8, 3
	v_ffbh_u32_e32 v14, v12
	v_min_u32_e32 v14, 32, v14
	v_lshrrev_b16_e32 v13, 3, v6
	v_subrev_u32_e32 v15, 28, v14
	v_and_b32_e32 v13, 15, v13
	v_lshlrev_b32_e32 v6, v15, v6
	v_sub_u32_e32 v14, 29, v14
	v_and_b32_e32 v6, 7, v6
	v_cmp_eq_u16_e32 vcc, 0, v13
	v_cndmask_b32_e32 v6, v12, v6, vcc
	v_cndmask_b32_e32 v12, v13, v14, vcc
	v_lshlrev_b32_e32 v13, 16, v3
	v_mov_b32_e32 v14, 0x3b800000
	v_lshlrev_b32_e32 v6, 20, v6
	v_and_b32_e32 v13, 0x80000000, v13
	v_lshl_add_u32 v12, v12, 23, v14
	v_or3_b32 v12, v13, v12, v6
.LBB1_1840:
	s_or_b64 exec, exec, s[6:7]
	s_nop 0
	v_mfma_f32_16x16x4f32 a[0:3], v2, v12, a[0:3]
	s_movk_i32 s4, 0xff
	v_and_b32_sdwa v6, v7, s4 dst_sel:DWORD dst_unused:UNUSED_PAD src0_sel:WORD_1 src1_sel:DWORD
	s_movk_i32 s4, 0x7f
	v_cmp_lt_i16_e32 vcc, s4, v6
	s_mov_b64 s[4:5], 0
                                        ; implicit-def: $sgpr10
	s_and_saveexec_b64 s[6:7], vcc
	s_xor_b64 s[6:7], exec, s[6:7]
	s_cbranch_execz .LBB1_1841
; %bb.37681:
	s_getpc_b64 s[14:15]
.Lpost_getpc4504:
	s_add_u32 s14, s14, (.LBB1_16177-.Lpost_getpc4504)&4294967295
	s_addc_u32 s15, s15, (.LBB1_16177-.Lpost_getpc4504)>>32
	s_setpc_b64 s[14:15]
.LBB1_1841:
	s_or_saveexec_b64 s[6:7], s[6:7]
	v_mov_b32_e32 v2, s10
	s_xor_b64 exec, exec, s[6:7]
	s_cbranch_execz .LBB1_1842
; %bb.37683:
	s_getpc_b64 s[14:15]
.Lpost_getpc4505:
	s_add_u32 s14, s14, (.LBB1_16180-.Lpost_getpc4505)&4294967295
	s_addc_u32 s15, s15, (.LBB1_16180-.Lpost_getpc4505)>>32
	s_setpc_b64 s[14:15]
.LBB1_1842:
	s_or_b64 exec, exec, s[6:7]
	s_and_saveexec_b64 s[6:7], s[4:5]
	s_cbranch_execz .LBB1_1844
.LBB1_1843:
	v_bfe_u32 v2, v7, 16, 3
	v_ffbh_u32_e32 v13, v2
	v_min_u32_e32 v13, 32, v13
	v_lshrrev_b32_e32 v6, 19, v7
	v_subrev_u32_e32 v14, 28, v13
	v_and_b32_e32 v6, 15, v6
	v_lshlrev_b32_sdwa v14, v14, v7 dst_sel:DWORD dst_unused:UNUSED_PAD src0_sel:DWORD src1_sel:WORD_1
	v_bfe_u32 v12, v7, 19, 4
	v_sub_u32_e32 v13, 29, v13
	v_and_b32_e32 v14, 7, v14
	v_cmp_eq_u16_e32 vcc, 0, v6
	v_cndmask_b32_e32 v2, v2, v14, vcc
	v_cndmask_b32_e32 v6, v12, v13, vcc
	v_lshlrev_b32_e32 v12, 8, v7
	v_mov_b32_e32 v13, 0x3b800000
	v_lshlrev_b32_e32 v2, 20, v2
	v_and_b32_e32 v12, 0x80000000, v12
	v_lshl_add_u32 v6, v6, 23, v13
	v_or3_b32 v2, v12, v6, v2
.LBB1_1844:
	s_or_b64 exec, exec, s[6:7]
	s_movk_i32 s4, 0xff
	v_and_b32_sdwa v6, v3, s4 dst_sel:DWORD dst_unused:UNUSED_PAD src0_sel:WORD_1 src1_sel:DWORD
	s_movk_i32 s4, 0x7f
	v_cmp_lt_i16_e32 vcc, s4, v6
	s_mov_b64 s[4:5], 0
                                        ; implicit-def: $sgpr10
	s_and_saveexec_b64 s[6:7], vcc
	s_xor_b64 s[6:7], exec, s[6:7]
	s_cbranch_execz .LBB1_1845
; %bb.37685:
	s_getpc_b64 s[14:15]
.Lpost_getpc4506:
	s_add_u32 s14, s14, (.LBB1_16181-.Lpost_getpc4506)&4294967295
	s_addc_u32 s15, s15, (.LBB1_16181-.Lpost_getpc4506)>>32
	s_setpc_b64 s[14:15]
.LBB1_1845:
	s_or_saveexec_b64 s[6:7], s[6:7]
	v_mov_b32_e32 v12, s10
	s_xor_b64 exec, exec, s[6:7]
	s_cbranch_execz .LBB1_1846
; %bb.37687:
	s_getpc_b64 s[14:15]
.Lpost_getpc4507:
	s_add_u32 s14, s14, (.LBB1_16184-.Lpost_getpc4507)&4294967295
	s_addc_u32 s15, s15, (.LBB1_16184-.Lpost_getpc4507)>>32
	s_setpc_b64 s[14:15]
.LBB1_1846:
	s_or_b64 exec, exec, s[6:7]
	s_and_saveexec_b64 s[6:7], s[4:5]
	s_cbranch_execz .LBB1_1848
.LBB1_1847:
	v_bfe_u32 v6, v3, 16, 3
	v_ffbh_u32_e32 v14, v6
	v_min_u32_e32 v14, 32, v14
	v_lshrrev_b32_e32 v12, 19, v3
	v_subrev_u32_e32 v15, 28, v14
	v_and_b32_e32 v12, 15, v12
	v_lshlrev_b32_sdwa v15, v15, v3 dst_sel:DWORD dst_unused:UNUSED_PAD src0_sel:DWORD src1_sel:WORD_1
	v_bfe_u32 v13, v3, 19, 4
	v_sub_u32_e32 v14, 29, v14
	v_and_b32_e32 v15, 7, v15
	v_cmp_eq_u16_e32 vcc, 0, v12
	v_cndmask_b32_e32 v6, v6, v15, vcc
	v_cndmask_b32_e32 v12, v13, v14, vcc
	v_lshlrev_b32_e32 v13, 8, v3
	v_mov_b32_e32 v14, 0x3b800000
	v_lshlrev_b32_e32 v6, 20, v6
	v_and_b32_e32 v13, 0x80000000, v13
	v_lshl_add_u32 v12, v12, 23, v14
	v_or3_b32 v12, v13, v12, v6
.LBB1_1848:
	s_or_b64 exec, exec, s[6:7]
	s_nop 0
	v_mfma_f32_16x16x4f32 a[0:3], v2, v12, a[0:3]
	s_movk_i32 s4, 0x7f
	v_cmp_gt_i16_sdwa s[6:7], v7, s4 src0_sel:BYTE_3 src1_sel:DWORD
	s_mov_b64 s[4:5], 0
                                        ; implicit-def: $sgpr10
	s_and_saveexec_b64 s[8:9], s[6:7]
	s_xor_b64 s[6:7], exec, s[8:9]
	s_cbranch_execz .LBB1_1849
; %bb.37689:
	s_getpc_b64 s[14:15]
.Lpost_getpc4508:
	s_add_u32 s14, s14, (.LBB1_16185-.Lpost_getpc4508)&4294967295
	s_addc_u32 s15, s15, (.LBB1_16185-.Lpost_getpc4508)>>32
	s_setpc_b64 s[14:15]
.LBB1_1849:
	s_or_saveexec_b64 s[6:7], s[6:7]
	v_mov_b32_e32 v2, s10
	s_xor_b64 exec, exec, s[6:7]
	s_cbranch_execz .LBB1_1850
; %bb.37691:
	s_getpc_b64 s[14:15]
.Lpost_getpc4509:
	s_add_u32 s14, s14, (.LBB1_16188-.Lpost_getpc4509)&4294967295
	s_addc_u32 s15, s15, (.LBB1_16188-.Lpost_getpc4509)>>32
	s_setpc_b64 s[14:15]
.LBB1_1850:
	s_or_b64 exec, exec, s[6:7]
	s_and_saveexec_b64 s[6:7], s[4:5]
	s_cbranch_execz .LBB1_1852
.LBB1_1851:
	v_bfe_u32 v2, v7, 24, 3
	v_ffbh_u32_e32 v14, v2
	v_min_u32_e32 v14, 32, v14
	v_lshrrev_b32_e32 v12, 27, v7
	v_subrev_u32_e32 v15, 28, v14
	v_and_b32_e32 v6, 0x80000000, v7
	v_and_b32_e32 v12, 15, v12
	v_bfe_u32 v13, v7, 27, 4
	v_lshlrev_b32_sdwa v7, v15, v7 dst_sel:DWORD dst_unused:UNUSED_PAD src0_sel:DWORD src1_sel:BYTE_3
	v_sub_u32_e32 v14, 29, v14
	v_and_b32_e32 v7, 7, v7
	v_cmp_eq_u16_e32 vcc, 0, v12
	v_cndmask_b32_e32 v2, v2, v7, vcc
	v_cndmask_b32_e32 v7, v13, v14, vcc
	v_mov_b32_e32 v12, 0x3b800000
	v_lshlrev_b32_e32 v2, 20, v2
	v_lshl_add_u32 v7, v7, 23, v12
	v_or3_b32 v2, v6, v7, v2
.LBB1_1852:
	s_or_b64 exec, exec, s[6:7]
	s_movk_i32 s4, 0x7f
	v_cmp_gt_i16_sdwa s[6:7], v3, s4 src0_sel:BYTE_3 src1_sel:DWORD
	s_mov_b64 s[4:5], 0
                                        ; implicit-def: $sgpr10
	s_and_saveexec_b64 s[8:9], s[6:7]
	s_xor_b64 s[6:7], exec, s[8:9]
	s_cbranch_execz .LBB1_1853
; %bb.37693:
	s_getpc_b64 s[14:15]
.Lpost_getpc4510:
	s_add_u32 s14, s14, (.LBB1_16189-.Lpost_getpc4510)&4294967295
	s_addc_u32 s15, s15, (.LBB1_16189-.Lpost_getpc4510)>>32
	s_setpc_b64 s[14:15]
.LBB1_1853:
	s_or_saveexec_b64 s[6:7], s[6:7]
	v_mov_b32_e32 v6, s10
	s_xor_b64 exec, exec, s[6:7]
	s_cbranch_execz .LBB1_1854
; %bb.37695:
	s_getpc_b64 s[14:15]
.Lpost_getpc4511:
	s_add_u32 s14, s14, (.LBB1_16192-.Lpost_getpc4511)&4294967295
	s_addc_u32 s15, s15, (.LBB1_16192-.Lpost_getpc4511)>>32
	s_setpc_b64 s[14:15]
.LBB1_1854:
	s_or_b64 exec, exec, s[6:7]
	s_and_saveexec_b64 s[6:7], s[4:5]
	s_cbranch_execz .LBB1_1856
.LBB1_1855:
	v_bfe_u32 v6, v3, 24, 3
	v_ffbh_u32_e32 v14, v6
	v_min_u32_e32 v14, 32, v14
	v_lshrrev_b32_e32 v12, 27, v3
	v_subrev_u32_e32 v15, 28, v14
	v_and_b32_e32 v7, 0x80000000, v3
	v_and_b32_e32 v12, 15, v12
	v_bfe_u32 v13, v3, 27, 4
	v_lshlrev_b32_sdwa v3, v15, v3 dst_sel:DWORD dst_unused:UNUSED_PAD src0_sel:DWORD src1_sel:BYTE_3
	v_sub_u32_e32 v14, 29, v14
	v_and_b32_e32 v3, 7, v3
	v_cmp_eq_u16_e32 vcc, 0, v12
	v_cndmask_b32_e32 v3, v6, v3, vcc
	v_cndmask_b32_e32 v6, v13, v14, vcc
	v_mov_b32_e32 v12, 0x3b800000
	v_lshlrev_b32_e32 v3, 20, v3
	v_lshl_add_u32 v6, v6, 23, v12
	v_or3_b32 v6, v7, v6, v3
.LBB1_1856:
	s_or_b64 exec, exec, s[6:7]
	s_nop 0
	v_mfma_f32_16x16x4f32 a[0:3], v2, v6, a[0:3]
	s_movk_i32 s4, 0x7f
	v_cmp_gt_i16_sdwa s[6:7], v8, s4 src0_sel:BYTE_0 src1_sel:DWORD
	s_mov_b64 s[4:5], 0
                                        ; implicit-def: $sgpr10
	s_and_saveexec_b64 s[8:9], s[6:7]
	s_xor_b64 s[6:7], exec, s[8:9]
	s_cbranch_execz .LBB1_1857
; %bb.37697:
	s_getpc_b64 s[14:15]
.Lpost_getpc4512:
	s_add_u32 s14, s14, (.LBB1_16193-.Lpost_getpc4512)&4294967295
	s_addc_u32 s15, s15, (.LBB1_16193-.Lpost_getpc4512)>>32
	s_setpc_b64 s[14:15]
.LBB1_1857:
	s_or_saveexec_b64 s[6:7], s[6:7]
	v_mov_b32_e32 v2, s10
	s_xor_b64 exec, exec, s[6:7]
	s_cbranch_execz .LBB1_1858
; %bb.37699:
	s_getpc_b64 s[14:15]
.Lpost_getpc4513:
	s_add_u32 s14, s14, (.LBB1_16196-.Lpost_getpc4513)&4294967295
	s_addc_u32 s15, s15, (.LBB1_16196-.Lpost_getpc4513)>>32
	s_setpc_b64 s[14:15]
.LBB1_1858:
	s_or_b64 exec, exec, s[6:7]
	s_and_saveexec_b64 s[6:7], s[4:5]
	s_cbranch_execz .LBB1_1860
.LBB1_1859:
	v_and_b32_e32 v2, 7, v8
	v_ffbh_u32_e32 v6, v2
	v_min_u32_e32 v6, 32, v6
	v_lshrrev_b16_e32 v3, 3, v8
	v_subrev_u32_e32 v7, 28, v6
	v_and_b32_e32 v3, 15, v3
	v_lshlrev_b32_e32 v7, v7, v8
	v_sub_u32_e32 v6, 29, v6
	v_and_b32_e32 v7, 7, v7
	v_cmp_eq_u16_e32 vcc, 0, v3
	v_cndmask_b32_e32 v2, v2, v7, vcc
	v_cndmask_b32_e32 v3, v3, v6, vcc
	v_lshlrev_b32_e32 v6, 24, v8
	v_mov_b32_e32 v7, 0x3b800000
	v_lshlrev_b32_e32 v2, 20, v2
	v_and_b32_e32 v6, 0x80000000, v6
	v_lshl_add_u32 v3, v3, 23, v7
	v_or3_b32 v2, v6, v3, v2
.LBB1_1860:
	s_or_b64 exec, exec, s[6:7]
	s_movk_i32 s4, 0x7f
	v_cmp_gt_i16_sdwa s[6:7], v4, s4 src0_sel:BYTE_0 src1_sel:DWORD
	s_mov_b64 s[4:5], 0
                                        ; implicit-def: $sgpr10
	s_and_saveexec_b64 s[8:9], s[6:7]
	s_xor_b64 s[6:7], exec, s[8:9]
	s_cbranch_execz .LBB1_1861
; %bb.37701:
	s_getpc_b64 s[14:15]
.Lpost_getpc4514:
	s_add_u32 s14, s14, (.LBB1_16197-.Lpost_getpc4514)&4294967295
	s_addc_u32 s15, s15, (.LBB1_16197-.Lpost_getpc4514)>>32
	s_setpc_b64 s[14:15]
.LBB1_1861:
	s_or_saveexec_b64 s[6:7], s[6:7]
	v_mov_b32_e32 v3, s10
	s_xor_b64 exec, exec, s[6:7]
	s_cbranch_execz .LBB1_1862
; %bb.37703:
	s_getpc_b64 s[14:15]
.Lpost_getpc4515:
	s_add_u32 s14, s14, (.LBB1_16200-.Lpost_getpc4515)&4294967295
	s_addc_u32 s15, s15, (.LBB1_16200-.Lpost_getpc4515)>>32
	s_setpc_b64 s[14:15]
.LBB1_1862:
	s_or_b64 exec, exec, s[6:7]
	s_and_saveexec_b64 s[6:7], s[4:5]
	s_cbranch_execz .LBB1_1864
.LBB1_1863:
	v_and_b32_e32 v3, 7, v4
	v_ffbh_u32_e32 v7, v3
	v_min_u32_e32 v7, 32, v7
	v_lshrrev_b16_e32 v6, 3, v4
	v_subrev_u32_e32 v12, 28, v7
	v_and_b32_e32 v6, 15, v6
	v_lshlrev_b32_e32 v12, v12, v4
	v_sub_u32_e32 v7, 29, v7
	v_and_b32_e32 v12, 7, v12
	v_cmp_eq_u16_e32 vcc, 0, v6
	v_cndmask_b32_e32 v3, v3, v12, vcc
	v_cndmask_b32_e32 v6, v6, v7, vcc
	v_lshlrev_b32_e32 v7, 24, v4
	v_mov_b32_e32 v12, 0x3b800000
	v_lshlrev_b32_e32 v3, 20, v3
	v_and_b32_e32 v7, 0x80000000, v7
	v_lshl_add_u32 v6, v6, 23, v12
	v_or3_b32 v3, v7, v6, v3
.LBB1_1864:
	s_or_b64 exec, exec, s[6:7]
	s_nop 0
	v_mfma_f32_16x16x4f32 a[0:3], v2, v3, a[0:3]
	v_lshrrev_b32_e32 v3, 8, v8
	s_movk_i32 s4, 0x7f
	v_cmp_gt_i16_sdwa s[6:7], v3, s4 src0_sel:BYTE_0 src1_sel:DWORD
	s_mov_b64 s[4:5], 0
                                        ; implicit-def: $sgpr10
	s_and_saveexec_b64 s[8:9], s[6:7]
	s_xor_b64 s[6:7], exec, s[8:9]
	s_cbranch_execz .LBB1_1865
; %bb.37705:
	s_getpc_b64 s[14:15]
.Lpost_getpc4516:
	s_add_u32 s14, s14, (.LBB1_16201-.Lpost_getpc4516)&4294967295
	s_addc_u32 s15, s15, (.LBB1_16201-.Lpost_getpc4516)>>32
	s_setpc_b64 s[14:15]
.LBB1_1865:
	s_or_saveexec_b64 s[6:7], s[6:7]
	v_mov_b32_e32 v2, s10
	s_xor_b64 exec, exec, s[6:7]
	s_cbranch_execz .LBB1_1866
; %bb.37707:
	s_getpc_b64 s[14:15]
.Lpost_getpc4517:
	s_add_u32 s14, s14, (.LBB1_16204-.Lpost_getpc4517)&4294967295
	s_addc_u32 s15, s15, (.LBB1_16204-.Lpost_getpc4517)>>32
	s_setpc_b64 s[14:15]
.LBB1_1866:
	s_or_b64 exec, exec, s[6:7]
	s_and_saveexec_b64 s[6:7], s[4:5]
	s_cbranch_execz .LBB1_1868
.LBB1_1867:
	v_bfe_u32 v2, v8, 8, 3
	v_ffbh_u32_e32 v7, v2
	v_min_u32_e32 v7, 32, v7
	v_lshrrev_b16_e32 v6, 3, v3
	v_subrev_u32_e32 v12, 28, v7
	v_and_b32_e32 v6, 15, v6
	v_lshlrev_b32_e32 v3, v12, v3
	v_sub_u32_e32 v7, 29, v7
	v_and_b32_e32 v3, 7, v3
	v_cmp_eq_u16_e32 vcc, 0, v6
	v_cndmask_b32_e32 v2, v2, v3, vcc
	v_cndmask_b32_e32 v3, v6, v7, vcc
	v_lshlrev_b32_e32 v6, 16, v8
	v_mov_b32_e32 v7, 0x3b800000
	v_lshlrev_b32_e32 v2, 20, v2
	v_and_b32_e32 v6, 0x80000000, v6
	v_lshl_add_u32 v3, v3, 23, v7
	v_or3_b32 v2, v6, v3, v2
.LBB1_1868:
	s_or_b64 exec, exec, s[6:7]
	v_lshrrev_b32_e32 v3, 8, v4
	s_movk_i32 s4, 0x7f
	v_cmp_gt_i16_sdwa s[6:7], v3, s4 src0_sel:BYTE_0 src1_sel:DWORD
	s_mov_b64 s[4:5], 0
                                        ; implicit-def: $sgpr10
	s_and_saveexec_b64 s[8:9], s[6:7]
	s_xor_b64 s[6:7], exec, s[8:9]
	s_cbranch_execz .LBB1_1869
; %bb.37709:
	s_getpc_b64 s[14:15]
.Lpost_getpc4518:
	s_add_u32 s14, s14, (.LBB1_16205-.Lpost_getpc4518)&4294967295
	s_addc_u32 s15, s15, (.LBB1_16205-.Lpost_getpc4518)>>32
	s_setpc_b64 s[14:15]
.LBB1_1869:
	s_or_saveexec_b64 s[6:7], s[6:7]
	v_mov_b32_e32 v6, s10
	s_xor_b64 exec, exec, s[6:7]
	s_cbranch_execz .LBB1_1870
; %bb.37711:
	s_getpc_b64 s[14:15]
.Lpost_getpc4519:
	s_add_u32 s14, s14, (.LBB1_16208-.Lpost_getpc4519)&4294967295
	s_addc_u32 s15, s15, (.LBB1_16208-.Lpost_getpc4519)>>32
	s_setpc_b64 s[14:15]
.LBB1_1870:
	s_or_b64 exec, exec, s[6:7]
	s_and_saveexec_b64 s[6:7], s[4:5]
	s_cbranch_execz .LBB1_1872
.LBB1_1871:
	v_bfe_u32 v6, v4, 8, 3
	v_ffbh_u32_e32 v12, v6
	v_min_u32_e32 v12, 32, v12
	v_lshrrev_b16_e32 v7, 3, v3
	v_subrev_u32_e32 v13, 28, v12
	v_and_b32_e32 v7, 15, v7
	v_lshlrev_b32_e32 v3, v13, v3
	v_sub_u32_e32 v12, 29, v12
	v_and_b32_e32 v3, 7, v3
	v_cmp_eq_u16_e32 vcc, 0, v7
	v_cndmask_b32_e32 v3, v6, v3, vcc
	v_cndmask_b32_e32 v6, v7, v12, vcc
	v_lshlrev_b32_e32 v7, 16, v4
	v_mov_b32_e32 v12, 0x3b800000
	v_lshlrev_b32_e32 v3, 20, v3
	v_and_b32_e32 v7, 0x80000000, v7
	v_lshl_add_u32 v6, v6, 23, v12
	v_or3_b32 v6, v7, v6, v3
.LBB1_1872:
	s_or_b64 exec, exec, s[6:7]
	s_nop 0
	v_mfma_f32_16x16x4f32 a[0:3], v2, v6, a[0:3]
	s_movk_i32 s4, 0xff
	v_and_b32_sdwa v3, v8, s4 dst_sel:DWORD dst_unused:UNUSED_PAD src0_sel:WORD_1 src1_sel:DWORD
	s_movk_i32 s4, 0x7f
	v_cmp_lt_i16_e32 vcc, s4, v3
	s_mov_b64 s[4:5], 0
                                        ; implicit-def: $sgpr10
	s_and_saveexec_b64 s[6:7], vcc
	s_xor_b64 s[6:7], exec, s[6:7]
	s_cbranch_execz .LBB1_1873
; %bb.37713:
	s_getpc_b64 s[14:15]
.Lpost_getpc4520:
	s_add_u32 s14, s14, (.LBB1_16209-.Lpost_getpc4520)&4294967295
	s_addc_u32 s15, s15, (.LBB1_16209-.Lpost_getpc4520)>>32
	s_setpc_b64 s[14:15]
.LBB1_1873:
	s_or_saveexec_b64 s[6:7], s[6:7]
	v_mov_b32_e32 v2, s10
	s_xor_b64 exec, exec, s[6:7]
	s_cbranch_execz .LBB1_1874
; %bb.37715:
	s_getpc_b64 s[14:15]
.Lpost_getpc4521:
	s_add_u32 s14, s14, (.LBB1_16212-.Lpost_getpc4521)&4294967295
	s_addc_u32 s15, s15, (.LBB1_16212-.Lpost_getpc4521)>>32
	s_setpc_b64 s[14:15]
.LBB1_1874:
	s_or_b64 exec, exec, s[6:7]
	s_and_saveexec_b64 s[6:7], s[4:5]
	s_cbranch_execz .LBB1_1876
.LBB1_1875:
	v_bfe_u32 v2, v8, 16, 3
	v_ffbh_u32_e32 v7, v2
	v_min_u32_e32 v7, 32, v7
	v_lshrrev_b32_e32 v3, 19, v8
	v_subrev_u32_e32 v12, 28, v7
	v_and_b32_e32 v3, 15, v3
	v_lshlrev_b32_sdwa v12, v12, v8 dst_sel:DWORD dst_unused:UNUSED_PAD src0_sel:DWORD src1_sel:WORD_1
	v_bfe_u32 v6, v8, 19, 4
	v_sub_u32_e32 v7, 29, v7
	v_and_b32_e32 v12, 7, v12
	v_cmp_eq_u16_e32 vcc, 0, v3
	v_cndmask_b32_e32 v2, v2, v12, vcc
	v_cndmask_b32_e32 v3, v6, v7, vcc
	v_lshlrev_b32_e32 v6, 8, v8
	v_mov_b32_e32 v7, 0x3b800000
	v_lshlrev_b32_e32 v2, 20, v2
	v_and_b32_e32 v6, 0x80000000, v6
	v_lshl_add_u32 v3, v3, 23, v7
	v_or3_b32 v2, v6, v3, v2
.LBB1_1876:
	s_or_b64 exec, exec, s[6:7]
	s_movk_i32 s4, 0xff
	v_and_b32_sdwa v3, v4, s4 dst_sel:DWORD dst_unused:UNUSED_PAD src0_sel:WORD_1 src1_sel:DWORD
	s_movk_i32 s4, 0x7f
	v_cmp_lt_i16_e32 vcc, s4, v3
	s_mov_b64 s[4:5], 0
                                        ; implicit-def: $sgpr10
	s_and_saveexec_b64 s[6:7], vcc
	s_xor_b64 s[6:7], exec, s[6:7]
	s_cbranch_execz .LBB1_1877
; %bb.37717:
	s_getpc_b64 s[14:15]
.Lpost_getpc4522:
	s_add_u32 s14, s14, (.LBB1_16213-.Lpost_getpc4522)&4294967295
	s_addc_u32 s15, s15, (.LBB1_16213-.Lpost_getpc4522)>>32
	s_setpc_b64 s[14:15]
.LBB1_1877:
	s_or_saveexec_b64 s[6:7], s[6:7]
	v_mov_b32_e32 v6, s10
	s_xor_b64 exec, exec, s[6:7]
	s_cbranch_execz .LBB1_1878
; %bb.37719:
	s_getpc_b64 s[14:15]
.Lpost_getpc4523:
	s_add_u32 s14, s14, (.LBB1_16216-.Lpost_getpc4523)&4294967295
	s_addc_u32 s15, s15, (.LBB1_16216-.Lpost_getpc4523)>>32
	s_setpc_b64 s[14:15]
.LBB1_1878:
	s_or_b64 exec, exec, s[6:7]
	s_and_saveexec_b64 s[6:7], s[4:5]
	s_cbranch_execz .LBB1_1880
.LBB1_1879:
	v_bfe_u32 v3, v4, 16, 3
	v_ffbh_u32_e32 v12, v3
	v_min_u32_e32 v12, 32, v12
	v_lshrrev_b32_e32 v6, 19, v4
	v_subrev_u32_e32 v13, 28, v12
	v_and_b32_e32 v6, 15, v6
	v_lshlrev_b32_sdwa v13, v13, v4 dst_sel:DWORD dst_unused:UNUSED_PAD src0_sel:DWORD src1_sel:WORD_1
	v_bfe_u32 v7, v4, 19, 4
	v_sub_u32_e32 v12, 29, v12
	v_and_b32_e32 v13, 7, v13
	v_cmp_eq_u16_e32 vcc, 0, v6
	v_cndmask_b32_e32 v3, v3, v13, vcc
	v_cndmask_b32_e32 v6, v7, v12, vcc
	v_lshlrev_b32_e32 v7, 8, v4
	v_mov_b32_e32 v12, 0x3b800000
	v_lshlrev_b32_e32 v3, 20, v3
	v_and_b32_e32 v7, 0x80000000, v7
	v_lshl_add_u32 v6, v6, 23, v12
	v_or3_b32 v6, v7, v6, v3
.LBB1_1880:
	s_or_b64 exec, exec, s[6:7]
	s_nop 0
	v_mfma_f32_16x16x4f32 a[0:3], v2, v6, a[0:3]
	s_movk_i32 s4, 0x7f
	v_cmp_gt_i16_sdwa s[6:7], v8, s4 src0_sel:BYTE_3 src1_sel:DWORD
	s_mov_b64 s[4:5], 0
                                        ; implicit-def: $sgpr10
	s_and_saveexec_b64 s[8:9], s[6:7]
	s_xor_b64 s[6:7], exec, s[8:9]
	s_cbranch_execz .LBB1_1881
; %bb.37721:
	s_getpc_b64 s[14:15]
.Lpost_getpc4524:
	s_add_u32 s14, s14, (.LBB1_16217-.Lpost_getpc4524)&4294967295
	s_addc_u32 s15, s15, (.LBB1_16217-.Lpost_getpc4524)>>32
	s_setpc_b64 s[14:15]
.LBB1_1881:
	s_or_saveexec_b64 s[6:7], s[6:7]
	v_mov_b32_e32 v2, s10
	s_xor_b64 exec, exec, s[6:7]
	s_cbranch_execz .LBB1_1882
; %bb.37723:
	s_getpc_b64 s[14:15]
.Lpost_getpc4525:
	s_add_u32 s14, s14, (.LBB1_16220-.Lpost_getpc4525)&4294967295
	s_addc_u32 s15, s15, (.LBB1_16220-.Lpost_getpc4525)>>32
	s_setpc_b64 s[14:15]
.LBB1_1882:
	s_or_b64 exec, exec, s[6:7]
	s_and_saveexec_b64 s[6:7], s[4:5]
	s_cbranch_execz .LBB1_1884
.LBB1_1883:
	v_bfe_u32 v2, v8, 24, 3
	v_ffbh_u32_e32 v12, v2
	v_min_u32_e32 v12, 32, v12
	v_lshrrev_b32_e32 v6, 27, v8
	v_subrev_u32_e32 v13, 28, v12
	v_and_b32_e32 v3, 0x80000000, v8
	v_and_b32_e32 v6, 15, v6
	v_bfe_u32 v7, v8, 27, 4
	v_lshlrev_b32_sdwa v8, v13, v8 dst_sel:DWORD dst_unused:UNUSED_PAD src0_sel:DWORD src1_sel:BYTE_3
	v_sub_u32_e32 v12, 29, v12
	v_and_b32_e32 v8, 7, v8
	v_cmp_eq_u16_e32 vcc, 0, v6
	v_cndmask_b32_e32 v2, v2, v8, vcc
	v_cndmask_b32_e32 v6, v7, v12, vcc
	v_mov_b32_e32 v7, 0x3b800000
	v_lshlrev_b32_e32 v2, 20, v2
	v_lshl_add_u32 v6, v6, 23, v7
	v_or3_b32 v2, v3, v6, v2
.LBB1_1884:
	s_or_b64 exec, exec, s[6:7]
	s_movk_i32 s4, 0x7f
	v_cmp_gt_i16_sdwa s[6:7], v4, s4 src0_sel:BYTE_3 src1_sel:DWORD
	s_mov_b64 s[4:5], 0
                                        ; implicit-def: $sgpr10
	s_and_saveexec_b64 s[8:9], s[6:7]
	s_xor_b64 s[6:7], exec, s[8:9]
	s_cbranch_execz .LBB1_1885
; %bb.37725:
	s_getpc_b64 s[14:15]
.Lpost_getpc4526:
	s_add_u32 s14, s14, (.LBB1_16221-.Lpost_getpc4526)&4294967295
	s_addc_u32 s15, s15, (.LBB1_16221-.Lpost_getpc4526)>>32
	s_setpc_b64 s[14:15]
.LBB1_1885:
	s_or_saveexec_b64 s[6:7], s[6:7]
	v_mov_b32_e32 v3, s10
	s_xor_b64 exec, exec, s[6:7]
	s_cbranch_execz .LBB1_1886
; %bb.37727:
	s_getpc_b64 s[14:15]
.Lpost_getpc4527:
	s_add_u32 s14, s14, (.LBB1_16224-.Lpost_getpc4527)&4294967295
	s_addc_u32 s15, s15, (.LBB1_16224-.Lpost_getpc4527)>>32
	s_setpc_b64 s[14:15]
.LBB1_1886:
	s_or_b64 exec, exec, s[6:7]
	s_and_saveexec_b64 s[6:7], s[4:5]
	s_cbranch_execz .LBB1_1888
.LBB1_1887:
	v_bfe_u32 v3, v4, 24, 3
	v_ffbh_u32_e32 v12, v3
	v_min_u32_e32 v12, 32, v12
	v_lshrrev_b32_e32 v7, 27, v4
	v_subrev_u32_e32 v13, 28, v12
	v_and_b32_e32 v6, 0x80000000, v4
	v_and_b32_e32 v7, 15, v7
	v_bfe_u32 v8, v4, 27, 4
	v_lshlrev_b32_sdwa v4, v13, v4 dst_sel:DWORD dst_unused:UNUSED_PAD src0_sel:DWORD src1_sel:BYTE_3
	v_sub_u32_e32 v12, 29, v12
	v_and_b32_e32 v4, 7, v4
	v_cmp_eq_u16_e32 vcc, 0, v7
	v_cndmask_b32_e32 v3, v3, v4, vcc
	v_cndmask_b32_e32 v4, v8, v12, vcc
	v_mov_b32_e32 v7, 0x3b800000
	v_lshlrev_b32_e32 v3, 20, v3
	v_lshl_add_u32 v4, v4, 23, v7
	v_or3_b32 v3, v6, v4, v3
.LBB1_1888:
	s_or_b64 exec, exec, s[6:7]
	s_nop 0
	v_mfma_f32_16x16x4f32 a[0:3], v2, v3, a[0:3]
	s_movk_i32 s4, 0x7f
	v_cmp_gt_i16_sdwa s[6:7], v9, s4 src0_sel:BYTE_0 src1_sel:DWORD
	s_mov_b64 s[4:5], 0
                                        ; implicit-def: $sgpr10
	s_and_saveexec_b64 s[8:9], s[6:7]
	s_xor_b64 s[6:7], exec, s[8:9]
	s_cbranch_execz .LBB1_1889
; %bb.37729:
	s_getpc_b64 s[14:15]
.Lpost_getpc4528:
	s_add_u32 s14, s14, (.LBB1_16225-.Lpost_getpc4528)&4294967295
	s_addc_u32 s15, s15, (.LBB1_16225-.Lpost_getpc4528)>>32
	s_setpc_b64 s[14:15]
.LBB1_1889:
	s_or_saveexec_b64 s[6:7], s[6:7]
	v_mov_b32_e32 v2, s10
	s_xor_b64 exec, exec, s[6:7]
	s_cbranch_execz .LBB1_1890
; %bb.37731:
	s_getpc_b64 s[14:15]
.Lpost_getpc4529:
	s_add_u32 s14, s14, (.LBB1_16228-.Lpost_getpc4529)&4294967295
	s_addc_u32 s15, s15, (.LBB1_16228-.Lpost_getpc4529)>>32
	s_setpc_b64 s[14:15]
.LBB1_1890:
	s_or_b64 exec, exec, s[6:7]
	s_and_saveexec_b64 s[6:7], s[4:5]
	s_cbranch_execz .LBB1_1892
.LBB1_1891:
	v_mov_b32_e32 v2, 8
	v_and_b32_e32 v3, 7, v9
	v_lshrrev_b32_sdwa v2, v2, v9 dst_sel:BYTE_1 dst_unused:UNUSED_PAD src0_sel:DWORD src1_sel:DWORD
	v_ffbh_u32_e32 v4, v3
	v_or_b32_sdwa v2, v9, v2 dst_sel:DWORD dst_unused:UNUSED_PAD src0_sel:BYTE_0 src1_sel:DWORD
	v_min_u32_e32 v4, 32, v4
	v_lshrrev_b16_e32 v2, 3, v2
	v_subrev_u32_e32 v6, 28, v4
	v_and_b32_e32 v2, 15, v2
	v_lshlrev_b32_e32 v6, v6, v9
	v_sub_u32_e32 v4, 29, v4
	v_and_b32_e32 v6, 7, v6
	v_cmp_eq_u16_e32 vcc, 0, v2
	v_cndmask_b32_e32 v3, v3, v6, vcc
	v_cndmask_b32_e32 v2, v2, v4, vcc
	v_lshlrev_b32_e32 v4, 24, v9
	v_mov_b32_e32 v6, 0x3b800000
	v_lshlrev_b32_e32 v3, 20, v3
	v_and_b32_e32 v4, 0x80000000, v4
	v_lshl_add_u32 v2, v2, 23, v6
	v_or3_b32 v2, v4, v2, v3
.LBB1_1892:
	s_or_b64 exec, exec, s[6:7]
	s_movk_i32 s4, 0x7f
	v_cmp_gt_i16_sdwa s[6:7], v5, s4 src0_sel:BYTE_0 src1_sel:DWORD
	s_mov_b64 s[4:5], 0
                                        ; implicit-def: $sgpr10
	s_and_saveexec_b64 s[8:9], s[6:7]
	s_xor_b64 s[6:7], exec, s[8:9]
	s_cbranch_execz .LBB1_1893
; %bb.37733:
	s_getpc_b64 s[14:15]
.Lpost_getpc4530:
	s_add_u32 s14, s14, (.LBB1_16229-.Lpost_getpc4530)&4294967295
	s_addc_u32 s15, s15, (.LBB1_16229-.Lpost_getpc4530)>>32
	s_setpc_b64 s[14:15]
.LBB1_1893:
	s_or_saveexec_b64 s[6:7], s[6:7]
	v_mov_b32_e32 v3, s10
	s_xor_b64 exec, exec, s[6:7]
	s_cbranch_execz .LBB1_1894
; %bb.37735:
	s_getpc_b64 s[14:15]
.Lpost_getpc4531:
	s_add_u32 s14, s14, (.LBB1_16232-.Lpost_getpc4531)&4294967295
	s_addc_u32 s15, s15, (.LBB1_16232-.Lpost_getpc4531)>>32
	s_setpc_b64 s[14:15]
.LBB1_1894:
	s_or_b64 exec, exec, s[6:7]
	s_and_saveexec_b64 s[6:7], s[4:5]
	s_cbranch_execz .LBB1_1896
.LBB1_1895:
	v_mov_b32_e32 v3, 8
	v_and_b32_e32 v4, 7, v5
	v_lshrrev_b32_sdwa v3, v3, v5 dst_sel:BYTE_1 dst_unused:UNUSED_PAD src0_sel:DWORD src1_sel:DWORD
	v_ffbh_u32_e32 v6, v4
	v_or_b32_sdwa v3, v5, v3 dst_sel:DWORD dst_unused:UNUSED_PAD src0_sel:BYTE_0 src1_sel:DWORD
	v_min_u32_e32 v6, 32, v6
	v_lshrrev_b16_e32 v3, 3, v3
	v_subrev_u32_e32 v7, 28, v6
	v_and_b32_e32 v3, 15, v3
	v_lshlrev_b32_e32 v7, v7, v5
	v_sub_u32_e32 v6, 29, v6
	v_and_b32_e32 v7, 7, v7
	v_cmp_eq_u16_e32 vcc, 0, v3
	v_cndmask_b32_e32 v4, v4, v7, vcc
	v_cndmask_b32_e32 v3, v3, v6, vcc
	v_lshlrev_b32_e32 v6, 24, v5
	v_mov_b32_e32 v7, 0x3b800000
	v_lshlrev_b32_e32 v4, 20, v4
	v_and_b32_e32 v6, 0x80000000, v6
	v_lshl_add_u32 v3, v3, 23, v7
	v_or3_b32 v3, v6, v3, v4
.LBB1_1896:
	s_or_b64 exec, exec, s[6:7]
	s_nop 0
	v_mfma_f32_16x16x4f32 a[0:3], v2, v3, a[0:3]
	v_lshrrev_b32_e32 v3, 8, v9
	s_movk_i32 s4, 0x7f
	v_cmp_gt_i16_sdwa s[6:7], v3, s4 src0_sel:BYTE_0 src1_sel:DWORD
	s_mov_b64 s[4:5], 0
                                        ; implicit-def: $sgpr10
	s_and_saveexec_b64 s[8:9], s[6:7]
	s_xor_b64 s[6:7], exec, s[8:9]
	s_cbranch_execz .LBB1_1897
; %bb.37737:
	s_getpc_b64 s[14:15]
.Lpost_getpc4532:
	s_add_u32 s14, s14, (.LBB1_16233-.Lpost_getpc4532)&4294967295
	s_addc_u32 s15, s15, (.LBB1_16233-.Lpost_getpc4532)>>32
	s_setpc_b64 s[14:15]
.LBB1_1897:
	s_or_saveexec_b64 s[6:7], s[6:7]
	v_mov_b32_e32 v2, s10
	s_xor_b64 exec, exec, s[6:7]
	s_cbranch_execz .LBB1_1898
; %bb.37739:
	s_getpc_b64 s[14:15]
.Lpost_getpc4533:
	s_add_u32 s14, s14, (.LBB1_16236-.Lpost_getpc4533)&4294967295
	s_addc_u32 s15, s15, (.LBB1_16236-.Lpost_getpc4533)>>32
	s_setpc_b64 s[14:15]
.LBB1_1898:
	s_or_b64 exec, exec, s[6:7]
	s_and_saveexec_b64 s[6:7], s[4:5]
	s_cbranch_execz .LBB1_1900
.LBB1_1899:
	v_bfe_u32 v2, v9, 8, 3
	v_ffbh_u32_e32 v6, v2
	v_min_u32_e32 v6, 32, v6
	v_lshrrev_b16_e32 v4, 3, v3
	v_subrev_u32_e32 v7, 28, v6
	v_and_b32_e32 v4, 15, v4
	v_lshlrev_b32_e32 v3, v7, v3
	v_sub_u32_e32 v6, 29, v6
	v_and_b32_e32 v3, 7, v3
	v_cmp_eq_u16_e32 vcc, 0, v4
	v_cndmask_b32_e32 v2, v2, v3, vcc
	v_cndmask_b32_e32 v3, v4, v6, vcc
	v_lshlrev_b32_e32 v4, 16, v9
	v_mov_b32_e32 v6, 0x3b800000
	v_lshlrev_b32_e32 v2, 20, v2
	v_and_b32_e32 v4, 0x80000000, v4
	v_lshl_add_u32 v3, v3, 23, v6
	v_or3_b32 v2, v4, v3, v2
.LBB1_1900:
	s_or_b64 exec, exec, s[6:7]
	v_lshrrev_b32_e32 v3, 8, v5
	s_movk_i32 s4, 0x7f
	v_cmp_gt_i16_sdwa s[6:7], v3, s4 src0_sel:BYTE_0 src1_sel:DWORD
	s_mov_b64 s[4:5], 0
                                        ; implicit-def: $sgpr10
	s_and_saveexec_b64 s[8:9], s[6:7]
	s_xor_b64 s[6:7], exec, s[8:9]
	s_cbranch_execz .LBB1_1901
; %bb.37741:
	s_getpc_b64 s[14:15]
.Lpost_getpc4534:
	s_add_u32 s14, s14, (.LBB1_16237-.Lpost_getpc4534)&4294967295
	s_addc_u32 s15, s15, (.LBB1_16237-.Lpost_getpc4534)>>32
	s_setpc_b64 s[14:15]
.LBB1_1901:
	s_or_saveexec_b64 s[6:7], s[6:7]
	v_mov_b32_e32 v4, s10
	s_xor_b64 exec, exec, s[6:7]
	s_cbranch_execz .LBB1_1902
; %bb.37743:
	s_getpc_b64 s[14:15]
.Lpost_getpc4535:
	s_add_u32 s14, s14, (.LBB1_16240-.Lpost_getpc4535)&4294967295
	s_addc_u32 s15, s15, (.LBB1_16240-.Lpost_getpc4535)>>32
	s_setpc_b64 s[14:15]
.LBB1_1902:
	s_or_b64 exec, exec, s[6:7]
	s_and_saveexec_b64 s[6:7], s[4:5]
	s_cbranch_execz .LBB1_1904
.LBB1_1903:
	v_bfe_u32 v4, v5, 8, 3
	v_ffbh_u32_e32 v7, v4
	v_min_u32_e32 v7, 32, v7
	v_lshrrev_b16_e32 v6, 3, v3
	v_subrev_u32_e32 v8, 28, v7
	v_and_b32_e32 v6, 15, v6
	v_lshlrev_b32_e32 v3, v8, v3
	v_sub_u32_e32 v7, 29, v7
	v_and_b32_e32 v3, 7, v3
	v_cmp_eq_u16_e32 vcc, 0, v6
	v_cndmask_b32_e32 v3, v4, v3, vcc
	v_cndmask_b32_e32 v4, v6, v7, vcc
	v_lshlrev_b32_e32 v6, 16, v5
	v_mov_b32_e32 v7, 0x3b800000
	v_lshlrev_b32_e32 v3, 20, v3
	v_and_b32_e32 v6, 0x80000000, v6
	v_lshl_add_u32 v4, v4, 23, v7
	v_or3_b32 v4, v6, v4, v3
.LBB1_1904:
	s_or_b64 exec, exec, s[6:7]
	s_nop 0
	v_mfma_f32_16x16x4f32 a[0:3], v2, v4, a[0:3]
	s_movk_i32 s4, 0xff
	v_and_b32_sdwa v3, v9, s4 dst_sel:DWORD dst_unused:UNUSED_PAD src0_sel:WORD_1 src1_sel:DWORD
	s_movk_i32 s4, 0x7f
	v_cmp_lt_i16_e32 vcc, s4, v3
	s_mov_b64 s[4:5], 0
                                        ; implicit-def: $sgpr10
	s_and_saveexec_b64 s[6:7], vcc
	s_xor_b64 s[6:7], exec, s[6:7]
	s_cbranch_execz .LBB1_1905
; %bb.37745:
	s_getpc_b64 s[14:15]
.Lpost_getpc4536:
	s_add_u32 s14, s14, (.LBB1_16241-.Lpost_getpc4536)&4294967295
	s_addc_u32 s15, s15, (.LBB1_16241-.Lpost_getpc4536)>>32
	s_setpc_b64 s[14:15]
.LBB1_1905:
	s_or_saveexec_b64 s[6:7], s[6:7]
	v_mov_b32_e32 v2, s10
	s_xor_b64 exec, exec, s[6:7]
	s_cbranch_execz .LBB1_1906
; %bb.37747:
	s_getpc_b64 s[14:15]
.Lpost_getpc4537:
	s_add_u32 s14, s14, (.LBB1_16244-.Lpost_getpc4537)&4294967295
	s_addc_u32 s15, s15, (.LBB1_16244-.Lpost_getpc4537)>>32
	s_setpc_b64 s[14:15]
.LBB1_1906:
	s_or_b64 exec, exec, s[6:7]
	s_and_saveexec_b64 s[6:7], s[4:5]
	s_cbranch_execz .LBB1_1908
.LBB1_1907:
	v_bfe_u32 v2, v9, 16, 3
	v_ffbh_u32_e32 v6, v2
	v_min_u32_e32 v6, 32, v6
	v_lshrrev_b32_e32 v3, 19, v9
	v_subrev_u32_e32 v7, 28, v6
	v_and_b32_e32 v3, 15, v3
	v_lshlrev_b32_sdwa v7, v7, v9 dst_sel:DWORD dst_unused:UNUSED_PAD src0_sel:DWORD src1_sel:WORD_1
	v_bfe_u32 v4, v9, 19, 4
	v_sub_u32_e32 v6, 29, v6
	v_and_b32_e32 v7, 7, v7
	v_cmp_eq_u16_e32 vcc, 0, v3
	v_cndmask_b32_e32 v2, v2, v7, vcc
	v_cndmask_b32_e32 v3, v4, v6, vcc
	v_lshlrev_b32_e32 v4, 8, v9
	v_mov_b32_e32 v6, 0x3b800000
	v_lshlrev_b32_e32 v2, 20, v2
	v_and_b32_e32 v4, 0x80000000, v4
	v_lshl_add_u32 v3, v3, 23, v6
	v_or3_b32 v2, v4, v3, v2
.LBB1_1908:
	s_or_b64 exec, exec, s[6:7]
	s_movk_i32 s4, 0xff
	v_and_b32_sdwa v3, v5, s4 dst_sel:DWORD dst_unused:UNUSED_PAD src0_sel:WORD_1 src1_sel:DWORD
	s_movk_i32 s4, 0x7f
	v_cmp_lt_i16_e32 vcc, s4, v3
	s_mov_b64 s[4:5], 0
                                        ; implicit-def: $sgpr10
	s_and_saveexec_b64 s[6:7], vcc
	s_xor_b64 s[6:7], exec, s[6:7]
	s_cbranch_execz .LBB1_1909
; %bb.37749:
	s_getpc_b64 s[14:15]
.Lpost_getpc4538:
	s_add_u32 s14, s14, (.LBB1_16245-.Lpost_getpc4538)&4294967295
	s_addc_u32 s15, s15, (.LBB1_16245-.Lpost_getpc4538)>>32
	s_setpc_b64 s[14:15]
.LBB1_1909:
	s_or_saveexec_b64 s[6:7], s[6:7]
	v_mov_b32_e32 v4, s10
	s_xor_b64 exec, exec, s[6:7]
	s_cbranch_execz .LBB1_1910
; %bb.37751:
	s_getpc_b64 s[14:15]
.Lpost_getpc4539:
	s_add_u32 s14, s14, (.LBB1_16248-.Lpost_getpc4539)&4294967295
	s_addc_u32 s15, s15, (.LBB1_16248-.Lpost_getpc4539)>>32
	s_setpc_b64 s[14:15]
.LBB1_1910:
	s_or_b64 exec, exec, s[6:7]
	s_and_saveexec_b64 s[6:7], s[4:5]
	s_cbranch_execz .LBB1_1912
.LBB1_1911:
	v_bfe_u32 v3, v5, 16, 3
	v_ffbh_u32_e32 v7, v3
	v_min_u32_e32 v7, 32, v7
	v_lshrrev_b32_e32 v4, 19, v5
	v_subrev_u32_e32 v8, 28, v7
	v_and_b32_e32 v4, 15, v4
	v_lshlrev_b32_sdwa v8, v8, v5 dst_sel:DWORD dst_unused:UNUSED_PAD src0_sel:DWORD src1_sel:WORD_1
	v_bfe_u32 v6, v5, 19, 4
	v_sub_u32_e32 v7, 29, v7
	v_and_b32_e32 v8, 7, v8
	v_cmp_eq_u16_e32 vcc, 0, v4
	v_cndmask_b32_e32 v3, v3, v8, vcc
	v_cndmask_b32_e32 v4, v6, v7, vcc
	v_lshlrev_b32_e32 v6, 8, v5
	v_mov_b32_e32 v7, 0x3b800000
	v_lshlrev_b32_e32 v3, 20, v3
	v_and_b32_e32 v6, 0x80000000, v6
	v_lshl_add_u32 v4, v4, 23, v7
	v_or3_b32 v4, v6, v4, v3
.LBB1_1912:
	s_or_b64 exec, exec, s[6:7]
	s_nop 0
	v_mfma_f32_16x16x4f32 a[0:3], v2, v4, a[0:3]
	s_movk_i32 s4, 0x7f
	v_cmp_gt_i16_sdwa s[6:7], v9, s4 src0_sel:BYTE_3 src1_sel:DWORD
	s_mov_b64 s[4:5], 0
                                        ; implicit-def: $sgpr10
	s_and_saveexec_b64 s[8:9], s[6:7]
	s_xor_b64 s[6:7], exec, s[8:9]
	s_cbranch_execz .LBB1_1913
; %bb.37753:
	s_getpc_b64 s[14:15]
.Lpost_getpc4540:
	s_add_u32 s14, s14, (.LBB1_16249-.Lpost_getpc4540)&4294967295
	s_addc_u32 s15, s15, (.LBB1_16249-.Lpost_getpc4540)>>32
	s_setpc_b64 s[14:15]
.LBB1_1913:
	s_or_saveexec_b64 s[6:7], s[6:7]
	v_mov_b32_e32 v2, s10
	s_xor_b64 exec, exec, s[6:7]
	s_cbranch_execz .LBB1_1914
; %bb.37755:
	s_getpc_b64 s[14:15]
.Lpost_getpc4541:
	s_add_u32 s14, s14, (.LBB1_16252-.Lpost_getpc4541)&4294967295
	s_addc_u32 s15, s15, (.LBB1_16252-.Lpost_getpc4541)>>32
	s_setpc_b64 s[14:15]
.LBB1_1914:
	s_or_b64 exec, exec, s[6:7]
	s_and_saveexec_b64 s[6:7], s[4:5]
	s_cbranch_execz .LBB1_1916
.LBB1_1915:
	v_bfe_u32 v2, v9, 24, 3
	v_ffbh_u32_e32 v7, v2
	v_min_u32_e32 v7, 32, v7
	v_lshrrev_b32_e32 v4, 27, v9
	v_subrev_u32_e32 v8, 28, v7
	v_and_b32_e32 v4, 15, v4
	v_lshlrev_b32_sdwa v8, v8, v9 dst_sel:DWORD dst_unused:UNUSED_PAD src0_sel:DWORD src1_sel:BYTE_3
	v_bfe_u32 v6, v9, 27, 4
	v_sub_u32_e32 v7, 29, v7
	v_and_b32_e32 v8, 7, v8
	v_cmp_eq_u16_e32 vcc, 0, v4
	v_cndmask_b32_e32 v2, v2, v8, vcc
	v_cndmask_b32_e32 v4, v6, v7, vcc
	v_mov_b32_e32 v6, 0x3b800000
	v_and_b32_e32 v3, 0x80000000, v9
	v_lshlrev_b32_e32 v2, 20, v2
	v_lshl_add_u32 v4, v4, 23, v6
	v_or3_b32 v2, v3, v4, v2
.LBB1_1916:
	s_or_b64 exec, exec, s[6:7]
	s_movk_i32 s4, 0x7f
	v_cmp_gt_i16_sdwa s[6:7], v5, s4 src0_sel:BYTE_3 src1_sel:DWORD
	s_mov_b64 s[4:5], 0
                                        ; implicit-def: $sgpr10
	s_and_saveexec_b64 s[8:9], s[6:7]
	s_xor_b64 s[6:7], exec, s[8:9]
	s_cbranch_execz .LBB1_1917
; %bb.37757:
	s_getpc_b64 s[14:15]
.Lpost_getpc4542:
	s_add_u32 s14, s14, (.LBB1_16253-.Lpost_getpc4542)&4294967295
	s_addc_u32 s15, s15, (.LBB1_16253-.Lpost_getpc4542)>>32
	s_setpc_b64 s[14:15]
.LBB1_1917:
	s_or_saveexec_b64 s[6:7], s[6:7]
	v_mov_b32_e32 v3, s10
	s_xor_b64 exec, exec, s[6:7]
	s_cbranch_execz .LBB1_1918
; %bb.37759:
	s_getpc_b64 s[14:15]
.Lpost_getpc4543:
	s_add_u32 s14, s14, (.LBB1_16256-.Lpost_getpc4543)&4294967295
	s_addc_u32 s15, s15, (.LBB1_16256-.Lpost_getpc4543)>>32
	s_setpc_b64 s[14:15]
.LBB1_1918:
	s_or_b64 exec, exec, s[6:7]
	s_and_saveexec_b64 s[6:7], s[4:5]
	s_cbranch_execz .LBB1_1920
.LBB1_1919:
	v_bfe_u32 v3, v5, 24, 3
	v_ffbh_u32_e32 v8, v3
	v_min_u32_e32 v8, 32, v8
	v_lshrrev_b32_e32 v6, 27, v5
	v_subrev_u32_e32 v9, 28, v8
	v_and_b32_e32 v4, 0x80000000, v5
	v_and_b32_e32 v6, 15, v6
	v_bfe_u32 v7, v5, 27, 4
	v_lshlrev_b32_sdwa v5, v9, v5 dst_sel:DWORD dst_unused:UNUSED_PAD src0_sel:DWORD src1_sel:BYTE_3
	v_sub_u32_e32 v8, 29, v8
	v_and_b32_e32 v5, 7, v5
	v_cmp_eq_u16_e32 vcc, 0, v6
	v_cndmask_b32_e32 v3, v3, v5, vcc
	v_cndmask_b32_e32 v5, v7, v8, vcc
	v_mov_b32_e32 v6, 0x3b800000
	v_lshlrev_b32_e32 v3, 20, v3
	v_lshl_add_u32 v5, v5, 23, v6
	v_or3_b32 v3, v4, v5, v3
.LBB1_1920:
	s_or_b64 exec, exec, s[6:7]
	s_nop 0
	v_mfma_f32_16x16x4f32 a[0:3], v2, v3, a[0:3]
	s_movk_i32 s4, 0x7f
                                        ; implicit-def: $sgpr10
	s_nop 7
	s_nop 1
	flat_store_dwordx4 v[10:11], a[0:3] offset:224
	flat_load_dwordx4 v[12:15], v[0:1]
	s_nop 0
	flat_load_dwordx2 v[10:11], v[0:1] offset:16
	s_waitcnt vmcnt(0) lgkmcnt(0)
	flat_load_dwordx4 v[6:9], v[12:13] offset:16
	flat_load_dwordx4 v[2:5], v[14:15] offset:112
	s_waitcnt vmcnt(0) lgkmcnt(0)
	v_cmp_gt_i16_sdwa s[6:7], v6, s4 src0_sel:BYTE_0 src1_sel:DWORD
	s_mov_b64 s[4:5], 0
	s_and_saveexec_b64 s[8:9], s[6:7]
	s_xor_b64 s[6:7], exec, s[8:9]
	s_cbranch_execz .LBB1_1921
; %bb.37761:
	s_getpc_b64 s[14:15]
.Lpost_getpc4544:
	s_add_u32 s14, s14, (.LBB1_16257-.Lpost_getpc4544)&4294967295
	s_addc_u32 s15, s15, (.LBB1_16257-.Lpost_getpc4544)>>32
	s_setpc_b64 s[14:15]
.LBB1_1921:
	s_or_saveexec_b64 s[6:7], s[6:7]
	v_mov_b32_e32 v12, s10
	s_xor_b64 exec, exec, s[6:7]
	s_cbranch_execz .LBB1_1922
; %bb.37763:
	s_getpc_b64 s[14:15]
.Lpost_getpc4545:
	s_add_u32 s14, s14, (.LBB1_16260-.Lpost_getpc4545)&4294967295
	s_addc_u32 s15, s15, (.LBB1_16260-.Lpost_getpc4545)>>32
	s_setpc_b64 s[14:15]
.LBB1_1922:
	s_or_b64 exec, exec, s[6:7]
	s_and_saveexec_b64 s[6:7], s[4:5]
	s_cbranch_execz .LBB1_1924
.LBB1_1923:
	v_and_b32_e32 v12, 7, v6
	v_ffbh_u32_e32 v14, v12
	v_min_u32_e32 v14, 32, v14
	v_lshrrev_b16_e32 v13, 3, v6
	v_subrev_u32_e32 v15, 28, v14
	v_and_b32_e32 v13, 15, v13
	v_lshlrev_b32_e32 v15, v15, v6
	v_sub_u32_e32 v14, 29, v14
	v_and_b32_e32 v15, 7, v15
	v_cmp_eq_u16_e32 vcc, 0, v13
	v_cndmask_b32_e32 v12, v12, v15, vcc
	v_cndmask_b32_e32 v13, v13, v14, vcc
	v_lshlrev_b32_e32 v14, 24, v6
	v_mov_b32_e32 v15, 0x3b800000
	v_lshlrev_b32_e32 v12, 20, v12
	v_and_b32_e32 v14, 0x80000000, v14
	v_lshl_add_u32 v13, v13, 23, v15
	v_or3_b32 v12, v14, v13, v12
.LBB1_1924:
	s_or_b64 exec, exec, s[6:7]
	s_movk_i32 s4, 0x7f
	v_cmp_gt_i16_sdwa s[6:7], v2, s4 src0_sel:BYTE_0 src1_sel:DWORD
	s_mov_b64 s[4:5], 0
                                        ; implicit-def: $sgpr10
	s_and_saveexec_b64 s[8:9], s[6:7]
	s_xor_b64 s[6:7], exec, s[8:9]
	s_cbranch_execz .LBB1_1925
; %bb.37765:
	s_getpc_b64 s[14:15]
.Lpost_getpc4546:
	s_add_u32 s14, s14, (.LBB1_16261-.Lpost_getpc4546)&4294967295
	s_addc_u32 s15, s15, (.LBB1_16261-.Lpost_getpc4546)>>32
	s_setpc_b64 s[14:15]
.LBB1_1925:
	s_or_saveexec_b64 s[6:7], s[6:7]
	v_mov_b32_e32 v13, s10
	s_xor_b64 exec, exec, s[6:7]
	s_cbranch_execz .LBB1_1926
; %bb.37767:
	s_getpc_b64 s[14:15]
.Lpost_getpc4547:
	s_add_u32 s14, s14, (.LBB1_16264-.Lpost_getpc4547)&4294967295
	s_addc_u32 s15, s15, (.LBB1_16264-.Lpost_getpc4547)>>32
	s_setpc_b64 s[14:15]
.LBB1_1926:
	s_or_b64 exec, exec, s[6:7]
	s_and_saveexec_b64 s[6:7], s[4:5]
	s_cbranch_execz .LBB1_1928
.LBB1_1927:
	v_and_b32_e32 v13, 7, v2
	v_ffbh_u32_e32 v15, v13
	v_min_u32_e32 v15, 32, v15
	v_lshrrev_b16_e32 v14, 3, v2
	v_subrev_u32_e32 v16, 28, v15
	v_and_b32_e32 v14, 15, v14
	v_lshlrev_b32_e32 v16, v16, v2
	v_sub_u32_e32 v15, 29, v15
	v_and_b32_e32 v16, 7, v16
	v_cmp_eq_u16_e32 vcc, 0, v14
	v_cndmask_b32_e32 v13, v13, v16, vcc
	v_cndmask_b32_e32 v14, v14, v15, vcc
	v_lshlrev_b32_e32 v15, 24, v2
	v_mov_b32_e32 v16, 0x3b800000
	v_lshlrev_b32_e32 v13, 20, v13
	v_and_b32_e32 v15, 0x80000000, v15
	v_lshl_add_u32 v14, v14, 23, v16
	v_or3_b32 v13, v15, v14, v13
.LBB1_1928:
	s_or_b64 exec, exec, s[6:7]
	flat_load_dwordx4 a[0:3], v[10:11] offset:240
	s_movk_i32 s4, 0x7f
                                        ; implicit-def: $sgpr10
	s_waitcnt vmcnt(0) lgkmcnt(0)
	v_mfma_f32_16x16x4f32 a[0:3], v12, v13, a[0:3]
	v_lshrrev_b32_e32 v13, 8, v6
	v_cmp_gt_i16_sdwa s[6:7], v13, s4 src0_sel:BYTE_0 src1_sel:DWORD
	s_mov_b64 s[4:5], 0
	s_and_saveexec_b64 s[8:9], s[6:7]
	s_xor_b64 s[6:7], exec, s[8:9]
	s_cbranch_execz .LBB1_1929
; %bb.37769:
	s_getpc_b64 s[14:15]
.Lpost_getpc4548:
	s_add_u32 s14, s14, (.LBB1_16265-.Lpost_getpc4548)&4294967295
	s_addc_u32 s15, s15, (.LBB1_16265-.Lpost_getpc4548)>>32
	s_setpc_b64 s[14:15]
.LBB1_1929:
	s_or_saveexec_b64 s[6:7], s[6:7]
	v_mov_b32_e32 v12, s10
	s_xor_b64 exec, exec, s[6:7]
	s_cbranch_execz .LBB1_1930
; %bb.37771:
	s_getpc_b64 s[14:15]
.Lpost_getpc4549:
	s_add_u32 s14, s14, (.LBB1_16268-.Lpost_getpc4549)&4294967295
	s_addc_u32 s15, s15, (.LBB1_16268-.Lpost_getpc4549)>>32
	s_setpc_b64 s[14:15]
.LBB1_1930:
	s_or_b64 exec, exec, s[6:7]
	s_and_saveexec_b64 s[6:7], s[4:5]
	s_cbranch_execz .LBB1_1932
.LBB1_1931:
	v_bfe_u32 v12, v6, 8, 3
	v_ffbh_u32_e32 v15, v12
	v_min_u32_e32 v15, 32, v15
	v_lshrrev_b16_e32 v14, 3, v13
	v_subrev_u32_e32 v16, 28, v15
	v_and_b32_e32 v14, 15, v14
	v_lshlrev_b32_e32 v13, v16, v13
	v_sub_u32_e32 v15, 29, v15
	v_and_b32_e32 v13, 7, v13
	v_cmp_eq_u16_e32 vcc, 0, v14
	v_cndmask_b32_e32 v12, v12, v13, vcc
	v_cndmask_b32_e32 v13, v14, v15, vcc
	v_lshlrev_b32_e32 v14, 16, v6
	v_mov_b32_e32 v15, 0x3b800000
	v_lshlrev_b32_e32 v12, 20, v12
	v_and_b32_e32 v14, 0x80000000, v14
	v_lshl_add_u32 v13, v13, 23, v15
	v_or3_b32 v12, v14, v13, v12
.LBB1_1932:
	s_or_b64 exec, exec, s[6:7]
	v_lshrrev_b32_e32 v13, 8, v2
	s_movk_i32 s4, 0x7f
	v_cmp_gt_i16_sdwa s[6:7], v13, s4 src0_sel:BYTE_0 src1_sel:DWORD
	s_mov_b64 s[4:5], 0
                                        ; implicit-def: $sgpr10
	s_and_saveexec_b64 s[8:9], s[6:7]
	s_xor_b64 s[6:7], exec, s[8:9]
	s_cbranch_execz .LBB1_1933
; %bb.37773:
	s_getpc_b64 s[14:15]
.Lpost_getpc4550:
	s_add_u32 s14, s14, (.LBB1_16269-.Lpost_getpc4550)&4294967295
	s_addc_u32 s15, s15, (.LBB1_16269-.Lpost_getpc4550)>>32
	s_setpc_b64 s[14:15]
.LBB1_1933:
	s_or_saveexec_b64 s[6:7], s[6:7]
	v_mov_b32_e32 v14, s10
	s_xor_b64 exec, exec, s[6:7]
	s_cbranch_execz .LBB1_1934
; %bb.37775:
	s_getpc_b64 s[14:15]
.Lpost_getpc4551:
	s_add_u32 s14, s14, (.LBB1_16272-.Lpost_getpc4551)&4294967295
	s_addc_u32 s15, s15, (.LBB1_16272-.Lpost_getpc4551)>>32
	s_setpc_b64 s[14:15]
.LBB1_1934:
	s_or_b64 exec, exec, s[6:7]
	s_and_saveexec_b64 s[6:7], s[4:5]
	s_cbranch_execz .LBB1_1936
.LBB1_1935:
	v_bfe_u32 v14, v2, 8, 3
	v_ffbh_u32_e32 v16, v14
	v_min_u32_e32 v16, 32, v16
	v_lshrrev_b16_e32 v15, 3, v13
	v_subrev_u32_e32 v17, 28, v16
	v_and_b32_e32 v15, 15, v15
	v_lshlrev_b32_e32 v13, v17, v13
	v_sub_u32_e32 v16, 29, v16
	v_and_b32_e32 v13, 7, v13
	v_cmp_eq_u16_e32 vcc, 0, v15
	v_cndmask_b32_e32 v13, v14, v13, vcc
	v_cndmask_b32_e32 v14, v15, v16, vcc
	v_lshlrev_b32_e32 v15, 16, v2
	v_mov_b32_e32 v16, 0x3b800000
	v_lshlrev_b32_e32 v13, 20, v13
	v_and_b32_e32 v15, 0x80000000, v15
	v_lshl_add_u32 v14, v14, 23, v16
	v_or3_b32 v14, v15, v14, v13
.LBB1_1936:
	s_or_b64 exec, exec, s[6:7]
	s_nop 0
	v_mfma_f32_16x16x4f32 a[0:3], v12, v14, a[0:3]
	s_movk_i32 s4, 0xff
	v_and_b32_sdwa v13, v6, s4 dst_sel:DWORD dst_unused:UNUSED_PAD src0_sel:WORD_1 src1_sel:DWORD
	s_movk_i32 s4, 0x7f
	v_cmp_lt_i16_e32 vcc, s4, v13
	s_mov_b64 s[4:5], 0
                                        ; implicit-def: $sgpr10
	s_and_saveexec_b64 s[6:7], vcc
	s_xor_b64 s[6:7], exec, s[6:7]
	s_cbranch_execz .LBB1_1937
; %bb.37777:
	s_getpc_b64 s[14:15]
.Lpost_getpc4552:
	s_add_u32 s14, s14, (.LBB1_16273-.Lpost_getpc4552)&4294967295
	s_addc_u32 s15, s15, (.LBB1_16273-.Lpost_getpc4552)>>32
	s_setpc_b64 s[14:15]
.LBB1_1937:
	s_or_saveexec_b64 s[6:7], s[6:7]
	v_mov_b32_e32 v12, s10
	s_xor_b64 exec, exec, s[6:7]
	s_cbranch_execz .LBB1_1938
; %bb.37779:
	s_getpc_b64 s[14:15]
.Lpost_getpc4553:
	s_add_u32 s14, s14, (.LBB1_16276-.Lpost_getpc4553)&4294967295
	s_addc_u32 s15, s15, (.LBB1_16276-.Lpost_getpc4553)>>32
	s_setpc_b64 s[14:15]
.LBB1_1938:
	s_or_b64 exec, exec, s[6:7]
	s_and_saveexec_b64 s[6:7], s[4:5]
	s_cbranch_execz .LBB1_1940
.LBB1_1939:
	v_bfe_u32 v12, v6, 16, 3
	v_ffbh_u32_e32 v15, v12
	v_min_u32_e32 v15, 32, v15
	v_lshrrev_b32_e32 v13, 19, v6
	v_subrev_u32_e32 v16, 28, v15
	v_and_b32_e32 v13, 15, v13
	v_lshlrev_b32_sdwa v16, v16, v6 dst_sel:DWORD dst_unused:UNUSED_PAD src0_sel:DWORD src1_sel:WORD_1
	v_bfe_u32 v14, v6, 19, 4
	v_sub_u32_e32 v15, 29, v15
	v_and_b32_e32 v16, 7, v16
	v_cmp_eq_u16_e32 vcc, 0, v13
	v_cndmask_b32_e32 v12, v12, v16, vcc
	v_cndmask_b32_e32 v13, v14, v15, vcc
	v_lshlrev_b32_e32 v14, 8, v6
	v_mov_b32_e32 v15, 0x3b800000
	v_lshlrev_b32_e32 v12, 20, v12
	v_and_b32_e32 v14, 0x80000000, v14
	v_lshl_add_u32 v13, v13, 23, v15
	v_or3_b32 v12, v14, v13, v12
.LBB1_1940:
	s_or_b64 exec, exec, s[6:7]
	s_movk_i32 s4, 0xff
	v_and_b32_sdwa v13, v2, s4 dst_sel:DWORD dst_unused:UNUSED_PAD src0_sel:WORD_1 src1_sel:DWORD
	s_movk_i32 s4, 0x7f
	v_cmp_lt_i16_e32 vcc, s4, v13
	s_mov_b64 s[4:5], 0
                                        ; implicit-def: $sgpr10
	s_and_saveexec_b64 s[6:7], vcc
	s_xor_b64 s[6:7], exec, s[6:7]
	s_cbranch_execz .LBB1_1941
; %bb.37781:
	s_getpc_b64 s[14:15]
.Lpost_getpc4554:
	s_add_u32 s14, s14, (.LBB1_16277-.Lpost_getpc4554)&4294967295
	s_addc_u32 s15, s15, (.LBB1_16277-.Lpost_getpc4554)>>32
	s_setpc_b64 s[14:15]
.LBB1_1941:
	s_or_saveexec_b64 s[6:7], s[6:7]
	v_mov_b32_e32 v14, s10
	s_xor_b64 exec, exec, s[6:7]
	s_cbranch_execz .LBB1_1942
; %bb.37783:
	s_getpc_b64 s[14:15]
.Lpost_getpc4555:
	s_add_u32 s14, s14, (.LBB1_16280-.Lpost_getpc4555)&4294967295
	s_addc_u32 s15, s15, (.LBB1_16280-.Lpost_getpc4555)>>32
	s_setpc_b64 s[14:15]
.LBB1_1942:
	s_or_b64 exec, exec, s[6:7]
	s_and_saveexec_b64 s[6:7], s[4:5]
	s_cbranch_execz .LBB1_1944
.LBB1_1943:
	v_bfe_u32 v13, v2, 16, 3
	v_ffbh_u32_e32 v16, v13
	v_min_u32_e32 v16, 32, v16
	v_lshrrev_b32_e32 v14, 19, v2
	v_subrev_u32_e32 v17, 28, v16
	v_and_b32_e32 v14, 15, v14
	v_lshlrev_b32_sdwa v17, v17, v2 dst_sel:DWORD dst_unused:UNUSED_PAD src0_sel:DWORD src1_sel:WORD_1
	v_bfe_u32 v15, v2, 19, 4
	v_sub_u32_e32 v16, 29, v16
	v_and_b32_e32 v17, 7, v17
	v_cmp_eq_u16_e32 vcc, 0, v14
	v_cndmask_b32_e32 v13, v13, v17, vcc
	v_cndmask_b32_e32 v14, v15, v16, vcc
	v_lshlrev_b32_e32 v15, 8, v2
	v_mov_b32_e32 v16, 0x3b800000
	v_lshlrev_b32_e32 v13, 20, v13
	v_and_b32_e32 v15, 0x80000000, v15
	v_lshl_add_u32 v14, v14, 23, v16
	v_or3_b32 v14, v15, v14, v13
.LBB1_1944:
	s_or_b64 exec, exec, s[6:7]
	s_nop 0
	v_mfma_f32_16x16x4f32 a[0:3], v12, v14, a[0:3]
	s_movk_i32 s4, 0x7f
	v_cmp_gt_i16_sdwa s[6:7], v6, s4 src0_sel:BYTE_3 src1_sel:DWORD
	s_mov_b64 s[4:5], 0
                                        ; implicit-def: $sgpr10
	s_and_saveexec_b64 s[8:9], s[6:7]
	s_xor_b64 s[6:7], exec, s[8:9]
	s_cbranch_execz .LBB1_1945
; %bb.37785:
	s_getpc_b64 s[14:15]
.Lpost_getpc4556:
	s_add_u32 s14, s14, (.LBB1_16281-.Lpost_getpc4556)&4294967295
	s_addc_u32 s15, s15, (.LBB1_16281-.Lpost_getpc4556)>>32
	s_setpc_b64 s[14:15]
.LBB1_1945:
	s_or_saveexec_b64 s[6:7], s[6:7]
	v_mov_b32_e32 v12, s10
	s_xor_b64 exec, exec, s[6:7]
	s_cbranch_execz .LBB1_1946
; %bb.37787:
	s_getpc_b64 s[14:15]
.Lpost_getpc4557:
	s_add_u32 s14, s14, (.LBB1_16284-.Lpost_getpc4557)&4294967295
	s_addc_u32 s15, s15, (.LBB1_16284-.Lpost_getpc4557)>>32
	s_setpc_b64 s[14:15]
.LBB1_1946:
	s_or_b64 exec, exec, s[6:7]
	s_and_saveexec_b64 s[6:7], s[4:5]
	s_cbranch_execz .LBB1_1948
.LBB1_1947:
	v_bfe_u32 v12, v6, 24, 3
	v_ffbh_u32_e32 v16, v12
	v_min_u32_e32 v16, 32, v16
	v_lshrrev_b32_e32 v14, 27, v6
	v_subrev_u32_e32 v17, 28, v16
	v_and_b32_e32 v13, 0x80000000, v6
	v_and_b32_e32 v14, 15, v14
	v_bfe_u32 v15, v6, 27, 4
	v_lshlrev_b32_sdwa v6, v17, v6 dst_sel:DWORD dst_unused:UNUSED_PAD src0_sel:DWORD src1_sel:BYTE_3
	v_sub_u32_e32 v16, 29, v16
	v_and_b32_e32 v6, 7, v6
	v_cmp_eq_u16_e32 vcc, 0, v14
	v_cndmask_b32_e32 v6, v12, v6, vcc
	v_cndmask_b32_e32 v12, v15, v16, vcc
	v_mov_b32_e32 v14, 0x3b800000
	v_lshlrev_b32_e32 v6, 20, v6
	v_lshl_add_u32 v12, v12, 23, v14
	v_or3_b32 v12, v13, v12, v6
.LBB1_1948:
	s_or_b64 exec, exec, s[6:7]
	s_movk_i32 s4, 0x7f
	v_cmp_gt_i16_sdwa s[6:7], v2, s4 src0_sel:BYTE_3 src1_sel:DWORD
	s_mov_b64 s[4:5], 0
                                        ; implicit-def: $sgpr10
	s_and_saveexec_b64 s[8:9], s[6:7]
	s_xor_b64 s[6:7], exec, s[8:9]
	s_cbranch_execz .LBB1_1949
; %bb.37789:
	s_getpc_b64 s[14:15]
.Lpost_getpc4558:
	s_add_u32 s14, s14, (.LBB1_16285-.Lpost_getpc4558)&4294967295
	s_addc_u32 s15, s15, (.LBB1_16285-.Lpost_getpc4558)>>32
	s_setpc_b64 s[14:15]
.LBB1_1949:
	s_or_saveexec_b64 s[6:7], s[6:7]
	v_mov_b32_e32 v6, s10
	s_xor_b64 exec, exec, s[6:7]
	s_cbranch_execz .LBB1_1950
; %bb.37791:
	s_getpc_b64 s[14:15]
.Lpost_getpc4559:
	s_add_u32 s14, s14, (.LBB1_16288-.Lpost_getpc4559)&4294967295
	s_addc_u32 s15, s15, (.LBB1_16288-.Lpost_getpc4559)>>32
	s_setpc_b64 s[14:15]
.LBB1_1950:
	s_or_b64 exec, exec, s[6:7]
	s_and_saveexec_b64 s[6:7], s[4:5]
	s_cbranch_execz .LBB1_1952
.LBB1_1951:
	v_bfe_u32 v6, v2, 24, 3
	v_ffbh_u32_e32 v16, v6
	v_min_u32_e32 v16, 32, v16
	v_lshrrev_b32_e32 v14, 27, v2
	v_subrev_u32_e32 v17, 28, v16
	v_and_b32_e32 v13, 0x80000000, v2
	v_and_b32_e32 v14, 15, v14
	v_bfe_u32 v15, v2, 27, 4
	v_lshlrev_b32_sdwa v2, v17, v2 dst_sel:DWORD dst_unused:UNUSED_PAD src0_sel:DWORD src1_sel:BYTE_3
	v_sub_u32_e32 v16, 29, v16
	v_and_b32_e32 v2, 7, v2
	v_cmp_eq_u16_e32 vcc, 0, v14
	v_cndmask_b32_e32 v2, v6, v2, vcc
	v_cndmask_b32_e32 v6, v15, v16, vcc
	v_mov_b32_e32 v14, 0x3b800000
	v_lshlrev_b32_e32 v2, 20, v2
	v_lshl_add_u32 v6, v6, 23, v14
	v_or3_b32 v6, v13, v6, v2
.LBB1_1952:
	s_or_b64 exec, exec, s[6:7]
	s_nop 0
	v_mfma_f32_16x16x4f32 a[0:3], v12, v6, a[0:3]
	s_movk_i32 s4, 0x7f
	v_cmp_gt_i16_sdwa s[6:7], v7, s4 src0_sel:BYTE_0 src1_sel:DWORD
	s_mov_b64 s[4:5], 0
                                        ; implicit-def: $sgpr10
	s_and_saveexec_b64 s[8:9], s[6:7]
	s_xor_b64 s[6:7], exec, s[8:9]
	s_cbranch_execz .LBB1_1953
; %bb.37793:
	s_getpc_b64 s[14:15]
.Lpost_getpc4560:
	s_add_u32 s14, s14, (.LBB1_16289-.Lpost_getpc4560)&4294967295
	s_addc_u32 s15, s15, (.LBB1_16289-.Lpost_getpc4560)>>32
	s_setpc_b64 s[14:15]
.LBB1_1953:
	s_or_saveexec_b64 s[6:7], s[6:7]
	v_mov_b32_e32 v2, s10
	s_xor_b64 exec, exec, s[6:7]
	s_cbranch_execz .LBB1_1954
; %bb.37795:
	s_getpc_b64 s[14:15]
.Lpost_getpc4561:
	s_add_u32 s14, s14, (.LBB1_16292-.Lpost_getpc4561)&4294967295
	s_addc_u32 s15, s15, (.LBB1_16292-.Lpost_getpc4561)>>32
	s_setpc_b64 s[14:15]
.LBB1_1954:
	s_or_b64 exec, exec, s[6:7]
	s_and_saveexec_b64 s[6:7], s[4:5]
	s_cbranch_execz .LBB1_1956
.LBB1_1955:
	v_and_b32_e32 v2, 7, v7
	v_ffbh_u32_e32 v12, v2
	v_min_u32_e32 v12, 32, v12
	v_lshrrev_b16_e32 v6, 3, v7
	v_subrev_u32_e32 v13, 28, v12
	v_and_b32_e32 v6, 15, v6
	v_lshlrev_b32_e32 v13, v13, v7
	v_sub_u32_e32 v12, 29, v12
	v_and_b32_e32 v13, 7, v13
	v_cmp_eq_u16_e32 vcc, 0, v6
	v_cndmask_b32_e32 v2, v2, v13, vcc
	v_cndmask_b32_e32 v6, v6, v12, vcc
	v_lshlrev_b32_e32 v12, 24, v7
	v_mov_b32_e32 v13, 0x3b800000
	v_lshlrev_b32_e32 v2, 20, v2
	v_and_b32_e32 v12, 0x80000000, v12
	v_lshl_add_u32 v6, v6, 23, v13
	v_or3_b32 v2, v12, v6, v2
.LBB1_1956:
	s_or_b64 exec, exec, s[6:7]
	s_movk_i32 s4, 0x7f
	v_cmp_gt_i16_sdwa s[6:7], v3, s4 src0_sel:BYTE_0 src1_sel:DWORD
	s_mov_b64 s[4:5], 0
                                        ; implicit-def: $sgpr10
	s_and_saveexec_b64 s[8:9], s[6:7]
	s_xor_b64 s[6:7], exec, s[8:9]
	s_cbranch_execz .LBB1_1957
; %bb.37797:
	s_getpc_b64 s[14:15]
.Lpost_getpc4562:
	s_add_u32 s14, s14, (.LBB1_16293-.Lpost_getpc4562)&4294967295
	s_addc_u32 s15, s15, (.LBB1_16293-.Lpost_getpc4562)>>32
	s_setpc_b64 s[14:15]
.LBB1_1957:
	s_or_saveexec_b64 s[6:7], s[6:7]
	v_mov_b32_e32 v6, s10
	s_xor_b64 exec, exec, s[6:7]
	s_cbranch_execz .LBB1_1958
; %bb.37799:
	s_getpc_b64 s[14:15]
.Lpost_getpc4563:
	s_add_u32 s14, s14, (.LBB1_16296-.Lpost_getpc4563)&4294967295
	s_addc_u32 s15, s15, (.LBB1_16296-.Lpost_getpc4563)>>32
	s_setpc_b64 s[14:15]
.LBB1_1958:
	s_or_b64 exec, exec, s[6:7]
	s_and_saveexec_b64 s[6:7], s[4:5]
	s_cbranch_execz .LBB1_1960
.LBB1_1959:
	v_and_b32_e32 v6, 7, v3
	v_ffbh_u32_e32 v13, v6
	v_min_u32_e32 v13, 32, v13
	v_lshrrev_b16_e32 v12, 3, v3
	v_subrev_u32_e32 v14, 28, v13
	v_and_b32_e32 v12, 15, v12
	v_lshlrev_b32_e32 v14, v14, v3
	v_sub_u32_e32 v13, 29, v13
	v_and_b32_e32 v14, 7, v14
	v_cmp_eq_u16_e32 vcc, 0, v12
	v_cndmask_b32_e32 v6, v6, v14, vcc
	v_cndmask_b32_e32 v12, v12, v13, vcc
	v_lshlrev_b32_e32 v13, 24, v3
	v_mov_b32_e32 v14, 0x3b800000
	v_lshlrev_b32_e32 v6, 20, v6
	v_and_b32_e32 v13, 0x80000000, v13
	v_lshl_add_u32 v12, v12, 23, v14
	v_or3_b32 v6, v13, v12, v6
.LBB1_1960:
	s_or_b64 exec, exec, s[6:7]
	s_nop 0
	v_mfma_f32_16x16x4f32 a[0:3], v2, v6, a[0:3]
	v_lshrrev_b32_e32 v6, 8, v7
	s_movk_i32 s4, 0x7f
	v_cmp_gt_i16_sdwa s[6:7], v6, s4 src0_sel:BYTE_0 src1_sel:DWORD
	s_mov_b64 s[4:5], 0
                                        ; implicit-def: $sgpr10
	s_and_saveexec_b64 s[8:9], s[6:7]
	s_xor_b64 s[6:7], exec, s[8:9]
	s_cbranch_execz .LBB1_1961
; %bb.37801:
	s_getpc_b64 s[14:15]
.Lpost_getpc4564:
	s_add_u32 s14, s14, (.LBB1_16297-.Lpost_getpc4564)&4294967295
	s_addc_u32 s15, s15, (.LBB1_16297-.Lpost_getpc4564)>>32
	s_setpc_b64 s[14:15]
.LBB1_1961:
	s_or_saveexec_b64 s[6:7], s[6:7]
	v_mov_b32_e32 v2, s10
	s_xor_b64 exec, exec, s[6:7]
	s_cbranch_execz .LBB1_1962
; %bb.37803:
	s_getpc_b64 s[14:15]
.Lpost_getpc4565:
	s_add_u32 s14, s14, (.LBB1_16300-.Lpost_getpc4565)&4294967295
	s_addc_u32 s15, s15, (.LBB1_16300-.Lpost_getpc4565)>>32
	s_setpc_b64 s[14:15]
.LBB1_1962:
	s_or_b64 exec, exec, s[6:7]
	s_and_saveexec_b64 s[6:7], s[4:5]
	s_cbranch_execz .LBB1_1964
.LBB1_1963:
	v_bfe_u32 v2, v7, 8, 3
	v_ffbh_u32_e32 v13, v2
	v_min_u32_e32 v13, 32, v13
	v_lshrrev_b16_e32 v12, 3, v6
	v_subrev_u32_e32 v14, 28, v13
	v_and_b32_e32 v12, 15, v12
	v_lshlrev_b32_e32 v6, v14, v6
	v_sub_u32_e32 v13, 29, v13
	v_and_b32_e32 v6, 7, v6
	v_cmp_eq_u16_e32 vcc, 0, v12
	v_cndmask_b32_e32 v2, v2, v6, vcc
	v_cndmask_b32_e32 v6, v12, v13, vcc
	v_lshlrev_b32_e32 v12, 16, v7
	v_mov_b32_e32 v13, 0x3b800000
	v_lshlrev_b32_e32 v2, 20, v2
	v_and_b32_e32 v12, 0x80000000, v12
	v_lshl_add_u32 v6, v6, 23, v13
	v_or3_b32 v2, v12, v6, v2
.LBB1_1964:
	s_or_b64 exec, exec, s[6:7]
	v_lshrrev_b32_e32 v6, 8, v3
	s_movk_i32 s4, 0x7f
	v_cmp_gt_i16_sdwa s[6:7], v6, s4 src0_sel:BYTE_0 src1_sel:DWORD
	s_mov_b64 s[4:5], 0
                                        ; implicit-def: $sgpr10
	s_and_saveexec_b64 s[8:9], s[6:7]
	s_xor_b64 s[6:7], exec, s[8:9]
	s_cbranch_execz .LBB1_1965
; %bb.37805:
	s_getpc_b64 s[14:15]
.Lpost_getpc4566:
	s_add_u32 s14, s14, (.LBB1_16301-.Lpost_getpc4566)&4294967295
	s_addc_u32 s15, s15, (.LBB1_16301-.Lpost_getpc4566)>>32
	s_setpc_b64 s[14:15]
.LBB1_1965:
	s_or_saveexec_b64 s[6:7], s[6:7]
	v_mov_b32_e32 v12, s10
	s_xor_b64 exec, exec, s[6:7]
	s_cbranch_execz .LBB1_1966
; %bb.37807:
	s_getpc_b64 s[14:15]
.Lpost_getpc4567:
	s_add_u32 s14, s14, (.LBB1_16304-.Lpost_getpc4567)&4294967295
	s_addc_u32 s15, s15, (.LBB1_16304-.Lpost_getpc4567)>>32
	s_setpc_b64 s[14:15]
.LBB1_1966:
	s_or_b64 exec, exec, s[6:7]
	s_and_saveexec_b64 s[6:7], s[4:5]
	s_cbranch_execz .LBB1_1968
.LBB1_1967:
	v_bfe_u32 v12, v3, 8, 3
	v_ffbh_u32_e32 v14, v12
	v_min_u32_e32 v14, 32, v14
	v_lshrrev_b16_e32 v13, 3, v6
	v_subrev_u32_e32 v15, 28, v14
	v_and_b32_e32 v13, 15, v13
	v_lshlrev_b32_e32 v6, v15, v6
	v_sub_u32_e32 v14, 29, v14
	v_and_b32_e32 v6, 7, v6
	v_cmp_eq_u16_e32 vcc, 0, v13
	v_cndmask_b32_e32 v6, v12, v6, vcc
	v_cndmask_b32_e32 v12, v13, v14, vcc
	v_lshlrev_b32_e32 v13, 16, v3
	v_mov_b32_e32 v14, 0x3b800000
	v_lshlrev_b32_e32 v6, 20, v6
	v_and_b32_e32 v13, 0x80000000, v13
	v_lshl_add_u32 v12, v12, 23, v14
	v_or3_b32 v12, v13, v12, v6
.LBB1_1968:
	s_or_b64 exec, exec, s[6:7]
	s_nop 0
	v_mfma_f32_16x16x4f32 a[0:3], v2, v12, a[0:3]
	s_movk_i32 s4, 0xff
	v_and_b32_sdwa v6, v7, s4 dst_sel:DWORD dst_unused:UNUSED_PAD src0_sel:WORD_1 src1_sel:DWORD
	s_movk_i32 s4, 0x7f
	v_cmp_lt_i16_e32 vcc, s4, v6
	s_mov_b64 s[4:5], 0
                                        ; implicit-def: $sgpr10
	s_and_saveexec_b64 s[6:7], vcc
	s_xor_b64 s[6:7], exec, s[6:7]
	s_cbranch_execz .LBB1_1969
; %bb.37809:
	s_getpc_b64 s[14:15]
.Lpost_getpc4568:
	s_add_u32 s14, s14, (.LBB1_16305-.Lpost_getpc4568)&4294967295
	s_addc_u32 s15, s15, (.LBB1_16305-.Lpost_getpc4568)>>32
	s_setpc_b64 s[14:15]
.LBB1_1969:
	s_or_saveexec_b64 s[6:7], s[6:7]
	v_mov_b32_e32 v2, s10
	s_xor_b64 exec, exec, s[6:7]
	s_cbranch_execz .LBB1_1970
; %bb.37811:
	s_getpc_b64 s[14:15]
.Lpost_getpc4569:
	s_add_u32 s14, s14, (.LBB1_16308-.Lpost_getpc4569)&4294967295
	s_addc_u32 s15, s15, (.LBB1_16308-.Lpost_getpc4569)>>32
	s_setpc_b64 s[14:15]
.LBB1_1970:
	s_or_b64 exec, exec, s[6:7]
	s_and_saveexec_b64 s[6:7], s[4:5]
	s_cbranch_execz .LBB1_1972
.LBB1_1971:
	v_bfe_u32 v2, v7, 16, 3
	v_ffbh_u32_e32 v13, v2
	v_min_u32_e32 v13, 32, v13
	v_lshrrev_b32_e32 v6, 19, v7
	v_subrev_u32_e32 v14, 28, v13
	v_and_b32_e32 v6, 15, v6
	v_lshlrev_b32_sdwa v14, v14, v7 dst_sel:DWORD dst_unused:UNUSED_PAD src0_sel:DWORD src1_sel:WORD_1
	v_bfe_u32 v12, v7, 19, 4
	v_sub_u32_e32 v13, 29, v13
	v_and_b32_e32 v14, 7, v14
	v_cmp_eq_u16_e32 vcc, 0, v6
	v_cndmask_b32_e32 v2, v2, v14, vcc
	v_cndmask_b32_e32 v6, v12, v13, vcc
	v_lshlrev_b32_e32 v12, 8, v7
	v_mov_b32_e32 v13, 0x3b800000
	v_lshlrev_b32_e32 v2, 20, v2
	v_and_b32_e32 v12, 0x80000000, v12
	v_lshl_add_u32 v6, v6, 23, v13
	v_or3_b32 v2, v12, v6, v2
.LBB1_1972:
	s_or_b64 exec, exec, s[6:7]
	s_movk_i32 s4, 0xff
	v_and_b32_sdwa v6, v3, s4 dst_sel:DWORD dst_unused:UNUSED_PAD src0_sel:WORD_1 src1_sel:DWORD
	s_movk_i32 s4, 0x7f
	v_cmp_lt_i16_e32 vcc, s4, v6
	s_mov_b64 s[4:5], 0
                                        ; implicit-def: $sgpr10
	s_and_saveexec_b64 s[6:7], vcc
	s_xor_b64 s[6:7], exec, s[6:7]
	s_cbranch_execz .LBB1_1973
; %bb.37813:
	s_getpc_b64 s[14:15]
.Lpost_getpc4570:
	s_add_u32 s14, s14, (.LBB1_16309-.Lpost_getpc4570)&4294967295
	s_addc_u32 s15, s15, (.LBB1_16309-.Lpost_getpc4570)>>32
	s_setpc_b64 s[14:15]
.LBB1_1973:
	s_or_saveexec_b64 s[6:7], s[6:7]
	v_mov_b32_e32 v12, s10
	s_xor_b64 exec, exec, s[6:7]
	s_cbranch_execz .LBB1_1974
; %bb.37815:
	s_getpc_b64 s[14:15]
.Lpost_getpc4571:
	s_add_u32 s14, s14, (.LBB1_16312-.Lpost_getpc4571)&4294967295
	s_addc_u32 s15, s15, (.LBB1_16312-.Lpost_getpc4571)>>32
	s_setpc_b64 s[14:15]
.LBB1_1974:
	s_or_b64 exec, exec, s[6:7]
	s_and_saveexec_b64 s[6:7], s[4:5]
	s_cbranch_execz .LBB1_1976
.LBB1_1975:
	v_bfe_u32 v6, v3, 16, 3
	v_ffbh_u32_e32 v14, v6
	v_min_u32_e32 v14, 32, v14
	v_lshrrev_b32_e32 v12, 19, v3
	v_subrev_u32_e32 v15, 28, v14
	v_and_b32_e32 v12, 15, v12
	v_lshlrev_b32_sdwa v15, v15, v3 dst_sel:DWORD dst_unused:UNUSED_PAD src0_sel:DWORD src1_sel:WORD_1
	v_bfe_u32 v13, v3, 19, 4
	v_sub_u32_e32 v14, 29, v14
	v_and_b32_e32 v15, 7, v15
	v_cmp_eq_u16_e32 vcc, 0, v12
	v_cndmask_b32_e32 v6, v6, v15, vcc
	v_cndmask_b32_e32 v12, v13, v14, vcc
	v_lshlrev_b32_e32 v13, 8, v3
	v_mov_b32_e32 v14, 0x3b800000
	v_lshlrev_b32_e32 v6, 20, v6
	v_and_b32_e32 v13, 0x80000000, v13
	v_lshl_add_u32 v12, v12, 23, v14
	v_or3_b32 v12, v13, v12, v6
.LBB1_1976:
	s_or_b64 exec, exec, s[6:7]
	s_nop 0
	v_mfma_f32_16x16x4f32 a[0:3], v2, v12, a[0:3]
	s_movk_i32 s4, 0x7f
	v_cmp_gt_i16_sdwa s[6:7], v7, s4 src0_sel:BYTE_3 src1_sel:DWORD
	s_mov_b64 s[4:5], 0
                                        ; implicit-def: $sgpr10
	s_and_saveexec_b64 s[8:9], s[6:7]
	s_xor_b64 s[6:7], exec, s[8:9]
	s_cbranch_execz .LBB1_1977
; %bb.37817:
	s_getpc_b64 s[14:15]
.Lpost_getpc4572:
	s_add_u32 s14, s14, (.LBB1_16313-.Lpost_getpc4572)&4294967295
	s_addc_u32 s15, s15, (.LBB1_16313-.Lpost_getpc4572)>>32
	s_setpc_b64 s[14:15]
.LBB1_1977:
	s_or_saveexec_b64 s[6:7], s[6:7]
	v_mov_b32_e32 v2, s10
	s_xor_b64 exec, exec, s[6:7]
	s_cbranch_execz .LBB1_1978
; %bb.37819:
	s_getpc_b64 s[14:15]
.Lpost_getpc4573:
	s_add_u32 s14, s14, (.LBB1_16316-.Lpost_getpc4573)&4294967295
	s_addc_u32 s15, s15, (.LBB1_16316-.Lpost_getpc4573)>>32
	s_setpc_b64 s[14:15]
.LBB1_1978:
	s_or_b64 exec, exec, s[6:7]
	s_and_saveexec_b64 s[6:7], s[4:5]
	s_cbranch_execz .LBB1_1980
.LBB1_1979:
	v_bfe_u32 v2, v7, 24, 3
	v_ffbh_u32_e32 v14, v2
	v_min_u32_e32 v14, 32, v14
	v_lshrrev_b32_e32 v12, 27, v7
	v_subrev_u32_e32 v15, 28, v14
	v_and_b32_e32 v6, 0x80000000, v7
	v_and_b32_e32 v12, 15, v12
	v_bfe_u32 v13, v7, 27, 4
	v_lshlrev_b32_sdwa v7, v15, v7 dst_sel:DWORD dst_unused:UNUSED_PAD src0_sel:DWORD src1_sel:BYTE_3
	v_sub_u32_e32 v14, 29, v14
	v_and_b32_e32 v7, 7, v7
	v_cmp_eq_u16_e32 vcc, 0, v12
	v_cndmask_b32_e32 v2, v2, v7, vcc
	v_cndmask_b32_e32 v7, v13, v14, vcc
	v_mov_b32_e32 v12, 0x3b800000
	v_lshlrev_b32_e32 v2, 20, v2
	v_lshl_add_u32 v7, v7, 23, v12
	v_or3_b32 v2, v6, v7, v2
.LBB1_1980:
	s_or_b64 exec, exec, s[6:7]
	s_movk_i32 s4, 0x7f
	v_cmp_gt_i16_sdwa s[6:7], v3, s4 src0_sel:BYTE_3 src1_sel:DWORD
	s_mov_b64 s[4:5], 0
                                        ; implicit-def: $sgpr10
	s_and_saveexec_b64 s[8:9], s[6:7]
	s_xor_b64 s[6:7], exec, s[8:9]
	s_cbranch_execz .LBB1_1981
; %bb.37821:
	s_getpc_b64 s[14:15]
.Lpost_getpc4574:
	s_add_u32 s14, s14, (.LBB1_16317-.Lpost_getpc4574)&4294967295
	s_addc_u32 s15, s15, (.LBB1_16317-.Lpost_getpc4574)>>32
	s_setpc_b64 s[14:15]
.LBB1_1981:
	s_or_saveexec_b64 s[6:7], s[6:7]
	v_mov_b32_e32 v6, s10
	s_xor_b64 exec, exec, s[6:7]
	s_cbranch_execz .LBB1_1982
; %bb.37823:
	s_getpc_b64 s[14:15]
.Lpost_getpc4575:
	s_add_u32 s14, s14, (.LBB1_16320-.Lpost_getpc4575)&4294967295
	s_addc_u32 s15, s15, (.LBB1_16320-.Lpost_getpc4575)>>32
	s_setpc_b64 s[14:15]
.LBB1_1982:
	s_or_b64 exec, exec, s[6:7]
	s_and_saveexec_b64 s[6:7], s[4:5]
	s_cbranch_execz .LBB1_1984
.LBB1_1983:
	v_bfe_u32 v6, v3, 24, 3
	v_ffbh_u32_e32 v14, v6
	v_min_u32_e32 v14, 32, v14
	v_lshrrev_b32_e32 v12, 27, v3
	v_subrev_u32_e32 v15, 28, v14
	v_and_b32_e32 v7, 0x80000000, v3
	v_and_b32_e32 v12, 15, v12
	v_bfe_u32 v13, v3, 27, 4
	v_lshlrev_b32_sdwa v3, v15, v3 dst_sel:DWORD dst_unused:UNUSED_PAD src0_sel:DWORD src1_sel:BYTE_3
	v_sub_u32_e32 v14, 29, v14
	v_and_b32_e32 v3, 7, v3
	v_cmp_eq_u16_e32 vcc, 0, v12
	v_cndmask_b32_e32 v3, v6, v3, vcc
	v_cndmask_b32_e32 v6, v13, v14, vcc
	v_mov_b32_e32 v12, 0x3b800000
	v_lshlrev_b32_e32 v3, 20, v3
	v_lshl_add_u32 v6, v6, 23, v12
	v_or3_b32 v6, v7, v6, v3
.LBB1_1984:
	s_or_b64 exec, exec, s[6:7]
	s_nop 0
	v_mfma_f32_16x16x4f32 a[0:3], v2, v6, a[0:3]
	s_movk_i32 s4, 0x7f
	v_cmp_gt_i16_sdwa s[6:7], v8, s4 src0_sel:BYTE_0 src1_sel:DWORD
	s_mov_b64 s[4:5], 0
                                        ; implicit-def: $sgpr10
	s_and_saveexec_b64 s[8:9], s[6:7]
	s_xor_b64 s[6:7], exec, s[8:9]
	s_cbranch_execz .LBB1_1985
; %bb.37825:
	s_getpc_b64 s[14:15]
.Lpost_getpc4576:
	s_add_u32 s14, s14, (.LBB1_16321-.Lpost_getpc4576)&4294967295
	s_addc_u32 s15, s15, (.LBB1_16321-.Lpost_getpc4576)>>32
	s_setpc_b64 s[14:15]
.LBB1_1985:
	s_or_saveexec_b64 s[6:7], s[6:7]
	v_mov_b32_e32 v2, s10
	s_xor_b64 exec, exec, s[6:7]
	s_cbranch_execz .LBB1_1986
; %bb.37827:
	s_getpc_b64 s[14:15]
.Lpost_getpc4577:
	s_add_u32 s14, s14, (.LBB1_16324-.Lpost_getpc4577)&4294967295
	s_addc_u32 s15, s15, (.LBB1_16324-.Lpost_getpc4577)>>32
	s_setpc_b64 s[14:15]
.LBB1_1986:
	s_or_b64 exec, exec, s[6:7]
	s_and_saveexec_b64 s[6:7], s[4:5]
	s_cbranch_execz .LBB1_1988
.LBB1_1987:
	v_and_b32_e32 v2, 7, v8
	v_ffbh_u32_e32 v6, v2
	v_min_u32_e32 v6, 32, v6
	v_lshrrev_b16_e32 v3, 3, v8
	v_subrev_u32_e32 v7, 28, v6
	v_and_b32_e32 v3, 15, v3
	v_lshlrev_b32_e32 v7, v7, v8
	v_sub_u32_e32 v6, 29, v6
	v_and_b32_e32 v7, 7, v7
	v_cmp_eq_u16_e32 vcc, 0, v3
	v_cndmask_b32_e32 v2, v2, v7, vcc
	v_cndmask_b32_e32 v3, v3, v6, vcc
	v_lshlrev_b32_e32 v6, 24, v8
	v_mov_b32_e32 v7, 0x3b800000
	v_lshlrev_b32_e32 v2, 20, v2
	v_and_b32_e32 v6, 0x80000000, v6
	v_lshl_add_u32 v3, v3, 23, v7
	v_or3_b32 v2, v6, v3, v2
.LBB1_1988:
	s_or_b64 exec, exec, s[6:7]
	s_movk_i32 s4, 0x7f
	v_cmp_gt_i16_sdwa s[6:7], v4, s4 src0_sel:BYTE_0 src1_sel:DWORD
	s_mov_b64 s[4:5], 0
                                        ; implicit-def: $sgpr10
	s_and_saveexec_b64 s[8:9], s[6:7]
	s_xor_b64 s[6:7], exec, s[8:9]
	s_cbranch_execz .LBB1_1989
; %bb.37829:
	s_getpc_b64 s[14:15]
.Lpost_getpc4578:
	s_add_u32 s14, s14, (.LBB1_16325-.Lpost_getpc4578)&4294967295
	s_addc_u32 s15, s15, (.LBB1_16325-.Lpost_getpc4578)>>32
	s_setpc_b64 s[14:15]
.LBB1_1989:
	s_or_saveexec_b64 s[6:7], s[6:7]
	v_mov_b32_e32 v3, s10
	s_xor_b64 exec, exec, s[6:7]
	s_cbranch_execz .LBB1_1990
; %bb.37831:
	s_getpc_b64 s[14:15]
.Lpost_getpc4579:
	s_add_u32 s14, s14, (.LBB1_16328-.Lpost_getpc4579)&4294967295
	s_addc_u32 s15, s15, (.LBB1_16328-.Lpost_getpc4579)>>32
	s_setpc_b64 s[14:15]
.LBB1_1990:
	s_or_b64 exec, exec, s[6:7]
	s_and_saveexec_b64 s[6:7], s[4:5]
	s_cbranch_execz .LBB1_1992
.LBB1_1991:
	v_and_b32_e32 v3, 7, v4
	v_ffbh_u32_e32 v7, v3
	v_min_u32_e32 v7, 32, v7
	v_lshrrev_b16_e32 v6, 3, v4
	v_subrev_u32_e32 v12, 28, v7
	v_and_b32_e32 v6, 15, v6
	v_lshlrev_b32_e32 v12, v12, v4
	v_sub_u32_e32 v7, 29, v7
	v_and_b32_e32 v12, 7, v12
	v_cmp_eq_u16_e32 vcc, 0, v6
	v_cndmask_b32_e32 v3, v3, v12, vcc
	v_cndmask_b32_e32 v6, v6, v7, vcc
	v_lshlrev_b32_e32 v7, 24, v4
	v_mov_b32_e32 v12, 0x3b800000
	v_lshlrev_b32_e32 v3, 20, v3
	v_and_b32_e32 v7, 0x80000000, v7
	v_lshl_add_u32 v6, v6, 23, v12
	v_or3_b32 v3, v7, v6, v3
.LBB1_1992:
	s_or_b64 exec, exec, s[6:7]
	s_nop 0
	v_mfma_f32_16x16x4f32 a[0:3], v2, v3, a[0:3]
	v_lshrrev_b32_e32 v3, 8, v8
	s_movk_i32 s4, 0x7f
	v_cmp_gt_i16_sdwa s[6:7], v3, s4 src0_sel:BYTE_0 src1_sel:DWORD
	s_mov_b64 s[4:5], 0
                                        ; implicit-def: $sgpr10
	s_and_saveexec_b64 s[8:9], s[6:7]
	s_xor_b64 s[6:7], exec, s[8:9]
	s_cbranch_execz .LBB1_1993
; %bb.37833:
	s_getpc_b64 s[14:15]
.Lpost_getpc4580:
	s_add_u32 s14, s14, (.LBB1_16329-.Lpost_getpc4580)&4294967295
	s_addc_u32 s15, s15, (.LBB1_16329-.Lpost_getpc4580)>>32
	s_setpc_b64 s[14:15]
.LBB1_1993:
	s_or_saveexec_b64 s[6:7], s[6:7]
	v_mov_b32_e32 v2, s10
	s_xor_b64 exec, exec, s[6:7]
	s_cbranch_execz .LBB1_1994
; %bb.37835:
	s_getpc_b64 s[14:15]
.Lpost_getpc4581:
	s_add_u32 s14, s14, (.LBB1_16332-.Lpost_getpc4581)&4294967295
	s_addc_u32 s15, s15, (.LBB1_16332-.Lpost_getpc4581)>>32
	s_setpc_b64 s[14:15]
.LBB1_1994:
	s_or_b64 exec, exec, s[6:7]
	s_and_saveexec_b64 s[6:7], s[4:5]
	s_cbranch_execz .LBB1_1996
.LBB1_1995:
	v_bfe_u32 v2, v8, 8, 3
	v_ffbh_u32_e32 v7, v2
	v_min_u32_e32 v7, 32, v7
	v_lshrrev_b16_e32 v6, 3, v3
	v_subrev_u32_e32 v12, 28, v7
	v_and_b32_e32 v6, 15, v6
	v_lshlrev_b32_e32 v3, v12, v3
	v_sub_u32_e32 v7, 29, v7
	v_and_b32_e32 v3, 7, v3
	v_cmp_eq_u16_e32 vcc, 0, v6
	v_cndmask_b32_e32 v2, v2, v3, vcc
	v_cndmask_b32_e32 v3, v6, v7, vcc
	v_lshlrev_b32_e32 v6, 16, v8
	v_mov_b32_e32 v7, 0x3b800000
	v_lshlrev_b32_e32 v2, 20, v2
	v_and_b32_e32 v6, 0x80000000, v6
	v_lshl_add_u32 v3, v3, 23, v7
	v_or3_b32 v2, v6, v3, v2
.LBB1_1996:
	s_or_b64 exec, exec, s[6:7]
	v_lshrrev_b32_e32 v3, 8, v4
	s_movk_i32 s4, 0x7f
	v_cmp_gt_i16_sdwa s[6:7], v3, s4 src0_sel:BYTE_0 src1_sel:DWORD
	s_mov_b64 s[4:5], 0
                                        ; implicit-def: $sgpr10
	s_and_saveexec_b64 s[8:9], s[6:7]
	s_xor_b64 s[6:7], exec, s[8:9]
	s_cbranch_execz .LBB1_1997
; %bb.37837:
	s_getpc_b64 s[14:15]
.Lpost_getpc4582:
	s_add_u32 s14, s14, (.LBB1_16333-.Lpost_getpc4582)&4294967295
	s_addc_u32 s15, s15, (.LBB1_16333-.Lpost_getpc4582)>>32
	s_setpc_b64 s[14:15]
.LBB1_1997:
	s_or_saveexec_b64 s[6:7], s[6:7]
	v_mov_b32_e32 v6, s10
	s_xor_b64 exec, exec, s[6:7]
	s_cbranch_execz .LBB1_1998
; %bb.37839:
	s_getpc_b64 s[14:15]
.Lpost_getpc4583:
	s_add_u32 s14, s14, (.LBB1_16336-.Lpost_getpc4583)&4294967295
	s_addc_u32 s15, s15, (.LBB1_16336-.Lpost_getpc4583)>>32
	s_setpc_b64 s[14:15]
.LBB1_1998:
	s_or_b64 exec, exec, s[6:7]
	s_and_saveexec_b64 s[6:7], s[4:5]
	s_cbranch_execz .LBB1_2000
.LBB1_1999:
	v_bfe_u32 v6, v4, 8, 3
	v_ffbh_u32_e32 v12, v6
	v_min_u32_e32 v12, 32, v12
	v_lshrrev_b16_e32 v7, 3, v3
	v_subrev_u32_e32 v13, 28, v12
	v_and_b32_e32 v7, 15, v7
	v_lshlrev_b32_e32 v3, v13, v3
	v_sub_u32_e32 v12, 29, v12
	v_and_b32_e32 v3, 7, v3
	v_cmp_eq_u16_e32 vcc, 0, v7
	v_cndmask_b32_e32 v3, v6, v3, vcc
	v_cndmask_b32_e32 v6, v7, v12, vcc
	v_lshlrev_b32_e32 v7, 16, v4
	v_mov_b32_e32 v12, 0x3b800000
	v_lshlrev_b32_e32 v3, 20, v3
	v_and_b32_e32 v7, 0x80000000, v7
	v_lshl_add_u32 v6, v6, 23, v12
	v_or3_b32 v6, v7, v6, v3
.LBB1_2000:
	s_or_b64 exec, exec, s[6:7]
	s_nop 0
	v_mfma_f32_16x16x4f32 a[0:3], v2, v6, a[0:3]
	s_movk_i32 s4, 0xff
	v_and_b32_sdwa v3, v8, s4 dst_sel:DWORD dst_unused:UNUSED_PAD src0_sel:WORD_1 src1_sel:DWORD
	s_movk_i32 s4, 0x7f
	v_cmp_lt_i16_e32 vcc, s4, v3
	s_mov_b64 s[4:5], 0
                                        ; implicit-def: $sgpr10
	s_and_saveexec_b64 s[6:7], vcc
	s_xor_b64 s[6:7], exec, s[6:7]
	s_cbranch_execz .LBB1_2001
; %bb.37841:
	s_getpc_b64 s[14:15]
.Lpost_getpc4584:
	s_add_u32 s14, s14, (.LBB1_16337-.Lpost_getpc4584)&4294967295
	s_addc_u32 s15, s15, (.LBB1_16337-.Lpost_getpc4584)>>32
	s_setpc_b64 s[14:15]
.LBB1_2001:
	s_or_saveexec_b64 s[6:7], s[6:7]
	v_mov_b32_e32 v2, s10
	s_xor_b64 exec, exec, s[6:7]
	s_cbranch_execz .LBB1_2002
; %bb.37843:
	s_getpc_b64 s[14:15]
.Lpost_getpc4585:
	s_add_u32 s14, s14, (.LBB1_16340-.Lpost_getpc4585)&4294967295
	s_addc_u32 s15, s15, (.LBB1_16340-.Lpost_getpc4585)>>32
	s_setpc_b64 s[14:15]
.LBB1_2002:
	s_or_b64 exec, exec, s[6:7]
	s_and_saveexec_b64 s[6:7], s[4:5]
	s_cbranch_execz .LBB1_2004
.LBB1_2003:
	v_bfe_u32 v2, v8, 16, 3
	v_ffbh_u32_e32 v7, v2
	v_min_u32_e32 v7, 32, v7
	v_lshrrev_b32_e32 v3, 19, v8
	v_subrev_u32_e32 v12, 28, v7
	v_and_b32_e32 v3, 15, v3
	v_lshlrev_b32_sdwa v12, v12, v8 dst_sel:DWORD dst_unused:UNUSED_PAD src0_sel:DWORD src1_sel:WORD_1
	v_bfe_u32 v6, v8, 19, 4
	v_sub_u32_e32 v7, 29, v7
	v_and_b32_e32 v12, 7, v12
	v_cmp_eq_u16_e32 vcc, 0, v3
	v_cndmask_b32_e32 v2, v2, v12, vcc
	v_cndmask_b32_e32 v3, v6, v7, vcc
	v_lshlrev_b32_e32 v6, 8, v8
	v_mov_b32_e32 v7, 0x3b800000
	v_lshlrev_b32_e32 v2, 20, v2
	v_and_b32_e32 v6, 0x80000000, v6
	v_lshl_add_u32 v3, v3, 23, v7
	v_or3_b32 v2, v6, v3, v2
.LBB1_2004:
	s_or_b64 exec, exec, s[6:7]
	s_movk_i32 s4, 0xff
	v_and_b32_sdwa v3, v4, s4 dst_sel:DWORD dst_unused:UNUSED_PAD src0_sel:WORD_1 src1_sel:DWORD
	s_movk_i32 s4, 0x7f
	v_cmp_lt_i16_e32 vcc, s4, v3
	s_mov_b64 s[4:5], 0
                                        ; implicit-def: $sgpr10
	s_and_saveexec_b64 s[6:7], vcc
	s_xor_b64 s[6:7], exec, s[6:7]
	s_cbranch_execz .LBB1_2005
; %bb.37845:
	s_getpc_b64 s[14:15]
.Lpost_getpc4586:
	s_add_u32 s14, s14, (.LBB1_16341-.Lpost_getpc4586)&4294967295
	s_addc_u32 s15, s15, (.LBB1_16341-.Lpost_getpc4586)>>32
	s_setpc_b64 s[14:15]
.LBB1_2005:
	s_or_saveexec_b64 s[6:7], s[6:7]
	v_mov_b32_e32 v6, s10
	s_xor_b64 exec, exec, s[6:7]
	s_cbranch_execz .LBB1_2006
; %bb.37847:
	s_getpc_b64 s[14:15]
.Lpost_getpc4587:
	s_add_u32 s14, s14, (.LBB1_16344-.Lpost_getpc4587)&4294967295
	s_addc_u32 s15, s15, (.LBB1_16344-.Lpost_getpc4587)>>32
	s_setpc_b64 s[14:15]
.LBB1_2006:
	s_or_b64 exec, exec, s[6:7]
	s_and_saveexec_b64 s[6:7], s[4:5]
	s_cbranch_execz .LBB1_2008
.LBB1_2007:
	v_bfe_u32 v3, v4, 16, 3
	v_ffbh_u32_e32 v12, v3
	v_min_u32_e32 v12, 32, v12
	v_lshrrev_b32_e32 v6, 19, v4
	v_subrev_u32_e32 v13, 28, v12
	v_and_b32_e32 v6, 15, v6
	v_lshlrev_b32_sdwa v13, v13, v4 dst_sel:DWORD dst_unused:UNUSED_PAD src0_sel:DWORD src1_sel:WORD_1
	v_bfe_u32 v7, v4, 19, 4
	v_sub_u32_e32 v12, 29, v12
	v_and_b32_e32 v13, 7, v13
	v_cmp_eq_u16_e32 vcc, 0, v6
	v_cndmask_b32_e32 v3, v3, v13, vcc
	v_cndmask_b32_e32 v6, v7, v12, vcc
	v_lshlrev_b32_e32 v7, 8, v4
	v_mov_b32_e32 v12, 0x3b800000
	v_lshlrev_b32_e32 v3, 20, v3
	v_and_b32_e32 v7, 0x80000000, v7
	v_lshl_add_u32 v6, v6, 23, v12
	v_or3_b32 v6, v7, v6, v3
.LBB1_2008:
	s_or_b64 exec, exec, s[6:7]
	s_nop 0
	v_mfma_f32_16x16x4f32 a[0:3], v2, v6, a[0:3]
	s_movk_i32 s4, 0x7f
	v_cmp_gt_i16_sdwa s[6:7], v8, s4 src0_sel:BYTE_3 src1_sel:DWORD
	s_mov_b64 s[4:5], 0
                                        ; implicit-def: $sgpr10
	s_and_saveexec_b64 s[8:9], s[6:7]
	s_xor_b64 s[6:7], exec, s[8:9]
	s_cbranch_execz .LBB1_2009
; %bb.37849:
	s_getpc_b64 s[14:15]
.Lpost_getpc4588:
	s_add_u32 s14, s14, (.LBB1_16345-.Lpost_getpc4588)&4294967295
	s_addc_u32 s15, s15, (.LBB1_16345-.Lpost_getpc4588)>>32
	s_setpc_b64 s[14:15]
.LBB1_2009:
	s_or_saveexec_b64 s[6:7], s[6:7]
	v_mov_b32_e32 v2, s10
	s_xor_b64 exec, exec, s[6:7]
	s_cbranch_execz .LBB1_2010
; %bb.37851:
	s_getpc_b64 s[14:15]
.Lpost_getpc4589:
	s_add_u32 s14, s14, (.LBB1_16348-.Lpost_getpc4589)&4294967295
	s_addc_u32 s15, s15, (.LBB1_16348-.Lpost_getpc4589)>>32
	s_setpc_b64 s[14:15]
.LBB1_2010:
	s_or_b64 exec, exec, s[6:7]
	s_and_saveexec_b64 s[6:7], s[4:5]
	s_cbranch_execz .LBB1_2012
.LBB1_2011:
	v_bfe_u32 v2, v8, 24, 3
	v_ffbh_u32_e32 v12, v2
	v_min_u32_e32 v12, 32, v12
	v_lshrrev_b32_e32 v6, 27, v8
	v_subrev_u32_e32 v13, 28, v12
	v_and_b32_e32 v3, 0x80000000, v8
	v_and_b32_e32 v6, 15, v6
	v_bfe_u32 v7, v8, 27, 4
	v_lshlrev_b32_sdwa v8, v13, v8 dst_sel:DWORD dst_unused:UNUSED_PAD src0_sel:DWORD src1_sel:BYTE_3
	v_sub_u32_e32 v12, 29, v12
	v_and_b32_e32 v8, 7, v8
	v_cmp_eq_u16_e32 vcc, 0, v6
	v_cndmask_b32_e32 v2, v2, v8, vcc
	v_cndmask_b32_e32 v6, v7, v12, vcc
	v_mov_b32_e32 v7, 0x3b800000
	v_lshlrev_b32_e32 v2, 20, v2
	v_lshl_add_u32 v6, v6, 23, v7
	v_or3_b32 v2, v3, v6, v2
.LBB1_2012:
	s_or_b64 exec, exec, s[6:7]
	s_movk_i32 s4, 0x7f
	v_cmp_gt_i16_sdwa s[6:7], v4, s4 src0_sel:BYTE_3 src1_sel:DWORD
	s_mov_b64 s[4:5], 0
                                        ; implicit-def: $sgpr10
	s_and_saveexec_b64 s[8:9], s[6:7]
	s_xor_b64 s[6:7], exec, s[8:9]
	s_cbranch_execz .LBB1_2013
; %bb.37853:
	s_getpc_b64 s[14:15]
.Lpost_getpc4590:
	s_add_u32 s14, s14, (.LBB1_16349-.Lpost_getpc4590)&4294967295
	s_addc_u32 s15, s15, (.LBB1_16349-.Lpost_getpc4590)>>32
	s_setpc_b64 s[14:15]
.LBB1_2013:
	s_or_saveexec_b64 s[6:7], s[6:7]
	v_mov_b32_e32 v3, s10
	s_xor_b64 exec, exec, s[6:7]
	s_cbranch_execz .LBB1_2014
; %bb.37855:
	s_getpc_b64 s[14:15]
.Lpost_getpc4591:
	s_add_u32 s14, s14, (.LBB1_16352-.Lpost_getpc4591)&4294967295
	s_addc_u32 s15, s15, (.LBB1_16352-.Lpost_getpc4591)>>32
	s_setpc_b64 s[14:15]
.LBB1_2014:
	s_or_b64 exec, exec, s[6:7]
	s_and_saveexec_b64 s[6:7], s[4:5]
	s_cbranch_execz .LBB1_2016
.LBB1_2015:
	v_bfe_u32 v3, v4, 24, 3
	v_ffbh_u32_e32 v12, v3
	v_min_u32_e32 v12, 32, v12
	v_lshrrev_b32_e32 v7, 27, v4
	v_subrev_u32_e32 v13, 28, v12
	v_and_b32_e32 v6, 0x80000000, v4
	v_and_b32_e32 v7, 15, v7
	v_bfe_u32 v8, v4, 27, 4
	v_lshlrev_b32_sdwa v4, v13, v4 dst_sel:DWORD dst_unused:UNUSED_PAD src0_sel:DWORD src1_sel:BYTE_3
	v_sub_u32_e32 v12, 29, v12
	v_and_b32_e32 v4, 7, v4
	v_cmp_eq_u16_e32 vcc, 0, v7
	v_cndmask_b32_e32 v3, v3, v4, vcc
	v_cndmask_b32_e32 v4, v8, v12, vcc
	v_mov_b32_e32 v7, 0x3b800000
	v_lshlrev_b32_e32 v3, 20, v3
	v_lshl_add_u32 v4, v4, 23, v7
	v_or3_b32 v3, v6, v4, v3
.LBB1_2016:
	s_or_b64 exec, exec, s[6:7]
	s_nop 0
	v_mfma_f32_16x16x4f32 a[0:3], v2, v3, a[0:3]
	s_movk_i32 s4, 0x7f
	v_cmp_gt_i16_sdwa s[6:7], v9, s4 src0_sel:BYTE_0 src1_sel:DWORD
	s_mov_b64 s[4:5], 0
                                        ; implicit-def: $sgpr10
	s_and_saveexec_b64 s[8:9], s[6:7]
	s_xor_b64 s[6:7], exec, s[8:9]
	s_cbranch_execz .LBB1_2017
; %bb.37857:
	s_getpc_b64 s[14:15]
.Lpost_getpc4592:
	s_add_u32 s14, s14, (.LBB1_16353-.Lpost_getpc4592)&4294967295
	s_addc_u32 s15, s15, (.LBB1_16353-.Lpost_getpc4592)>>32
	s_setpc_b64 s[14:15]
.LBB1_2017:
	s_or_saveexec_b64 s[6:7], s[6:7]
	v_mov_b32_e32 v2, s10
	s_xor_b64 exec, exec, s[6:7]
	s_cbranch_execz .LBB1_2018
; %bb.37859:
	s_getpc_b64 s[14:15]
.Lpost_getpc4593:
	s_add_u32 s14, s14, (.LBB1_16356-.Lpost_getpc4593)&4294967295
	s_addc_u32 s15, s15, (.LBB1_16356-.Lpost_getpc4593)>>32
	s_setpc_b64 s[14:15]
.LBB1_2018:
	s_or_b64 exec, exec, s[6:7]
	s_and_saveexec_b64 s[6:7], s[4:5]
	s_cbranch_execz .LBB1_2020
.LBB1_2019:
	v_mov_b32_e32 v2, 8
	v_and_b32_e32 v3, 7, v9
	v_lshrrev_b32_sdwa v2, v2, v9 dst_sel:BYTE_1 dst_unused:UNUSED_PAD src0_sel:DWORD src1_sel:DWORD
	v_ffbh_u32_e32 v4, v3
	v_or_b32_sdwa v2, v9, v2 dst_sel:DWORD dst_unused:UNUSED_PAD src0_sel:BYTE_0 src1_sel:DWORD
	v_min_u32_e32 v4, 32, v4
	v_lshrrev_b16_e32 v2, 3, v2
	v_subrev_u32_e32 v6, 28, v4
	v_and_b32_e32 v2, 15, v2
	v_lshlrev_b32_e32 v6, v6, v9
	v_sub_u32_e32 v4, 29, v4
	v_and_b32_e32 v6, 7, v6
	v_cmp_eq_u16_e32 vcc, 0, v2
	v_cndmask_b32_e32 v3, v3, v6, vcc
	v_cndmask_b32_e32 v2, v2, v4, vcc
	v_lshlrev_b32_e32 v4, 24, v9
	v_mov_b32_e32 v6, 0x3b800000
	v_lshlrev_b32_e32 v3, 20, v3
	v_and_b32_e32 v4, 0x80000000, v4
	v_lshl_add_u32 v2, v2, 23, v6
	v_or3_b32 v2, v4, v2, v3
.LBB1_2020:
	s_or_b64 exec, exec, s[6:7]
	s_movk_i32 s4, 0x7f
	v_cmp_gt_i16_sdwa s[6:7], v5, s4 src0_sel:BYTE_0 src1_sel:DWORD
	s_mov_b64 s[4:5], 0
                                        ; implicit-def: $sgpr10
	s_and_saveexec_b64 s[8:9], s[6:7]
	s_xor_b64 s[6:7], exec, s[8:9]
	s_cbranch_execz .LBB1_2021
; %bb.37861:
	s_getpc_b64 s[14:15]
.Lpost_getpc4594:
	s_add_u32 s14, s14, (.LBB1_16357-.Lpost_getpc4594)&4294967295
	s_addc_u32 s15, s15, (.LBB1_16357-.Lpost_getpc4594)>>32
	s_setpc_b64 s[14:15]
.LBB1_2021:
	s_or_saveexec_b64 s[6:7], s[6:7]
	v_mov_b32_e32 v3, s10
	s_xor_b64 exec, exec, s[6:7]
	s_cbranch_execz .LBB1_2022
; %bb.37863:
	s_getpc_b64 s[14:15]
.Lpost_getpc4595:
	s_add_u32 s14, s14, (.LBB1_16360-.Lpost_getpc4595)&4294967295
	s_addc_u32 s15, s15, (.LBB1_16360-.Lpost_getpc4595)>>32
	s_setpc_b64 s[14:15]
.LBB1_2022:
	s_or_b64 exec, exec, s[6:7]
	s_and_saveexec_b64 s[6:7], s[4:5]
	s_cbranch_execz .LBB1_2024
.LBB1_2023:
	v_mov_b32_e32 v3, 8
	v_and_b32_e32 v4, 7, v5
	v_lshrrev_b32_sdwa v3, v3, v5 dst_sel:BYTE_1 dst_unused:UNUSED_PAD src0_sel:DWORD src1_sel:DWORD
	v_ffbh_u32_e32 v6, v4
	v_or_b32_sdwa v3, v5, v3 dst_sel:DWORD dst_unused:UNUSED_PAD src0_sel:BYTE_0 src1_sel:DWORD
	v_min_u32_e32 v6, 32, v6
	v_lshrrev_b16_e32 v3, 3, v3
	v_subrev_u32_e32 v7, 28, v6
	v_and_b32_e32 v3, 15, v3
	v_lshlrev_b32_e32 v7, v7, v5
	v_sub_u32_e32 v6, 29, v6
	v_and_b32_e32 v7, 7, v7
	v_cmp_eq_u16_e32 vcc, 0, v3
	v_cndmask_b32_e32 v4, v4, v7, vcc
	v_cndmask_b32_e32 v3, v3, v6, vcc
	v_lshlrev_b32_e32 v6, 24, v5
	v_mov_b32_e32 v7, 0x3b800000
	v_lshlrev_b32_e32 v4, 20, v4
	v_and_b32_e32 v6, 0x80000000, v6
	v_lshl_add_u32 v3, v3, 23, v7
	v_or3_b32 v3, v6, v3, v4
.LBB1_2024:
	s_or_b64 exec, exec, s[6:7]
	s_nop 0
	v_mfma_f32_16x16x4f32 a[0:3], v2, v3, a[0:3]
	v_lshrrev_b32_e32 v3, 8, v9
	s_movk_i32 s4, 0x7f
	v_cmp_gt_i16_sdwa s[6:7], v3, s4 src0_sel:BYTE_0 src1_sel:DWORD
	s_mov_b64 s[4:5], 0
                                        ; implicit-def: $sgpr10
	s_and_saveexec_b64 s[8:9], s[6:7]
	s_xor_b64 s[6:7], exec, s[8:9]
	s_cbranch_execz .LBB1_2025
; %bb.37865:
	s_getpc_b64 s[14:15]
.Lpost_getpc4596:
	s_add_u32 s14, s14, (.LBB1_16361-.Lpost_getpc4596)&4294967295
	s_addc_u32 s15, s15, (.LBB1_16361-.Lpost_getpc4596)>>32
	s_setpc_b64 s[14:15]
.LBB1_2025:
	s_or_saveexec_b64 s[6:7], s[6:7]
	v_mov_b32_e32 v2, s10
	s_xor_b64 exec, exec, s[6:7]
	s_cbranch_execz .LBB1_2026
; %bb.37867:
	s_getpc_b64 s[14:15]
.Lpost_getpc4597:
	s_add_u32 s14, s14, (.LBB1_16364-.Lpost_getpc4597)&4294967295
	s_addc_u32 s15, s15, (.LBB1_16364-.Lpost_getpc4597)>>32
	s_setpc_b64 s[14:15]
.LBB1_2026:
	s_or_b64 exec, exec, s[6:7]
	s_and_saveexec_b64 s[6:7], s[4:5]
	s_cbranch_execz .LBB1_2028
.LBB1_2027:
	v_bfe_u32 v2, v9, 8, 3
	v_ffbh_u32_e32 v6, v2
	v_min_u32_e32 v6, 32, v6
	v_lshrrev_b16_e32 v4, 3, v3
	v_subrev_u32_e32 v7, 28, v6
	v_and_b32_e32 v4, 15, v4
	v_lshlrev_b32_e32 v3, v7, v3
	v_sub_u32_e32 v6, 29, v6
	v_and_b32_e32 v3, 7, v3
	v_cmp_eq_u16_e32 vcc, 0, v4
	v_cndmask_b32_e32 v2, v2, v3, vcc
	v_cndmask_b32_e32 v3, v4, v6, vcc
	v_lshlrev_b32_e32 v4, 16, v9
	v_mov_b32_e32 v6, 0x3b800000
	v_lshlrev_b32_e32 v2, 20, v2
	v_and_b32_e32 v4, 0x80000000, v4
	v_lshl_add_u32 v3, v3, 23, v6
	v_or3_b32 v2, v4, v3, v2
.LBB1_2028:
	s_or_b64 exec, exec, s[6:7]
	v_lshrrev_b32_e32 v3, 8, v5
	s_movk_i32 s4, 0x7f
	v_cmp_gt_i16_sdwa s[6:7], v3, s4 src0_sel:BYTE_0 src1_sel:DWORD
	s_mov_b64 s[4:5], 0
                                        ; implicit-def: $sgpr10
	s_and_saveexec_b64 s[8:9], s[6:7]
	s_xor_b64 s[6:7], exec, s[8:9]
	s_cbranch_execz .LBB1_2029
; %bb.37869:
	s_getpc_b64 s[14:15]
.Lpost_getpc4598:
	s_add_u32 s14, s14, (.LBB1_16365-.Lpost_getpc4598)&4294967295
	s_addc_u32 s15, s15, (.LBB1_16365-.Lpost_getpc4598)>>32
	s_setpc_b64 s[14:15]
.LBB1_2029:
	s_or_saveexec_b64 s[6:7], s[6:7]
	v_mov_b32_e32 v4, s10
	s_xor_b64 exec, exec, s[6:7]
	s_cbranch_execz .LBB1_2030
; %bb.37871:
	s_getpc_b64 s[14:15]
.Lpost_getpc4599:
	s_add_u32 s14, s14, (.LBB1_16368-.Lpost_getpc4599)&4294967295
	s_addc_u32 s15, s15, (.LBB1_16368-.Lpost_getpc4599)>>32
	s_setpc_b64 s[14:15]
.LBB1_2030:
	s_or_b64 exec, exec, s[6:7]
	s_and_saveexec_b64 s[6:7], s[4:5]
	s_cbranch_execz .LBB1_2032
.LBB1_2031:
	v_bfe_u32 v4, v5, 8, 3
	v_ffbh_u32_e32 v7, v4
	v_min_u32_e32 v7, 32, v7
	v_lshrrev_b16_e32 v6, 3, v3
	v_subrev_u32_e32 v8, 28, v7
	v_and_b32_e32 v6, 15, v6
	v_lshlrev_b32_e32 v3, v8, v3
	v_sub_u32_e32 v7, 29, v7
	v_and_b32_e32 v3, 7, v3
	v_cmp_eq_u16_e32 vcc, 0, v6
	v_cndmask_b32_e32 v3, v4, v3, vcc
	v_cndmask_b32_e32 v4, v6, v7, vcc
	v_lshlrev_b32_e32 v6, 16, v5
	v_mov_b32_e32 v7, 0x3b800000
	v_lshlrev_b32_e32 v3, 20, v3
	v_and_b32_e32 v6, 0x80000000, v6
	v_lshl_add_u32 v4, v4, 23, v7
	v_or3_b32 v4, v6, v4, v3
.LBB1_2032:
	s_or_b64 exec, exec, s[6:7]
	s_nop 0
	v_mfma_f32_16x16x4f32 a[0:3], v2, v4, a[0:3]
	s_movk_i32 s4, 0xff
	v_and_b32_sdwa v3, v9, s4 dst_sel:DWORD dst_unused:UNUSED_PAD src0_sel:WORD_1 src1_sel:DWORD
	s_movk_i32 s4, 0x7f
	v_cmp_lt_i16_e32 vcc, s4, v3
	s_mov_b64 s[4:5], 0
                                        ; implicit-def: $sgpr10
	s_and_saveexec_b64 s[6:7], vcc
	s_xor_b64 s[6:7], exec, s[6:7]
	s_cbranch_execz .LBB1_2033
; %bb.37873:
	s_getpc_b64 s[14:15]
.Lpost_getpc4600:
	s_add_u32 s14, s14, (.LBB1_16369-.Lpost_getpc4600)&4294967295
	s_addc_u32 s15, s15, (.LBB1_16369-.Lpost_getpc4600)>>32
	s_setpc_b64 s[14:15]
.LBB1_2033:
	s_or_saveexec_b64 s[6:7], s[6:7]
	v_mov_b32_e32 v2, s10
	s_xor_b64 exec, exec, s[6:7]
	s_cbranch_execz .LBB1_2034
; %bb.37875:
	s_getpc_b64 s[14:15]
.Lpost_getpc4601:
	s_add_u32 s14, s14, (.LBB1_16372-.Lpost_getpc4601)&4294967295
	s_addc_u32 s15, s15, (.LBB1_16372-.Lpost_getpc4601)>>32
	s_setpc_b64 s[14:15]
.LBB1_2034:
	s_or_b64 exec, exec, s[6:7]
	s_and_saveexec_b64 s[6:7], s[4:5]
	s_cbranch_execz .LBB1_2036
.LBB1_2035:
	v_bfe_u32 v2, v9, 16, 3
	v_ffbh_u32_e32 v6, v2
	v_min_u32_e32 v6, 32, v6
	v_lshrrev_b32_e32 v3, 19, v9
	v_subrev_u32_e32 v7, 28, v6
	v_and_b32_e32 v3, 15, v3
	v_lshlrev_b32_sdwa v7, v7, v9 dst_sel:DWORD dst_unused:UNUSED_PAD src0_sel:DWORD src1_sel:WORD_1
	v_bfe_u32 v4, v9, 19, 4
	v_sub_u32_e32 v6, 29, v6
	v_and_b32_e32 v7, 7, v7
	v_cmp_eq_u16_e32 vcc, 0, v3
	v_cndmask_b32_e32 v2, v2, v7, vcc
	v_cndmask_b32_e32 v3, v4, v6, vcc
	v_lshlrev_b32_e32 v4, 8, v9
	v_mov_b32_e32 v6, 0x3b800000
	v_lshlrev_b32_e32 v2, 20, v2
	v_and_b32_e32 v4, 0x80000000, v4
	v_lshl_add_u32 v3, v3, 23, v6
	v_or3_b32 v2, v4, v3, v2
.LBB1_2036:
	s_or_b64 exec, exec, s[6:7]
	s_movk_i32 s4, 0xff
	v_and_b32_sdwa v3, v5, s4 dst_sel:DWORD dst_unused:UNUSED_PAD src0_sel:WORD_1 src1_sel:DWORD
	s_movk_i32 s4, 0x7f
	v_cmp_lt_i16_e32 vcc, s4, v3
	s_mov_b64 s[4:5], 0
                                        ; implicit-def: $sgpr10
	s_and_saveexec_b64 s[6:7], vcc
	s_xor_b64 s[6:7], exec, s[6:7]
	s_cbranch_execz .LBB1_2037
; %bb.37877:
	s_getpc_b64 s[14:15]
.Lpost_getpc4602:
	s_add_u32 s14, s14, (.LBB1_16373-.Lpost_getpc4602)&4294967295
	s_addc_u32 s15, s15, (.LBB1_16373-.Lpost_getpc4602)>>32
	s_setpc_b64 s[14:15]
.LBB1_2037:
	s_or_saveexec_b64 s[6:7], s[6:7]
	v_mov_b32_e32 v4, s10
	s_xor_b64 exec, exec, s[6:7]
	s_cbranch_execz .LBB1_2038
; %bb.37879:
	s_getpc_b64 s[14:15]
.Lpost_getpc4603:
	s_add_u32 s14, s14, (.LBB1_16376-.Lpost_getpc4603)&4294967295
	s_addc_u32 s15, s15, (.LBB1_16376-.Lpost_getpc4603)>>32
	s_setpc_b64 s[14:15]
.LBB1_2038:
	s_or_b64 exec, exec, s[6:7]
	s_and_saveexec_b64 s[6:7], s[4:5]
	s_cbranch_execz .LBB1_2040
.LBB1_2039:
	v_bfe_u32 v3, v5, 16, 3
	v_ffbh_u32_e32 v7, v3
	v_min_u32_e32 v7, 32, v7
	v_lshrrev_b32_e32 v4, 19, v5
	v_subrev_u32_e32 v8, 28, v7
	v_and_b32_e32 v4, 15, v4
	v_lshlrev_b32_sdwa v8, v8, v5 dst_sel:DWORD dst_unused:UNUSED_PAD src0_sel:DWORD src1_sel:WORD_1
	v_bfe_u32 v6, v5, 19, 4
	v_sub_u32_e32 v7, 29, v7
	v_and_b32_e32 v8, 7, v8
	v_cmp_eq_u16_e32 vcc, 0, v4
	v_cndmask_b32_e32 v3, v3, v8, vcc
	v_cndmask_b32_e32 v4, v6, v7, vcc
	v_lshlrev_b32_e32 v6, 8, v5
	v_mov_b32_e32 v7, 0x3b800000
	v_lshlrev_b32_e32 v3, 20, v3
	v_and_b32_e32 v6, 0x80000000, v6
	v_lshl_add_u32 v4, v4, 23, v7
	v_or3_b32 v4, v6, v4, v3
.LBB1_2040:
	s_or_b64 exec, exec, s[6:7]
	s_nop 0
	v_mfma_f32_16x16x4f32 a[0:3], v2, v4, a[0:3]
	s_movk_i32 s4, 0x7f
	v_cmp_gt_i16_sdwa s[6:7], v9, s4 src0_sel:BYTE_3 src1_sel:DWORD
	s_mov_b64 s[4:5], 0
                                        ; implicit-def: $sgpr10
	s_and_saveexec_b64 s[8:9], s[6:7]
	s_xor_b64 s[6:7], exec, s[8:9]
	s_cbranch_execz .LBB1_2041
; %bb.37881:
	s_getpc_b64 s[14:15]
.Lpost_getpc4604:
	s_add_u32 s14, s14, (.LBB1_16377-.Lpost_getpc4604)&4294967295
	s_addc_u32 s15, s15, (.LBB1_16377-.Lpost_getpc4604)>>32
	s_setpc_b64 s[14:15]
.LBB1_2041:
	s_or_saveexec_b64 s[6:7], s[6:7]
	v_mov_b32_e32 v2, s10
	s_xor_b64 exec, exec, s[6:7]
	s_cbranch_execz .LBB1_2042
; %bb.37883:
	s_getpc_b64 s[14:15]
.Lpost_getpc4605:
	s_add_u32 s14, s14, (.LBB1_16380-.Lpost_getpc4605)&4294967295
	s_addc_u32 s15, s15, (.LBB1_16380-.Lpost_getpc4605)>>32
	s_setpc_b64 s[14:15]
.LBB1_2042:
	s_or_b64 exec, exec, s[6:7]
	s_and_saveexec_b64 s[6:7], s[4:5]
	s_cbranch_execz .LBB1_2044
.LBB1_2043:
	v_bfe_u32 v2, v9, 24, 3
	v_ffbh_u32_e32 v7, v2
	v_min_u32_e32 v7, 32, v7
	v_lshrrev_b32_e32 v4, 27, v9
	v_subrev_u32_e32 v8, 28, v7
	v_and_b32_e32 v4, 15, v4
	v_lshlrev_b32_sdwa v8, v8, v9 dst_sel:DWORD dst_unused:UNUSED_PAD src0_sel:DWORD src1_sel:BYTE_3
	v_bfe_u32 v6, v9, 27, 4
	v_sub_u32_e32 v7, 29, v7
	v_and_b32_e32 v8, 7, v8
	v_cmp_eq_u16_e32 vcc, 0, v4
	v_cndmask_b32_e32 v2, v2, v8, vcc
	v_cndmask_b32_e32 v4, v6, v7, vcc
	v_mov_b32_e32 v6, 0x3b800000
	v_and_b32_e32 v3, 0x80000000, v9
	v_lshlrev_b32_e32 v2, 20, v2
	v_lshl_add_u32 v4, v4, 23, v6
	v_or3_b32 v2, v3, v4, v2
.LBB1_2044:
	s_or_b64 exec, exec, s[6:7]
	s_movk_i32 s4, 0x7f
	v_cmp_gt_i16_sdwa s[6:7], v5, s4 src0_sel:BYTE_3 src1_sel:DWORD
	s_mov_b64 s[4:5], 0
                                        ; implicit-def: $sgpr10
	s_and_saveexec_b64 s[8:9], s[6:7]
	s_xor_b64 s[6:7], exec, s[8:9]
	s_cbranch_execz .LBB1_2045
; %bb.37885:
	s_getpc_b64 s[14:15]
.Lpost_getpc4606:
	s_add_u32 s14, s14, (.LBB1_16381-.Lpost_getpc4606)&4294967295
	s_addc_u32 s15, s15, (.LBB1_16381-.Lpost_getpc4606)>>32
	s_setpc_b64 s[14:15]
.LBB1_2045:
	s_or_saveexec_b64 s[6:7], s[6:7]
	v_mov_b32_e32 v3, s10
	s_xor_b64 exec, exec, s[6:7]
	s_cbranch_execz .LBB1_2046
; %bb.37887:
	s_getpc_b64 s[14:15]
.Lpost_getpc4607:
	s_add_u32 s14, s14, (.LBB1_16384-.Lpost_getpc4607)&4294967295
	s_addc_u32 s15, s15, (.LBB1_16384-.Lpost_getpc4607)>>32
	s_setpc_b64 s[14:15]
.LBB1_2046:
	s_or_b64 exec, exec, s[6:7]
	s_and_saveexec_b64 s[6:7], s[4:5]
	s_cbranch_execz .LBB1_2048
.LBB1_2047:
	v_bfe_u32 v3, v5, 24, 3
	v_ffbh_u32_e32 v8, v3
	v_min_u32_e32 v8, 32, v8
	v_lshrrev_b32_e32 v6, 27, v5
	v_subrev_u32_e32 v9, 28, v8
	v_and_b32_e32 v4, 0x80000000, v5
	v_and_b32_e32 v6, 15, v6
	v_bfe_u32 v7, v5, 27, 4
	v_lshlrev_b32_sdwa v5, v9, v5 dst_sel:DWORD dst_unused:UNUSED_PAD src0_sel:DWORD src1_sel:BYTE_3
	v_sub_u32_e32 v8, 29, v8
	v_and_b32_e32 v5, 7, v5
	v_cmp_eq_u16_e32 vcc, 0, v6
	v_cndmask_b32_e32 v3, v3, v5, vcc
	v_cndmask_b32_e32 v5, v7, v8, vcc
	v_mov_b32_e32 v6, 0x3b800000
	v_lshlrev_b32_e32 v3, 20, v3
	v_lshl_add_u32 v5, v5, 23, v6
	v_or3_b32 v3, v4, v5, v3
.LBB1_2048:
	s_or_b64 exec, exec, s[6:7]
	s_nop 0
	v_mfma_f32_16x16x4f32 a[0:3], v2, v3, a[0:3]
	s_movk_i32 s4, 0x7f
                                        ; implicit-def: $sgpr10
	s_nop 7
	s_nop 1
	flat_store_dwordx4 v[10:11], a[0:3] offset:240
	flat_load_dwordx4 v[12:15], v[0:1]
	s_nop 0
	flat_load_dwordx2 v[10:11], v[0:1] offset:16
	s_waitcnt vmcnt(0) lgkmcnt(0)
	flat_load_dwordx4 v[6:9], v[12:13] offset:32
	flat_load_dwordx4 v[2:5], v[14:15]
	s_waitcnt vmcnt(0) lgkmcnt(0)
	v_cmp_gt_i16_sdwa s[6:7], v6, s4 src0_sel:BYTE_0 src1_sel:DWORD
	s_mov_b64 s[4:5], 0
	s_and_saveexec_b64 s[8:9], s[6:7]
	s_xor_b64 s[6:7], exec, s[8:9]
	s_cbranch_execz .LBB1_2049
; %bb.37889:
	s_getpc_b64 s[14:15]
.Lpost_getpc4608:
	s_add_u32 s14, s14, (.LBB1_16385-.Lpost_getpc4608)&4294967295
	s_addc_u32 s15, s15, (.LBB1_16385-.Lpost_getpc4608)>>32
	s_setpc_b64 s[14:15]
.LBB1_2049:
	s_or_saveexec_b64 s[6:7], s[6:7]
	v_mov_b32_e32 v12, s10
	s_xor_b64 exec, exec, s[6:7]
	s_cbranch_execz .LBB1_2050
; %bb.37891:
	s_getpc_b64 s[14:15]
.Lpost_getpc4609:
	s_add_u32 s14, s14, (.LBB1_16388-.Lpost_getpc4609)&4294967295
	s_addc_u32 s15, s15, (.LBB1_16388-.Lpost_getpc4609)>>32
	s_setpc_b64 s[14:15]
.LBB1_2050:
	s_or_b64 exec, exec, s[6:7]
	s_and_saveexec_b64 s[6:7], s[4:5]
	s_cbranch_execz .LBB1_2052
.LBB1_2051:
	v_and_b32_e32 v12, 7, v6
	v_ffbh_u32_e32 v14, v12
	v_min_u32_e32 v14, 32, v14
	v_lshrrev_b16_e32 v13, 3, v6
	v_subrev_u32_e32 v15, 28, v14
	v_and_b32_e32 v13, 15, v13
	v_lshlrev_b32_e32 v15, v15, v6
	v_sub_u32_e32 v14, 29, v14
	v_and_b32_e32 v15, 7, v15
	v_cmp_eq_u16_e32 vcc, 0, v13
	v_cndmask_b32_e32 v12, v12, v15, vcc
	v_cndmask_b32_e32 v13, v13, v14, vcc
	v_lshlrev_b32_e32 v14, 24, v6
	v_mov_b32_e32 v15, 0x3b800000
	v_lshlrev_b32_e32 v12, 20, v12
	v_and_b32_e32 v14, 0x80000000, v14
	v_lshl_add_u32 v13, v13, 23, v15
	v_or3_b32 v12, v14, v13, v12
.LBB1_2052:
	s_or_b64 exec, exec, s[6:7]
	s_movk_i32 s4, 0x7f
	v_cmp_gt_i16_sdwa s[6:7], v2, s4 src0_sel:BYTE_0 src1_sel:DWORD
	s_mov_b64 s[4:5], 0
                                        ; implicit-def: $sgpr10
	s_and_saveexec_b64 s[8:9], s[6:7]
	s_xor_b64 s[6:7], exec, s[8:9]
	s_cbranch_execz .LBB1_2053
; %bb.37893:
	s_getpc_b64 s[14:15]
.Lpost_getpc4610:
	s_add_u32 s14, s14, (.LBB1_16389-.Lpost_getpc4610)&4294967295
	s_addc_u32 s15, s15, (.LBB1_16389-.Lpost_getpc4610)>>32
	s_setpc_b64 s[14:15]
.LBB1_2053:
	s_or_saveexec_b64 s[6:7], s[6:7]
	v_mov_b32_e32 v13, s10
	s_xor_b64 exec, exec, s[6:7]
	s_cbranch_execz .LBB1_2054
; %bb.37895:
	s_getpc_b64 s[14:15]
.Lpost_getpc4611:
	s_add_u32 s14, s14, (.LBB1_16392-.Lpost_getpc4611)&4294967295
	s_addc_u32 s15, s15, (.LBB1_16392-.Lpost_getpc4611)>>32
	s_setpc_b64 s[14:15]
.LBB1_2054:
	s_or_b64 exec, exec, s[6:7]
	s_and_saveexec_b64 s[6:7], s[4:5]
	s_cbranch_execz .LBB1_2056
.LBB1_2055:
	v_and_b32_e32 v13, 7, v2
	v_ffbh_u32_e32 v15, v13
	v_min_u32_e32 v15, 32, v15
	v_lshrrev_b16_e32 v14, 3, v2
	v_subrev_u32_e32 v16, 28, v15
	v_and_b32_e32 v14, 15, v14
	v_lshlrev_b32_e32 v16, v16, v2
	v_sub_u32_e32 v15, 29, v15
	v_and_b32_e32 v16, 7, v16
	v_cmp_eq_u16_e32 vcc, 0, v14
	v_cndmask_b32_e32 v13, v13, v16, vcc
	v_cndmask_b32_e32 v14, v14, v15, vcc
	v_lshlrev_b32_e32 v15, 24, v2
	v_mov_b32_e32 v16, 0x3b800000
	v_lshlrev_b32_e32 v13, 20, v13
	v_and_b32_e32 v15, 0x80000000, v15
	v_lshl_add_u32 v14, v14, 23, v16
	v_or3_b32 v13, v15, v14, v13
.LBB1_2056:
	s_or_b64 exec, exec, s[6:7]
	flat_load_dwordx4 a[0:3], v[10:11] offset:256
	s_movk_i32 s4, 0x7f
                                        ; implicit-def: $sgpr10
	s_waitcnt vmcnt(0) lgkmcnt(0)
	v_mfma_f32_16x16x4f32 a[0:3], v12, v13, a[0:3]
	v_lshrrev_b32_e32 v13, 8, v6
	v_cmp_gt_i16_sdwa s[6:7], v13, s4 src0_sel:BYTE_0 src1_sel:DWORD
	s_mov_b64 s[4:5], 0
	s_and_saveexec_b64 s[8:9], s[6:7]
	s_xor_b64 s[6:7], exec, s[8:9]
	s_cbranch_execz .LBB1_2057
; %bb.37897:
	s_getpc_b64 s[14:15]
.Lpost_getpc4612:
	s_add_u32 s14, s14, (.LBB1_16393-.Lpost_getpc4612)&4294967295
	s_addc_u32 s15, s15, (.LBB1_16393-.Lpost_getpc4612)>>32
	s_setpc_b64 s[14:15]
.LBB1_2057:
	s_or_saveexec_b64 s[6:7], s[6:7]
	v_mov_b32_e32 v12, s10
	s_xor_b64 exec, exec, s[6:7]
	s_cbranch_execz .LBB1_2058
; %bb.37899:
	s_getpc_b64 s[14:15]
.Lpost_getpc4613:
	s_add_u32 s14, s14, (.LBB1_16396-.Lpost_getpc4613)&4294967295
	s_addc_u32 s15, s15, (.LBB1_16396-.Lpost_getpc4613)>>32
	s_setpc_b64 s[14:15]
.LBB1_2058:
	s_or_b64 exec, exec, s[6:7]
	s_and_saveexec_b64 s[6:7], s[4:5]
	s_cbranch_execz .LBB1_2060
.LBB1_2059:
	v_bfe_u32 v12, v6, 8, 3
	v_ffbh_u32_e32 v15, v12
	v_min_u32_e32 v15, 32, v15
	v_lshrrev_b16_e32 v14, 3, v13
	v_subrev_u32_e32 v16, 28, v15
	v_and_b32_e32 v14, 15, v14
	v_lshlrev_b32_e32 v13, v16, v13
	v_sub_u32_e32 v15, 29, v15
	v_and_b32_e32 v13, 7, v13
	v_cmp_eq_u16_e32 vcc, 0, v14
	v_cndmask_b32_e32 v12, v12, v13, vcc
	v_cndmask_b32_e32 v13, v14, v15, vcc
	v_lshlrev_b32_e32 v14, 16, v6
	v_mov_b32_e32 v15, 0x3b800000
	v_lshlrev_b32_e32 v12, 20, v12
	v_and_b32_e32 v14, 0x80000000, v14
	v_lshl_add_u32 v13, v13, 23, v15
	v_or3_b32 v12, v14, v13, v12
.LBB1_2060:
	s_or_b64 exec, exec, s[6:7]
	v_lshrrev_b32_e32 v13, 8, v2
	s_movk_i32 s4, 0x7f
	v_cmp_gt_i16_sdwa s[6:7], v13, s4 src0_sel:BYTE_0 src1_sel:DWORD
	s_mov_b64 s[4:5], 0
                                        ; implicit-def: $sgpr10
	s_and_saveexec_b64 s[8:9], s[6:7]
	s_xor_b64 s[6:7], exec, s[8:9]
	s_cbranch_execz .LBB1_2061
; %bb.37901:
	s_getpc_b64 s[14:15]
.Lpost_getpc4614:
	s_add_u32 s14, s14, (.LBB1_16397-.Lpost_getpc4614)&4294967295
	s_addc_u32 s15, s15, (.LBB1_16397-.Lpost_getpc4614)>>32
	s_setpc_b64 s[14:15]
.LBB1_2061:
	s_or_saveexec_b64 s[6:7], s[6:7]
	v_mov_b32_e32 v14, s10
	s_xor_b64 exec, exec, s[6:7]
	s_cbranch_execz .LBB1_2062
; %bb.37903:
	s_getpc_b64 s[14:15]
.Lpost_getpc4615:
	s_add_u32 s14, s14, (.LBB1_16400-.Lpost_getpc4615)&4294967295
	s_addc_u32 s15, s15, (.LBB1_16400-.Lpost_getpc4615)>>32
	s_setpc_b64 s[14:15]
.LBB1_2062:
	s_or_b64 exec, exec, s[6:7]
	s_and_saveexec_b64 s[6:7], s[4:5]
	s_cbranch_execz .LBB1_2064
.LBB1_2063:
	v_bfe_u32 v14, v2, 8, 3
	v_ffbh_u32_e32 v16, v14
	v_min_u32_e32 v16, 32, v16
	v_lshrrev_b16_e32 v15, 3, v13
	v_subrev_u32_e32 v17, 28, v16
	v_and_b32_e32 v15, 15, v15
	v_lshlrev_b32_e32 v13, v17, v13
	v_sub_u32_e32 v16, 29, v16
	v_and_b32_e32 v13, 7, v13
	v_cmp_eq_u16_e32 vcc, 0, v15
	v_cndmask_b32_e32 v13, v14, v13, vcc
	v_cndmask_b32_e32 v14, v15, v16, vcc
	v_lshlrev_b32_e32 v15, 16, v2
	v_mov_b32_e32 v16, 0x3b800000
	v_lshlrev_b32_e32 v13, 20, v13
	v_and_b32_e32 v15, 0x80000000, v15
	v_lshl_add_u32 v14, v14, 23, v16
	v_or3_b32 v14, v15, v14, v13
.LBB1_2064:
	s_or_b64 exec, exec, s[6:7]
	s_nop 0
	v_mfma_f32_16x16x4f32 a[0:3], v12, v14, a[0:3]
	s_movk_i32 s4, 0xff
	v_and_b32_sdwa v13, v6, s4 dst_sel:DWORD dst_unused:UNUSED_PAD src0_sel:WORD_1 src1_sel:DWORD
	s_movk_i32 s4, 0x7f
	v_cmp_lt_i16_e32 vcc, s4, v13
	s_mov_b64 s[4:5], 0
                                        ; implicit-def: $sgpr10
	s_and_saveexec_b64 s[6:7], vcc
	s_xor_b64 s[6:7], exec, s[6:7]
	s_cbranch_execz .LBB1_2065
; %bb.37905:
	s_getpc_b64 s[14:15]
.Lpost_getpc4616:
	s_add_u32 s14, s14, (.LBB1_16401-.Lpost_getpc4616)&4294967295
	s_addc_u32 s15, s15, (.LBB1_16401-.Lpost_getpc4616)>>32
	s_setpc_b64 s[14:15]
.LBB1_2065:
	s_or_saveexec_b64 s[6:7], s[6:7]
	v_mov_b32_e32 v12, s10
	s_xor_b64 exec, exec, s[6:7]
	s_cbranch_execz .LBB1_2066
; %bb.37907:
	s_getpc_b64 s[14:15]
.Lpost_getpc4617:
	s_add_u32 s14, s14, (.LBB1_16404-.Lpost_getpc4617)&4294967295
	s_addc_u32 s15, s15, (.LBB1_16404-.Lpost_getpc4617)>>32
	s_setpc_b64 s[14:15]
.LBB1_2066:
	s_or_b64 exec, exec, s[6:7]
	s_and_saveexec_b64 s[6:7], s[4:5]
	s_cbranch_execz .LBB1_2068
.LBB1_2067:
	v_bfe_u32 v12, v6, 16, 3
	v_ffbh_u32_e32 v15, v12
	v_min_u32_e32 v15, 32, v15
	v_lshrrev_b32_e32 v13, 19, v6
	v_subrev_u32_e32 v16, 28, v15
	v_and_b32_e32 v13, 15, v13
	v_lshlrev_b32_sdwa v16, v16, v6 dst_sel:DWORD dst_unused:UNUSED_PAD src0_sel:DWORD src1_sel:WORD_1
	v_bfe_u32 v14, v6, 19, 4
	v_sub_u32_e32 v15, 29, v15
	v_and_b32_e32 v16, 7, v16
	v_cmp_eq_u16_e32 vcc, 0, v13
	v_cndmask_b32_e32 v12, v12, v16, vcc
	v_cndmask_b32_e32 v13, v14, v15, vcc
	v_lshlrev_b32_e32 v14, 8, v6
	v_mov_b32_e32 v15, 0x3b800000
	v_lshlrev_b32_e32 v12, 20, v12
	v_and_b32_e32 v14, 0x80000000, v14
	v_lshl_add_u32 v13, v13, 23, v15
	v_or3_b32 v12, v14, v13, v12
.LBB1_2068:
	s_or_b64 exec, exec, s[6:7]
	s_movk_i32 s4, 0xff
	v_and_b32_sdwa v13, v2, s4 dst_sel:DWORD dst_unused:UNUSED_PAD src0_sel:WORD_1 src1_sel:DWORD
	s_movk_i32 s4, 0x7f
	v_cmp_lt_i16_e32 vcc, s4, v13
	s_mov_b64 s[4:5], 0
                                        ; implicit-def: $sgpr10
	s_and_saveexec_b64 s[6:7], vcc
	s_xor_b64 s[6:7], exec, s[6:7]
	s_cbranch_execz .LBB1_2069
; %bb.37909:
	s_getpc_b64 s[14:15]
.Lpost_getpc4618:
	s_add_u32 s14, s14, (.LBB1_16405-.Lpost_getpc4618)&4294967295
	s_addc_u32 s15, s15, (.LBB1_16405-.Lpost_getpc4618)>>32
	s_setpc_b64 s[14:15]
.LBB1_2069:
	s_or_saveexec_b64 s[6:7], s[6:7]
	v_mov_b32_e32 v14, s10
	s_xor_b64 exec, exec, s[6:7]
	s_cbranch_execz .LBB1_2070
; %bb.37911:
	s_getpc_b64 s[14:15]
.Lpost_getpc4619:
	s_add_u32 s14, s14, (.LBB1_16408-.Lpost_getpc4619)&4294967295
	s_addc_u32 s15, s15, (.LBB1_16408-.Lpost_getpc4619)>>32
	s_setpc_b64 s[14:15]
.LBB1_2070:
	s_or_b64 exec, exec, s[6:7]
	s_and_saveexec_b64 s[6:7], s[4:5]
	s_cbranch_execz .LBB1_2072
.LBB1_2071:
	v_bfe_u32 v13, v2, 16, 3
	v_ffbh_u32_e32 v16, v13
	v_min_u32_e32 v16, 32, v16
	v_lshrrev_b32_e32 v14, 19, v2
	v_subrev_u32_e32 v17, 28, v16
	v_and_b32_e32 v14, 15, v14
	v_lshlrev_b32_sdwa v17, v17, v2 dst_sel:DWORD dst_unused:UNUSED_PAD src0_sel:DWORD src1_sel:WORD_1
	v_bfe_u32 v15, v2, 19, 4
	v_sub_u32_e32 v16, 29, v16
	v_and_b32_e32 v17, 7, v17
	v_cmp_eq_u16_e32 vcc, 0, v14
	v_cndmask_b32_e32 v13, v13, v17, vcc
	v_cndmask_b32_e32 v14, v15, v16, vcc
	v_lshlrev_b32_e32 v15, 8, v2
	v_mov_b32_e32 v16, 0x3b800000
	v_lshlrev_b32_e32 v13, 20, v13
	v_and_b32_e32 v15, 0x80000000, v15
	v_lshl_add_u32 v14, v14, 23, v16
	v_or3_b32 v14, v15, v14, v13
.LBB1_2072:
	s_or_b64 exec, exec, s[6:7]
	s_nop 0
	v_mfma_f32_16x16x4f32 a[0:3], v12, v14, a[0:3]
	s_movk_i32 s4, 0x7f
	v_cmp_gt_i16_sdwa s[6:7], v6, s4 src0_sel:BYTE_3 src1_sel:DWORD
	s_mov_b64 s[4:5], 0
                                        ; implicit-def: $sgpr10
	s_and_saveexec_b64 s[8:9], s[6:7]
	s_xor_b64 s[6:7], exec, s[8:9]
	s_cbranch_execz .LBB1_2073
; %bb.37913:
	s_getpc_b64 s[14:15]
.Lpost_getpc4620:
	s_add_u32 s14, s14, (.LBB1_16409-.Lpost_getpc4620)&4294967295
	s_addc_u32 s15, s15, (.LBB1_16409-.Lpost_getpc4620)>>32
	s_setpc_b64 s[14:15]
.LBB1_2073:
	s_or_saveexec_b64 s[6:7], s[6:7]
	v_mov_b32_e32 v12, s10
	s_xor_b64 exec, exec, s[6:7]
	s_cbranch_execz .LBB1_2074
; %bb.37915:
	s_getpc_b64 s[14:15]
.Lpost_getpc4621:
	s_add_u32 s14, s14, (.LBB1_16412-.Lpost_getpc4621)&4294967295
	s_addc_u32 s15, s15, (.LBB1_16412-.Lpost_getpc4621)>>32
	s_setpc_b64 s[14:15]
.LBB1_2074:
	s_or_b64 exec, exec, s[6:7]
	s_and_saveexec_b64 s[6:7], s[4:5]
	s_cbranch_execz .LBB1_2076
.LBB1_2075:
	v_bfe_u32 v12, v6, 24, 3
	v_ffbh_u32_e32 v16, v12
	v_min_u32_e32 v16, 32, v16
	v_lshrrev_b32_e32 v14, 27, v6
	v_subrev_u32_e32 v17, 28, v16
	v_and_b32_e32 v13, 0x80000000, v6
	v_and_b32_e32 v14, 15, v14
	v_bfe_u32 v15, v6, 27, 4
	v_lshlrev_b32_sdwa v6, v17, v6 dst_sel:DWORD dst_unused:UNUSED_PAD src0_sel:DWORD src1_sel:BYTE_3
	v_sub_u32_e32 v16, 29, v16
	v_and_b32_e32 v6, 7, v6
	v_cmp_eq_u16_e32 vcc, 0, v14
	v_cndmask_b32_e32 v6, v12, v6, vcc
	v_cndmask_b32_e32 v12, v15, v16, vcc
	v_mov_b32_e32 v14, 0x3b800000
	v_lshlrev_b32_e32 v6, 20, v6
	v_lshl_add_u32 v12, v12, 23, v14
	v_or3_b32 v12, v13, v12, v6
.LBB1_2076:
	s_or_b64 exec, exec, s[6:7]
	s_movk_i32 s4, 0x7f
	v_cmp_gt_i16_sdwa s[6:7], v2, s4 src0_sel:BYTE_3 src1_sel:DWORD
	s_mov_b64 s[4:5], 0
                                        ; implicit-def: $sgpr10
	s_and_saveexec_b64 s[8:9], s[6:7]
	s_xor_b64 s[6:7], exec, s[8:9]
	s_cbranch_execz .LBB1_2077
; %bb.37917:
	s_getpc_b64 s[14:15]
.Lpost_getpc4622:
	s_add_u32 s14, s14, (.LBB1_16413-.Lpost_getpc4622)&4294967295
	s_addc_u32 s15, s15, (.LBB1_16413-.Lpost_getpc4622)>>32
	s_setpc_b64 s[14:15]
.LBB1_2077:
	s_or_saveexec_b64 s[6:7], s[6:7]
	v_mov_b32_e32 v6, s10
	s_xor_b64 exec, exec, s[6:7]
	s_cbranch_execz .LBB1_2078
; %bb.37919:
	s_getpc_b64 s[14:15]
.Lpost_getpc4623:
	s_add_u32 s14, s14, (.LBB1_16416-.Lpost_getpc4623)&4294967295
	s_addc_u32 s15, s15, (.LBB1_16416-.Lpost_getpc4623)>>32
	s_setpc_b64 s[14:15]
.LBB1_2078:
	s_or_b64 exec, exec, s[6:7]
	s_and_saveexec_b64 s[6:7], s[4:5]
	s_cbranch_execz .LBB1_2080
.LBB1_2079:
	v_bfe_u32 v6, v2, 24, 3
	v_ffbh_u32_e32 v16, v6
	v_min_u32_e32 v16, 32, v16
	v_lshrrev_b32_e32 v14, 27, v2
	v_subrev_u32_e32 v17, 28, v16
	v_and_b32_e32 v13, 0x80000000, v2
	v_and_b32_e32 v14, 15, v14
	v_bfe_u32 v15, v2, 27, 4
	v_lshlrev_b32_sdwa v2, v17, v2 dst_sel:DWORD dst_unused:UNUSED_PAD src0_sel:DWORD src1_sel:BYTE_3
	v_sub_u32_e32 v16, 29, v16
	v_and_b32_e32 v2, 7, v2
	v_cmp_eq_u16_e32 vcc, 0, v14
	v_cndmask_b32_e32 v2, v6, v2, vcc
	v_cndmask_b32_e32 v6, v15, v16, vcc
	v_mov_b32_e32 v14, 0x3b800000
	v_lshlrev_b32_e32 v2, 20, v2
	v_lshl_add_u32 v6, v6, 23, v14
	v_or3_b32 v6, v13, v6, v2
.LBB1_2080:
	s_or_b64 exec, exec, s[6:7]
	s_nop 0
	v_mfma_f32_16x16x4f32 a[0:3], v12, v6, a[0:3]
	s_movk_i32 s4, 0x7f
	v_cmp_gt_i16_sdwa s[6:7], v7, s4 src0_sel:BYTE_0 src1_sel:DWORD
	s_mov_b64 s[4:5], 0
                                        ; implicit-def: $sgpr10
	s_and_saveexec_b64 s[8:9], s[6:7]
	s_xor_b64 s[6:7], exec, s[8:9]
	s_cbranch_execz .LBB1_2081
; %bb.37921:
	s_getpc_b64 s[14:15]
.Lpost_getpc4624:
	s_add_u32 s14, s14, (.LBB1_16417-.Lpost_getpc4624)&4294967295
	s_addc_u32 s15, s15, (.LBB1_16417-.Lpost_getpc4624)>>32
	s_setpc_b64 s[14:15]
.LBB1_2081:
	s_or_saveexec_b64 s[6:7], s[6:7]
	v_mov_b32_e32 v2, s10
	s_xor_b64 exec, exec, s[6:7]
	s_cbranch_execz .LBB1_2082
; %bb.37923:
	s_getpc_b64 s[14:15]
.Lpost_getpc4625:
	s_add_u32 s14, s14, (.LBB1_16420-.Lpost_getpc4625)&4294967295
	s_addc_u32 s15, s15, (.LBB1_16420-.Lpost_getpc4625)>>32
	s_setpc_b64 s[14:15]
.LBB1_2082:
	s_or_b64 exec, exec, s[6:7]
	s_and_saveexec_b64 s[6:7], s[4:5]
	s_cbranch_execz .LBB1_2084
.LBB1_2083:
	v_and_b32_e32 v2, 7, v7
	v_ffbh_u32_e32 v12, v2
	v_min_u32_e32 v12, 32, v12
	v_lshrrev_b16_e32 v6, 3, v7
	v_subrev_u32_e32 v13, 28, v12
	v_and_b32_e32 v6, 15, v6
	v_lshlrev_b32_e32 v13, v13, v7
	v_sub_u32_e32 v12, 29, v12
	v_and_b32_e32 v13, 7, v13
	v_cmp_eq_u16_e32 vcc, 0, v6
	v_cndmask_b32_e32 v2, v2, v13, vcc
	v_cndmask_b32_e32 v6, v6, v12, vcc
	v_lshlrev_b32_e32 v12, 24, v7
	v_mov_b32_e32 v13, 0x3b800000
	v_lshlrev_b32_e32 v2, 20, v2
	v_and_b32_e32 v12, 0x80000000, v12
	v_lshl_add_u32 v6, v6, 23, v13
	v_or3_b32 v2, v12, v6, v2
.LBB1_2084:
	s_or_b64 exec, exec, s[6:7]
	s_movk_i32 s4, 0x7f
	v_cmp_gt_i16_sdwa s[6:7], v3, s4 src0_sel:BYTE_0 src1_sel:DWORD
	s_mov_b64 s[4:5], 0
                                        ; implicit-def: $sgpr10
	s_and_saveexec_b64 s[8:9], s[6:7]
	s_xor_b64 s[6:7], exec, s[8:9]
	s_cbranch_execz .LBB1_2085
; %bb.37925:
	s_getpc_b64 s[14:15]
.Lpost_getpc4626:
	s_add_u32 s14, s14, (.LBB1_16421-.Lpost_getpc4626)&4294967295
	s_addc_u32 s15, s15, (.LBB1_16421-.Lpost_getpc4626)>>32
	s_setpc_b64 s[14:15]
.LBB1_2085:
	s_or_saveexec_b64 s[6:7], s[6:7]
	v_mov_b32_e32 v6, s10
	s_xor_b64 exec, exec, s[6:7]
	s_cbranch_execz .LBB1_2086
; %bb.37927:
	s_getpc_b64 s[14:15]
.Lpost_getpc4627:
	s_add_u32 s14, s14, (.LBB1_16424-.Lpost_getpc4627)&4294967295
	s_addc_u32 s15, s15, (.LBB1_16424-.Lpost_getpc4627)>>32
	s_setpc_b64 s[14:15]
.LBB1_2086:
	s_or_b64 exec, exec, s[6:7]
	s_and_saveexec_b64 s[6:7], s[4:5]
	s_cbranch_execz .LBB1_2088
.LBB1_2087:
	v_and_b32_e32 v6, 7, v3
	v_ffbh_u32_e32 v13, v6
	v_min_u32_e32 v13, 32, v13
	v_lshrrev_b16_e32 v12, 3, v3
	v_subrev_u32_e32 v14, 28, v13
	v_and_b32_e32 v12, 15, v12
	v_lshlrev_b32_e32 v14, v14, v3
	v_sub_u32_e32 v13, 29, v13
	v_and_b32_e32 v14, 7, v14
	v_cmp_eq_u16_e32 vcc, 0, v12
	v_cndmask_b32_e32 v6, v6, v14, vcc
	v_cndmask_b32_e32 v12, v12, v13, vcc
	v_lshlrev_b32_e32 v13, 24, v3
	v_mov_b32_e32 v14, 0x3b800000
	v_lshlrev_b32_e32 v6, 20, v6
	v_and_b32_e32 v13, 0x80000000, v13
	v_lshl_add_u32 v12, v12, 23, v14
	v_or3_b32 v6, v13, v12, v6
.LBB1_2088:
	s_or_b64 exec, exec, s[6:7]
	s_nop 0
	v_mfma_f32_16x16x4f32 a[0:3], v2, v6, a[0:3]
	v_lshrrev_b32_e32 v6, 8, v7
	s_movk_i32 s4, 0x7f
	v_cmp_gt_i16_sdwa s[6:7], v6, s4 src0_sel:BYTE_0 src1_sel:DWORD
	s_mov_b64 s[4:5], 0
                                        ; implicit-def: $sgpr10
	s_and_saveexec_b64 s[8:9], s[6:7]
	s_xor_b64 s[6:7], exec, s[8:9]
	s_cbranch_execz .LBB1_2089
; %bb.37929:
	s_getpc_b64 s[14:15]
.Lpost_getpc4628:
	s_add_u32 s14, s14, (.LBB1_16425-.Lpost_getpc4628)&4294967295
	s_addc_u32 s15, s15, (.LBB1_16425-.Lpost_getpc4628)>>32
	s_setpc_b64 s[14:15]
.LBB1_2089:
	s_or_saveexec_b64 s[6:7], s[6:7]
	v_mov_b32_e32 v2, s10
	s_xor_b64 exec, exec, s[6:7]
	s_cbranch_execz .LBB1_2090
; %bb.37931:
	s_getpc_b64 s[14:15]
.Lpost_getpc4629:
	s_add_u32 s14, s14, (.LBB1_16428-.Lpost_getpc4629)&4294967295
	s_addc_u32 s15, s15, (.LBB1_16428-.Lpost_getpc4629)>>32
	s_setpc_b64 s[14:15]
.LBB1_2090:
	s_or_b64 exec, exec, s[6:7]
	s_and_saveexec_b64 s[6:7], s[4:5]
	s_cbranch_execz .LBB1_2092
.LBB1_2091:
	v_bfe_u32 v2, v7, 8, 3
	v_ffbh_u32_e32 v13, v2
	v_min_u32_e32 v13, 32, v13
	v_lshrrev_b16_e32 v12, 3, v6
	v_subrev_u32_e32 v14, 28, v13
	v_and_b32_e32 v12, 15, v12
	v_lshlrev_b32_e32 v6, v14, v6
	v_sub_u32_e32 v13, 29, v13
	v_and_b32_e32 v6, 7, v6
	v_cmp_eq_u16_e32 vcc, 0, v12
	v_cndmask_b32_e32 v2, v2, v6, vcc
	v_cndmask_b32_e32 v6, v12, v13, vcc
	v_lshlrev_b32_e32 v12, 16, v7
	v_mov_b32_e32 v13, 0x3b800000
	v_lshlrev_b32_e32 v2, 20, v2
	v_and_b32_e32 v12, 0x80000000, v12
	v_lshl_add_u32 v6, v6, 23, v13
	v_or3_b32 v2, v12, v6, v2
.LBB1_2092:
	s_or_b64 exec, exec, s[6:7]
	v_lshrrev_b32_e32 v6, 8, v3
	s_movk_i32 s4, 0x7f
	v_cmp_gt_i16_sdwa s[6:7], v6, s4 src0_sel:BYTE_0 src1_sel:DWORD
	s_mov_b64 s[4:5], 0
                                        ; implicit-def: $sgpr10
	s_and_saveexec_b64 s[8:9], s[6:7]
	s_xor_b64 s[6:7], exec, s[8:9]
	s_cbranch_execz .LBB1_2093
; %bb.37933:
	s_getpc_b64 s[14:15]
.Lpost_getpc4630:
	s_add_u32 s14, s14, (.LBB1_16429-.Lpost_getpc4630)&4294967295
	s_addc_u32 s15, s15, (.LBB1_16429-.Lpost_getpc4630)>>32
	s_setpc_b64 s[14:15]
.LBB1_2093:
	s_or_saveexec_b64 s[6:7], s[6:7]
	v_mov_b32_e32 v12, s10
	s_xor_b64 exec, exec, s[6:7]
	s_cbranch_execz .LBB1_2094
; %bb.37935:
	s_getpc_b64 s[14:15]
.Lpost_getpc4631:
	s_add_u32 s14, s14, (.LBB1_16432-.Lpost_getpc4631)&4294967295
	s_addc_u32 s15, s15, (.LBB1_16432-.Lpost_getpc4631)>>32
	s_setpc_b64 s[14:15]
.LBB1_2094:
	s_or_b64 exec, exec, s[6:7]
	s_and_saveexec_b64 s[6:7], s[4:5]
	s_cbranch_execz .LBB1_2096
.LBB1_2095:
	v_bfe_u32 v12, v3, 8, 3
	v_ffbh_u32_e32 v14, v12
	v_min_u32_e32 v14, 32, v14
	v_lshrrev_b16_e32 v13, 3, v6
	v_subrev_u32_e32 v15, 28, v14
	v_and_b32_e32 v13, 15, v13
	v_lshlrev_b32_e32 v6, v15, v6
	v_sub_u32_e32 v14, 29, v14
	v_and_b32_e32 v6, 7, v6
	v_cmp_eq_u16_e32 vcc, 0, v13
	v_cndmask_b32_e32 v6, v12, v6, vcc
	v_cndmask_b32_e32 v12, v13, v14, vcc
	v_lshlrev_b32_e32 v13, 16, v3
	v_mov_b32_e32 v14, 0x3b800000
	v_lshlrev_b32_e32 v6, 20, v6
	v_and_b32_e32 v13, 0x80000000, v13
	v_lshl_add_u32 v12, v12, 23, v14
	v_or3_b32 v12, v13, v12, v6
.LBB1_2096:
	s_or_b64 exec, exec, s[6:7]
	s_nop 0
	v_mfma_f32_16x16x4f32 a[0:3], v2, v12, a[0:3]
	s_movk_i32 s4, 0xff
	v_and_b32_sdwa v6, v7, s4 dst_sel:DWORD dst_unused:UNUSED_PAD src0_sel:WORD_1 src1_sel:DWORD
	s_movk_i32 s4, 0x7f
	v_cmp_lt_i16_e32 vcc, s4, v6
	s_mov_b64 s[4:5], 0
                                        ; implicit-def: $sgpr10
	s_and_saveexec_b64 s[6:7], vcc
	s_xor_b64 s[6:7], exec, s[6:7]
	s_cbranch_execz .LBB1_2097
; %bb.37937:
	s_getpc_b64 s[14:15]
.Lpost_getpc4632:
	s_add_u32 s14, s14, (.LBB1_16433-.Lpost_getpc4632)&4294967295
	s_addc_u32 s15, s15, (.LBB1_16433-.Lpost_getpc4632)>>32
	s_setpc_b64 s[14:15]
.LBB1_2097:
	s_or_saveexec_b64 s[6:7], s[6:7]
	v_mov_b32_e32 v2, s10
	s_xor_b64 exec, exec, s[6:7]
	s_cbranch_execz .LBB1_2098
; %bb.37939:
	s_getpc_b64 s[14:15]
.Lpost_getpc4633:
	s_add_u32 s14, s14, (.LBB1_16436-.Lpost_getpc4633)&4294967295
	s_addc_u32 s15, s15, (.LBB1_16436-.Lpost_getpc4633)>>32
	s_setpc_b64 s[14:15]
.LBB1_2098:
	s_or_b64 exec, exec, s[6:7]
	s_and_saveexec_b64 s[6:7], s[4:5]
	s_cbranch_execz .LBB1_2100
.LBB1_2099:
	v_bfe_u32 v2, v7, 16, 3
	v_ffbh_u32_e32 v13, v2
	v_min_u32_e32 v13, 32, v13
	v_lshrrev_b32_e32 v6, 19, v7
	v_subrev_u32_e32 v14, 28, v13
	v_and_b32_e32 v6, 15, v6
	v_lshlrev_b32_sdwa v14, v14, v7 dst_sel:DWORD dst_unused:UNUSED_PAD src0_sel:DWORD src1_sel:WORD_1
	v_bfe_u32 v12, v7, 19, 4
	v_sub_u32_e32 v13, 29, v13
	v_and_b32_e32 v14, 7, v14
	v_cmp_eq_u16_e32 vcc, 0, v6
	v_cndmask_b32_e32 v2, v2, v14, vcc
	v_cndmask_b32_e32 v6, v12, v13, vcc
	v_lshlrev_b32_e32 v12, 8, v7
	v_mov_b32_e32 v13, 0x3b800000
	v_lshlrev_b32_e32 v2, 20, v2
	v_and_b32_e32 v12, 0x80000000, v12
	v_lshl_add_u32 v6, v6, 23, v13
	v_or3_b32 v2, v12, v6, v2
.LBB1_2100:
	s_or_b64 exec, exec, s[6:7]
	s_movk_i32 s4, 0xff
	v_and_b32_sdwa v6, v3, s4 dst_sel:DWORD dst_unused:UNUSED_PAD src0_sel:WORD_1 src1_sel:DWORD
	s_movk_i32 s4, 0x7f
	v_cmp_lt_i16_e32 vcc, s4, v6
	s_mov_b64 s[4:5], 0
                                        ; implicit-def: $sgpr10
	s_and_saveexec_b64 s[6:7], vcc
	s_xor_b64 s[6:7], exec, s[6:7]
	s_cbranch_execz .LBB1_2101
; %bb.37941:
	s_getpc_b64 s[14:15]
.Lpost_getpc4634:
	s_add_u32 s14, s14, (.LBB1_16437-.Lpost_getpc4634)&4294967295
	s_addc_u32 s15, s15, (.LBB1_16437-.Lpost_getpc4634)>>32
	s_setpc_b64 s[14:15]
.LBB1_2101:
	s_or_saveexec_b64 s[6:7], s[6:7]
	v_mov_b32_e32 v12, s10
	s_xor_b64 exec, exec, s[6:7]
	s_cbranch_execz .LBB1_2102
; %bb.37943:
	s_getpc_b64 s[14:15]
.Lpost_getpc4635:
	s_add_u32 s14, s14, (.LBB1_16440-.Lpost_getpc4635)&4294967295
	s_addc_u32 s15, s15, (.LBB1_16440-.Lpost_getpc4635)>>32
	s_setpc_b64 s[14:15]
.LBB1_2102:
	s_or_b64 exec, exec, s[6:7]
	s_and_saveexec_b64 s[6:7], s[4:5]
	s_cbranch_execz .LBB1_2104
.LBB1_2103:
	v_bfe_u32 v6, v3, 16, 3
	v_ffbh_u32_e32 v14, v6
	v_min_u32_e32 v14, 32, v14
	v_lshrrev_b32_e32 v12, 19, v3
	v_subrev_u32_e32 v15, 28, v14
	v_and_b32_e32 v12, 15, v12
	v_lshlrev_b32_sdwa v15, v15, v3 dst_sel:DWORD dst_unused:UNUSED_PAD src0_sel:DWORD src1_sel:WORD_1
	v_bfe_u32 v13, v3, 19, 4
	v_sub_u32_e32 v14, 29, v14
	v_and_b32_e32 v15, 7, v15
	v_cmp_eq_u16_e32 vcc, 0, v12
	v_cndmask_b32_e32 v6, v6, v15, vcc
	v_cndmask_b32_e32 v12, v13, v14, vcc
	v_lshlrev_b32_e32 v13, 8, v3
	v_mov_b32_e32 v14, 0x3b800000
	v_lshlrev_b32_e32 v6, 20, v6
	v_and_b32_e32 v13, 0x80000000, v13
	v_lshl_add_u32 v12, v12, 23, v14
	v_or3_b32 v12, v13, v12, v6
.LBB1_2104:
	s_or_b64 exec, exec, s[6:7]
	s_nop 0
	v_mfma_f32_16x16x4f32 a[0:3], v2, v12, a[0:3]
	s_movk_i32 s4, 0x7f
	v_cmp_gt_i16_sdwa s[6:7], v7, s4 src0_sel:BYTE_3 src1_sel:DWORD
	s_mov_b64 s[4:5], 0
                                        ; implicit-def: $sgpr10
	s_and_saveexec_b64 s[8:9], s[6:7]
	s_xor_b64 s[6:7], exec, s[8:9]
	s_cbranch_execz .LBB1_2105
; %bb.37945:
	s_getpc_b64 s[14:15]
.Lpost_getpc4636:
	s_add_u32 s14, s14, (.LBB1_16441-.Lpost_getpc4636)&4294967295
	s_addc_u32 s15, s15, (.LBB1_16441-.Lpost_getpc4636)>>32
	s_setpc_b64 s[14:15]
.LBB1_2105:
	s_or_saveexec_b64 s[6:7], s[6:7]
	v_mov_b32_e32 v2, s10
	s_xor_b64 exec, exec, s[6:7]
	s_cbranch_execz .LBB1_2106
; %bb.37947:
	s_getpc_b64 s[14:15]
.Lpost_getpc4637:
	s_add_u32 s14, s14, (.LBB1_16444-.Lpost_getpc4637)&4294967295
	s_addc_u32 s15, s15, (.LBB1_16444-.Lpost_getpc4637)>>32
	s_setpc_b64 s[14:15]
.LBB1_2106:
	s_or_b64 exec, exec, s[6:7]
	s_and_saveexec_b64 s[6:7], s[4:5]
	s_cbranch_execz .LBB1_2108
.LBB1_2107:
	v_bfe_u32 v2, v7, 24, 3
	v_ffbh_u32_e32 v14, v2
	v_min_u32_e32 v14, 32, v14
	v_lshrrev_b32_e32 v12, 27, v7
	v_subrev_u32_e32 v15, 28, v14
	v_and_b32_e32 v6, 0x80000000, v7
	v_and_b32_e32 v12, 15, v12
	v_bfe_u32 v13, v7, 27, 4
	v_lshlrev_b32_sdwa v7, v15, v7 dst_sel:DWORD dst_unused:UNUSED_PAD src0_sel:DWORD src1_sel:BYTE_3
	v_sub_u32_e32 v14, 29, v14
	v_and_b32_e32 v7, 7, v7
	v_cmp_eq_u16_e32 vcc, 0, v12
	v_cndmask_b32_e32 v2, v2, v7, vcc
	v_cndmask_b32_e32 v7, v13, v14, vcc
	v_mov_b32_e32 v12, 0x3b800000
	v_lshlrev_b32_e32 v2, 20, v2
	v_lshl_add_u32 v7, v7, 23, v12
	v_or3_b32 v2, v6, v7, v2
.LBB1_2108:
	s_or_b64 exec, exec, s[6:7]
	s_movk_i32 s4, 0x7f
	v_cmp_gt_i16_sdwa s[6:7], v3, s4 src0_sel:BYTE_3 src1_sel:DWORD
	s_mov_b64 s[4:5], 0
                                        ; implicit-def: $sgpr10
	s_and_saveexec_b64 s[8:9], s[6:7]
	s_xor_b64 s[6:7], exec, s[8:9]
	s_cbranch_execz .LBB1_2109
; %bb.37949:
	s_getpc_b64 s[14:15]
.Lpost_getpc4638:
	s_add_u32 s14, s14, (.LBB1_16445-.Lpost_getpc4638)&4294967295
	s_addc_u32 s15, s15, (.LBB1_16445-.Lpost_getpc4638)>>32
	s_setpc_b64 s[14:15]
.LBB1_2109:
	s_or_saveexec_b64 s[6:7], s[6:7]
	v_mov_b32_e32 v6, s10
	s_xor_b64 exec, exec, s[6:7]
	s_cbranch_execz .LBB1_2110
; %bb.37951:
	s_getpc_b64 s[14:15]
.Lpost_getpc4639:
	s_add_u32 s14, s14, (.LBB1_16448-.Lpost_getpc4639)&4294967295
	s_addc_u32 s15, s15, (.LBB1_16448-.Lpost_getpc4639)>>32
	s_setpc_b64 s[14:15]
.LBB1_2110:
	s_or_b64 exec, exec, s[6:7]
	s_and_saveexec_b64 s[6:7], s[4:5]
	s_cbranch_execz .LBB1_2112
.LBB1_2111:
	v_bfe_u32 v6, v3, 24, 3
	v_ffbh_u32_e32 v14, v6
	v_min_u32_e32 v14, 32, v14
	v_lshrrev_b32_e32 v12, 27, v3
	v_subrev_u32_e32 v15, 28, v14
	v_and_b32_e32 v7, 0x80000000, v3
	v_and_b32_e32 v12, 15, v12
	v_bfe_u32 v13, v3, 27, 4
	v_lshlrev_b32_sdwa v3, v15, v3 dst_sel:DWORD dst_unused:UNUSED_PAD src0_sel:DWORD src1_sel:BYTE_3
	v_sub_u32_e32 v14, 29, v14
	v_and_b32_e32 v3, 7, v3
	v_cmp_eq_u16_e32 vcc, 0, v12
	v_cndmask_b32_e32 v3, v6, v3, vcc
	v_cndmask_b32_e32 v6, v13, v14, vcc
	v_mov_b32_e32 v12, 0x3b800000
	v_lshlrev_b32_e32 v3, 20, v3
	v_lshl_add_u32 v6, v6, 23, v12
	v_or3_b32 v6, v7, v6, v3
.LBB1_2112:
	s_or_b64 exec, exec, s[6:7]
	s_nop 0
	v_mfma_f32_16x16x4f32 a[0:3], v2, v6, a[0:3]
	s_movk_i32 s4, 0x7f
	v_cmp_gt_i16_sdwa s[6:7], v8, s4 src0_sel:BYTE_0 src1_sel:DWORD
	s_mov_b64 s[4:5], 0
                                        ; implicit-def: $sgpr10
	s_and_saveexec_b64 s[8:9], s[6:7]
	s_xor_b64 s[6:7], exec, s[8:9]
	s_cbranch_execz .LBB1_2113
; %bb.37953:
	s_getpc_b64 s[14:15]
.Lpost_getpc4640:
	s_add_u32 s14, s14, (.LBB1_16449-.Lpost_getpc4640)&4294967295
	s_addc_u32 s15, s15, (.LBB1_16449-.Lpost_getpc4640)>>32
	s_setpc_b64 s[14:15]
.LBB1_2113:
	s_or_saveexec_b64 s[6:7], s[6:7]
	v_mov_b32_e32 v2, s10
	s_xor_b64 exec, exec, s[6:7]
	s_cbranch_execz .LBB1_2114
; %bb.37955:
	s_getpc_b64 s[14:15]
.Lpost_getpc4641:
	s_add_u32 s14, s14, (.LBB1_16452-.Lpost_getpc4641)&4294967295
	s_addc_u32 s15, s15, (.LBB1_16452-.Lpost_getpc4641)>>32
	s_setpc_b64 s[14:15]
.LBB1_2114:
	s_or_b64 exec, exec, s[6:7]
	s_and_saveexec_b64 s[6:7], s[4:5]
	s_cbranch_execz .LBB1_2116
.LBB1_2115:
	v_and_b32_e32 v2, 7, v8
	v_ffbh_u32_e32 v6, v2
	v_min_u32_e32 v6, 32, v6
	v_lshrrev_b16_e32 v3, 3, v8
	v_subrev_u32_e32 v7, 28, v6
	v_and_b32_e32 v3, 15, v3
	v_lshlrev_b32_e32 v7, v7, v8
	v_sub_u32_e32 v6, 29, v6
	v_and_b32_e32 v7, 7, v7
	v_cmp_eq_u16_e32 vcc, 0, v3
	v_cndmask_b32_e32 v2, v2, v7, vcc
	v_cndmask_b32_e32 v3, v3, v6, vcc
	v_lshlrev_b32_e32 v6, 24, v8
	v_mov_b32_e32 v7, 0x3b800000
	v_lshlrev_b32_e32 v2, 20, v2
	v_and_b32_e32 v6, 0x80000000, v6
	v_lshl_add_u32 v3, v3, 23, v7
	v_or3_b32 v2, v6, v3, v2
.LBB1_2116:
	s_or_b64 exec, exec, s[6:7]
	s_movk_i32 s4, 0x7f
	v_cmp_gt_i16_sdwa s[6:7], v4, s4 src0_sel:BYTE_0 src1_sel:DWORD
	s_mov_b64 s[4:5], 0
                                        ; implicit-def: $sgpr10
	s_and_saveexec_b64 s[8:9], s[6:7]
	s_xor_b64 s[6:7], exec, s[8:9]
	s_cbranch_execz .LBB1_2117
; %bb.37957:
	s_getpc_b64 s[14:15]
.Lpost_getpc4642:
	s_add_u32 s14, s14, (.LBB1_16453-.Lpost_getpc4642)&4294967295
	s_addc_u32 s15, s15, (.LBB1_16453-.Lpost_getpc4642)>>32
	s_setpc_b64 s[14:15]
.LBB1_2117:
	s_or_saveexec_b64 s[6:7], s[6:7]
	v_mov_b32_e32 v3, s10
	s_xor_b64 exec, exec, s[6:7]
	s_cbranch_execz .LBB1_2118
; %bb.37959:
	s_getpc_b64 s[14:15]
.Lpost_getpc4643:
	s_add_u32 s14, s14, (.LBB1_16456-.Lpost_getpc4643)&4294967295
	s_addc_u32 s15, s15, (.LBB1_16456-.Lpost_getpc4643)>>32
	s_setpc_b64 s[14:15]
.LBB1_2118:
	s_or_b64 exec, exec, s[6:7]
	s_and_saveexec_b64 s[6:7], s[4:5]
	s_cbranch_execz .LBB1_2120
.LBB1_2119:
	v_and_b32_e32 v3, 7, v4
	v_ffbh_u32_e32 v7, v3
	v_min_u32_e32 v7, 32, v7
	v_lshrrev_b16_e32 v6, 3, v4
	v_subrev_u32_e32 v12, 28, v7
	v_and_b32_e32 v6, 15, v6
	v_lshlrev_b32_e32 v12, v12, v4
	v_sub_u32_e32 v7, 29, v7
	v_and_b32_e32 v12, 7, v12
	v_cmp_eq_u16_e32 vcc, 0, v6
	v_cndmask_b32_e32 v3, v3, v12, vcc
	v_cndmask_b32_e32 v6, v6, v7, vcc
	v_lshlrev_b32_e32 v7, 24, v4
	v_mov_b32_e32 v12, 0x3b800000
	v_lshlrev_b32_e32 v3, 20, v3
	v_and_b32_e32 v7, 0x80000000, v7
	v_lshl_add_u32 v6, v6, 23, v12
	v_or3_b32 v3, v7, v6, v3
.LBB1_2120:
	s_or_b64 exec, exec, s[6:7]
	s_nop 0
	v_mfma_f32_16x16x4f32 a[0:3], v2, v3, a[0:3]
	v_lshrrev_b32_e32 v3, 8, v8
	s_movk_i32 s4, 0x7f
	v_cmp_gt_i16_sdwa s[6:7], v3, s4 src0_sel:BYTE_0 src1_sel:DWORD
	s_mov_b64 s[4:5], 0
                                        ; implicit-def: $sgpr10
	s_and_saveexec_b64 s[8:9], s[6:7]
	s_xor_b64 s[6:7], exec, s[8:9]
	s_cbranch_execz .LBB1_2121
; %bb.37961:
	s_getpc_b64 s[14:15]
.Lpost_getpc4644:
	s_add_u32 s14, s14, (.LBB1_16457-.Lpost_getpc4644)&4294967295
	s_addc_u32 s15, s15, (.LBB1_16457-.Lpost_getpc4644)>>32
	s_setpc_b64 s[14:15]
.LBB1_2121:
	s_or_saveexec_b64 s[6:7], s[6:7]
	v_mov_b32_e32 v2, s10
	s_xor_b64 exec, exec, s[6:7]
	s_cbranch_execz .LBB1_2122
; %bb.37963:
	s_getpc_b64 s[14:15]
.Lpost_getpc4645:
	s_add_u32 s14, s14, (.LBB1_16460-.Lpost_getpc4645)&4294967295
	s_addc_u32 s15, s15, (.LBB1_16460-.Lpost_getpc4645)>>32
	s_setpc_b64 s[14:15]
.LBB1_2122:
	s_or_b64 exec, exec, s[6:7]
	s_and_saveexec_b64 s[6:7], s[4:5]
	s_cbranch_execz .LBB1_2124
.LBB1_2123:
	v_bfe_u32 v2, v8, 8, 3
	v_ffbh_u32_e32 v7, v2
	v_min_u32_e32 v7, 32, v7
	v_lshrrev_b16_e32 v6, 3, v3
	v_subrev_u32_e32 v12, 28, v7
	v_and_b32_e32 v6, 15, v6
	v_lshlrev_b32_e32 v3, v12, v3
	v_sub_u32_e32 v7, 29, v7
	v_and_b32_e32 v3, 7, v3
	v_cmp_eq_u16_e32 vcc, 0, v6
	v_cndmask_b32_e32 v2, v2, v3, vcc
	v_cndmask_b32_e32 v3, v6, v7, vcc
	v_lshlrev_b32_e32 v6, 16, v8
	v_mov_b32_e32 v7, 0x3b800000
	v_lshlrev_b32_e32 v2, 20, v2
	v_and_b32_e32 v6, 0x80000000, v6
	v_lshl_add_u32 v3, v3, 23, v7
	v_or3_b32 v2, v6, v3, v2
.LBB1_2124:
	s_or_b64 exec, exec, s[6:7]
	v_lshrrev_b32_e32 v3, 8, v4
	s_movk_i32 s4, 0x7f
	v_cmp_gt_i16_sdwa s[6:7], v3, s4 src0_sel:BYTE_0 src1_sel:DWORD
	s_mov_b64 s[4:5], 0
                                        ; implicit-def: $sgpr10
	s_and_saveexec_b64 s[8:9], s[6:7]
	s_xor_b64 s[6:7], exec, s[8:9]
	s_cbranch_execz .LBB1_2125
; %bb.37965:
	s_getpc_b64 s[14:15]
.Lpost_getpc4646:
	s_add_u32 s14, s14, (.LBB1_16461-.Lpost_getpc4646)&4294967295
	s_addc_u32 s15, s15, (.LBB1_16461-.Lpost_getpc4646)>>32
	s_setpc_b64 s[14:15]
.LBB1_2125:
	s_or_saveexec_b64 s[6:7], s[6:7]
	v_mov_b32_e32 v6, s10
	s_xor_b64 exec, exec, s[6:7]
	s_cbranch_execz .LBB1_2126
; %bb.37967:
	s_getpc_b64 s[14:15]
.Lpost_getpc4647:
	s_add_u32 s14, s14, (.LBB1_16464-.Lpost_getpc4647)&4294967295
	s_addc_u32 s15, s15, (.LBB1_16464-.Lpost_getpc4647)>>32
	s_setpc_b64 s[14:15]
.LBB1_2126:
	s_or_b64 exec, exec, s[6:7]
	s_and_saveexec_b64 s[6:7], s[4:5]
	s_cbranch_execz .LBB1_2128
.LBB1_2127:
	v_bfe_u32 v6, v4, 8, 3
	v_ffbh_u32_e32 v12, v6
	v_min_u32_e32 v12, 32, v12
	v_lshrrev_b16_e32 v7, 3, v3
	v_subrev_u32_e32 v13, 28, v12
	v_and_b32_e32 v7, 15, v7
	v_lshlrev_b32_e32 v3, v13, v3
	v_sub_u32_e32 v12, 29, v12
	v_and_b32_e32 v3, 7, v3
	v_cmp_eq_u16_e32 vcc, 0, v7
	v_cndmask_b32_e32 v3, v6, v3, vcc
	v_cndmask_b32_e32 v6, v7, v12, vcc
	v_lshlrev_b32_e32 v7, 16, v4
	v_mov_b32_e32 v12, 0x3b800000
	v_lshlrev_b32_e32 v3, 20, v3
	v_and_b32_e32 v7, 0x80000000, v7
	v_lshl_add_u32 v6, v6, 23, v12
	v_or3_b32 v6, v7, v6, v3
.LBB1_2128:
	s_or_b64 exec, exec, s[6:7]
	s_nop 0
	v_mfma_f32_16x16x4f32 a[0:3], v2, v6, a[0:3]
	s_movk_i32 s4, 0xff
	v_and_b32_sdwa v3, v8, s4 dst_sel:DWORD dst_unused:UNUSED_PAD src0_sel:WORD_1 src1_sel:DWORD
	s_movk_i32 s4, 0x7f
	v_cmp_lt_i16_e32 vcc, s4, v3
	s_mov_b64 s[4:5], 0
                                        ; implicit-def: $sgpr10
	s_and_saveexec_b64 s[6:7], vcc
	s_xor_b64 s[6:7], exec, s[6:7]
	s_cbranch_execz .LBB1_2129
; %bb.37969:
	s_getpc_b64 s[14:15]
.Lpost_getpc4648:
	s_add_u32 s14, s14, (.LBB1_16465-.Lpost_getpc4648)&4294967295
	s_addc_u32 s15, s15, (.LBB1_16465-.Lpost_getpc4648)>>32
	s_setpc_b64 s[14:15]
.LBB1_2129:
	s_or_saveexec_b64 s[6:7], s[6:7]
	v_mov_b32_e32 v2, s10
	s_xor_b64 exec, exec, s[6:7]
	s_cbranch_execz .LBB1_2130
; %bb.37971:
	s_getpc_b64 s[14:15]
.Lpost_getpc4649:
	s_add_u32 s14, s14, (.LBB1_16468-.Lpost_getpc4649)&4294967295
	s_addc_u32 s15, s15, (.LBB1_16468-.Lpost_getpc4649)>>32
	s_setpc_b64 s[14:15]
.LBB1_2130:
	s_or_b64 exec, exec, s[6:7]
	s_and_saveexec_b64 s[6:7], s[4:5]
	s_cbranch_execz .LBB1_2132
.LBB1_2131:
	v_bfe_u32 v2, v8, 16, 3
	v_ffbh_u32_e32 v7, v2
	v_min_u32_e32 v7, 32, v7
	v_lshrrev_b32_e32 v3, 19, v8
	v_subrev_u32_e32 v12, 28, v7
	v_and_b32_e32 v3, 15, v3
	v_lshlrev_b32_sdwa v12, v12, v8 dst_sel:DWORD dst_unused:UNUSED_PAD src0_sel:DWORD src1_sel:WORD_1
	v_bfe_u32 v6, v8, 19, 4
	v_sub_u32_e32 v7, 29, v7
	v_and_b32_e32 v12, 7, v12
	v_cmp_eq_u16_e32 vcc, 0, v3
	v_cndmask_b32_e32 v2, v2, v12, vcc
	v_cndmask_b32_e32 v3, v6, v7, vcc
	v_lshlrev_b32_e32 v6, 8, v8
	v_mov_b32_e32 v7, 0x3b800000
	v_lshlrev_b32_e32 v2, 20, v2
	v_and_b32_e32 v6, 0x80000000, v6
	v_lshl_add_u32 v3, v3, 23, v7
	v_or3_b32 v2, v6, v3, v2
.LBB1_2132:
	s_or_b64 exec, exec, s[6:7]
	s_movk_i32 s4, 0xff
	v_and_b32_sdwa v3, v4, s4 dst_sel:DWORD dst_unused:UNUSED_PAD src0_sel:WORD_1 src1_sel:DWORD
	s_movk_i32 s4, 0x7f
	v_cmp_lt_i16_e32 vcc, s4, v3
	s_mov_b64 s[4:5], 0
                                        ; implicit-def: $sgpr10
	s_and_saveexec_b64 s[6:7], vcc
	s_xor_b64 s[6:7], exec, s[6:7]
	s_cbranch_execz .LBB1_2133
; %bb.37973:
	s_getpc_b64 s[14:15]
.Lpost_getpc4650:
	s_add_u32 s14, s14, (.LBB1_16469-.Lpost_getpc4650)&4294967295
	s_addc_u32 s15, s15, (.LBB1_16469-.Lpost_getpc4650)>>32
	s_setpc_b64 s[14:15]
.LBB1_2133:
	s_or_saveexec_b64 s[6:7], s[6:7]
	v_mov_b32_e32 v6, s10
	s_xor_b64 exec, exec, s[6:7]
	s_cbranch_execz .LBB1_2134
; %bb.37975:
	s_getpc_b64 s[14:15]
.Lpost_getpc4651:
	s_add_u32 s14, s14, (.LBB1_16472-.Lpost_getpc4651)&4294967295
	s_addc_u32 s15, s15, (.LBB1_16472-.Lpost_getpc4651)>>32
	s_setpc_b64 s[14:15]
.LBB1_2134:
	s_or_b64 exec, exec, s[6:7]
	s_and_saveexec_b64 s[6:7], s[4:5]
	s_cbranch_execz .LBB1_2136
.LBB1_2135:
	v_bfe_u32 v3, v4, 16, 3
	v_ffbh_u32_e32 v12, v3
	v_min_u32_e32 v12, 32, v12
	v_lshrrev_b32_e32 v6, 19, v4
	v_subrev_u32_e32 v13, 28, v12
	v_and_b32_e32 v6, 15, v6
	v_lshlrev_b32_sdwa v13, v13, v4 dst_sel:DWORD dst_unused:UNUSED_PAD src0_sel:DWORD src1_sel:WORD_1
	v_bfe_u32 v7, v4, 19, 4
	v_sub_u32_e32 v12, 29, v12
	v_and_b32_e32 v13, 7, v13
	v_cmp_eq_u16_e32 vcc, 0, v6
	v_cndmask_b32_e32 v3, v3, v13, vcc
	v_cndmask_b32_e32 v6, v7, v12, vcc
	v_lshlrev_b32_e32 v7, 8, v4
	v_mov_b32_e32 v12, 0x3b800000
	v_lshlrev_b32_e32 v3, 20, v3
	v_and_b32_e32 v7, 0x80000000, v7
	v_lshl_add_u32 v6, v6, 23, v12
	v_or3_b32 v6, v7, v6, v3
.LBB1_2136:
	s_or_b64 exec, exec, s[6:7]
	s_nop 0
	v_mfma_f32_16x16x4f32 a[0:3], v2, v6, a[0:3]
	s_movk_i32 s4, 0x7f
	v_cmp_gt_i16_sdwa s[6:7], v8, s4 src0_sel:BYTE_3 src1_sel:DWORD
	s_mov_b64 s[4:5], 0
                                        ; implicit-def: $sgpr10
	s_and_saveexec_b64 s[8:9], s[6:7]
	s_xor_b64 s[6:7], exec, s[8:9]
	s_cbranch_execz .LBB1_2137
; %bb.37977:
	s_getpc_b64 s[14:15]
.Lpost_getpc4652:
	s_add_u32 s14, s14, (.LBB1_16473-.Lpost_getpc4652)&4294967295
	s_addc_u32 s15, s15, (.LBB1_16473-.Lpost_getpc4652)>>32
	s_setpc_b64 s[14:15]
.LBB1_2137:
	s_or_saveexec_b64 s[6:7], s[6:7]
	v_mov_b32_e32 v2, s10
	s_xor_b64 exec, exec, s[6:7]
	s_cbranch_execz .LBB1_2138
; %bb.37979:
	s_getpc_b64 s[14:15]
.Lpost_getpc4653:
	s_add_u32 s14, s14, (.LBB1_16476-.Lpost_getpc4653)&4294967295
	s_addc_u32 s15, s15, (.LBB1_16476-.Lpost_getpc4653)>>32
	s_setpc_b64 s[14:15]
.LBB1_2138:
	s_or_b64 exec, exec, s[6:7]
	s_and_saveexec_b64 s[6:7], s[4:5]
	s_cbranch_execz .LBB1_2140
.LBB1_2139:
	v_bfe_u32 v2, v8, 24, 3
	v_ffbh_u32_e32 v12, v2
	v_min_u32_e32 v12, 32, v12
	v_lshrrev_b32_e32 v6, 27, v8
	v_subrev_u32_e32 v13, 28, v12
	v_and_b32_e32 v3, 0x80000000, v8
	v_and_b32_e32 v6, 15, v6
	v_bfe_u32 v7, v8, 27, 4
	v_lshlrev_b32_sdwa v8, v13, v8 dst_sel:DWORD dst_unused:UNUSED_PAD src0_sel:DWORD src1_sel:BYTE_3
	v_sub_u32_e32 v12, 29, v12
	v_and_b32_e32 v8, 7, v8
	v_cmp_eq_u16_e32 vcc, 0, v6
	v_cndmask_b32_e32 v2, v2, v8, vcc
	v_cndmask_b32_e32 v6, v7, v12, vcc
	v_mov_b32_e32 v7, 0x3b800000
	v_lshlrev_b32_e32 v2, 20, v2
	v_lshl_add_u32 v6, v6, 23, v7
	v_or3_b32 v2, v3, v6, v2
.LBB1_2140:
	s_or_b64 exec, exec, s[6:7]
	s_movk_i32 s4, 0x7f
	v_cmp_gt_i16_sdwa s[6:7], v4, s4 src0_sel:BYTE_3 src1_sel:DWORD
	s_mov_b64 s[4:5], 0
                                        ; implicit-def: $sgpr10
	s_and_saveexec_b64 s[8:9], s[6:7]
	s_xor_b64 s[6:7], exec, s[8:9]
	s_cbranch_execz .LBB1_2141
; %bb.37981:
	s_getpc_b64 s[14:15]
.Lpost_getpc4654:
	s_add_u32 s14, s14, (.LBB1_16477-.Lpost_getpc4654)&4294967295
	s_addc_u32 s15, s15, (.LBB1_16477-.Lpost_getpc4654)>>32
	s_setpc_b64 s[14:15]
.LBB1_2141:
	s_or_saveexec_b64 s[6:7], s[6:7]
	v_mov_b32_e32 v3, s10
	s_xor_b64 exec, exec, s[6:7]
	s_cbranch_execz .LBB1_2142
; %bb.37983:
	s_getpc_b64 s[14:15]
.Lpost_getpc4655:
	s_add_u32 s14, s14, (.LBB1_16480-.Lpost_getpc4655)&4294967295
	s_addc_u32 s15, s15, (.LBB1_16480-.Lpost_getpc4655)>>32
	s_setpc_b64 s[14:15]
.LBB1_2142:
	s_or_b64 exec, exec, s[6:7]
	s_and_saveexec_b64 s[6:7], s[4:5]
	s_cbranch_execz .LBB1_2144
.LBB1_2143:
	v_bfe_u32 v3, v4, 24, 3
	v_ffbh_u32_e32 v12, v3
	v_min_u32_e32 v12, 32, v12
	v_lshrrev_b32_e32 v7, 27, v4
	v_subrev_u32_e32 v13, 28, v12
	v_and_b32_e32 v6, 0x80000000, v4
	v_and_b32_e32 v7, 15, v7
	v_bfe_u32 v8, v4, 27, 4
	v_lshlrev_b32_sdwa v4, v13, v4 dst_sel:DWORD dst_unused:UNUSED_PAD src0_sel:DWORD src1_sel:BYTE_3
	v_sub_u32_e32 v12, 29, v12
	v_and_b32_e32 v4, 7, v4
	v_cmp_eq_u16_e32 vcc, 0, v7
	v_cndmask_b32_e32 v3, v3, v4, vcc
	v_cndmask_b32_e32 v4, v8, v12, vcc
	v_mov_b32_e32 v7, 0x3b800000
	v_lshlrev_b32_e32 v3, 20, v3
	v_lshl_add_u32 v4, v4, 23, v7
	v_or3_b32 v3, v6, v4, v3
.LBB1_2144:
	s_or_b64 exec, exec, s[6:7]
	s_nop 0
	v_mfma_f32_16x16x4f32 a[0:3], v2, v3, a[0:3]
	s_movk_i32 s4, 0x7f
	v_cmp_gt_i16_sdwa s[6:7], v9, s4 src0_sel:BYTE_0 src1_sel:DWORD
	s_mov_b64 s[4:5], 0
                                        ; implicit-def: $sgpr10
	s_and_saveexec_b64 s[8:9], s[6:7]
	s_xor_b64 s[6:7], exec, s[8:9]
	s_cbranch_execz .LBB1_2145
; %bb.37985:
	s_getpc_b64 s[14:15]
.Lpost_getpc4656:
	s_add_u32 s14, s14, (.LBB1_16481-.Lpost_getpc4656)&4294967295
	s_addc_u32 s15, s15, (.LBB1_16481-.Lpost_getpc4656)>>32
	s_setpc_b64 s[14:15]
.LBB1_2145:
	s_or_saveexec_b64 s[6:7], s[6:7]
	v_mov_b32_e32 v2, s10
	s_xor_b64 exec, exec, s[6:7]
	s_cbranch_execz .LBB1_2146
; %bb.37987:
	s_getpc_b64 s[14:15]
.Lpost_getpc4657:
	s_add_u32 s14, s14, (.LBB1_16484-.Lpost_getpc4657)&4294967295
	s_addc_u32 s15, s15, (.LBB1_16484-.Lpost_getpc4657)>>32
	s_setpc_b64 s[14:15]
.LBB1_2146:
	s_or_b64 exec, exec, s[6:7]
	s_and_saveexec_b64 s[6:7], s[4:5]
	s_cbranch_execz .LBB1_2148
.LBB1_2147:
	v_mov_b32_e32 v2, 8
	v_and_b32_e32 v3, 7, v9
	v_lshrrev_b32_sdwa v2, v2, v9 dst_sel:BYTE_1 dst_unused:UNUSED_PAD src0_sel:DWORD src1_sel:DWORD
	v_ffbh_u32_e32 v4, v3
	v_or_b32_sdwa v2, v9, v2 dst_sel:DWORD dst_unused:UNUSED_PAD src0_sel:BYTE_0 src1_sel:DWORD
	v_min_u32_e32 v4, 32, v4
	v_lshrrev_b16_e32 v2, 3, v2
	v_subrev_u32_e32 v6, 28, v4
	v_and_b32_e32 v2, 15, v2
	v_lshlrev_b32_e32 v6, v6, v9
	v_sub_u32_e32 v4, 29, v4
	v_and_b32_e32 v6, 7, v6
	v_cmp_eq_u16_e32 vcc, 0, v2
	v_cndmask_b32_e32 v3, v3, v6, vcc
	v_cndmask_b32_e32 v2, v2, v4, vcc
	v_lshlrev_b32_e32 v4, 24, v9
	v_mov_b32_e32 v6, 0x3b800000
	v_lshlrev_b32_e32 v3, 20, v3
	v_and_b32_e32 v4, 0x80000000, v4
	v_lshl_add_u32 v2, v2, 23, v6
	v_or3_b32 v2, v4, v2, v3
.LBB1_2148:
	s_or_b64 exec, exec, s[6:7]
	s_movk_i32 s4, 0x7f
	v_cmp_gt_i16_sdwa s[6:7], v5, s4 src0_sel:BYTE_0 src1_sel:DWORD
	s_mov_b64 s[4:5], 0
                                        ; implicit-def: $sgpr10
	s_and_saveexec_b64 s[8:9], s[6:7]
	s_xor_b64 s[6:7], exec, s[8:9]
	s_cbranch_execz .LBB1_2149
; %bb.37989:
	s_getpc_b64 s[14:15]
.Lpost_getpc4658:
	s_add_u32 s14, s14, (.LBB1_16485-.Lpost_getpc4658)&4294967295
	s_addc_u32 s15, s15, (.LBB1_16485-.Lpost_getpc4658)>>32
	s_setpc_b64 s[14:15]
.LBB1_2149:
	s_or_saveexec_b64 s[6:7], s[6:7]
	v_mov_b32_e32 v3, s10
	s_xor_b64 exec, exec, s[6:7]
	s_cbranch_execz .LBB1_2150
; %bb.37991:
	s_getpc_b64 s[14:15]
.Lpost_getpc4659:
	s_add_u32 s14, s14, (.LBB1_16488-.Lpost_getpc4659)&4294967295
	s_addc_u32 s15, s15, (.LBB1_16488-.Lpost_getpc4659)>>32
	s_setpc_b64 s[14:15]
.LBB1_2150:
	s_or_b64 exec, exec, s[6:7]
	s_and_saveexec_b64 s[6:7], s[4:5]
	s_cbranch_execz .LBB1_2152
.LBB1_2151:
	v_mov_b32_e32 v3, 8
	v_and_b32_e32 v4, 7, v5
	v_lshrrev_b32_sdwa v3, v3, v5 dst_sel:BYTE_1 dst_unused:UNUSED_PAD src0_sel:DWORD src1_sel:DWORD
	v_ffbh_u32_e32 v6, v4
	v_or_b32_sdwa v3, v5, v3 dst_sel:DWORD dst_unused:UNUSED_PAD src0_sel:BYTE_0 src1_sel:DWORD
	v_min_u32_e32 v6, 32, v6
	v_lshrrev_b16_e32 v3, 3, v3
	v_subrev_u32_e32 v7, 28, v6
	v_and_b32_e32 v3, 15, v3
	v_lshlrev_b32_e32 v7, v7, v5
	v_sub_u32_e32 v6, 29, v6
	v_and_b32_e32 v7, 7, v7
	v_cmp_eq_u16_e32 vcc, 0, v3
	v_cndmask_b32_e32 v4, v4, v7, vcc
	v_cndmask_b32_e32 v3, v3, v6, vcc
	v_lshlrev_b32_e32 v6, 24, v5
	v_mov_b32_e32 v7, 0x3b800000
	v_lshlrev_b32_e32 v4, 20, v4
	v_and_b32_e32 v6, 0x80000000, v6
	v_lshl_add_u32 v3, v3, 23, v7
	v_or3_b32 v3, v6, v3, v4
.LBB1_2152:
	s_or_b64 exec, exec, s[6:7]
	s_nop 0
	v_mfma_f32_16x16x4f32 a[0:3], v2, v3, a[0:3]
	v_lshrrev_b32_e32 v3, 8, v9
	s_movk_i32 s4, 0x7f
	v_cmp_gt_i16_sdwa s[6:7], v3, s4 src0_sel:BYTE_0 src1_sel:DWORD
	s_mov_b64 s[4:5], 0
                                        ; implicit-def: $sgpr10
	s_and_saveexec_b64 s[8:9], s[6:7]
	s_xor_b64 s[6:7], exec, s[8:9]
	s_cbranch_execz .LBB1_2153
; %bb.37993:
	s_getpc_b64 s[14:15]
.Lpost_getpc4660:
	s_add_u32 s14, s14, (.LBB1_16489-.Lpost_getpc4660)&4294967295
	s_addc_u32 s15, s15, (.LBB1_16489-.Lpost_getpc4660)>>32
	s_setpc_b64 s[14:15]
.LBB1_2153:
	s_or_saveexec_b64 s[6:7], s[6:7]
	v_mov_b32_e32 v2, s10
	s_xor_b64 exec, exec, s[6:7]
	s_cbranch_execz .LBB1_2154
; %bb.37995:
	s_getpc_b64 s[14:15]
.Lpost_getpc4661:
	s_add_u32 s14, s14, (.LBB1_16492-.Lpost_getpc4661)&4294967295
	s_addc_u32 s15, s15, (.LBB1_16492-.Lpost_getpc4661)>>32
	s_setpc_b64 s[14:15]
.LBB1_2154:
	s_or_b64 exec, exec, s[6:7]
	s_and_saveexec_b64 s[6:7], s[4:5]
	s_cbranch_execz .LBB1_2156
.LBB1_2155:
	v_bfe_u32 v2, v9, 8, 3
	v_ffbh_u32_e32 v6, v2
	v_min_u32_e32 v6, 32, v6
	v_lshrrev_b16_e32 v4, 3, v3
	v_subrev_u32_e32 v7, 28, v6
	v_and_b32_e32 v4, 15, v4
	v_lshlrev_b32_e32 v3, v7, v3
	v_sub_u32_e32 v6, 29, v6
	v_and_b32_e32 v3, 7, v3
	v_cmp_eq_u16_e32 vcc, 0, v4
	v_cndmask_b32_e32 v2, v2, v3, vcc
	v_cndmask_b32_e32 v3, v4, v6, vcc
	v_lshlrev_b32_e32 v4, 16, v9
	v_mov_b32_e32 v6, 0x3b800000
	v_lshlrev_b32_e32 v2, 20, v2
	v_and_b32_e32 v4, 0x80000000, v4
	v_lshl_add_u32 v3, v3, 23, v6
	v_or3_b32 v2, v4, v3, v2
.LBB1_2156:
	s_or_b64 exec, exec, s[6:7]
	v_lshrrev_b32_e32 v3, 8, v5
	s_movk_i32 s4, 0x7f
	v_cmp_gt_i16_sdwa s[6:7], v3, s4 src0_sel:BYTE_0 src1_sel:DWORD
	s_mov_b64 s[4:5], 0
                                        ; implicit-def: $sgpr10
	s_and_saveexec_b64 s[8:9], s[6:7]
	s_xor_b64 s[6:7], exec, s[8:9]
	s_cbranch_execz .LBB1_2157
; %bb.37997:
	s_getpc_b64 s[14:15]
.Lpost_getpc4662:
	s_add_u32 s14, s14, (.LBB1_16493-.Lpost_getpc4662)&4294967295
	s_addc_u32 s15, s15, (.LBB1_16493-.Lpost_getpc4662)>>32
	s_setpc_b64 s[14:15]
.LBB1_2157:
	s_or_saveexec_b64 s[6:7], s[6:7]
	v_mov_b32_e32 v4, s10
	s_xor_b64 exec, exec, s[6:7]
	s_cbranch_execz .LBB1_2158
; %bb.37999:
	s_getpc_b64 s[14:15]
.Lpost_getpc4663:
	s_add_u32 s14, s14, (.LBB1_16496-.Lpost_getpc4663)&4294967295
	s_addc_u32 s15, s15, (.LBB1_16496-.Lpost_getpc4663)>>32
	s_setpc_b64 s[14:15]
.LBB1_2158:
	s_or_b64 exec, exec, s[6:7]
	s_and_saveexec_b64 s[6:7], s[4:5]
	s_cbranch_execz .LBB1_2160
.LBB1_2159:
	v_bfe_u32 v4, v5, 8, 3
	v_ffbh_u32_e32 v7, v4
	v_min_u32_e32 v7, 32, v7
	v_lshrrev_b16_e32 v6, 3, v3
	v_subrev_u32_e32 v8, 28, v7
	v_and_b32_e32 v6, 15, v6
	v_lshlrev_b32_e32 v3, v8, v3
	v_sub_u32_e32 v7, 29, v7
	v_and_b32_e32 v3, 7, v3
	v_cmp_eq_u16_e32 vcc, 0, v6
	v_cndmask_b32_e32 v3, v4, v3, vcc
	v_cndmask_b32_e32 v4, v6, v7, vcc
	v_lshlrev_b32_e32 v6, 16, v5
	v_mov_b32_e32 v7, 0x3b800000
	v_lshlrev_b32_e32 v3, 20, v3
	v_and_b32_e32 v6, 0x80000000, v6
	v_lshl_add_u32 v4, v4, 23, v7
	v_or3_b32 v4, v6, v4, v3
.LBB1_2160:
	s_or_b64 exec, exec, s[6:7]
	s_nop 0
	v_mfma_f32_16x16x4f32 a[0:3], v2, v4, a[0:3]
	s_movk_i32 s4, 0xff
	v_and_b32_sdwa v3, v9, s4 dst_sel:DWORD dst_unused:UNUSED_PAD src0_sel:WORD_1 src1_sel:DWORD
	s_movk_i32 s4, 0x7f
	v_cmp_lt_i16_e32 vcc, s4, v3
	s_mov_b64 s[4:5], 0
                                        ; implicit-def: $sgpr10
	s_and_saveexec_b64 s[6:7], vcc
	s_xor_b64 s[6:7], exec, s[6:7]
	s_cbranch_execz .LBB1_2161
; %bb.38001:
	s_getpc_b64 s[14:15]
.Lpost_getpc4664:
	s_add_u32 s14, s14, (.LBB1_16497-.Lpost_getpc4664)&4294967295
	s_addc_u32 s15, s15, (.LBB1_16497-.Lpost_getpc4664)>>32
	s_setpc_b64 s[14:15]
.LBB1_2161:
	s_or_saveexec_b64 s[6:7], s[6:7]
	v_mov_b32_e32 v2, s10
	s_xor_b64 exec, exec, s[6:7]
	s_cbranch_execz .LBB1_2162
; %bb.38003:
	s_getpc_b64 s[14:15]
.Lpost_getpc4665:
	s_add_u32 s14, s14, (.LBB1_16500-.Lpost_getpc4665)&4294967295
	s_addc_u32 s15, s15, (.LBB1_16500-.Lpost_getpc4665)>>32
	s_setpc_b64 s[14:15]
.LBB1_2162:
	s_or_b64 exec, exec, s[6:7]
	s_and_saveexec_b64 s[6:7], s[4:5]
	s_cbranch_execz .LBB1_2164
.LBB1_2163:
	v_bfe_u32 v2, v9, 16, 3
	v_ffbh_u32_e32 v6, v2
	v_min_u32_e32 v6, 32, v6
	v_lshrrev_b32_e32 v3, 19, v9
	v_subrev_u32_e32 v7, 28, v6
	v_and_b32_e32 v3, 15, v3
	v_lshlrev_b32_sdwa v7, v7, v9 dst_sel:DWORD dst_unused:UNUSED_PAD src0_sel:DWORD src1_sel:WORD_1
	v_bfe_u32 v4, v9, 19, 4
	v_sub_u32_e32 v6, 29, v6
	v_and_b32_e32 v7, 7, v7
	v_cmp_eq_u16_e32 vcc, 0, v3
	v_cndmask_b32_e32 v2, v2, v7, vcc
	v_cndmask_b32_e32 v3, v4, v6, vcc
	v_lshlrev_b32_e32 v4, 8, v9
	v_mov_b32_e32 v6, 0x3b800000
	v_lshlrev_b32_e32 v2, 20, v2
	v_and_b32_e32 v4, 0x80000000, v4
	v_lshl_add_u32 v3, v3, 23, v6
	v_or3_b32 v2, v4, v3, v2
.LBB1_2164:
	s_or_b64 exec, exec, s[6:7]
	s_movk_i32 s4, 0xff
	v_and_b32_sdwa v3, v5, s4 dst_sel:DWORD dst_unused:UNUSED_PAD src0_sel:WORD_1 src1_sel:DWORD
	s_movk_i32 s4, 0x7f
	v_cmp_lt_i16_e32 vcc, s4, v3
	s_mov_b64 s[4:5], 0
                                        ; implicit-def: $sgpr10
	s_and_saveexec_b64 s[6:7], vcc
	s_xor_b64 s[6:7], exec, s[6:7]
	s_cbranch_execz .LBB1_2165
; %bb.38005:
	s_getpc_b64 s[14:15]
.Lpost_getpc4666:
	s_add_u32 s14, s14, (.LBB1_16501-.Lpost_getpc4666)&4294967295
	s_addc_u32 s15, s15, (.LBB1_16501-.Lpost_getpc4666)>>32
	s_setpc_b64 s[14:15]
.LBB1_2165:
	s_or_saveexec_b64 s[6:7], s[6:7]
	v_mov_b32_e32 v4, s10
	s_xor_b64 exec, exec, s[6:7]
	s_cbranch_execz .LBB1_2166
; %bb.38007:
	s_getpc_b64 s[14:15]
.Lpost_getpc4667:
	s_add_u32 s14, s14, (.LBB1_16504-.Lpost_getpc4667)&4294967295
	s_addc_u32 s15, s15, (.LBB1_16504-.Lpost_getpc4667)>>32
	s_setpc_b64 s[14:15]
.LBB1_2166:
	s_or_b64 exec, exec, s[6:7]
	s_and_saveexec_b64 s[6:7], s[4:5]
	s_cbranch_execz .LBB1_2168
.LBB1_2167:
	v_bfe_u32 v3, v5, 16, 3
	v_ffbh_u32_e32 v7, v3
	v_min_u32_e32 v7, 32, v7
	v_lshrrev_b32_e32 v4, 19, v5
	v_subrev_u32_e32 v8, 28, v7
	v_and_b32_e32 v4, 15, v4
	v_lshlrev_b32_sdwa v8, v8, v5 dst_sel:DWORD dst_unused:UNUSED_PAD src0_sel:DWORD src1_sel:WORD_1
	v_bfe_u32 v6, v5, 19, 4
	v_sub_u32_e32 v7, 29, v7
	v_and_b32_e32 v8, 7, v8
	v_cmp_eq_u16_e32 vcc, 0, v4
	v_cndmask_b32_e32 v3, v3, v8, vcc
	v_cndmask_b32_e32 v4, v6, v7, vcc
	v_lshlrev_b32_e32 v6, 8, v5
	v_mov_b32_e32 v7, 0x3b800000
	v_lshlrev_b32_e32 v3, 20, v3
	v_and_b32_e32 v6, 0x80000000, v6
	v_lshl_add_u32 v4, v4, 23, v7
	v_or3_b32 v4, v6, v4, v3
.LBB1_2168:
	s_or_b64 exec, exec, s[6:7]
	s_nop 0
	v_mfma_f32_16x16x4f32 a[0:3], v2, v4, a[0:3]
	s_movk_i32 s4, 0x7f
	v_cmp_gt_i16_sdwa s[6:7], v9, s4 src0_sel:BYTE_3 src1_sel:DWORD
	s_mov_b64 s[4:5], 0
                                        ; implicit-def: $sgpr10
	s_and_saveexec_b64 s[8:9], s[6:7]
	s_xor_b64 s[6:7], exec, s[8:9]
	s_cbranch_execz .LBB1_2169
; %bb.38009:
	s_getpc_b64 s[14:15]
.Lpost_getpc4668:
	s_add_u32 s14, s14, (.LBB1_16505-.Lpost_getpc4668)&4294967295
	s_addc_u32 s15, s15, (.LBB1_16505-.Lpost_getpc4668)>>32
	s_setpc_b64 s[14:15]
.LBB1_2169:
	s_or_saveexec_b64 s[6:7], s[6:7]
	v_mov_b32_e32 v2, s10
	s_xor_b64 exec, exec, s[6:7]
	s_cbranch_execz .LBB1_2170
; %bb.38011:
	s_getpc_b64 s[14:15]
.Lpost_getpc4669:
	s_add_u32 s14, s14, (.LBB1_16508-.Lpost_getpc4669)&4294967295
	s_addc_u32 s15, s15, (.LBB1_16508-.Lpost_getpc4669)>>32
	s_setpc_b64 s[14:15]
.LBB1_2170:
	s_or_b64 exec, exec, s[6:7]
	s_and_saveexec_b64 s[6:7], s[4:5]
	s_cbranch_execz .LBB1_2172
.LBB1_2171:
	v_bfe_u32 v2, v9, 24, 3
	v_ffbh_u32_e32 v7, v2
	v_min_u32_e32 v7, 32, v7
	v_lshrrev_b32_e32 v4, 27, v9
	v_subrev_u32_e32 v8, 28, v7
	v_and_b32_e32 v4, 15, v4
	v_lshlrev_b32_sdwa v8, v8, v9 dst_sel:DWORD dst_unused:UNUSED_PAD src0_sel:DWORD src1_sel:BYTE_3
	v_bfe_u32 v6, v9, 27, 4
	v_sub_u32_e32 v7, 29, v7
	v_and_b32_e32 v8, 7, v8
	v_cmp_eq_u16_e32 vcc, 0, v4
	v_cndmask_b32_e32 v2, v2, v8, vcc
	v_cndmask_b32_e32 v4, v6, v7, vcc
	v_mov_b32_e32 v6, 0x3b800000
	v_and_b32_e32 v3, 0x80000000, v9
	v_lshlrev_b32_e32 v2, 20, v2
	v_lshl_add_u32 v4, v4, 23, v6
	v_or3_b32 v2, v3, v4, v2
.LBB1_2172:
	s_or_b64 exec, exec, s[6:7]
	s_movk_i32 s4, 0x7f
	v_cmp_gt_i16_sdwa s[6:7], v5, s4 src0_sel:BYTE_3 src1_sel:DWORD
	s_mov_b64 s[4:5], 0
                                        ; implicit-def: $sgpr10
	s_and_saveexec_b64 s[8:9], s[6:7]
	s_xor_b64 s[6:7], exec, s[8:9]
	s_cbranch_execz .LBB1_2173
; %bb.38013:
	s_getpc_b64 s[14:15]
.Lpost_getpc4670:
	s_add_u32 s14, s14, (.LBB1_16509-.Lpost_getpc4670)&4294967295
	s_addc_u32 s15, s15, (.LBB1_16509-.Lpost_getpc4670)>>32
	s_setpc_b64 s[14:15]
.LBB1_2173:
	s_or_saveexec_b64 s[6:7], s[6:7]
	v_mov_b32_e32 v3, s10
	s_xor_b64 exec, exec, s[6:7]
	s_cbranch_execz .LBB1_2174
; %bb.38015:
	s_getpc_b64 s[14:15]
.Lpost_getpc4671:
	s_add_u32 s14, s14, (.LBB1_16512-.Lpost_getpc4671)&4294967295
	s_addc_u32 s15, s15, (.LBB1_16512-.Lpost_getpc4671)>>32
	s_setpc_b64 s[14:15]
.LBB1_2174:
	s_or_b64 exec, exec, s[6:7]
	s_and_saveexec_b64 s[6:7], s[4:5]
	s_cbranch_execz .LBB1_2176
.LBB1_2175:
	v_bfe_u32 v3, v5, 24, 3
	v_ffbh_u32_e32 v8, v3
	v_min_u32_e32 v8, 32, v8
	v_lshrrev_b32_e32 v6, 27, v5
	v_subrev_u32_e32 v9, 28, v8
	v_and_b32_e32 v4, 0x80000000, v5
	v_and_b32_e32 v6, 15, v6
	v_bfe_u32 v7, v5, 27, 4
	v_lshlrev_b32_sdwa v5, v9, v5 dst_sel:DWORD dst_unused:UNUSED_PAD src0_sel:DWORD src1_sel:BYTE_3
	v_sub_u32_e32 v8, 29, v8
	v_and_b32_e32 v5, 7, v5
	v_cmp_eq_u16_e32 vcc, 0, v6
	v_cndmask_b32_e32 v3, v3, v5, vcc
	v_cndmask_b32_e32 v5, v7, v8, vcc
	v_mov_b32_e32 v6, 0x3b800000
	v_lshlrev_b32_e32 v3, 20, v3
	v_lshl_add_u32 v5, v5, 23, v6
	v_or3_b32 v3, v4, v5, v3
.LBB1_2176:
	s_or_b64 exec, exec, s[6:7]
	s_nop 0
	v_mfma_f32_16x16x4f32 a[0:3], v2, v3, a[0:3]
	s_movk_i32 s4, 0x7f
                                        ; implicit-def: $sgpr10
	s_nop 7
	s_nop 1
	flat_store_dwordx4 v[10:11], a[0:3] offset:256
	flat_load_dwordx4 v[12:15], v[0:1]
	s_nop 0
	flat_load_dwordx2 v[10:11], v[0:1] offset:16
	s_waitcnt vmcnt(0) lgkmcnt(0)
	flat_load_dwordx4 v[6:9], v[12:13] offset:32
	flat_load_dwordx4 v[2:5], v[14:15] offset:16
	s_waitcnt vmcnt(0) lgkmcnt(0)
	v_cmp_gt_i16_sdwa s[6:7], v6, s4 src0_sel:BYTE_0 src1_sel:DWORD
	s_mov_b64 s[4:5], 0
	s_and_saveexec_b64 s[8:9], s[6:7]
	s_xor_b64 s[6:7], exec, s[8:9]
	s_cbranch_execz .LBB1_2177
; %bb.38017:
	s_getpc_b64 s[14:15]
.Lpost_getpc4672:
	s_add_u32 s14, s14, (.LBB1_16513-.Lpost_getpc4672)&4294967295
	s_addc_u32 s15, s15, (.LBB1_16513-.Lpost_getpc4672)>>32
	s_setpc_b64 s[14:15]
.LBB1_2177:
	s_or_saveexec_b64 s[6:7], s[6:7]
	v_mov_b32_e32 v12, s10
	s_xor_b64 exec, exec, s[6:7]
	s_cbranch_execz .LBB1_2178
; %bb.38019:
	s_getpc_b64 s[14:15]
.Lpost_getpc4673:
	s_add_u32 s14, s14, (.LBB1_16516-.Lpost_getpc4673)&4294967295
	s_addc_u32 s15, s15, (.LBB1_16516-.Lpost_getpc4673)>>32
	s_setpc_b64 s[14:15]
.LBB1_2178:
	s_or_b64 exec, exec, s[6:7]
	s_and_saveexec_b64 s[6:7], s[4:5]
	s_cbranch_execz .LBB1_2180
.LBB1_2179:
	v_and_b32_e32 v12, 7, v6
	v_ffbh_u32_e32 v14, v12
	v_min_u32_e32 v14, 32, v14
	v_lshrrev_b16_e32 v13, 3, v6
	v_subrev_u32_e32 v15, 28, v14
	v_and_b32_e32 v13, 15, v13
	v_lshlrev_b32_e32 v15, v15, v6
	v_sub_u32_e32 v14, 29, v14
	v_and_b32_e32 v15, 7, v15
	v_cmp_eq_u16_e32 vcc, 0, v13
	v_cndmask_b32_e32 v12, v12, v15, vcc
	v_cndmask_b32_e32 v13, v13, v14, vcc
	v_lshlrev_b32_e32 v14, 24, v6
	v_mov_b32_e32 v15, 0x3b800000
	v_lshlrev_b32_e32 v12, 20, v12
	v_and_b32_e32 v14, 0x80000000, v14
	v_lshl_add_u32 v13, v13, 23, v15
	v_or3_b32 v12, v14, v13, v12
.LBB1_2180:
	s_or_b64 exec, exec, s[6:7]
	s_movk_i32 s4, 0x7f
	v_cmp_gt_i16_sdwa s[6:7], v2, s4 src0_sel:BYTE_0 src1_sel:DWORD
	s_mov_b64 s[4:5], 0
                                        ; implicit-def: $sgpr10
	s_and_saveexec_b64 s[8:9], s[6:7]
	s_xor_b64 s[6:7], exec, s[8:9]
	s_cbranch_execz .LBB1_2181
; %bb.38021:
	s_getpc_b64 s[14:15]
.Lpost_getpc4674:
	s_add_u32 s14, s14, (.LBB1_16517-.Lpost_getpc4674)&4294967295
	s_addc_u32 s15, s15, (.LBB1_16517-.Lpost_getpc4674)>>32
	s_setpc_b64 s[14:15]
.LBB1_2181:
	s_or_saveexec_b64 s[6:7], s[6:7]
	v_mov_b32_e32 v13, s10
	s_xor_b64 exec, exec, s[6:7]
	s_cbranch_execz .LBB1_2182
; %bb.38023:
	s_getpc_b64 s[14:15]
.Lpost_getpc4675:
	s_add_u32 s14, s14, (.LBB1_16520-.Lpost_getpc4675)&4294967295
	s_addc_u32 s15, s15, (.LBB1_16520-.Lpost_getpc4675)>>32
	s_setpc_b64 s[14:15]
.LBB1_2182:
	s_or_b64 exec, exec, s[6:7]
	s_and_saveexec_b64 s[6:7], s[4:5]
	s_cbranch_execz .LBB1_2184
.LBB1_2183:
	v_and_b32_e32 v13, 7, v2
	v_ffbh_u32_e32 v15, v13
	v_min_u32_e32 v15, 32, v15
	v_lshrrev_b16_e32 v14, 3, v2
	v_subrev_u32_e32 v16, 28, v15
	v_and_b32_e32 v14, 15, v14
	v_lshlrev_b32_e32 v16, v16, v2
	v_sub_u32_e32 v15, 29, v15
	v_and_b32_e32 v16, 7, v16
	v_cmp_eq_u16_e32 vcc, 0, v14
	v_cndmask_b32_e32 v13, v13, v16, vcc
	v_cndmask_b32_e32 v14, v14, v15, vcc
	v_lshlrev_b32_e32 v15, 24, v2
	v_mov_b32_e32 v16, 0x3b800000
	v_lshlrev_b32_e32 v13, 20, v13
	v_and_b32_e32 v15, 0x80000000, v15
	v_lshl_add_u32 v14, v14, 23, v16
	v_or3_b32 v13, v15, v14, v13
.LBB1_2184:
	s_or_b64 exec, exec, s[6:7]
	flat_load_dwordx4 a[0:3], v[10:11] offset:272
	s_movk_i32 s4, 0x7f
                                        ; implicit-def: $sgpr10
	s_waitcnt vmcnt(0) lgkmcnt(0)
	v_mfma_f32_16x16x4f32 a[0:3], v12, v13, a[0:3]
	v_lshrrev_b32_e32 v13, 8, v6
	v_cmp_gt_i16_sdwa s[6:7], v13, s4 src0_sel:BYTE_0 src1_sel:DWORD
	s_mov_b64 s[4:5], 0
	s_and_saveexec_b64 s[8:9], s[6:7]
	s_xor_b64 s[6:7], exec, s[8:9]
	s_cbranch_execz .LBB1_2185
; %bb.38025:
	s_getpc_b64 s[14:15]
.Lpost_getpc4676:
	s_add_u32 s14, s14, (.LBB1_16521-.Lpost_getpc4676)&4294967295
	s_addc_u32 s15, s15, (.LBB1_16521-.Lpost_getpc4676)>>32
	s_setpc_b64 s[14:15]
.LBB1_2185:
	s_or_saveexec_b64 s[6:7], s[6:7]
	v_mov_b32_e32 v12, s10
	s_xor_b64 exec, exec, s[6:7]
	s_cbranch_execz .LBB1_2186
; %bb.38027:
	s_getpc_b64 s[14:15]
.Lpost_getpc4677:
	s_add_u32 s14, s14, (.LBB1_16524-.Lpost_getpc4677)&4294967295
	s_addc_u32 s15, s15, (.LBB1_16524-.Lpost_getpc4677)>>32
	s_setpc_b64 s[14:15]
.LBB1_2186:
	s_or_b64 exec, exec, s[6:7]
	s_and_saveexec_b64 s[6:7], s[4:5]
	s_cbranch_execz .LBB1_2188
.LBB1_2187:
	v_bfe_u32 v12, v6, 8, 3
	v_ffbh_u32_e32 v15, v12
	v_min_u32_e32 v15, 32, v15
	v_lshrrev_b16_e32 v14, 3, v13
	v_subrev_u32_e32 v16, 28, v15
	v_and_b32_e32 v14, 15, v14
	v_lshlrev_b32_e32 v13, v16, v13
	v_sub_u32_e32 v15, 29, v15
	v_and_b32_e32 v13, 7, v13
	v_cmp_eq_u16_e32 vcc, 0, v14
	v_cndmask_b32_e32 v12, v12, v13, vcc
	v_cndmask_b32_e32 v13, v14, v15, vcc
	v_lshlrev_b32_e32 v14, 16, v6
	v_mov_b32_e32 v15, 0x3b800000
	v_lshlrev_b32_e32 v12, 20, v12
	v_and_b32_e32 v14, 0x80000000, v14
	v_lshl_add_u32 v13, v13, 23, v15
	v_or3_b32 v12, v14, v13, v12
.LBB1_2188:
	s_or_b64 exec, exec, s[6:7]
	v_lshrrev_b32_e32 v13, 8, v2
	s_movk_i32 s4, 0x7f
	v_cmp_gt_i16_sdwa s[6:7], v13, s4 src0_sel:BYTE_0 src1_sel:DWORD
	s_mov_b64 s[4:5], 0
                                        ; implicit-def: $sgpr10
	s_and_saveexec_b64 s[8:9], s[6:7]
	s_xor_b64 s[6:7], exec, s[8:9]
	s_cbranch_execz .LBB1_2189
; %bb.38029:
	s_getpc_b64 s[14:15]
.Lpost_getpc4678:
	s_add_u32 s14, s14, (.LBB1_16525-.Lpost_getpc4678)&4294967295
	s_addc_u32 s15, s15, (.LBB1_16525-.Lpost_getpc4678)>>32
	s_setpc_b64 s[14:15]
.LBB1_2189:
	s_or_saveexec_b64 s[6:7], s[6:7]
	v_mov_b32_e32 v14, s10
	s_xor_b64 exec, exec, s[6:7]
	s_cbranch_execz .LBB1_2190
; %bb.38031:
	s_getpc_b64 s[14:15]
.Lpost_getpc4679:
	s_add_u32 s14, s14, (.LBB1_16528-.Lpost_getpc4679)&4294967295
	s_addc_u32 s15, s15, (.LBB1_16528-.Lpost_getpc4679)>>32
	s_setpc_b64 s[14:15]
.LBB1_2190:
	s_or_b64 exec, exec, s[6:7]
	s_and_saveexec_b64 s[6:7], s[4:5]
	s_cbranch_execz .LBB1_2192
.LBB1_2191:
	v_bfe_u32 v14, v2, 8, 3
	v_ffbh_u32_e32 v16, v14
	v_min_u32_e32 v16, 32, v16
	v_lshrrev_b16_e32 v15, 3, v13
	v_subrev_u32_e32 v17, 28, v16
	v_and_b32_e32 v15, 15, v15
	v_lshlrev_b32_e32 v13, v17, v13
	v_sub_u32_e32 v16, 29, v16
	v_and_b32_e32 v13, 7, v13
	v_cmp_eq_u16_e32 vcc, 0, v15
	v_cndmask_b32_e32 v13, v14, v13, vcc
	v_cndmask_b32_e32 v14, v15, v16, vcc
	v_lshlrev_b32_e32 v15, 16, v2
	v_mov_b32_e32 v16, 0x3b800000
	v_lshlrev_b32_e32 v13, 20, v13
	v_and_b32_e32 v15, 0x80000000, v15
	v_lshl_add_u32 v14, v14, 23, v16
	v_or3_b32 v14, v15, v14, v13
.LBB1_2192:
	s_or_b64 exec, exec, s[6:7]
	s_nop 0
	v_mfma_f32_16x16x4f32 a[0:3], v12, v14, a[0:3]
	s_movk_i32 s4, 0xff
	v_and_b32_sdwa v13, v6, s4 dst_sel:DWORD dst_unused:UNUSED_PAD src0_sel:WORD_1 src1_sel:DWORD
	s_movk_i32 s4, 0x7f
	v_cmp_lt_i16_e32 vcc, s4, v13
	s_mov_b64 s[4:5], 0
                                        ; implicit-def: $sgpr10
	s_and_saveexec_b64 s[6:7], vcc
	s_xor_b64 s[6:7], exec, s[6:7]
	s_cbranch_execz .LBB1_2193
; %bb.38033:
	s_getpc_b64 s[14:15]
.Lpost_getpc4680:
	s_add_u32 s14, s14, (.LBB1_16529-.Lpost_getpc4680)&4294967295
	s_addc_u32 s15, s15, (.LBB1_16529-.Lpost_getpc4680)>>32
	s_setpc_b64 s[14:15]
.LBB1_2193:
	s_or_saveexec_b64 s[6:7], s[6:7]
	v_mov_b32_e32 v12, s10
	s_xor_b64 exec, exec, s[6:7]
	s_cbranch_execz .LBB1_2194
; %bb.38035:
	s_getpc_b64 s[14:15]
.Lpost_getpc4681:
	s_add_u32 s14, s14, (.LBB1_16532-.Lpost_getpc4681)&4294967295
	s_addc_u32 s15, s15, (.LBB1_16532-.Lpost_getpc4681)>>32
	s_setpc_b64 s[14:15]
.LBB1_2194:
	s_or_b64 exec, exec, s[6:7]
	s_and_saveexec_b64 s[6:7], s[4:5]
	s_cbranch_execz .LBB1_2196
.LBB1_2195:
	v_bfe_u32 v12, v6, 16, 3
	v_ffbh_u32_e32 v15, v12
	v_min_u32_e32 v15, 32, v15
	v_lshrrev_b32_e32 v13, 19, v6
	v_subrev_u32_e32 v16, 28, v15
	v_and_b32_e32 v13, 15, v13
	v_lshlrev_b32_sdwa v16, v16, v6 dst_sel:DWORD dst_unused:UNUSED_PAD src0_sel:DWORD src1_sel:WORD_1
	v_bfe_u32 v14, v6, 19, 4
	v_sub_u32_e32 v15, 29, v15
	v_and_b32_e32 v16, 7, v16
	v_cmp_eq_u16_e32 vcc, 0, v13
	v_cndmask_b32_e32 v12, v12, v16, vcc
	v_cndmask_b32_e32 v13, v14, v15, vcc
	v_lshlrev_b32_e32 v14, 8, v6
	v_mov_b32_e32 v15, 0x3b800000
	v_lshlrev_b32_e32 v12, 20, v12
	v_and_b32_e32 v14, 0x80000000, v14
	v_lshl_add_u32 v13, v13, 23, v15
	v_or3_b32 v12, v14, v13, v12
.LBB1_2196:
	s_or_b64 exec, exec, s[6:7]
	s_movk_i32 s4, 0xff
	v_and_b32_sdwa v13, v2, s4 dst_sel:DWORD dst_unused:UNUSED_PAD src0_sel:WORD_1 src1_sel:DWORD
	s_movk_i32 s4, 0x7f
	v_cmp_lt_i16_e32 vcc, s4, v13
	s_mov_b64 s[4:5], 0
                                        ; implicit-def: $sgpr10
	s_and_saveexec_b64 s[6:7], vcc
	s_xor_b64 s[6:7], exec, s[6:7]
	s_cbranch_execz .LBB1_2197
; %bb.38037:
	s_getpc_b64 s[14:15]
.Lpost_getpc4682:
	s_add_u32 s14, s14, (.LBB1_16533-.Lpost_getpc4682)&4294967295
	s_addc_u32 s15, s15, (.LBB1_16533-.Lpost_getpc4682)>>32
	s_setpc_b64 s[14:15]
.LBB1_2197:
	s_or_saveexec_b64 s[6:7], s[6:7]
	v_mov_b32_e32 v14, s10
	s_xor_b64 exec, exec, s[6:7]
	s_cbranch_execz .LBB1_2198
; %bb.38039:
	s_getpc_b64 s[14:15]
.Lpost_getpc4683:
	s_add_u32 s14, s14, (.LBB1_16536-.Lpost_getpc4683)&4294967295
	s_addc_u32 s15, s15, (.LBB1_16536-.Lpost_getpc4683)>>32
	s_setpc_b64 s[14:15]
.LBB1_2198:
	s_or_b64 exec, exec, s[6:7]
	s_and_saveexec_b64 s[6:7], s[4:5]
	s_cbranch_execz .LBB1_2200
.LBB1_2199:
	v_bfe_u32 v13, v2, 16, 3
	v_ffbh_u32_e32 v16, v13
	v_min_u32_e32 v16, 32, v16
	v_lshrrev_b32_e32 v14, 19, v2
	v_subrev_u32_e32 v17, 28, v16
	v_and_b32_e32 v14, 15, v14
	v_lshlrev_b32_sdwa v17, v17, v2 dst_sel:DWORD dst_unused:UNUSED_PAD src0_sel:DWORD src1_sel:WORD_1
	v_bfe_u32 v15, v2, 19, 4
	v_sub_u32_e32 v16, 29, v16
	v_and_b32_e32 v17, 7, v17
	v_cmp_eq_u16_e32 vcc, 0, v14
	v_cndmask_b32_e32 v13, v13, v17, vcc
	v_cndmask_b32_e32 v14, v15, v16, vcc
	v_lshlrev_b32_e32 v15, 8, v2
	v_mov_b32_e32 v16, 0x3b800000
	v_lshlrev_b32_e32 v13, 20, v13
	v_and_b32_e32 v15, 0x80000000, v15
	v_lshl_add_u32 v14, v14, 23, v16
	v_or3_b32 v14, v15, v14, v13
.LBB1_2200:
	s_or_b64 exec, exec, s[6:7]
	s_nop 0
	v_mfma_f32_16x16x4f32 a[0:3], v12, v14, a[0:3]
	s_movk_i32 s4, 0x7f
	v_cmp_gt_i16_sdwa s[6:7], v6, s4 src0_sel:BYTE_3 src1_sel:DWORD
	s_mov_b64 s[4:5], 0
                                        ; implicit-def: $sgpr10
	s_and_saveexec_b64 s[8:9], s[6:7]
	s_xor_b64 s[6:7], exec, s[8:9]
	s_cbranch_execz .LBB1_2201
; %bb.38041:
	s_getpc_b64 s[14:15]
.Lpost_getpc4684:
	s_add_u32 s14, s14, (.LBB1_16537-.Lpost_getpc4684)&4294967295
	s_addc_u32 s15, s15, (.LBB1_16537-.Lpost_getpc4684)>>32
	s_setpc_b64 s[14:15]
.LBB1_2201:
	s_or_saveexec_b64 s[6:7], s[6:7]
	v_mov_b32_e32 v12, s10
	s_xor_b64 exec, exec, s[6:7]
	s_cbranch_execz .LBB1_2202
; %bb.38043:
	s_getpc_b64 s[14:15]
.Lpost_getpc4685:
	s_add_u32 s14, s14, (.LBB1_16540-.Lpost_getpc4685)&4294967295
	s_addc_u32 s15, s15, (.LBB1_16540-.Lpost_getpc4685)>>32
	s_setpc_b64 s[14:15]
.LBB1_2202:
	s_or_b64 exec, exec, s[6:7]
	s_and_saveexec_b64 s[6:7], s[4:5]
	s_cbranch_execz .LBB1_2204
.LBB1_2203:
	v_bfe_u32 v12, v6, 24, 3
	v_ffbh_u32_e32 v16, v12
	v_min_u32_e32 v16, 32, v16
	v_lshrrev_b32_e32 v14, 27, v6
	v_subrev_u32_e32 v17, 28, v16
	v_and_b32_e32 v13, 0x80000000, v6
	v_and_b32_e32 v14, 15, v14
	v_bfe_u32 v15, v6, 27, 4
	v_lshlrev_b32_sdwa v6, v17, v6 dst_sel:DWORD dst_unused:UNUSED_PAD src0_sel:DWORD src1_sel:BYTE_3
	v_sub_u32_e32 v16, 29, v16
	v_and_b32_e32 v6, 7, v6
	v_cmp_eq_u16_e32 vcc, 0, v14
	v_cndmask_b32_e32 v6, v12, v6, vcc
	v_cndmask_b32_e32 v12, v15, v16, vcc
	v_mov_b32_e32 v14, 0x3b800000
	v_lshlrev_b32_e32 v6, 20, v6
	v_lshl_add_u32 v12, v12, 23, v14
	v_or3_b32 v12, v13, v12, v6
.LBB1_2204:
	s_or_b64 exec, exec, s[6:7]
	s_movk_i32 s4, 0x7f
	v_cmp_gt_i16_sdwa s[6:7], v2, s4 src0_sel:BYTE_3 src1_sel:DWORD
	s_mov_b64 s[4:5], 0
                                        ; implicit-def: $sgpr10
	s_and_saveexec_b64 s[8:9], s[6:7]
	s_xor_b64 s[6:7], exec, s[8:9]
	s_cbranch_execz .LBB1_2205
; %bb.38045:
	s_getpc_b64 s[14:15]
.Lpost_getpc4686:
	s_add_u32 s14, s14, (.LBB1_16541-.Lpost_getpc4686)&4294967295
	s_addc_u32 s15, s15, (.LBB1_16541-.Lpost_getpc4686)>>32
	s_setpc_b64 s[14:15]
.LBB1_2205:
	s_or_saveexec_b64 s[6:7], s[6:7]
	v_mov_b32_e32 v6, s10
	s_xor_b64 exec, exec, s[6:7]
	s_cbranch_execz .LBB1_2206
; %bb.38047:
	s_getpc_b64 s[14:15]
.Lpost_getpc4687:
	s_add_u32 s14, s14, (.LBB1_16544-.Lpost_getpc4687)&4294967295
	s_addc_u32 s15, s15, (.LBB1_16544-.Lpost_getpc4687)>>32
	s_setpc_b64 s[14:15]
.LBB1_2206:
	s_or_b64 exec, exec, s[6:7]
	s_and_saveexec_b64 s[6:7], s[4:5]
	s_cbranch_execz .LBB1_2208
.LBB1_2207:
	v_bfe_u32 v6, v2, 24, 3
	v_ffbh_u32_e32 v16, v6
	v_min_u32_e32 v16, 32, v16
	v_lshrrev_b32_e32 v14, 27, v2
	v_subrev_u32_e32 v17, 28, v16
	v_and_b32_e32 v13, 0x80000000, v2
	v_and_b32_e32 v14, 15, v14
	v_bfe_u32 v15, v2, 27, 4
	v_lshlrev_b32_sdwa v2, v17, v2 dst_sel:DWORD dst_unused:UNUSED_PAD src0_sel:DWORD src1_sel:BYTE_3
	v_sub_u32_e32 v16, 29, v16
	v_and_b32_e32 v2, 7, v2
	v_cmp_eq_u16_e32 vcc, 0, v14
	v_cndmask_b32_e32 v2, v6, v2, vcc
	v_cndmask_b32_e32 v6, v15, v16, vcc
	v_mov_b32_e32 v14, 0x3b800000
	v_lshlrev_b32_e32 v2, 20, v2
	v_lshl_add_u32 v6, v6, 23, v14
	v_or3_b32 v6, v13, v6, v2
.LBB1_2208:
	s_or_b64 exec, exec, s[6:7]
	s_nop 0
	v_mfma_f32_16x16x4f32 a[0:3], v12, v6, a[0:3]
	s_movk_i32 s4, 0x7f
	v_cmp_gt_i16_sdwa s[6:7], v7, s4 src0_sel:BYTE_0 src1_sel:DWORD
	s_mov_b64 s[4:5], 0
                                        ; implicit-def: $sgpr10
	s_and_saveexec_b64 s[8:9], s[6:7]
	s_xor_b64 s[6:7], exec, s[8:9]
	s_cbranch_execz .LBB1_2209
; %bb.38049:
	s_getpc_b64 s[14:15]
.Lpost_getpc4688:
	s_add_u32 s14, s14, (.LBB1_16545-.Lpost_getpc4688)&4294967295
	s_addc_u32 s15, s15, (.LBB1_16545-.Lpost_getpc4688)>>32
	s_setpc_b64 s[14:15]
.LBB1_2209:
	s_or_saveexec_b64 s[6:7], s[6:7]
	v_mov_b32_e32 v2, s10
	s_xor_b64 exec, exec, s[6:7]
	s_cbranch_execz .LBB1_2210
; %bb.38051:
	s_getpc_b64 s[14:15]
.Lpost_getpc4689:
	s_add_u32 s14, s14, (.LBB1_16548-.Lpost_getpc4689)&4294967295
	s_addc_u32 s15, s15, (.LBB1_16548-.Lpost_getpc4689)>>32
	s_setpc_b64 s[14:15]
.LBB1_2210:
	s_or_b64 exec, exec, s[6:7]
	s_and_saveexec_b64 s[6:7], s[4:5]
	s_cbranch_execz .LBB1_2212
.LBB1_2211:
	v_and_b32_e32 v2, 7, v7
	v_ffbh_u32_e32 v12, v2
	v_min_u32_e32 v12, 32, v12
	v_lshrrev_b16_e32 v6, 3, v7
	v_subrev_u32_e32 v13, 28, v12
	v_and_b32_e32 v6, 15, v6
	v_lshlrev_b32_e32 v13, v13, v7
	v_sub_u32_e32 v12, 29, v12
	v_and_b32_e32 v13, 7, v13
	v_cmp_eq_u16_e32 vcc, 0, v6
	v_cndmask_b32_e32 v2, v2, v13, vcc
	v_cndmask_b32_e32 v6, v6, v12, vcc
	v_lshlrev_b32_e32 v12, 24, v7
	v_mov_b32_e32 v13, 0x3b800000
	v_lshlrev_b32_e32 v2, 20, v2
	v_and_b32_e32 v12, 0x80000000, v12
	v_lshl_add_u32 v6, v6, 23, v13
	v_or3_b32 v2, v12, v6, v2
.LBB1_2212:
	s_or_b64 exec, exec, s[6:7]
	s_movk_i32 s4, 0x7f
	v_cmp_gt_i16_sdwa s[6:7], v3, s4 src0_sel:BYTE_0 src1_sel:DWORD
	s_mov_b64 s[4:5], 0
                                        ; implicit-def: $sgpr10
	s_and_saveexec_b64 s[8:9], s[6:7]
	s_xor_b64 s[6:7], exec, s[8:9]
	s_cbranch_execz .LBB1_2213
; %bb.38053:
	s_getpc_b64 s[14:15]
.Lpost_getpc4690:
	s_add_u32 s14, s14, (.LBB1_16549-.Lpost_getpc4690)&4294967295
	s_addc_u32 s15, s15, (.LBB1_16549-.Lpost_getpc4690)>>32
	s_setpc_b64 s[14:15]
.LBB1_2213:
	s_or_saveexec_b64 s[6:7], s[6:7]
	v_mov_b32_e32 v6, s10
	s_xor_b64 exec, exec, s[6:7]
	s_cbranch_execz .LBB1_2214
; %bb.38055:
	s_getpc_b64 s[14:15]
.Lpost_getpc4691:
	s_add_u32 s14, s14, (.LBB1_16552-.Lpost_getpc4691)&4294967295
	s_addc_u32 s15, s15, (.LBB1_16552-.Lpost_getpc4691)>>32
	s_setpc_b64 s[14:15]
.LBB1_2214:
	s_or_b64 exec, exec, s[6:7]
	s_and_saveexec_b64 s[6:7], s[4:5]
	s_cbranch_execz .LBB1_2216
.LBB1_2215:
	v_and_b32_e32 v6, 7, v3
	v_ffbh_u32_e32 v13, v6
	v_min_u32_e32 v13, 32, v13
	v_lshrrev_b16_e32 v12, 3, v3
	v_subrev_u32_e32 v14, 28, v13
	v_and_b32_e32 v12, 15, v12
	v_lshlrev_b32_e32 v14, v14, v3
	v_sub_u32_e32 v13, 29, v13
	v_and_b32_e32 v14, 7, v14
	v_cmp_eq_u16_e32 vcc, 0, v12
	v_cndmask_b32_e32 v6, v6, v14, vcc
	v_cndmask_b32_e32 v12, v12, v13, vcc
	v_lshlrev_b32_e32 v13, 24, v3
	v_mov_b32_e32 v14, 0x3b800000
	v_lshlrev_b32_e32 v6, 20, v6
	v_and_b32_e32 v13, 0x80000000, v13
	v_lshl_add_u32 v12, v12, 23, v14
	v_or3_b32 v6, v13, v12, v6
.LBB1_2216:
	s_or_b64 exec, exec, s[6:7]
	s_nop 0
	v_mfma_f32_16x16x4f32 a[0:3], v2, v6, a[0:3]
	v_lshrrev_b32_e32 v6, 8, v7
	s_movk_i32 s4, 0x7f
	v_cmp_gt_i16_sdwa s[6:7], v6, s4 src0_sel:BYTE_0 src1_sel:DWORD
	s_mov_b64 s[4:5], 0
                                        ; implicit-def: $sgpr10
	s_and_saveexec_b64 s[8:9], s[6:7]
	s_xor_b64 s[6:7], exec, s[8:9]
	s_cbranch_execz .LBB1_2217
; %bb.38057:
	s_getpc_b64 s[14:15]
.Lpost_getpc4692:
	s_add_u32 s14, s14, (.LBB1_16553-.Lpost_getpc4692)&4294967295
	s_addc_u32 s15, s15, (.LBB1_16553-.Lpost_getpc4692)>>32
	s_setpc_b64 s[14:15]
.LBB1_2217:
	s_or_saveexec_b64 s[6:7], s[6:7]
	v_mov_b32_e32 v2, s10
	s_xor_b64 exec, exec, s[6:7]
	s_cbranch_execz .LBB1_2218
; %bb.38059:
	s_getpc_b64 s[14:15]
.Lpost_getpc4693:
	s_add_u32 s14, s14, (.LBB1_16556-.Lpost_getpc4693)&4294967295
	s_addc_u32 s15, s15, (.LBB1_16556-.Lpost_getpc4693)>>32
	s_setpc_b64 s[14:15]
.LBB1_2218:
	s_or_b64 exec, exec, s[6:7]
	s_and_saveexec_b64 s[6:7], s[4:5]
	s_cbranch_execz .LBB1_2220
.LBB1_2219:
	v_bfe_u32 v2, v7, 8, 3
	v_ffbh_u32_e32 v13, v2
	v_min_u32_e32 v13, 32, v13
	v_lshrrev_b16_e32 v12, 3, v6
	v_subrev_u32_e32 v14, 28, v13
	v_and_b32_e32 v12, 15, v12
	v_lshlrev_b32_e32 v6, v14, v6
	v_sub_u32_e32 v13, 29, v13
	v_and_b32_e32 v6, 7, v6
	v_cmp_eq_u16_e32 vcc, 0, v12
	v_cndmask_b32_e32 v2, v2, v6, vcc
	v_cndmask_b32_e32 v6, v12, v13, vcc
	v_lshlrev_b32_e32 v12, 16, v7
	v_mov_b32_e32 v13, 0x3b800000
	v_lshlrev_b32_e32 v2, 20, v2
	v_and_b32_e32 v12, 0x80000000, v12
	v_lshl_add_u32 v6, v6, 23, v13
	v_or3_b32 v2, v12, v6, v2
.LBB1_2220:
	s_or_b64 exec, exec, s[6:7]
	v_lshrrev_b32_e32 v6, 8, v3
	s_movk_i32 s4, 0x7f
	v_cmp_gt_i16_sdwa s[6:7], v6, s4 src0_sel:BYTE_0 src1_sel:DWORD
	s_mov_b64 s[4:5], 0
                                        ; implicit-def: $sgpr10
	s_and_saveexec_b64 s[8:9], s[6:7]
	s_xor_b64 s[6:7], exec, s[8:9]
	s_cbranch_execz .LBB1_2221
; %bb.38061:
	s_getpc_b64 s[14:15]
.Lpost_getpc4694:
	s_add_u32 s14, s14, (.LBB1_16557-.Lpost_getpc4694)&4294967295
	s_addc_u32 s15, s15, (.LBB1_16557-.Lpost_getpc4694)>>32
	s_setpc_b64 s[14:15]
.LBB1_2221:
	s_or_saveexec_b64 s[6:7], s[6:7]
	v_mov_b32_e32 v12, s10
	s_xor_b64 exec, exec, s[6:7]
	s_cbranch_execz .LBB1_2222
; %bb.38063:
	s_getpc_b64 s[14:15]
.Lpost_getpc4695:
	s_add_u32 s14, s14, (.LBB1_16560-.Lpost_getpc4695)&4294967295
	s_addc_u32 s15, s15, (.LBB1_16560-.Lpost_getpc4695)>>32
	s_setpc_b64 s[14:15]
.LBB1_2222:
	s_or_b64 exec, exec, s[6:7]
	s_and_saveexec_b64 s[6:7], s[4:5]
	s_cbranch_execz .LBB1_2224
.LBB1_2223:
	v_bfe_u32 v12, v3, 8, 3
	v_ffbh_u32_e32 v14, v12
	v_min_u32_e32 v14, 32, v14
	v_lshrrev_b16_e32 v13, 3, v6
	v_subrev_u32_e32 v15, 28, v14
	v_and_b32_e32 v13, 15, v13
	v_lshlrev_b32_e32 v6, v15, v6
	v_sub_u32_e32 v14, 29, v14
	v_and_b32_e32 v6, 7, v6
	v_cmp_eq_u16_e32 vcc, 0, v13
	v_cndmask_b32_e32 v6, v12, v6, vcc
	v_cndmask_b32_e32 v12, v13, v14, vcc
	v_lshlrev_b32_e32 v13, 16, v3
	v_mov_b32_e32 v14, 0x3b800000
	v_lshlrev_b32_e32 v6, 20, v6
	v_and_b32_e32 v13, 0x80000000, v13
	v_lshl_add_u32 v12, v12, 23, v14
	v_or3_b32 v12, v13, v12, v6
.LBB1_2224:
	s_or_b64 exec, exec, s[6:7]
	s_nop 0
	v_mfma_f32_16x16x4f32 a[0:3], v2, v12, a[0:3]
	s_movk_i32 s4, 0xff
	v_and_b32_sdwa v6, v7, s4 dst_sel:DWORD dst_unused:UNUSED_PAD src0_sel:WORD_1 src1_sel:DWORD
	s_movk_i32 s4, 0x7f
	v_cmp_lt_i16_e32 vcc, s4, v6
	s_mov_b64 s[4:5], 0
                                        ; implicit-def: $sgpr10
	s_and_saveexec_b64 s[6:7], vcc
	s_xor_b64 s[6:7], exec, s[6:7]
	s_cbranch_execz .LBB1_2225
; %bb.38065:
	s_getpc_b64 s[14:15]
.Lpost_getpc4696:
	s_add_u32 s14, s14, (.LBB1_16561-.Lpost_getpc4696)&4294967295
	s_addc_u32 s15, s15, (.LBB1_16561-.Lpost_getpc4696)>>32
	s_setpc_b64 s[14:15]
.LBB1_2225:
	s_or_saveexec_b64 s[6:7], s[6:7]
	v_mov_b32_e32 v2, s10
	s_xor_b64 exec, exec, s[6:7]
	s_cbranch_execz .LBB1_2226
; %bb.38067:
	s_getpc_b64 s[14:15]
.Lpost_getpc4697:
	s_add_u32 s14, s14, (.LBB1_16564-.Lpost_getpc4697)&4294967295
	s_addc_u32 s15, s15, (.LBB1_16564-.Lpost_getpc4697)>>32
	s_setpc_b64 s[14:15]
.LBB1_2226:
	s_or_b64 exec, exec, s[6:7]
	s_and_saveexec_b64 s[6:7], s[4:5]
	s_cbranch_execz .LBB1_2228
.LBB1_2227:
	v_bfe_u32 v2, v7, 16, 3
	v_ffbh_u32_e32 v13, v2
	v_min_u32_e32 v13, 32, v13
	v_lshrrev_b32_e32 v6, 19, v7
	v_subrev_u32_e32 v14, 28, v13
	v_and_b32_e32 v6, 15, v6
	v_lshlrev_b32_sdwa v14, v14, v7 dst_sel:DWORD dst_unused:UNUSED_PAD src0_sel:DWORD src1_sel:WORD_1
	v_bfe_u32 v12, v7, 19, 4
	v_sub_u32_e32 v13, 29, v13
	v_and_b32_e32 v14, 7, v14
	v_cmp_eq_u16_e32 vcc, 0, v6
	v_cndmask_b32_e32 v2, v2, v14, vcc
	v_cndmask_b32_e32 v6, v12, v13, vcc
	v_lshlrev_b32_e32 v12, 8, v7
	v_mov_b32_e32 v13, 0x3b800000
	v_lshlrev_b32_e32 v2, 20, v2
	v_and_b32_e32 v12, 0x80000000, v12
	v_lshl_add_u32 v6, v6, 23, v13
	v_or3_b32 v2, v12, v6, v2
.LBB1_2228:
	s_or_b64 exec, exec, s[6:7]
	s_movk_i32 s4, 0xff
	v_and_b32_sdwa v6, v3, s4 dst_sel:DWORD dst_unused:UNUSED_PAD src0_sel:WORD_1 src1_sel:DWORD
	s_movk_i32 s4, 0x7f
	v_cmp_lt_i16_e32 vcc, s4, v6
	s_mov_b64 s[4:5], 0
                                        ; implicit-def: $sgpr10
	s_and_saveexec_b64 s[6:7], vcc
	s_xor_b64 s[6:7], exec, s[6:7]
	s_cbranch_execz .LBB1_2229
; %bb.38069:
	s_getpc_b64 s[14:15]
.Lpost_getpc4698:
	s_add_u32 s14, s14, (.LBB1_16565-.Lpost_getpc4698)&4294967295
	s_addc_u32 s15, s15, (.LBB1_16565-.Lpost_getpc4698)>>32
	s_setpc_b64 s[14:15]
.LBB1_2229:
	s_or_saveexec_b64 s[6:7], s[6:7]
	v_mov_b32_e32 v12, s10
	s_xor_b64 exec, exec, s[6:7]
	s_cbranch_execz .LBB1_2230
; %bb.38071:
	s_getpc_b64 s[14:15]
.Lpost_getpc4699:
	s_add_u32 s14, s14, (.LBB1_16568-.Lpost_getpc4699)&4294967295
	s_addc_u32 s15, s15, (.LBB1_16568-.Lpost_getpc4699)>>32
	s_setpc_b64 s[14:15]
.LBB1_2230:
	s_or_b64 exec, exec, s[6:7]
	s_and_saveexec_b64 s[6:7], s[4:5]
	s_cbranch_execz .LBB1_2232
.LBB1_2231:
	v_bfe_u32 v6, v3, 16, 3
	v_ffbh_u32_e32 v14, v6
	v_min_u32_e32 v14, 32, v14
	v_lshrrev_b32_e32 v12, 19, v3
	v_subrev_u32_e32 v15, 28, v14
	v_and_b32_e32 v12, 15, v12
	v_lshlrev_b32_sdwa v15, v15, v3 dst_sel:DWORD dst_unused:UNUSED_PAD src0_sel:DWORD src1_sel:WORD_1
	v_bfe_u32 v13, v3, 19, 4
	v_sub_u32_e32 v14, 29, v14
	v_and_b32_e32 v15, 7, v15
	v_cmp_eq_u16_e32 vcc, 0, v12
	v_cndmask_b32_e32 v6, v6, v15, vcc
	v_cndmask_b32_e32 v12, v13, v14, vcc
	v_lshlrev_b32_e32 v13, 8, v3
	v_mov_b32_e32 v14, 0x3b800000
	v_lshlrev_b32_e32 v6, 20, v6
	v_and_b32_e32 v13, 0x80000000, v13
	v_lshl_add_u32 v12, v12, 23, v14
	v_or3_b32 v12, v13, v12, v6
.LBB1_2232:
	s_or_b64 exec, exec, s[6:7]
	s_nop 0
	v_mfma_f32_16x16x4f32 a[0:3], v2, v12, a[0:3]
	s_movk_i32 s4, 0x7f
	v_cmp_gt_i16_sdwa s[6:7], v7, s4 src0_sel:BYTE_3 src1_sel:DWORD
	s_mov_b64 s[4:5], 0
                                        ; implicit-def: $sgpr10
	s_and_saveexec_b64 s[8:9], s[6:7]
	s_xor_b64 s[6:7], exec, s[8:9]
	s_cbranch_execz .LBB1_2233
; %bb.38073:
	s_getpc_b64 s[14:15]
.Lpost_getpc4700:
	s_add_u32 s14, s14, (.LBB1_16569-.Lpost_getpc4700)&4294967295
	s_addc_u32 s15, s15, (.LBB1_16569-.Lpost_getpc4700)>>32
	s_setpc_b64 s[14:15]
.LBB1_2233:
	s_or_saveexec_b64 s[6:7], s[6:7]
	v_mov_b32_e32 v2, s10
	s_xor_b64 exec, exec, s[6:7]
	s_cbranch_execz .LBB1_2234
; %bb.38075:
	s_getpc_b64 s[14:15]
.Lpost_getpc4701:
	s_add_u32 s14, s14, (.LBB1_16572-.Lpost_getpc4701)&4294967295
	s_addc_u32 s15, s15, (.LBB1_16572-.Lpost_getpc4701)>>32
	s_setpc_b64 s[14:15]
.LBB1_2234:
	s_or_b64 exec, exec, s[6:7]
	s_and_saveexec_b64 s[6:7], s[4:5]
	s_cbranch_execz .LBB1_2236
.LBB1_2235:
	v_bfe_u32 v2, v7, 24, 3
	v_ffbh_u32_e32 v14, v2
	v_min_u32_e32 v14, 32, v14
	v_lshrrev_b32_e32 v12, 27, v7
	v_subrev_u32_e32 v15, 28, v14
	v_and_b32_e32 v6, 0x80000000, v7
	v_and_b32_e32 v12, 15, v12
	v_bfe_u32 v13, v7, 27, 4
	v_lshlrev_b32_sdwa v7, v15, v7 dst_sel:DWORD dst_unused:UNUSED_PAD src0_sel:DWORD src1_sel:BYTE_3
	v_sub_u32_e32 v14, 29, v14
	v_and_b32_e32 v7, 7, v7
	v_cmp_eq_u16_e32 vcc, 0, v12
	v_cndmask_b32_e32 v2, v2, v7, vcc
	v_cndmask_b32_e32 v7, v13, v14, vcc
	v_mov_b32_e32 v12, 0x3b800000
	v_lshlrev_b32_e32 v2, 20, v2
	v_lshl_add_u32 v7, v7, 23, v12
	v_or3_b32 v2, v6, v7, v2
.LBB1_2236:
	s_or_b64 exec, exec, s[6:7]
	s_movk_i32 s4, 0x7f
	v_cmp_gt_i16_sdwa s[6:7], v3, s4 src0_sel:BYTE_3 src1_sel:DWORD
	s_mov_b64 s[4:5], 0
                                        ; implicit-def: $sgpr10
	s_and_saveexec_b64 s[8:9], s[6:7]
	s_xor_b64 s[6:7], exec, s[8:9]
	s_cbranch_execz .LBB1_2237
; %bb.38077:
	s_getpc_b64 s[14:15]
.Lpost_getpc4702:
	s_add_u32 s14, s14, (.LBB1_16573-.Lpost_getpc4702)&4294967295
	s_addc_u32 s15, s15, (.LBB1_16573-.Lpost_getpc4702)>>32
	s_setpc_b64 s[14:15]
.LBB1_2237:
	s_or_saveexec_b64 s[6:7], s[6:7]
	v_mov_b32_e32 v6, s10
	s_xor_b64 exec, exec, s[6:7]
	s_cbranch_execz .LBB1_2238
; %bb.38079:
	s_getpc_b64 s[14:15]
.Lpost_getpc4703:
	s_add_u32 s14, s14, (.LBB1_16576-.Lpost_getpc4703)&4294967295
	s_addc_u32 s15, s15, (.LBB1_16576-.Lpost_getpc4703)>>32
	s_setpc_b64 s[14:15]
.LBB1_2238:
	s_or_b64 exec, exec, s[6:7]
	s_and_saveexec_b64 s[6:7], s[4:5]
	s_cbranch_execz .LBB1_2240
.LBB1_2239:
	v_bfe_u32 v6, v3, 24, 3
	v_ffbh_u32_e32 v14, v6
	v_min_u32_e32 v14, 32, v14
	v_lshrrev_b32_e32 v12, 27, v3
	v_subrev_u32_e32 v15, 28, v14
	v_and_b32_e32 v7, 0x80000000, v3
	v_and_b32_e32 v12, 15, v12
	v_bfe_u32 v13, v3, 27, 4
	v_lshlrev_b32_sdwa v3, v15, v3 dst_sel:DWORD dst_unused:UNUSED_PAD src0_sel:DWORD src1_sel:BYTE_3
	v_sub_u32_e32 v14, 29, v14
	v_and_b32_e32 v3, 7, v3
	v_cmp_eq_u16_e32 vcc, 0, v12
	v_cndmask_b32_e32 v3, v6, v3, vcc
	v_cndmask_b32_e32 v6, v13, v14, vcc
	v_mov_b32_e32 v12, 0x3b800000
	v_lshlrev_b32_e32 v3, 20, v3
	v_lshl_add_u32 v6, v6, 23, v12
	v_or3_b32 v6, v7, v6, v3
.LBB1_2240:
	s_or_b64 exec, exec, s[6:7]
	s_nop 0
	v_mfma_f32_16x16x4f32 a[0:3], v2, v6, a[0:3]
	s_movk_i32 s4, 0x7f
	v_cmp_gt_i16_sdwa s[6:7], v8, s4 src0_sel:BYTE_0 src1_sel:DWORD
	s_mov_b64 s[4:5], 0
                                        ; implicit-def: $sgpr10
	s_and_saveexec_b64 s[8:9], s[6:7]
	s_xor_b64 s[6:7], exec, s[8:9]
	s_cbranch_execz .LBB1_2241
; %bb.38081:
	s_getpc_b64 s[14:15]
.Lpost_getpc4704:
	s_add_u32 s14, s14, (.LBB1_16577-.Lpost_getpc4704)&4294967295
	s_addc_u32 s15, s15, (.LBB1_16577-.Lpost_getpc4704)>>32
	s_setpc_b64 s[14:15]
.LBB1_2241:
	s_or_saveexec_b64 s[6:7], s[6:7]
	v_mov_b32_e32 v2, s10
	s_xor_b64 exec, exec, s[6:7]
	s_cbranch_execz .LBB1_2242
; %bb.38083:
	s_getpc_b64 s[14:15]
.Lpost_getpc4705:
	s_add_u32 s14, s14, (.LBB1_16580-.Lpost_getpc4705)&4294967295
	s_addc_u32 s15, s15, (.LBB1_16580-.Lpost_getpc4705)>>32
	s_setpc_b64 s[14:15]
.LBB1_2242:
	s_or_b64 exec, exec, s[6:7]
	s_and_saveexec_b64 s[6:7], s[4:5]
	s_cbranch_execz .LBB1_2244
.LBB1_2243:
	v_and_b32_e32 v2, 7, v8
	v_ffbh_u32_e32 v6, v2
	v_min_u32_e32 v6, 32, v6
	v_lshrrev_b16_e32 v3, 3, v8
	v_subrev_u32_e32 v7, 28, v6
	v_and_b32_e32 v3, 15, v3
	v_lshlrev_b32_e32 v7, v7, v8
	v_sub_u32_e32 v6, 29, v6
	v_and_b32_e32 v7, 7, v7
	v_cmp_eq_u16_e32 vcc, 0, v3
	v_cndmask_b32_e32 v2, v2, v7, vcc
	v_cndmask_b32_e32 v3, v3, v6, vcc
	v_lshlrev_b32_e32 v6, 24, v8
	v_mov_b32_e32 v7, 0x3b800000
	v_lshlrev_b32_e32 v2, 20, v2
	v_and_b32_e32 v6, 0x80000000, v6
	v_lshl_add_u32 v3, v3, 23, v7
	v_or3_b32 v2, v6, v3, v2
.LBB1_2244:
	s_or_b64 exec, exec, s[6:7]
	s_movk_i32 s4, 0x7f
	v_cmp_gt_i16_sdwa s[6:7], v4, s4 src0_sel:BYTE_0 src1_sel:DWORD
	s_mov_b64 s[4:5], 0
                                        ; implicit-def: $sgpr10
	s_and_saveexec_b64 s[8:9], s[6:7]
	s_xor_b64 s[6:7], exec, s[8:9]
	s_cbranch_execz .LBB1_2245
; %bb.38085:
	s_getpc_b64 s[14:15]
.Lpost_getpc4706:
	s_add_u32 s14, s14, (.LBB1_16581-.Lpost_getpc4706)&4294967295
	s_addc_u32 s15, s15, (.LBB1_16581-.Lpost_getpc4706)>>32
	s_setpc_b64 s[14:15]
.LBB1_2245:
	s_or_saveexec_b64 s[6:7], s[6:7]
	v_mov_b32_e32 v3, s10
	s_xor_b64 exec, exec, s[6:7]
	s_cbranch_execz .LBB1_2246
; %bb.38087:
	s_getpc_b64 s[14:15]
.Lpost_getpc4707:
	s_add_u32 s14, s14, (.LBB1_16584-.Lpost_getpc4707)&4294967295
	s_addc_u32 s15, s15, (.LBB1_16584-.Lpost_getpc4707)>>32
	s_setpc_b64 s[14:15]
.LBB1_2246:
	s_or_b64 exec, exec, s[6:7]
	s_and_saveexec_b64 s[6:7], s[4:5]
	s_cbranch_execz .LBB1_2248
.LBB1_2247:
	v_and_b32_e32 v3, 7, v4
	v_ffbh_u32_e32 v7, v3
	v_min_u32_e32 v7, 32, v7
	v_lshrrev_b16_e32 v6, 3, v4
	v_subrev_u32_e32 v12, 28, v7
	v_and_b32_e32 v6, 15, v6
	v_lshlrev_b32_e32 v12, v12, v4
	v_sub_u32_e32 v7, 29, v7
	v_and_b32_e32 v12, 7, v12
	v_cmp_eq_u16_e32 vcc, 0, v6
	v_cndmask_b32_e32 v3, v3, v12, vcc
	v_cndmask_b32_e32 v6, v6, v7, vcc
	v_lshlrev_b32_e32 v7, 24, v4
	v_mov_b32_e32 v12, 0x3b800000
	v_lshlrev_b32_e32 v3, 20, v3
	v_and_b32_e32 v7, 0x80000000, v7
	v_lshl_add_u32 v6, v6, 23, v12
	v_or3_b32 v3, v7, v6, v3
.LBB1_2248:
	s_or_b64 exec, exec, s[6:7]
	s_nop 0
	v_mfma_f32_16x16x4f32 a[0:3], v2, v3, a[0:3]
	v_lshrrev_b32_e32 v3, 8, v8
	s_movk_i32 s4, 0x7f
	v_cmp_gt_i16_sdwa s[6:7], v3, s4 src0_sel:BYTE_0 src1_sel:DWORD
	s_mov_b64 s[4:5], 0
                                        ; implicit-def: $sgpr10
	s_and_saveexec_b64 s[8:9], s[6:7]
	s_xor_b64 s[6:7], exec, s[8:9]
	s_cbranch_execz .LBB1_2249
; %bb.38089:
	s_getpc_b64 s[14:15]
.Lpost_getpc4708:
	s_add_u32 s14, s14, (.LBB1_16585-.Lpost_getpc4708)&4294967295
	s_addc_u32 s15, s15, (.LBB1_16585-.Lpost_getpc4708)>>32
	s_setpc_b64 s[14:15]
.LBB1_2249:
	s_or_saveexec_b64 s[6:7], s[6:7]
	v_mov_b32_e32 v2, s10
	s_xor_b64 exec, exec, s[6:7]
	s_cbranch_execz .LBB1_2250
; %bb.38091:
	s_getpc_b64 s[14:15]
.Lpost_getpc4709:
	s_add_u32 s14, s14, (.LBB1_16588-.Lpost_getpc4709)&4294967295
	s_addc_u32 s15, s15, (.LBB1_16588-.Lpost_getpc4709)>>32
	s_setpc_b64 s[14:15]
.LBB1_2250:
	s_or_b64 exec, exec, s[6:7]
	s_and_saveexec_b64 s[6:7], s[4:5]
	s_cbranch_execz .LBB1_2252
.LBB1_2251:
	v_bfe_u32 v2, v8, 8, 3
	v_ffbh_u32_e32 v7, v2
	v_min_u32_e32 v7, 32, v7
	v_lshrrev_b16_e32 v6, 3, v3
	v_subrev_u32_e32 v12, 28, v7
	v_and_b32_e32 v6, 15, v6
	v_lshlrev_b32_e32 v3, v12, v3
	v_sub_u32_e32 v7, 29, v7
	v_and_b32_e32 v3, 7, v3
	v_cmp_eq_u16_e32 vcc, 0, v6
	v_cndmask_b32_e32 v2, v2, v3, vcc
	v_cndmask_b32_e32 v3, v6, v7, vcc
	v_lshlrev_b32_e32 v6, 16, v8
	v_mov_b32_e32 v7, 0x3b800000
	v_lshlrev_b32_e32 v2, 20, v2
	v_and_b32_e32 v6, 0x80000000, v6
	v_lshl_add_u32 v3, v3, 23, v7
	v_or3_b32 v2, v6, v3, v2
.LBB1_2252:
	s_or_b64 exec, exec, s[6:7]
	v_lshrrev_b32_e32 v3, 8, v4
	s_movk_i32 s4, 0x7f
	v_cmp_gt_i16_sdwa s[6:7], v3, s4 src0_sel:BYTE_0 src1_sel:DWORD
	s_mov_b64 s[4:5], 0
                                        ; implicit-def: $sgpr10
	s_and_saveexec_b64 s[8:9], s[6:7]
	s_xor_b64 s[6:7], exec, s[8:9]
	s_cbranch_execz .LBB1_2253
; %bb.38093:
	s_getpc_b64 s[14:15]
.Lpost_getpc4710:
	s_add_u32 s14, s14, (.LBB1_16589-.Lpost_getpc4710)&4294967295
	s_addc_u32 s15, s15, (.LBB1_16589-.Lpost_getpc4710)>>32
	s_setpc_b64 s[14:15]
.LBB1_2253:
	s_or_saveexec_b64 s[6:7], s[6:7]
	v_mov_b32_e32 v6, s10
	s_xor_b64 exec, exec, s[6:7]
	s_cbranch_execz .LBB1_2254
; %bb.38095:
	s_getpc_b64 s[14:15]
.Lpost_getpc4711:
	s_add_u32 s14, s14, (.LBB1_16592-.Lpost_getpc4711)&4294967295
	s_addc_u32 s15, s15, (.LBB1_16592-.Lpost_getpc4711)>>32
	s_setpc_b64 s[14:15]
.LBB1_2254:
	s_or_b64 exec, exec, s[6:7]
	s_and_saveexec_b64 s[6:7], s[4:5]
	s_cbranch_execz .LBB1_2256
.LBB1_2255:
	v_bfe_u32 v6, v4, 8, 3
	v_ffbh_u32_e32 v12, v6
	v_min_u32_e32 v12, 32, v12
	v_lshrrev_b16_e32 v7, 3, v3
	v_subrev_u32_e32 v13, 28, v12
	v_and_b32_e32 v7, 15, v7
	v_lshlrev_b32_e32 v3, v13, v3
	v_sub_u32_e32 v12, 29, v12
	v_and_b32_e32 v3, 7, v3
	v_cmp_eq_u16_e32 vcc, 0, v7
	v_cndmask_b32_e32 v3, v6, v3, vcc
	v_cndmask_b32_e32 v6, v7, v12, vcc
	v_lshlrev_b32_e32 v7, 16, v4
	v_mov_b32_e32 v12, 0x3b800000
	v_lshlrev_b32_e32 v3, 20, v3
	v_and_b32_e32 v7, 0x80000000, v7
	v_lshl_add_u32 v6, v6, 23, v12
	v_or3_b32 v6, v7, v6, v3
.LBB1_2256:
	s_or_b64 exec, exec, s[6:7]
	s_nop 0
	v_mfma_f32_16x16x4f32 a[0:3], v2, v6, a[0:3]
	s_movk_i32 s4, 0xff
	v_and_b32_sdwa v3, v8, s4 dst_sel:DWORD dst_unused:UNUSED_PAD src0_sel:WORD_1 src1_sel:DWORD
	s_movk_i32 s4, 0x7f
	v_cmp_lt_i16_e32 vcc, s4, v3
	s_mov_b64 s[4:5], 0
                                        ; implicit-def: $sgpr10
	s_and_saveexec_b64 s[6:7], vcc
	s_xor_b64 s[6:7], exec, s[6:7]
	s_cbranch_execz .LBB1_2257
; %bb.38097:
	s_getpc_b64 s[14:15]
.Lpost_getpc4712:
	s_add_u32 s14, s14, (.LBB1_16593-.Lpost_getpc4712)&4294967295
	s_addc_u32 s15, s15, (.LBB1_16593-.Lpost_getpc4712)>>32
	s_setpc_b64 s[14:15]
.LBB1_2257:
	s_or_saveexec_b64 s[6:7], s[6:7]
	v_mov_b32_e32 v2, s10
	s_xor_b64 exec, exec, s[6:7]
	s_cbranch_execz .LBB1_2258
; %bb.38099:
	s_getpc_b64 s[14:15]
.Lpost_getpc4713:
	s_add_u32 s14, s14, (.LBB1_16596-.Lpost_getpc4713)&4294967295
	s_addc_u32 s15, s15, (.LBB1_16596-.Lpost_getpc4713)>>32
	s_setpc_b64 s[14:15]
.LBB1_2258:
	s_or_b64 exec, exec, s[6:7]
	s_and_saveexec_b64 s[6:7], s[4:5]
	s_cbranch_execz .LBB1_2260
.LBB1_2259:
	v_bfe_u32 v2, v8, 16, 3
	v_ffbh_u32_e32 v7, v2
	v_min_u32_e32 v7, 32, v7
	v_lshrrev_b32_e32 v3, 19, v8
	v_subrev_u32_e32 v12, 28, v7
	v_and_b32_e32 v3, 15, v3
	v_lshlrev_b32_sdwa v12, v12, v8 dst_sel:DWORD dst_unused:UNUSED_PAD src0_sel:DWORD src1_sel:WORD_1
	v_bfe_u32 v6, v8, 19, 4
	v_sub_u32_e32 v7, 29, v7
	v_and_b32_e32 v12, 7, v12
	v_cmp_eq_u16_e32 vcc, 0, v3
	v_cndmask_b32_e32 v2, v2, v12, vcc
	v_cndmask_b32_e32 v3, v6, v7, vcc
	v_lshlrev_b32_e32 v6, 8, v8
	v_mov_b32_e32 v7, 0x3b800000
	v_lshlrev_b32_e32 v2, 20, v2
	v_and_b32_e32 v6, 0x80000000, v6
	v_lshl_add_u32 v3, v3, 23, v7
	v_or3_b32 v2, v6, v3, v2
.LBB1_2260:
	s_or_b64 exec, exec, s[6:7]
	s_movk_i32 s4, 0xff
	v_and_b32_sdwa v3, v4, s4 dst_sel:DWORD dst_unused:UNUSED_PAD src0_sel:WORD_1 src1_sel:DWORD
	s_movk_i32 s4, 0x7f
	v_cmp_lt_i16_e32 vcc, s4, v3
	s_mov_b64 s[4:5], 0
                                        ; implicit-def: $sgpr10
	s_and_saveexec_b64 s[6:7], vcc
	s_xor_b64 s[6:7], exec, s[6:7]
	s_cbranch_execz .LBB1_2261
; %bb.38101:
	s_getpc_b64 s[14:15]
.Lpost_getpc4714:
	s_add_u32 s14, s14, (.LBB1_16597-.Lpost_getpc4714)&4294967295
	s_addc_u32 s15, s15, (.LBB1_16597-.Lpost_getpc4714)>>32
	s_setpc_b64 s[14:15]
.LBB1_2261:
	s_or_saveexec_b64 s[6:7], s[6:7]
	v_mov_b32_e32 v6, s10
	s_xor_b64 exec, exec, s[6:7]
	s_cbranch_execz .LBB1_2262
; %bb.38103:
	s_getpc_b64 s[14:15]
.Lpost_getpc4715:
	s_add_u32 s14, s14, (.LBB1_16600-.Lpost_getpc4715)&4294967295
	s_addc_u32 s15, s15, (.LBB1_16600-.Lpost_getpc4715)>>32
	s_setpc_b64 s[14:15]
.LBB1_2262:
	s_or_b64 exec, exec, s[6:7]
	s_and_saveexec_b64 s[6:7], s[4:5]
	s_cbranch_execz .LBB1_2264
.LBB1_2263:
	v_bfe_u32 v3, v4, 16, 3
	v_ffbh_u32_e32 v12, v3
	v_min_u32_e32 v12, 32, v12
	v_lshrrev_b32_e32 v6, 19, v4
	v_subrev_u32_e32 v13, 28, v12
	v_and_b32_e32 v6, 15, v6
	v_lshlrev_b32_sdwa v13, v13, v4 dst_sel:DWORD dst_unused:UNUSED_PAD src0_sel:DWORD src1_sel:WORD_1
	v_bfe_u32 v7, v4, 19, 4
	v_sub_u32_e32 v12, 29, v12
	v_and_b32_e32 v13, 7, v13
	v_cmp_eq_u16_e32 vcc, 0, v6
	v_cndmask_b32_e32 v3, v3, v13, vcc
	v_cndmask_b32_e32 v6, v7, v12, vcc
	v_lshlrev_b32_e32 v7, 8, v4
	v_mov_b32_e32 v12, 0x3b800000
	v_lshlrev_b32_e32 v3, 20, v3
	v_and_b32_e32 v7, 0x80000000, v7
	v_lshl_add_u32 v6, v6, 23, v12
	v_or3_b32 v6, v7, v6, v3
.LBB1_2264:
	s_or_b64 exec, exec, s[6:7]
	s_nop 0
	v_mfma_f32_16x16x4f32 a[0:3], v2, v6, a[0:3]
	s_movk_i32 s4, 0x7f
	v_cmp_gt_i16_sdwa s[6:7], v8, s4 src0_sel:BYTE_3 src1_sel:DWORD
	s_mov_b64 s[4:5], 0
                                        ; implicit-def: $sgpr10
	s_and_saveexec_b64 s[8:9], s[6:7]
	s_xor_b64 s[6:7], exec, s[8:9]
	s_cbranch_execz .LBB1_2265
; %bb.38105:
	s_getpc_b64 s[14:15]
.Lpost_getpc4716:
	s_add_u32 s14, s14, (.LBB1_16601-.Lpost_getpc4716)&4294967295
	s_addc_u32 s15, s15, (.LBB1_16601-.Lpost_getpc4716)>>32
	s_setpc_b64 s[14:15]
.LBB1_2265:
	s_or_saveexec_b64 s[6:7], s[6:7]
	v_mov_b32_e32 v2, s10
	s_xor_b64 exec, exec, s[6:7]
	s_cbranch_execz .LBB1_2266
; %bb.38107:
	s_getpc_b64 s[14:15]
.Lpost_getpc4717:
	s_add_u32 s14, s14, (.LBB1_16604-.Lpost_getpc4717)&4294967295
	s_addc_u32 s15, s15, (.LBB1_16604-.Lpost_getpc4717)>>32
	s_setpc_b64 s[14:15]
.LBB1_2266:
	s_or_b64 exec, exec, s[6:7]
	s_and_saveexec_b64 s[6:7], s[4:5]
	s_cbranch_execz .LBB1_2268
.LBB1_2267:
	v_bfe_u32 v2, v8, 24, 3
	v_ffbh_u32_e32 v12, v2
	v_min_u32_e32 v12, 32, v12
	v_lshrrev_b32_e32 v6, 27, v8
	v_subrev_u32_e32 v13, 28, v12
	v_and_b32_e32 v3, 0x80000000, v8
	v_and_b32_e32 v6, 15, v6
	v_bfe_u32 v7, v8, 27, 4
	v_lshlrev_b32_sdwa v8, v13, v8 dst_sel:DWORD dst_unused:UNUSED_PAD src0_sel:DWORD src1_sel:BYTE_3
	v_sub_u32_e32 v12, 29, v12
	v_and_b32_e32 v8, 7, v8
	v_cmp_eq_u16_e32 vcc, 0, v6
	v_cndmask_b32_e32 v2, v2, v8, vcc
	v_cndmask_b32_e32 v6, v7, v12, vcc
	v_mov_b32_e32 v7, 0x3b800000
	v_lshlrev_b32_e32 v2, 20, v2
	v_lshl_add_u32 v6, v6, 23, v7
	v_or3_b32 v2, v3, v6, v2
.LBB1_2268:
	s_or_b64 exec, exec, s[6:7]
	s_movk_i32 s4, 0x7f
	v_cmp_gt_i16_sdwa s[6:7], v4, s4 src0_sel:BYTE_3 src1_sel:DWORD
	s_mov_b64 s[4:5], 0
                                        ; implicit-def: $sgpr10
	s_and_saveexec_b64 s[8:9], s[6:7]
	s_xor_b64 s[6:7], exec, s[8:9]
	s_cbranch_execz .LBB1_2269
; %bb.38109:
	s_getpc_b64 s[14:15]
.Lpost_getpc4718:
	s_add_u32 s14, s14, (.LBB1_16605-.Lpost_getpc4718)&4294967295
	s_addc_u32 s15, s15, (.LBB1_16605-.Lpost_getpc4718)>>32
	s_setpc_b64 s[14:15]
.LBB1_2269:
	s_or_saveexec_b64 s[6:7], s[6:7]
	v_mov_b32_e32 v3, s10
	s_xor_b64 exec, exec, s[6:7]
	s_cbranch_execz .LBB1_2270
; %bb.38111:
	s_getpc_b64 s[14:15]
.Lpost_getpc4719:
	s_add_u32 s14, s14, (.LBB1_16608-.Lpost_getpc4719)&4294967295
	s_addc_u32 s15, s15, (.LBB1_16608-.Lpost_getpc4719)>>32
	s_setpc_b64 s[14:15]
.LBB1_2270:
	s_or_b64 exec, exec, s[6:7]
	s_and_saveexec_b64 s[6:7], s[4:5]
	s_cbranch_execz .LBB1_2272
.LBB1_2271:
	v_bfe_u32 v3, v4, 24, 3
	v_ffbh_u32_e32 v12, v3
	v_min_u32_e32 v12, 32, v12
	v_lshrrev_b32_e32 v7, 27, v4
	v_subrev_u32_e32 v13, 28, v12
	v_and_b32_e32 v6, 0x80000000, v4
	v_and_b32_e32 v7, 15, v7
	v_bfe_u32 v8, v4, 27, 4
	v_lshlrev_b32_sdwa v4, v13, v4 dst_sel:DWORD dst_unused:UNUSED_PAD src0_sel:DWORD src1_sel:BYTE_3
	v_sub_u32_e32 v12, 29, v12
	v_and_b32_e32 v4, 7, v4
	v_cmp_eq_u16_e32 vcc, 0, v7
	v_cndmask_b32_e32 v3, v3, v4, vcc
	v_cndmask_b32_e32 v4, v8, v12, vcc
	v_mov_b32_e32 v7, 0x3b800000
	v_lshlrev_b32_e32 v3, 20, v3
	v_lshl_add_u32 v4, v4, 23, v7
	v_or3_b32 v3, v6, v4, v3
.LBB1_2272:
	s_or_b64 exec, exec, s[6:7]
	s_nop 0
	v_mfma_f32_16x16x4f32 a[0:3], v2, v3, a[0:3]
	s_movk_i32 s4, 0x7f
	v_cmp_gt_i16_sdwa s[6:7], v9, s4 src0_sel:BYTE_0 src1_sel:DWORD
	s_mov_b64 s[4:5], 0
                                        ; implicit-def: $sgpr10
	s_and_saveexec_b64 s[8:9], s[6:7]
	s_xor_b64 s[6:7], exec, s[8:9]
	s_cbranch_execz .LBB1_2273
; %bb.38113:
	s_getpc_b64 s[14:15]
.Lpost_getpc4720:
	s_add_u32 s14, s14, (.LBB1_16609-.Lpost_getpc4720)&4294967295
	s_addc_u32 s15, s15, (.LBB1_16609-.Lpost_getpc4720)>>32
	s_setpc_b64 s[14:15]
.LBB1_2273:
	s_or_saveexec_b64 s[6:7], s[6:7]
	v_mov_b32_e32 v2, s10
	s_xor_b64 exec, exec, s[6:7]
	s_cbranch_execz .LBB1_2274
; %bb.38115:
	s_getpc_b64 s[14:15]
.Lpost_getpc4721:
	s_add_u32 s14, s14, (.LBB1_16612-.Lpost_getpc4721)&4294967295
	s_addc_u32 s15, s15, (.LBB1_16612-.Lpost_getpc4721)>>32
	s_setpc_b64 s[14:15]
.LBB1_2274:
	s_or_b64 exec, exec, s[6:7]
	s_and_saveexec_b64 s[6:7], s[4:5]
	s_cbranch_execz .LBB1_2276
.LBB1_2275:
	v_mov_b32_e32 v2, 8
	v_and_b32_e32 v3, 7, v9
	v_lshrrev_b32_sdwa v2, v2, v9 dst_sel:BYTE_1 dst_unused:UNUSED_PAD src0_sel:DWORD src1_sel:DWORD
	v_ffbh_u32_e32 v4, v3
	v_or_b32_sdwa v2, v9, v2 dst_sel:DWORD dst_unused:UNUSED_PAD src0_sel:BYTE_0 src1_sel:DWORD
	v_min_u32_e32 v4, 32, v4
	v_lshrrev_b16_e32 v2, 3, v2
	v_subrev_u32_e32 v6, 28, v4
	v_and_b32_e32 v2, 15, v2
	v_lshlrev_b32_e32 v6, v6, v9
	v_sub_u32_e32 v4, 29, v4
	v_and_b32_e32 v6, 7, v6
	v_cmp_eq_u16_e32 vcc, 0, v2
	v_cndmask_b32_e32 v3, v3, v6, vcc
	v_cndmask_b32_e32 v2, v2, v4, vcc
	v_lshlrev_b32_e32 v4, 24, v9
	v_mov_b32_e32 v6, 0x3b800000
	v_lshlrev_b32_e32 v3, 20, v3
	v_and_b32_e32 v4, 0x80000000, v4
	v_lshl_add_u32 v2, v2, 23, v6
	v_or3_b32 v2, v4, v2, v3
.LBB1_2276:
	s_or_b64 exec, exec, s[6:7]
	s_movk_i32 s4, 0x7f
	v_cmp_gt_i16_sdwa s[6:7], v5, s4 src0_sel:BYTE_0 src1_sel:DWORD
	s_mov_b64 s[4:5], 0
                                        ; implicit-def: $sgpr10
	s_and_saveexec_b64 s[8:9], s[6:7]
	s_xor_b64 s[6:7], exec, s[8:9]
	s_cbranch_execz .LBB1_2277
; %bb.38117:
	s_getpc_b64 s[14:15]
.Lpost_getpc4722:
	s_add_u32 s14, s14, (.LBB1_16613-.Lpost_getpc4722)&4294967295
	s_addc_u32 s15, s15, (.LBB1_16613-.Lpost_getpc4722)>>32
	s_setpc_b64 s[14:15]
.LBB1_2277:
	s_or_saveexec_b64 s[6:7], s[6:7]
	v_mov_b32_e32 v3, s10
	s_xor_b64 exec, exec, s[6:7]
	s_cbranch_execz .LBB1_2278
; %bb.38119:
	s_getpc_b64 s[14:15]
.Lpost_getpc4723:
	s_add_u32 s14, s14, (.LBB1_16616-.Lpost_getpc4723)&4294967295
	s_addc_u32 s15, s15, (.LBB1_16616-.Lpost_getpc4723)>>32
	s_setpc_b64 s[14:15]
.LBB1_2278:
	s_or_b64 exec, exec, s[6:7]
	s_and_saveexec_b64 s[6:7], s[4:5]
	s_cbranch_execz .LBB1_2280
.LBB1_2279:
	v_mov_b32_e32 v3, 8
	v_and_b32_e32 v4, 7, v5
	v_lshrrev_b32_sdwa v3, v3, v5 dst_sel:BYTE_1 dst_unused:UNUSED_PAD src0_sel:DWORD src1_sel:DWORD
	v_ffbh_u32_e32 v6, v4
	v_or_b32_sdwa v3, v5, v3 dst_sel:DWORD dst_unused:UNUSED_PAD src0_sel:BYTE_0 src1_sel:DWORD
	v_min_u32_e32 v6, 32, v6
	v_lshrrev_b16_e32 v3, 3, v3
	v_subrev_u32_e32 v7, 28, v6
	v_and_b32_e32 v3, 15, v3
	v_lshlrev_b32_e32 v7, v7, v5
	v_sub_u32_e32 v6, 29, v6
	v_and_b32_e32 v7, 7, v7
	v_cmp_eq_u16_e32 vcc, 0, v3
	v_cndmask_b32_e32 v4, v4, v7, vcc
	v_cndmask_b32_e32 v3, v3, v6, vcc
	v_lshlrev_b32_e32 v6, 24, v5
	v_mov_b32_e32 v7, 0x3b800000
	v_lshlrev_b32_e32 v4, 20, v4
	v_and_b32_e32 v6, 0x80000000, v6
	v_lshl_add_u32 v3, v3, 23, v7
	v_or3_b32 v3, v6, v3, v4
.LBB1_2280:
	s_or_b64 exec, exec, s[6:7]
	s_nop 0
	v_mfma_f32_16x16x4f32 a[0:3], v2, v3, a[0:3]
	v_lshrrev_b32_e32 v3, 8, v9
	s_movk_i32 s4, 0x7f
	v_cmp_gt_i16_sdwa s[6:7], v3, s4 src0_sel:BYTE_0 src1_sel:DWORD
	s_mov_b64 s[4:5], 0
                                        ; implicit-def: $sgpr10
	s_and_saveexec_b64 s[8:9], s[6:7]
	s_xor_b64 s[6:7], exec, s[8:9]
	s_cbranch_execz .LBB1_2281
; %bb.38121:
	s_getpc_b64 s[14:15]
.Lpost_getpc4724:
	s_add_u32 s14, s14, (.LBB1_16617-.Lpost_getpc4724)&4294967295
	s_addc_u32 s15, s15, (.LBB1_16617-.Lpost_getpc4724)>>32
	s_setpc_b64 s[14:15]
.LBB1_2281:
	s_or_saveexec_b64 s[6:7], s[6:7]
	v_mov_b32_e32 v2, s10
	s_xor_b64 exec, exec, s[6:7]
	s_cbranch_execz .LBB1_2282
; %bb.38123:
	s_getpc_b64 s[14:15]
.Lpost_getpc4725:
	s_add_u32 s14, s14, (.LBB1_16620-.Lpost_getpc4725)&4294967295
	s_addc_u32 s15, s15, (.LBB1_16620-.Lpost_getpc4725)>>32
	s_setpc_b64 s[14:15]
.LBB1_2282:
	s_or_b64 exec, exec, s[6:7]
	s_and_saveexec_b64 s[6:7], s[4:5]
	s_cbranch_execz .LBB1_2284
.LBB1_2283:
	v_bfe_u32 v2, v9, 8, 3
	v_ffbh_u32_e32 v6, v2
	v_min_u32_e32 v6, 32, v6
	v_lshrrev_b16_e32 v4, 3, v3
	v_subrev_u32_e32 v7, 28, v6
	v_and_b32_e32 v4, 15, v4
	v_lshlrev_b32_e32 v3, v7, v3
	v_sub_u32_e32 v6, 29, v6
	v_and_b32_e32 v3, 7, v3
	v_cmp_eq_u16_e32 vcc, 0, v4
	v_cndmask_b32_e32 v2, v2, v3, vcc
	v_cndmask_b32_e32 v3, v4, v6, vcc
	v_lshlrev_b32_e32 v4, 16, v9
	v_mov_b32_e32 v6, 0x3b800000
	v_lshlrev_b32_e32 v2, 20, v2
	v_and_b32_e32 v4, 0x80000000, v4
	v_lshl_add_u32 v3, v3, 23, v6
	v_or3_b32 v2, v4, v3, v2
.LBB1_2284:
	s_or_b64 exec, exec, s[6:7]
	v_lshrrev_b32_e32 v3, 8, v5
	s_movk_i32 s4, 0x7f
	v_cmp_gt_i16_sdwa s[6:7], v3, s4 src0_sel:BYTE_0 src1_sel:DWORD
	s_mov_b64 s[4:5], 0
                                        ; implicit-def: $sgpr10
	s_and_saveexec_b64 s[8:9], s[6:7]
	s_xor_b64 s[6:7], exec, s[8:9]
	s_cbranch_execz .LBB1_2285
; %bb.38125:
	s_getpc_b64 s[14:15]
.Lpost_getpc4726:
	s_add_u32 s14, s14, (.LBB1_16621-.Lpost_getpc4726)&4294967295
	s_addc_u32 s15, s15, (.LBB1_16621-.Lpost_getpc4726)>>32
	s_setpc_b64 s[14:15]
.LBB1_2285:
	s_or_saveexec_b64 s[6:7], s[6:7]
	v_mov_b32_e32 v4, s10
	s_xor_b64 exec, exec, s[6:7]
	s_cbranch_execz .LBB1_2286
; %bb.38127:
	s_getpc_b64 s[14:15]
.Lpost_getpc4727:
	s_add_u32 s14, s14, (.LBB1_16624-.Lpost_getpc4727)&4294967295
	s_addc_u32 s15, s15, (.LBB1_16624-.Lpost_getpc4727)>>32
	s_setpc_b64 s[14:15]
.LBB1_2286:
	s_or_b64 exec, exec, s[6:7]
	s_and_saveexec_b64 s[6:7], s[4:5]
	s_cbranch_execz .LBB1_2288
.LBB1_2287:
	v_bfe_u32 v4, v5, 8, 3
	v_ffbh_u32_e32 v7, v4
	v_min_u32_e32 v7, 32, v7
	v_lshrrev_b16_e32 v6, 3, v3
	v_subrev_u32_e32 v8, 28, v7
	v_and_b32_e32 v6, 15, v6
	v_lshlrev_b32_e32 v3, v8, v3
	v_sub_u32_e32 v7, 29, v7
	v_and_b32_e32 v3, 7, v3
	v_cmp_eq_u16_e32 vcc, 0, v6
	v_cndmask_b32_e32 v3, v4, v3, vcc
	v_cndmask_b32_e32 v4, v6, v7, vcc
	v_lshlrev_b32_e32 v6, 16, v5
	v_mov_b32_e32 v7, 0x3b800000
	v_lshlrev_b32_e32 v3, 20, v3
	v_and_b32_e32 v6, 0x80000000, v6
	v_lshl_add_u32 v4, v4, 23, v7
	v_or3_b32 v4, v6, v4, v3
.LBB1_2288:
	s_or_b64 exec, exec, s[6:7]
	s_nop 0
	v_mfma_f32_16x16x4f32 a[0:3], v2, v4, a[0:3]
	s_movk_i32 s4, 0xff
	v_and_b32_sdwa v3, v9, s4 dst_sel:DWORD dst_unused:UNUSED_PAD src0_sel:WORD_1 src1_sel:DWORD
	s_movk_i32 s4, 0x7f
	v_cmp_lt_i16_e32 vcc, s4, v3
	s_mov_b64 s[4:5], 0
                                        ; implicit-def: $sgpr10
	s_and_saveexec_b64 s[6:7], vcc
	s_xor_b64 s[6:7], exec, s[6:7]
	s_cbranch_execz .LBB1_2289
; %bb.38129:
	s_getpc_b64 s[14:15]
.Lpost_getpc4728:
	s_add_u32 s14, s14, (.LBB1_16625-.Lpost_getpc4728)&4294967295
	s_addc_u32 s15, s15, (.LBB1_16625-.Lpost_getpc4728)>>32
	s_setpc_b64 s[14:15]
.LBB1_2289:
	s_or_saveexec_b64 s[6:7], s[6:7]
	v_mov_b32_e32 v2, s10
	s_xor_b64 exec, exec, s[6:7]
	s_cbranch_execz .LBB1_2290
; %bb.38131:
	s_getpc_b64 s[14:15]
.Lpost_getpc4729:
	s_add_u32 s14, s14, (.LBB1_16628-.Lpost_getpc4729)&4294967295
	s_addc_u32 s15, s15, (.LBB1_16628-.Lpost_getpc4729)>>32
	s_setpc_b64 s[14:15]
.LBB1_2290:
	s_or_b64 exec, exec, s[6:7]
	s_and_saveexec_b64 s[6:7], s[4:5]
	s_cbranch_execz .LBB1_2292
.LBB1_2291:
	v_bfe_u32 v2, v9, 16, 3
	v_ffbh_u32_e32 v6, v2
	v_min_u32_e32 v6, 32, v6
	v_lshrrev_b32_e32 v3, 19, v9
	v_subrev_u32_e32 v7, 28, v6
	v_and_b32_e32 v3, 15, v3
	v_lshlrev_b32_sdwa v7, v7, v9 dst_sel:DWORD dst_unused:UNUSED_PAD src0_sel:DWORD src1_sel:WORD_1
	v_bfe_u32 v4, v9, 19, 4
	v_sub_u32_e32 v6, 29, v6
	v_and_b32_e32 v7, 7, v7
	v_cmp_eq_u16_e32 vcc, 0, v3
	v_cndmask_b32_e32 v2, v2, v7, vcc
	v_cndmask_b32_e32 v3, v4, v6, vcc
	v_lshlrev_b32_e32 v4, 8, v9
	v_mov_b32_e32 v6, 0x3b800000
	v_lshlrev_b32_e32 v2, 20, v2
	v_and_b32_e32 v4, 0x80000000, v4
	v_lshl_add_u32 v3, v3, 23, v6
	v_or3_b32 v2, v4, v3, v2
.LBB1_2292:
	s_or_b64 exec, exec, s[6:7]
	s_movk_i32 s4, 0xff
	v_and_b32_sdwa v3, v5, s4 dst_sel:DWORD dst_unused:UNUSED_PAD src0_sel:WORD_1 src1_sel:DWORD
	s_movk_i32 s4, 0x7f
	v_cmp_lt_i16_e32 vcc, s4, v3
	s_mov_b64 s[4:5], 0
                                        ; implicit-def: $sgpr10
	s_and_saveexec_b64 s[6:7], vcc
	s_xor_b64 s[6:7], exec, s[6:7]
	s_cbranch_execz .LBB1_2293
; %bb.38133:
	s_getpc_b64 s[14:15]
.Lpost_getpc4730:
	s_add_u32 s14, s14, (.LBB1_16629-.Lpost_getpc4730)&4294967295
	s_addc_u32 s15, s15, (.LBB1_16629-.Lpost_getpc4730)>>32
	s_setpc_b64 s[14:15]
.LBB1_2293:
	s_or_saveexec_b64 s[6:7], s[6:7]
	v_mov_b32_e32 v4, s10
	s_xor_b64 exec, exec, s[6:7]
	s_cbranch_execz .LBB1_2294
; %bb.38135:
	s_getpc_b64 s[14:15]
.Lpost_getpc4731:
	s_add_u32 s14, s14, (.LBB1_16632-.Lpost_getpc4731)&4294967295
	s_addc_u32 s15, s15, (.LBB1_16632-.Lpost_getpc4731)>>32
	s_setpc_b64 s[14:15]
.LBB1_2294:
	s_or_b64 exec, exec, s[6:7]
	s_and_saveexec_b64 s[6:7], s[4:5]
	s_cbranch_execz .LBB1_2296
.LBB1_2295:
	v_bfe_u32 v3, v5, 16, 3
	v_ffbh_u32_e32 v7, v3
	v_min_u32_e32 v7, 32, v7
	v_lshrrev_b32_e32 v4, 19, v5
	v_subrev_u32_e32 v8, 28, v7
	v_and_b32_e32 v4, 15, v4
	v_lshlrev_b32_sdwa v8, v8, v5 dst_sel:DWORD dst_unused:UNUSED_PAD src0_sel:DWORD src1_sel:WORD_1
	v_bfe_u32 v6, v5, 19, 4
	v_sub_u32_e32 v7, 29, v7
	v_and_b32_e32 v8, 7, v8
	v_cmp_eq_u16_e32 vcc, 0, v4
	v_cndmask_b32_e32 v3, v3, v8, vcc
	v_cndmask_b32_e32 v4, v6, v7, vcc
	v_lshlrev_b32_e32 v6, 8, v5
	v_mov_b32_e32 v7, 0x3b800000
	v_lshlrev_b32_e32 v3, 20, v3
	v_and_b32_e32 v6, 0x80000000, v6
	v_lshl_add_u32 v4, v4, 23, v7
	v_or3_b32 v4, v6, v4, v3
.LBB1_2296:
	s_or_b64 exec, exec, s[6:7]
	s_nop 0
	v_mfma_f32_16x16x4f32 a[0:3], v2, v4, a[0:3]
	s_movk_i32 s4, 0x7f
	v_cmp_gt_i16_sdwa s[6:7], v9, s4 src0_sel:BYTE_3 src1_sel:DWORD
	s_mov_b64 s[4:5], 0
                                        ; implicit-def: $sgpr10
	s_and_saveexec_b64 s[8:9], s[6:7]
	s_xor_b64 s[6:7], exec, s[8:9]
	s_cbranch_execz .LBB1_2297
; %bb.38137:
	s_getpc_b64 s[14:15]
.Lpost_getpc4732:
	s_add_u32 s14, s14, (.LBB1_16633-.Lpost_getpc4732)&4294967295
	s_addc_u32 s15, s15, (.LBB1_16633-.Lpost_getpc4732)>>32
	s_setpc_b64 s[14:15]
.LBB1_2297:
	s_or_saveexec_b64 s[6:7], s[6:7]
	v_mov_b32_e32 v2, s10
	s_xor_b64 exec, exec, s[6:7]
	s_cbranch_execz .LBB1_2298
; %bb.38139:
	s_getpc_b64 s[14:15]
.Lpost_getpc4733:
	s_add_u32 s14, s14, (.LBB1_16636-.Lpost_getpc4733)&4294967295
	s_addc_u32 s15, s15, (.LBB1_16636-.Lpost_getpc4733)>>32
	s_setpc_b64 s[14:15]
.LBB1_2298:
	s_or_b64 exec, exec, s[6:7]
	s_and_saveexec_b64 s[6:7], s[4:5]
	s_cbranch_execz .LBB1_2300
.LBB1_2299:
	v_bfe_u32 v2, v9, 24, 3
	v_ffbh_u32_e32 v7, v2
	v_min_u32_e32 v7, 32, v7
	v_lshrrev_b32_e32 v4, 27, v9
	v_subrev_u32_e32 v8, 28, v7
	v_and_b32_e32 v4, 15, v4
	v_lshlrev_b32_sdwa v8, v8, v9 dst_sel:DWORD dst_unused:UNUSED_PAD src0_sel:DWORD src1_sel:BYTE_3
	v_bfe_u32 v6, v9, 27, 4
	v_sub_u32_e32 v7, 29, v7
	v_and_b32_e32 v8, 7, v8
	v_cmp_eq_u16_e32 vcc, 0, v4
	v_cndmask_b32_e32 v2, v2, v8, vcc
	v_cndmask_b32_e32 v4, v6, v7, vcc
	v_mov_b32_e32 v6, 0x3b800000
	v_and_b32_e32 v3, 0x80000000, v9
	v_lshlrev_b32_e32 v2, 20, v2
	v_lshl_add_u32 v4, v4, 23, v6
	v_or3_b32 v2, v3, v4, v2
.LBB1_2300:
	s_or_b64 exec, exec, s[6:7]
	s_movk_i32 s4, 0x7f
	v_cmp_gt_i16_sdwa s[6:7], v5, s4 src0_sel:BYTE_3 src1_sel:DWORD
	s_mov_b64 s[4:5], 0
                                        ; implicit-def: $sgpr10
	s_and_saveexec_b64 s[8:9], s[6:7]
	s_xor_b64 s[6:7], exec, s[8:9]
	s_cbranch_execz .LBB1_2301
; %bb.38141:
	s_getpc_b64 s[14:15]
.Lpost_getpc4734:
	s_add_u32 s14, s14, (.LBB1_16637-.Lpost_getpc4734)&4294967295
	s_addc_u32 s15, s15, (.LBB1_16637-.Lpost_getpc4734)>>32
	s_setpc_b64 s[14:15]
.LBB1_2301:
	s_or_saveexec_b64 s[6:7], s[6:7]
	v_mov_b32_e32 v3, s10
	s_xor_b64 exec, exec, s[6:7]
	s_cbranch_execz .LBB1_2302
; %bb.38143:
	s_getpc_b64 s[14:15]
.Lpost_getpc4735:
	s_add_u32 s14, s14, (.LBB1_16640-.Lpost_getpc4735)&4294967295
	s_addc_u32 s15, s15, (.LBB1_16640-.Lpost_getpc4735)>>32
	s_setpc_b64 s[14:15]
.LBB1_2302:
	s_or_b64 exec, exec, s[6:7]
	s_and_saveexec_b64 s[6:7], s[4:5]
	s_cbranch_execz .LBB1_2304
.LBB1_2303:
	v_bfe_u32 v3, v5, 24, 3
	v_ffbh_u32_e32 v8, v3
	v_min_u32_e32 v8, 32, v8
	v_lshrrev_b32_e32 v6, 27, v5
	v_subrev_u32_e32 v9, 28, v8
	v_and_b32_e32 v4, 0x80000000, v5
	v_and_b32_e32 v6, 15, v6
	v_bfe_u32 v7, v5, 27, 4
	v_lshlrev_b32_sdwa v5, v9, v5 dst_sel:DWORD dst_unused:UNUSED_PAD src0_sel:DWORD src1_sel:BYTE_3
	v_sub_u32_e32 v8, 29, v8
	v_and_b32_e32 v5, 7, v5
	v_cmp_eq_u16_e32 vcc, 0, v6
	v_cndmask_b32_e32 v3, v3, v5, vcc
	v_cndmask_b32_e32 v5, v7, v8, vcc
	v_mov_b32_e32 v6, 0x3b800000
	v_lshlrev_b32_e32 v3, 20, v3
	v_lshl_add_u32 v5, v5, 23, v6
	v_or3_b32 v3, v4, v5, v3
.LBB1_2304:
	s_or_b64 exec, exec, s[6:7]
	s_nop 0
	v_mfma_f32_16x16x4f32 a[0:3], v2, v3, a[0:3]
	s_movk_i32 s4, 0x7f
                                        ; implicit-def: $sgpr10
	s_nop 7
	s_nop 1
	flat_store_dwordx4 v[10:11], a[0:3] offset:272
	flat_load_dwordx4 v[12:15], v[0:1]
	s_nop 0
	flat_load_dwordx2 v[10:11], v[0:1] offset:16
	s_waitcnt vmcnt(0) lgkmcnt(0)
	flat_load_dwordx4 v[6:9], v[12:13] offset:32
	flat_load_dwordx4 v[2:5], v[14:15] offset:32
	s_waitcnt vmcnt(0) lgkmcnt(0)
	v_cmp_gt_i16_sdwa s[6:7], v6, s4 src0_sel:BYTE_0 src1_sel:DWORD
	s_mov_b64 s[4:5], 0
	s_and_saveexec_b64 s[8:9], s[6:7]
	s_xor_b64 s[6:7], exec, s[8:9]
	s_cbranch_execz .LBB1_2305
; %bb.38145:
	s_getpc_b64 s[14:15]
.Lpost_getpc4736:
	s_add_u32 s14, s14, (.LBB1_16641-.Lpost_getpc4736)&4294967295
	s_addc_u32 s15, s15, (.LBB1_16641-.Lpost_getpc4736)>>32
	s_setpc_b64 s[14:15]
.LBB1_2305:
	s_or_saveexec_b64 s[6:7], s[6:7]
	v_mov_b32_e32 v12, s10
	s_xor_b64 exec, exec, s[6:7]
	s_cbranch_execz .LBB1_2306
; %bb.38147:
	s_getpc_b64 s[14:15]
.Lpost_getpc4737:
	s_add_u32 s14, s14, (.LBB1_16644-.Lpost_getpc4737)&4294967295
	s_addc_u32 s15, s15, (.LBB1_16644-.Lpost_getpc4737)>>32
	s_setpc_b64 s[14:15]
.LBB1_2306:
	s_or_b64 exec, exec, s[6:7]
	s_and_saveexec_b64 s[6:7], s[4:5]
	s_cbranch_execz .LBB1_2308
.LBB1_2307:
	v_and_b32_e32 v12, 7, v6
	v_ffbh_u32_e32 v14, v12
	v_min_u32_e32 v14, 32, v14
	v_lshrrev_b16_e32 v13, 3, v6
	v_subrev_u32_e32 v15, 28, v14
	v_and_b32_e32 v13, 15, v13
	v_lshlrev_b32_e32 v15, v15, v6
	v_sub_u32_e32 v14, 29, v14
	v_and_b32_e32 v15, 7, v15
	v_cmp_eq_u16_e32 vcc, 0, v13
	v_cndmask_b32_e32 v12, v12, v15, vcc
	v_cndmask_b32_e32 v13, v13, v14, vcc
	v_lshlrev_b32_e32 v14, 24, v6
	v_mov_b32_e32 v15, 0x3b800000
	v_lshlrev_b32_e32 v12, 20, v12
	v_and_b32_e32 v14, 0x80000000, v14
	v_lshl_add_u32 v13, v13, 23, v15
	v_or3_b32 v12, v14, v13, v12
.LBB1_2308:
	s_or_b64 exec, exec, s[6:7]
	s_movk_i32 s4, 0x7f
	v_cmp_gt_i16_sdwa s[6:7], v2, s4 src0_sel:BYTE_0 src1_sel:DWORD
	s_mov_b64 s[4:5], 0
                                        ; implicit-def: $sgpr10
	s_and_saveexec_b64 s[8:9], s[6:7]
	s_xor_b64 s[6:7], exec, s[8:9]
	s_cbranch_execz .LBB1_2309
; %bb.38149:
	s_getpc_b64 s[14:15]
.Lpost_getpc4738:
	s_add_u32 s14, s14, (.LBB1_16645-.Lpost_getpc4738)&4294967295
	s_addc_u32 s15, s15, (.LBB1_16645-.Lpost_getpc4738)>>32
	s_setpc_b64 s[14:15]
.LBB1_2309:
	s_or_saveexec_b64 s[6:7], s[6:7]
	v_mov_b32_e32 v13, s10
	s_xor_b64 exec, exec, s[6:7]
	s_cbranch_execz .LBB1_2310
; %bb.38151:
	s_getpc_b64 s[14:15]
.Lpost_getpc4739:
	s_add_u32 s14, s14, (.LBB1_16648-.Lpost_getpc4739)&4294967295
	s_addc_u32 s15, s15, (.LBB1_16648-.Lpost_getpc4739)>>32
	s_setpc_b64 s[14:15]
.LBB1_2310:
	s_or_b64 exec, exec, s[6:7]
	s_and_saveexec_b64 s[6:7], s[4:5]
	s_cbranch_execz .LBB1_2312
.LBB1_2311:
	v_and_b32_e32 v13, 7, v2
	v_ffbh_u32_e32 v15, v13
	v_min_u32_e32 v15, 32, v15
	v_lshrrev_b16_e32 v14, 3, v2
	v_subrev_u32_e32 v16, 28, v15
	v_and_b32_e32 v14, 15, v14
	v_lshlrev_b32_e32 v16, v16, v2
	v_sub_u32_e32 v15, 29, v15
	v_and_b32_e32 v16, 7, v16
	v_cmp_eq_u16_e32 vcc, 0, v14
	v_cndmask_b32_e32 v13, v13, v16, vcc
	v_cndmask_b32_e32 v14, v14, v15, vcc
	v_lshlrev_b32_e32 v15, 24, v2
	v_mov_b32_e32 v16, 0x3b800000
	v_lshlrev_b32_e32 v13, 20, v13
	v_and_b32_e32 v15, 0x80000000, v15
	v_lshl_add_u32 v14, v14, 23, v16
	v_or3_b32 v13, v15, v14, v13
.LBB1_2312:
	s_or_b64 exec, exec, s[6:7]
	flat_load_dwordx4 a[0:3], v[10:11] offset:288
	s_movk_i32 s4, 0x7f
                                        ; implicit-def: $sgpr10
	s_waitcnt vmcnt(0) lgkmcnt(0)
	v_mfma_f32_16x16x4f32 a[0:3], v12, v13, a[0:3]
	v_lshrrev_b32_e32 v13, 8, v6
	v_cmp_gt_i16_sdwa s[6:7], v13, s4 src0_sel:BYTE_0 src1_sel:DWORD
	s_mov_b64 s[4:5], 0
	s_and_saveexec_b64 s[8:9], s[6:7]
	s_xor_b64 s[6:7], exec, s[8:9]
	s_cbranch_execz .LBB1_2313
; %bb.38153:
	s_getpc_b64 s[14:15]
.Lpost_getpc4740:
	s_add_u32 s14, s14, (.LBB1_16649-.Lpost_getpc4740)&4294967295
	s_addc_u32 s15, s15, (.LBB1_16649-.Lpost_getpc4740)>>32
	s_setpc_b64 s[14:15]
.LBB1_2313:
	s_or_saveexec_b64 s[6:7], s[6:7]
	v_mov_b32_e32 v12, s10
	s_xor_b64 exec, exec, s[6:7]
	s_cbranch_execz .LBB1_2314
; %bb.38155:
	s_getpc_b64 s[14:15]
.Lpost_getpc4741:
	s_add_u32 s14, s14, (.LBB1_16652-.Lpost_getpc4741)&4294967295
	s_addc_u32 s15, s15, (.LBB1_16652-.Lpost_getpc4741)>>32
	s_setpc_b64 s[14:15]
.LBB1_2314:
	s_or_b64 exec, exec, s[6:7]
	s_and_saveexec_b64 s[6:7], s[4:5]
	s_cbranch_execz .LBB1_2316
.LBB1_2315:
	v_bfe_u32 v12, v6, 8, 3
	v_ffbh_u32_e32 v15, v12
	v_min_u32_e32 v15, 32, v15
	v_lshrrev_b16_e32 v14, 3, v13
	v_subrev_u32_e32 v16, 28, v15
	v_and_b32_e32 v14, 15, v14
	v_lshlrev_b32_e32 v13, v16, v13
	v_sub_u32_e32 v15, 29, v15
	v_and_b32_e32 v13, 7, v13
	v_cmp_eq_u16_e32 vcc, 0, v14
	v_cndmask_b32_e32 v12, v12, v13, vcc
	v_cndmask_b32_e32 v13, v14, v15, vcc
	v_lshlrev_b32_e32 v14, 16, v6
	v_mov_b32_e32 v15, 0x3b800000
	v_lshlrev_b32_e32 v12, 20, v12
	v_and_b32_e32 v14, 0x80000000, v14
	v_lshl_add_u32 v13, v13, 23, v15
	v_or3_b32 v12, v14, v13, v12
.LBB1_2316:
	s_or_b64 exec, exec, s[6:7]
	v_lshrrev_b32_e32 v13, 8, v2
	s_movk_i32 s4, 0x7f
	v_cmp_gt_i16_sdwa s[6:7], v13, s4 src0_sel:BYTE_0 src1_sel:DWORD
	s_mov_b64 s[4:5], 0
                                        ; implicit-def: $sgpr10
	s_and_saveexec_b64 s[8:9], s[6:7]
	s_xor_b64 s[6:7], exec, s[8:9]
	s_cbranch_execz .LBB1_2317
; %bb.38157:
	s_getpc_b64 s[14:15]
.Lpost_getpc4742:
	s_add_u32 s14, s14, (.LBB1_16653-.Lpost_getpc4742)&4294967295
	s_addc_u32 s15, s15, (.LBB1_16653-.Lpost_getpc4742)>>32
	s_setpc_b64 s[14:15]
.LBB1_2317:
	s_or_saveexec_b64 s[6:7], s[6:7]
	v_mov_b32_e32 v14, s10
	s_xor_b64 exec, exec, s[6:7]
	s_cbranch_execz .LBB1_2318
; %bb.38159:
	s_getpc_b64 s[14:15]
.Lpost_getpc4743:
	s_add_u32 s14, s14, (.LBB1_16656-.Lpost_getpc4743)&4294967295
	s_addc_u32 s15, s15, (.LBB1_16656-.Lpost_getpc4743)>>32
	s_setpc_b64 s[14:15]
.LBB1_2318:
	s_or_b64 exec, exec, s[6:7]
	s_and_saveexec_b64 s[6:7], s[4:5]
	s_cbranch_execz .LBB1_2320
.LBB1_2319:
	v_bfe_u32 v14, v2, 8, 3
	v_ffbh_u32_e32 v16, v14
	v_min_u32_e32 v16, 32, v16
	v_lshrrev_b16_e32 v15, 3, v13
	v_subrev_u32_e32 v17, 28, v16
	v_and_b32_e32 v15, 15, v15
	v_lshlrev_b32_e32 v13, v17, v13
	v_sub_u32_e32 v16, 29, v16
	v_and_b32_e32 v13, 7, v13
	v_cmp_eq_u16_e32 vcc, 0, v15
	v_cndmask_b32_e32 v13, v14, v13, vcc
	v_cndmask_b32_e32 v14, v15, v16, vcc
	v_lshlrev_b32_e32 v15, 16, v2
	v_mov_b32_e32 v16, 0x3b800000
	v_lshlrev_b32_e32 v13, 20, v13
	v_and_b32_e32 v15, 0x80000000, v15
	v_lshl_add_u32 v14, v14, 23, v16
	v_or3_b32 v14, v15, v14, v13
.LBB1_2320:
	s_or_b64 exec, exec, s[6:7]
	s_nop 0
	v_mfma_f32_16x16x4f32 a[0:3], v12, v14, a[0:3]
	s_movk_i32 s4, 0xff
	v_and_b32_sdwa v13, v6, s4 dst_sel:DWORD dst_unused:UNUSED_PAD src0_sel:WORD_1 src1_sel:DWORD
	s_movk_i32 s4, 0x7f
	v_cmp_lt_i16_e32 vcc, s4, v13
	s_mov_b64 s[4:5], 0
                                        ; implicit-def: $sgpr10
	s_and_saveexec_b64 s[6:7], vcc
	s_xor_b64 s[6:7], exec, s[6:7]
	s_cbranch_execz .LBB1_2321
; %bb.38161:
	s_getpc_b64 s[14:15]
.Lpost_getpc4744:
	s_add_u32 s14, s14, (.LBB1_16657-.Lpost_getpc4744)&4294967295
	s_addc_u32 s15, s15, (.LBB1_16657-.Lpost_getpc4744)>>32
	s_setpc_b64 s[14:15]
.LBB1_2321:
	s_or_saveexec_b64 s[6:7], s[6:7]
	v_mov_b32_e32 v12, s10
	s_xor_b64 exec, exec, s[6:7]
	s_cbranch_execz .LBB1_2322
; %bb.38163:
	s_getpc_b64 s[14:15]
.Lpost_getpc4745:
	s_add_u32 s14, s14, (.LBB1_16660-.Lpost_getpc4745)&4294967295
	s_addc_u32 s15, s15, (.LBB1_16660-.Lpost_getpc4745)>>32
	s_setpc_b64 s[14:15]
.LBB1_2322:
	s_or_b64 exec, exec, s[6:7]
	s_and_saveexec_b64 s[6:7], s[4:5]
	s_cbranch_execz .LBB1_2324
.LBB1_2323:
	v_bfe_u32 v12, v6, 16, 3
	v_ffbh_u32_e32 v15, v12
	v_min_u32_e32 v15, 32, v15
	v_lshrrev_b32_e32 v13, 19, v6
	v_subrev_u32_e32 v16, 28, v15
	v_and_b32_e32 v13, 15, v13
	v_lshlrev_b32_sdwa v16, v16, v6 dst_sel:DWORD dst_unused:UNUSED_PAD src0_sel:DWORD src1_sel:WORD_1
	v_bfe_u32 v14, v6, 19, 4
	v_sub_u32_e32 v15, 29, v15
	v_and_b32_e32 v16, 7, v16
	v_cmp_eq_u16_e32 vcc, 0, v13
	v_cndmask_b32_e32 v12, v12, v16, vcc
	v_cndmask_b32_e32 v13, v14, v15, vcc
	v_lshlrev_b32_e32 v14, 8, v6
	v_mov_b32_e32 v15, 0x3b800000
	v_lshlrev_b32_e32 v12, 20, v12
	v_and_b32_e32 v14, 0x80000000, v14
	v_lshl_add_u32 v13, v13, 23, v15
	v_or3_b32 v12, v14, v13, v12
.LBB1_2324:
	s_or_b64 exec, exec, s[6:7]
	s_movk_i32 s4, 0xff
	v_and_b32_sdwa v13, v2, s4 dst_sel:DWORD dst_unused:UNUSED_PAD src0_sel:WORD_1 src1_sel:DWORD
	s_movk_i32 s4, 0x7f
	v_cmp_lt_i16_e32 vcc, s4, v13
	s_mov_b64 s[4:5], 0
                                        ; implicit-def: $sgpr10
	s_and_saveexec_b64 s[6:7], vcc
	s_xor_b64 s[6:7], exec, s[6:7]
	s_cbranch_execz .LBB1_2325
; %bb.38165:
	s_getpc_b64 s[14:15]
.Lpost_getpc4746:
	s_add_u32 s14, s14, (.LBB1_16661-.Lpost_getpc4746)&4294967295
	s_addc_u32 s15, s15, (.LBB1_16661-.Lpost_getpc4746)>>32
	s_setpc_b64 s[14:15]
.LBB1_2325:
	s_or_saveexec_b64 s[6:7], s[6:7]
	v_mov_b32_e32 v14, s10
	s_xor_b64 exec, exec, s[6:7]
	s_cbranch_execz .LBB1_2326
; %bb.38167:
	s_getpc_b64 s[14:15]
.Lpost_getpc4747:
	s_add_u32 s14, s14, (.LBB1_16664-.Lpost_getpc4747)&4294967295
	s_addc_u32 s15, s15, (.LBB1_16664-.Lpost_getpc4747)>>32
	s_setpc_b64 s[14:15]
.LBB1_2326:
	s_or_b64 exec, exec, s[6:7]
	s_and_saveexec_b64 s[6:7], s[4:5]
	s_cbranch_execz .LBB1_2328
.LBB1_2327:
	v_bfe_u32 v13, v2, 16, 3
	v_ffbh_u32_e32 v16, v13
	v_min_u32_e32 v16, 32, v16
	v_lshrrev_b32_e32 v14, 19, v2
	v_subrev_u32_e32 v17, 28, v16
	v_and_b32_e32 v14, 15, v14
	v_lshlrev_b32_sdwa v17, v17, v2 dst_sel:DWORD dst_unused:UNUSED_PAD src0_sel:DWORD src1_sel:WORD_1
	v_bfe_u32 v15, v2, 19, 4
	v_sub_u32_e32 v16, 29, v16
	v_and_b32_e32 v17, 7, v17
	v_cmp_eq_u16_e32 vcc, 0, v14
	v_cndmask_b32_e32 v13, v13, v17, vcc
	v_cndmask_b32_e32 v14, v15, v16, vcc
	v_lshlrev_b32_e32 v15, 8, v2
	v_mov_b32_e32 v16, 0x3b800000
	v_lshlrev_b32_e32 v13, 20, v13
	v_and_b32_e32 v15, 0x80000000, v15
	v_lshl_add_u32 v14, v14, 23, v16
	v_or3_b32 v14, v15, v14, v13
.LBB1_2328:
	s_or_b64 exec, exec, s[6:7]
	s_nop 0
	v_mfma_f32_16x16x4f32 a[0:3], v12, v14, a[0:3]
	s_movk_i32 s4, 0x7f
	v_cmp_gt_i16_sdwa s[6:7], v6, s4 src0_sel:BYTE_3 src1_sel:DWORD
	s_mov_b64 s[4:5], 0
                                        ; implicit-def: $sgpr10
	s_and_saveexec_b64 s[8:9], s[6:7]
	s_xor_b64 s[6:7], exec, s[8:9]
	s_cbranch_execz .LBB1_2329
; %bb.38169:
	s_getpc_b64 s[14:15]
.Lpost_getpc4748:
	s_add_u32 s14, s14, (.LBB1_16665-.Lpost_getpc4748)&4294967295
	s_addc_u32 s15, s15, (.LBB1_16665-.Lpost_getpc4748)>>32
	s_setpc_b64 s[14:15]
.LBB1_2329:
	s_or_saveexec_b64 s[6:7], s[6:7]
	v_mov_b32_e32 v12, s10
	s_xor_b64 exec, exec, s[6:7]
	s_cbranch_execz .LBB1_2330
; %bb.38171:
	s_getpc_b64 s[14:15]
.Lpost_getpc4749:
	s_add_u32 s14, s14, (.LBB1_16668-.Lpost_getpc4749)&4294967295
	s_addc_u32 s15, s15, (.LBB1_16668-.Lpost_getpc4749)>>32
	s_setpc_b64 s[14:15]
.LBB1_2330:
	s_or_b64 exec, exec, s[6:7]
	s_and_saveexec_b64 s[6:7], s[4:5]
	s_cbranch_execz .LBB1_2332
.LBB1_2331:
	v_bfe_u32 v12, v6, 24, 3
	v_ffbh_u32_e32 v16, v12
	v_min_u32_e32 v16, 32, v16
	v_lshrrev_b32_e32 v14, 27, v6
	v_subrev_u32_e32 v17, 28, v16
	v_and_b32_e32 v13, 0x80000000, v6
	v_and_b32_e32 v14, 15, v14
	v_bfe_u32 v15, v6, 27, 4
	v_lshlrev_b32_sdwa v6, v17, v6 dst_sel:DWORD dst_unused:UNUSED_PAD src0_sel:DWORD src1_sel:BYTE_3
	v_sub_u32_e32 v16, 29, v16
	v_and_b32_e32 v6, 7, v6
	v_cmp_eq_u16_e32 vcc, 0, v14
	v_cndmask_b32_e32 v6, v12, v6, vcc
	v_cndmask_b32_e32 v12, v15, v16, vcc
	v_mov_b32_e32 v14, 0x3b800000
	v_lshlrev_b32_e32 v6, 20, v6
	v_lshl_add_u32 v12, v12, 23, v14
	v_or3_b32 v12, v13, v12, v6
.LBB1_2332:
	s_or_b64 exec, exec, s[6:7]
	s_movk_i32 s4, 0x7f
	v_cmp_gt_i16_sdwa s[6:7], v2, s4 src0_sel:BYTE_3 src1_sel:DWORD
	s_mov_b64 s[4:5], 0
                                        ; implicit-def: $sgpr10
	s_and_saveexec_b64 s[8:9], s[6:7]
	s_xor_b64 s[6:7], exec, s[8:9]
	s_cbranch_execz .LBB1_2333
; %bb.38173:
	s_getpc_b64 s[14:15]
.Lpost_getpc4750:
	s_add_u32 s14, s14, (.LBB1_16669-.Lpost_getpc4750)&4294967295
	s_addc_u32 s15, s15, (.LBB1_16669-.Lpost_getpc4750)>>32
	s_setpc_b64 s[14:15]
.LBB1_2333:
	s_or_saveexec_b64 s[6:7], s[6:7]
	v_mov_b32_e32 v6, s10
	s_xor_b64 exec, exec, s[6:7]
	s_cbranch_execz .LBB1_2334
; %bb.38175:
	s_getpc_b64 s[14:15]
.Lpost_getpc4751:
	s_add_u32 s14, s14, (.LBB1_16672-.Lpost_getpc4751)&4294967295
	s_addc_u32 s15, s15, (.LBB1_16672-.Lpost_getpc4751)>>32
	s_setpc_b64 s[14:15]
.LBB1_2334:
	s_or_b64 exec, exec, s[6:7]
	s_and_saveexec_b64 s[6:7], s[4:5]
	s_cbranch_execz .LBB1_2336
.LBB1_2335:
	v_bfe_u32 v6, v2, 24, 3
	v_ffbh_u32_e32 v16, v6
	v_min_u32_e32 v16, 32, v16
	v_lshrrev_b32_e32 v14, 27, v2
	v_subrev_u32_e32 v17, 28, v16
	v_and_b32_e32 v13, 0x80000000, v2
	v_and_b32_e32 v14, 15, v14
	v_bfe_u32 v15, v2, 27, 4
	v_lshlrev_b32_sdwa v2, v17, v2 dst_sel:DWORD dst_unused:UNUSED_PAD src0_sel:DWORD src1_sel:BYTE_3
	v_sub_u32_e32 v16, 29, v16
	v_and_b32_e32 v2, 7, v2
	v_cmp_eq_u16_e32 vcc, 0, v14
	v_cndmask_b32_e32 v2, v6, v2, vcc
	v_cndmask_b32_e32 v6, v15, v16, vcc
	v_mov_b32_e32 v14, 0x3b800000
	v_lshlrev_b32_e32 v2, 20, v2
	v_lshl_add_u32 v6, v6, 23, v14
	v_or3_b32 v6, v13, v6, v2
.LBB1_2336:
	s_or_b64 exec, exec, s[6:7]
	s_nop 0
	v_mfma_f32_16x16x4f32 a[0:3], v12, v6, a[0:3]
	s_movk_i32 s4, 0x7f
	v_cmp_gt_i16_sdwa s[6:7], v7, s4 src0_sel:BYTE_0 src1_sel:DWORD
	s_mov_b64 s[4:5], 0
                                        ; implicit-def: $sgpr10
	s_and_saveexec_b64 s[8:9], s[6:7]
	s_xor_b64 s[6:7], exec, s[8:9]
	s_cbranch_execz .LBB1_2337
; %bb.38177:
	s_getpc_b64 s[14:15]
.Lpost_getpc4752:
	s_add_u32 s14, s14, (.LBB1_16673-.Lpost_getpc4752)&4294967295
	s_addc_u32 s15, s15, (.LBB1_16673-.Lpost_getpc4752)>>32
	s_setpc_b64 s[14:15]
.LBB1_2337:
	s_or_saveexec_b64 s[6:7], s[6:7]
	v_mov_b32_e32 v2, s10
	s_xor_b64 exec, exec, s[6:7]
	s_cbranch_execz .LBB1_2338
; %bb.38179:
	s_getpc_b64 s[14:15]
.Lpost_getpc4753:
	s_add_u32 s14, s14, (.LBB1_16676-.Lpost_getpc4753)&4294967295
	s_addc_u32 s15, s15, (.LBB1_16676-.Lpost_getpc4753)>>32
	s_setpc_b64 s[14:15]
.LBB1_2338:
	s_or_b64 exec, exec, s[6:7]
	s_and_saveexec_b64 s[6:7], s[4:5]
	s_cbranch_execz .LBB1_2340
.LBB1_2339:
	v_and_b32_e32 v2, 7, v7
	v_ffbh_u32_e32 v12, v2
	v_min_u32_e32 v12, 32, v12
	v_lshrrev_b16_e32 v6, 3, v7
	v_subrev_u32_e32 v13, 28, v12
	v_and_b32_e32 v6, 15, v6
	v_lshlrev_b32_e32 v13, v13, v7
	v_sub_u32_e32 v12, 29, v12
	v_and_b32_e32 v13, 7, v13
	v_cmp_eq_u16_e32 vcc, 0, v6
	v_cndmask_b32_e32 v2, v2, v13, vcc
	v_cndmask_b32_e32 v6, v6, v12, vcc
	v_lshlrev_b32_e32 v12, 24, v7
	v_mov_b32_e32 v13, 0x3b800000
	v_lshlrev_b32_e32 v2, 20, v2
	v_and_b32_e32 v12, 0x80000000, v12
	v_lshl_add_u32 v6, v6, 23, v13
	v_or3_b32 v2, v12, v6, v2
.LBB1_2340:
	s_or_b64 exec, exec, s[6:7]
	s_movk_i32 s4, 0x7f
	v_cmp_gt_i16_sdwa s[6:7], v3, s4 src0_sel:BYTE_0 src1_sel:DWORD
	s_mov_b64 s[4:5], 0
                                        ; implicit-def: $sgpr10
	s_and_saveexec_b64 s[8:9], s[6:7]
	s_xor_b64 s[6:7], exec, s[8:9]
	s_cbranch_execz .LBB1_2341
; %bb.38181:
	s_getpc_b64 s[14:15]
.Lpost_getpc4754:
	s_add_u32 s14, s14, (.LBB1_16677-.Lpost_getpc4754)&4294967295
	s_addc_u32 s15, s15, (.LBB1_16677-.Lpost_getpc4754)>>32
	s_setpc_b64 s[14:15]
.LBB1_2341:
	s_or_saveexec_b64 s[6:7], s[6:7]
	v_mov_b32_e32 v6, s10
	s_xor_b64 exec, exec, s[6:7]
	s_cbranch_execz .LBB1_2342
; %bb.38183:
	s_getpc_b64 s[14:15]
.Lpost_getpc4755:
	s_add_u32 s14, s14, (.LBB1_16680-.Lpost_getpc4755)&4294967295
	s_addc_u32 s15, s15, (.LBB1_16680-.Lpost_getpc4755)>>32
	s_setpc_b64 s[14:15]
.LBB1_2342:
	s_or_b64 exec, exec, s[6:7]
	s_and_saveexec_b64 s[6:7], s[4:5]
	s_cbranch_execz .LBB1_2344
.LBB1_2343:
	v_and_b32_e32 v6, 7, v3
	v_ffbh_u32_e32 v13, v6
	v_min_u32_e32 v13, 32, v13
	v_lshrrev_b16_e32 v12, 3, v3
	v_subrev_u32_e32 v14, 28, v13
	v_and_b32_e32 v12, 15, v12
	v_lshlrev_b32_e32 v14, v14, v3
	v_sub_u32_e32 v13, 29, v13
	v_and_b32_e32 v14, 7, v14
	v_cmp_eq_u16_e32 vcc, 0, v12
	v_cndmask_b32_e32 v6, v6, v14, vcc
	v_cndmask_b32_e32 v12, v12, v13, vcc
	v_lshlrev_b32_e32 v13, 24, v3
	v_mov_b32_e32 v14, 0x3b800000
	v_lshlrev_b32_e32 v6, 20, v6
	v_and_b32_e32 v13, 0x80000000, v13
	v_lshl_add_u32 v12, v12, 23, v14
	v_or3_b32 v6, v13, v12, v6
.LBB1_2344:
	s_or_b64 exec, exec, s[6:7]
	s_nop 0
	v_mfma_f32_16x16x4f32 a[0:3], v2, v6, a[0:3]
	v_lshrrev_b32_e32 v6, 8, v7
	s_movk_i32 s4, 0x7f
	v_cmp_gt_i16_sdwa s[6:7], v6, s4 src0_sel:BYTE_0 src1_sel:DWORD
	s_mov_b64 s[4:5], 0
                                        ; implicit-def: $sgpr10
	s_and_saveexec_b64 s[8:9], s[6:7]
	s_xor_b64 s[6:7], exec, s[8:9]
	s_cbranch_execz .LBB1_2345
; %bb.38185:
	s_getpc_b64 s[14:15]
.Lpost_getpc4756:
	s_add_u32 s14, s14, (.LBB1_16681-.Lpost_getpc4756)&4294967295
	s_addc_u32 s15, s15, (.LBB1_16681-.Lpost_getpc4756)>>32
	s_setpc_b64 s[14:15]
.LBB1_2345:
	s_or_saveexec_b64 s[6:7], s[6:7]
	v_mov_b32_e32 v2, s10
	s_xor_b64 exec, exec, s[6:7]
	s_cbranch_execz .LBB1_2346
; %bb.38187:
	s_getpc_b64 s[14:15]
.Lpost_getpc4757:
	s_add_u32 s14, s14, (.LBB1_16684-.Lpost_getpc4757)&4294967295
	s_addc_u32 s15, s15, (.LBB1_16684-.Lpost_getpc4757)>>32
	s_setpc_b64 s[14:15]
.LBB1_2346:
	s_or_b64 exec, exec, s[6:7]
	s_and_saveexec_b64 s[6:7], s[4:5]
	s_cbranch_execz .LBB1_2348
.LBB1_2347:
	v_bfe_u32 v2, v7, 8, 3
	v_ffbh_u32_e32 v13, v2
	v_min_u32_e32 v13, 32, v13
	v_lshrrev_b16_e32 v12, 3, v6
	v_subrev_u32_e32 v14, 28, v13
	v_and_b32_e32 v12, 15, v12
	v_lshlrev_b32_e32 v6, v14, v6
	v_sub_u32_e32 v13, 29, v13
	v_and_b32_e32 v6, 7, v6
	v_cmp_eq_u16_e32 vcc, 0, v12
	v_cndmask_b32_e32 v2, v2, v6, vcc
	v_cndmask_b32_e32 v6, v12, v13, vcc
	v_lshlrev_b32_e32 v12, 16, v7
	v_mov_b32_e32 v13, 0x3b800000
	v_lshlrev_b32_e32 v2, 20, v2
	v_and_b32_e32 v12, 0x80000000, v12
	v_lshl_add_u32 v6, v6, 23, v13
	v_or3_b32 v2, v12, v6, v2
.LBB1_2348:
	s_or_b64 exec, exec, s[6:7]
	v_lshrrev_b32_e32 v6, 8, v3
	s_movk_i32 s4, 0x7f
	v_cmp_gt_i16_sdwa s[6:7], v6, s4 src0_sel:BYTE_0 src1_sel:DWORD
	s_mov_b64 s[4:5], 0
                                        ; implicit-def: $sgpr10
	s_and_saveexec_b64 s[8:9], s[6:7]
	s_xor_b64 s[6:7], exec, s[8:9]
	s_cbranch_execz .LBB1_2349
; %bb.38189:
	s_getpc_b64 s[14:15]
.Lpost_getpc4758:
	s_add_u32 s14, s14, (.LBB1_16685-.Lpost_getpc4758)&4294967295
	s_addc_u32 s15, s15, (.LBB1_16685-.Lpost_getpc4758)>>32
	s_setpc_b64 s[14:15]
.LBB1_2349:
	s_or_saveexec_b64 s[6:7], s[6:7]
	v_mov_b32_e32 v12, s10
	s_xor_b64 exec, exec, s[6:7]
	s_cbranch_execz .LBB1_2350
; %bb.38191:
	s_getpc_b64 s[14:15]
.Lpost_getpc4759:
	s_add_u32 s14, s14, (.LBB1_16688-.Lpost_getpc4759)&4294967295
	s_addc_u32 s15, s15, (.LBB1_16688-.Lpost_getpc4759)>>32
	s_setpc_b64 s[14:15]
.LBB1_2350:
	s_or_b64 exec, exec, s[6:7]
	s_and_saveexec_b64 s[6:7], s[4:5]
	s_cbranch_execz .LBB1_2352
.LBB1_2351:
	v_bfe_u32 v12, v3, 8, 3
	v_ffbh_u32_e32 v14, v12
	v_min_u32_e32 v14, 32, v14
	v_lshrrev_b16_e32 v13, 3, v6
	v_subrev_u32_e32 v15, 28, v14
	v_and_b32_e32 v13, 15, v13
	v_lshlrev_b32_e32 v6, v15, v6
	v_sub_u32_e32 v14, 29, v14
	v_and_b32_e32 v6, 7, v6
	v_cmp_eq_u16_e32 vcc, 0, v13
	v_cndmask_b32_e32 v6, v12, v6, vcc
	v_cndmask_b32_e32 v12, v13, v14, vcc
	v_lshlrev_b32_e32 v13, 16, v3
	v_mov_b32_e32 v14, 0x3b800000
	v_lshlrev_b32_e32 v6, 20, v6
	v_and_b32_e32 v13, 0x80000000, v13
	v_lshl_add_u32 v12, v12, 23, v14
	v_or3_b32 v12, v13, v12, v6
.LBB1_2352:
	s_or_b64 exec, exec, s[6:7]
	s_nop 0
	v_mfma_f32_16x16x4f32 a[0:3], v2, v12, a[0:3]
	s_movk_i32 s4, 0xff
	v_and_b32_sdwa v6, v7, s4 dst_sel:DWORD dst_unused:UNUSED_PAD src0_sel:WORD_1 src1_sel:DWORD
	s_movk_i32 s4, 0x7f
	v_cmp_lt_i16_e32 vcc, s4, v6
	s_mov_b64 s[4:5], 0
                                        ; implicit-def: $sgpr10
	s_and_saveexec_b64 s[6:7], vcc
	s_xor_b64 s[6:7], exec, s[6:7]
	s_cbranch_execz .LBB1_2353
; %bb.38193:
	s_getpc_b64 s[14:15]
.Lpost_getpc4760:
	s_add_u32 s14, s14, (.LBB1_16689-.Lpost_getpc4760)&4294967295
	s_addc_u32 s15, s15, (.LBB1_16689-.Lpost_getpc4760)>>32
	s_setpc_b64 s[14:15]
.LBB1_2353:
	s_or_saveexec_b64 s[6:7], s[6:7]
	v_mov_b32_e32 v2, s10
	s_xor_b64 exec, exec, s[6:7]
	s_cbranch_execz .LBB1_2354
; %bb.38195:
	s_getpc_b64 s[14:15]
.Lpost_getpc4761:
	s_add_u32 s14, s14, (.LBB1_16692-.Lpost_getpc4761)&4294967295
	s_addc_u32 s15, s15, (.LBB1_16692-.Lpost_getpc4761)>>32
	s_setpc_b64 s[14:15]
.LBB1_2354:
	s_or_b64 exec, exec, s[6:7]
	s_and_saveexec_b64 s[6:7], s[4:5]
	s_cbranch_execz .LBB1_2356
.LBB1_2355:
	v_bfe_u32 v2, v7, 16, 3
	v_ffbh_u32_e32 v13, v2
	v_min_u32_e32 v13, 32, v13
	v_lshrrev_b32_e32 v6, 19, v7
	v_subrev_u32_e32 v14, 28, v13
	v_and_b32_e32 v6, 15, v6
	v_lshlrev_b32_sdwa v14, v14, v7 dst_sel:DWORD dst_unused:UNUSED_PAD src0_sel:DWORD src1_sel:WORD_1
	v_bfe_u32 v12, v7, 19, 4
	v_sub_u32_e32 v13, 29, v13
	v_and_b32_e32 v14, 7, v14
	v_cmp_eq_u16_e32 vcc, 0, v6
	v_cndmask_b32_e32 v2, v2, v14, vcc
	v_cndmask_b32_e32 v6, v12, v13, vcc
	v_lshlrev_b32_e32 v12, 8, v7
	v_mov_b32_e32 v13, 0x3b800000
	v_lshlrev_b32_e32 v2, 20, v2
	v_and_b32_e32 v12, 0x80000000, v12
	v_lshl_add_u32 v6, v6, 23, v13
	v_or3_b32 v2, v12, v6, v2
.LBB1_2356:
	s_or_b64 exec, exec, s[6:7]
	s_movk_i32 s4, 0xff
	v_and_b32_sdwa v6, v3, s4 dst_sel:DWORD dst_unused:UNUSED_PAD src0_sel:WORD_1 src1_sel:DWORD
	s_movk_i32 s4, 0x7f
	v_cmp_lt_i16_e32 vcc, s4, v6
	s_mov_b64 s[4:5], 0
                                        ; implicit-def: $sgpr10
	s_and_saveexec_b64 s[6:7], vcc
	s_xor_b64 s[6:7], exec, s[6:7]
	s_cbranch_execz .LBB1_2357
; %bb.38197:
	s_getpc_b64 s[14:15]
.Lpost_getpc4762:
	s_add_u32 s14, s14, (.LBB1_16693-.Lpost_getpc4762)&4294967295
	s_addc_u32 s15, s15, (.LBB1_16693-.Lpost_getpc4762)>>32
	s_setpc_b64 s[14:15]
.LBB1_2357:
	s_or_saveexec_b64 s[6:7], s[6:7]
	v_mov_b32_e32 v12, s10
	s_xor_b64 exec, exec, s[6:7]
	s_cbranch_execz .LBB1_2358
; %bb.38199:
	s_getpc_b64 s[14:15]
.Lpost_getpc4763:
	s_add_u32 s14, s14, (.LBB1_16696-.Lpost_getpc4763)&4294967295
	s_addc_u32 s15, s15, (.LBB1_16696-.Lpost_getpc4763)>>32
	s_setpc_b64 s[14:15]
.LBB1_2358:
	s_or_b64 exec, exec, s[6:7]
	s_and_saveexec_b64 s[6:7], s[4:5]
	s_cbranch_execz .LBB1_2360
.LBB1_2359:
	v_bfe_u32 v6, v3, 16, 3
	v_ffbh_u32_e32 v14, v6
	v_min_u32_e32 v14, 32, v14
	v_lshrrev_b32_e32 v12, 19, v3
	v_subrev_u32_e32 v15, 28, v14
	v_and_b32_e32 v12, 15, v12
	v_lshlrev_b32_sdwa v15, v15, v3 dst_sel:DWORD dst_unused:UNUSED_PAD src0_sel:DWORD src1_sel:WORD_1
	v_bfe_u32 v13, v3, 19, 4
	v_sub_u32_e32 v14, 29, v14
	v_and_b32_e32 v15, 7, v15
	v_cmp_eq_u16_e32 vcc, 0, v12
	v_cndmask_b32_e32 v6, v6, v15, vcc
	v_cndmask_b32_e32 v12, v13, v14, vcc
	v_lshlrev_b32_e32 v13, 8, v3
	v_mov_b32_e32 v14, 0x3b800000
	v_lshlrev_b32_e32 v6, 20, v6
	v_and_b32_e32 v13, 0x80000000, v13
	v_lshl_add_u32 v12, v12, 23, v14
	v_or3_b32 v12, v13, v12, v6
.LBB1_2360:
	s_or_b64 exec, exec, s[6:7]
	s_nop 0
	v_mfma_f32_16x16x4f32 a[0:3], v2, v12, a[0:3]
	s_movk_i32 s4, 0x7f
	v_cmp_gt_i16_sdwa s[6:7], v7, s4 src0_sel:BYTE_3 src1_sel:DWORD
	s_mov_b64 s[4:5], 0
                                        ; implicit-def: $sgpr10
	s_and_saveexec_b64 s[8:9], s[6:7]
	s_xor_b64 s[6:7], exec, s[8:9]
	s_cbranch_execz .LBB1_2361
; %bb.38201:
	s_getpc_b64 s[14:15]
.Lpost_getpc4764:
	s_add_u32 s14, s14, (.LBB1_16697-.Lpost_getpc4764)&4294967295
	s_addc_u32 s15, s15, (.LBB1_16697-.Lpost_getpc4764)>>32
	s_setpc_b64 s[14:15]
.LBB1_2361:
	s_or_saveexec_b64 s[6:7], s[6:7]
	v_mov_b32_e32 v2, s10
	s_xor_b64 exec, exec, s[6:7]
	s_cbranch_execz .LBB1_2362
; %bb.38203:
	s_getpc_b64 s[14:15]
.Lpost_getpc4765:
	s_add_u32 s14, s14, (.LBB1_16700-.Lpost_getpc4765)&4294967295
	s_addc_u32 s15, s15, (.LBB1_16700-.Lpost_getpc4765)>>32
	s_setpc_b64 s[14:15]
.LBB1_2362:
	s_or_b64 exec, exec, s[6:7]
	s_and_saveexec_b64 s[6:7], s[4:5]
	s_cbranch_execz .LBB1_2364
.LBB1_2363:
	v_bfe_u32 v2, v7, 24, 3
	v_ffbh_u32_e32 v14, v2
	v_min_u32_e32 v14, 32, v14
	v_lshrrev_b32_e32 v12, 27, v7
	v_subrev_u32_e32 v15, 28, v14
	v_and_b32_e32 v6, 0x80000000, v7
	v_and_b32_e32 v12, 15, v12
	v_bfe_u32 v13, v7, 27, 4
	v_lshlrev_b32_sdwa v7, v15, v7 dst_sel:DWORD dst_unused:UNUSED_PAD src0_sel:DWORD src1_sel:BYTE_3
	v_sub_u32_e32 v14, 29, v14
	v_and_b32_e32 v7, 7, v7
	v_cmp_eq_u16_e32 vcc, 0, v12
	v_cndmask_b32_e32 v2, v2, v7, vcc
	v_cndmask_b32_e32 v7, v13, v14, vcc
	v_mov_b32_e32 v12, 0x3b800000
	v_lshlrev_b32_e32 v2, 20, v2
	v_lshl_add_u32 v7, v7, 23, v12
	v_or3_b32 v2, v6, v7, v2
.LBB1_2364:
	s_or_b64 exec, exec, s[6:7]
	s_movk_i32 s4, 0x7f
	v_cmp_gt_i16_sdwa s[6:7], v3, s4 src0_sel:BYTE_3 src1_sel:DWORD
	s_mov_b64 s[4:5], 0
                                        ; implicit-def: $sgpr10
	s_and_saveexec_b64 s[8:9], s[6:7]
	s_xor_b64 s[6:7], exec, s[8:9]
	s_cbranch_execz .LBB1_2365
; %bb.38205:
	s_getpc_b64 s[14:15]
.Lpost_getpc4766:
	s_add_u32 s14, s14, (.LBB1_16701-.Lpost_getpc4766)&4294967295
	s_addc_u32 s15, s15, (.LBB1_16701-.Lpost_getpc4766)>>32
	s_setpc_b64 s[14:15]
.LBB1_2365:
	s_or_saveexec_b64 s[6:7], s[6:7]
	v_mov_b32_e32 v6, s10
	s_xor_b64 exec, exec, s[6:7]
	s_cbranch_execz .LBB1_2366
; %bb.38207:
	s_getpc_b64 s[14:15]
.Lpost_getpc4767:
	s_add_u32 s14, s14, (.LBB1_16704-.Lpost_getpc4767)&4294967295
	s_addc_u32 s15, s15, (.LBB1_16704-.Lpost_getpc4767)>>32
	s_setpc_b64 s[14:15]
.LBB1_2366:
	s_or_b64 exec, exec, s[6:7]
	s_and_saveexec_b64 s[6:7], s[4:5]
	s_cbranch_execz .LBB1_2368
.LBB1_2367:
	v_bfe_u32 v6, v3, 24, 3
	v_ffbh_u32_e32 v14, v6
	v_min_u32_e32 v14, 32, v14
	v_lshrrev_b32_e32 v12, 27, v3
	v_subrev_u32_e32 v15, 28, v14
	v_and_b32_e32 v7, 0x80000000, v3
	v_and_b32_e32 v12, 15, v12
	v_bfe_u32 v13, v3, 27, 4
	v_lshlrev_b32_sdwa v3, v15, v3 dst_sel:DWORD dst_unused:UNUSED_PAD src0_sel:DWORD src1_sel:BYTE_3
	v_sub_u32_e32 v14, 29, v14
	v_and_b32_e32 v3, 7, v3
	v_cmp_eq_u16_e32 vcc, 0, v12
	v_cndmask_b32_e32 v3, v6, v3, vcc
	v_cndmask_b32_e32 v6, v13, v14, vcc
	v_mov_b32_e32 v12, 0x3b800000
	v_lshlrev_b32_e32 v3, 20, v3
	v_lshl_add_u32 v6, v6, 23, v12
	v_or3_b32 v6, v7, v6, v3
.LBB1_2368:
	s_or_b64 exec, exec, s[6:7]
	s_nop 0
	v_mfma_f32_16x16x4f32 a[0:3], v2, v6, a[0:3]
	s_movk_i32 s4, 0x7f
	v_cmp_gt_i16_sdwa s[6:7], v8, s4 src0_sel:BYTE_0 src1_sel:DWORD
	s_mov_b64 s[4:5], 0
                                        ; implicit-def: $sgpr10
	s_and_saveexec_b64 s[8:9], s[6:7]
	s_xor_b64 s[6:7], exec, s[8:9]
	s_cbranch_execz .LBB1_2369
; %bb.38209:
	s_getpc_b64 s[14:15]
.Lpost_getpc4768:
	s_add_u32 s14, s14, (.LBB1_16705-.Lpost_getpc4768)&4294967295
	s_addc_u32 s15, s15, (.LBB1_16705-.Lpost_getpc4768)>>32
	s_setpc_b64 s[14:15]
.LBB1_2369:
	s_or_saveexec_b64 s[6:7], s[6:7]
	v_mov_b32_e32 v2, s10
	s_xor_b64 exec, exec, s[6:7]
	s_cbranch_execz .LBB1_2370
; %bb.38211:
	s_getpc_b64 s[14:15]
.Lpost_getpc4769:
	s_add_u32 s14, s14, (.LBB1_16708-.Lpost_getpc4769)&4294967295
	s_addc_u32 s15, s15, (.LBB1_16708-.Lpost_getpc4769)>>32
	s_setpc_b64 s[14:15]
.LBB1_2370:
	s_or_b64 exec, exec, s[6:7]
	s_and_saveexec_b64 s[6:7], s[4:5]
	s_cbranch_execz .LBB1_2372
.LBB1_2371:
	v_and_b32_e32 v2, 7, v8
	v_ffbh_u32_e32 v6, v2
	v_min_u32_e32 v6, 32, v6
	v_lshrrev_b16_e32 v3, 3, v8
	v_subrev_u32_e32 v7, 28, v6
	v_and_b32_e32 v3, 15, v3
	v_lshlrev_b32_e32 v7, v7, v8
	v_sub_u32_e32 v6, 29, v6
	v_and_b32_e32 v7, 7, v7
	v_cmp_eq_u16_e32 vcc, 0, v3
	v_cndmask_b32_e32 v2, v2, v7, vcc
	v_cndmask_b32_e32 v3, v3, v6, vcc
	v_lshlrev_b32_e32 v6, 24, v8
	v_mov_b32_e32 v7, 0x3b800000
	v_lshlrev_b32_e32 v2, 20, v2
	v_and_b32_e32 v6, 0x80000000, v6
	v_lshl_add_u32 v3, v3, 23, v7
	v_or3_b32 v2, v6, v3, v2
.LBB1_2372:
	s_or_b64 exec, exec, s[6:7]
	s_movk_i32 s4, 0x7f
	v_cmp_gt_i16_sdwa s[6:7], v4, s4 src0_sel:BYTE_0 src1_sel:DWORD
	s_mov_b64 s[4:5], 0
                                        ; implicit-def: $sgpr10
	s_and_saveexec_b64 s[8:9], s[6:7]
	s_xor_b64 s[6:7], exec, s[8:9]
	s_cbranch_execz .LBB1_2373
; %bb.38213:
	s_getpc_b64 s[14:15]
.Lpost_getpc4770:
	s_add_u32 s14, s14, (.LBB1_16709-.Lpost_getpc4770)&4294967295
	s_addc_u32 s15, s15, (.LBB1_16709-.Lpost_getpc4770)>>32
	s_setpc_b64 s[14:15]
.LBB1_2373:
	s_or_saveexec_b64 s[6:7], s[6:7]
	v_mov_b32_e32 v3, s10
	s_xor_b64 exec, exec, s[6:7]
	s_cbranch_execz .LBB1_2374
; %bb.38215:
	s_getpc_b64 s[14:15]
.Lpost_getpc4771:
	s_add_u32 s14, s14, (.LBB1_16712-.Lpost_getpc4771)&4294967295
	s_addc_u32 s15, s15, (.LBB1_16712-.Lpost_getpc4771)>>32
	s_setpc_b64 s[14:15]
.LBB1_2374:
	s_or_b64 exec, exec, s[6:7]
	s_and_saveexec_b64 s[6:7], s[4:5]
	s_cbranch_execz .LBB1_2376
.LBB1_2375:
	v_and_b32_e32 v3, 7, v4
	v_ffbh_u32_e32 v7, v3
	v_min_u32_e32 v7, 32, v7
	v_lshrrev_b16_e32 v6, 3, v4
	v_subrev_u32_e32 v12, 28, v7
	v_and_b32_e32 v6, 15, v6
	v_lshlrev_b32_e32 v12, v12, v4
	v_sub_u32_e32 v7, 29, v7
	v_and_b32_e32 v12, 7, v12
	v_cmp_eq_u16_e32 vcc, 0, v6
	v_cndmask_b32_e32 v3, v3, v12, vcc
	v_cndmask_b32_e32 v6, v6, v7, vcc
	v_lshlrev_b32_e32 v7, 24, v4
	v_mov_b32_e32 v12, 0x3b800000
	v_lshlrev_b32_e32 v3, 20, v3
	v_and_b32_e32 v7, 0x80000000, v7
	v_lshl_add_u32 v6, v6, 23, v12
	v_or3_b32 v3, v7, v6, v3
.LBB1_2376:
	s_or_b64 exec, exec, s[6:7]
	s_nop 0
	v_mfma_f32_16x16x4f32 a[0:3], v2, v3, a[0:3]
	v_lshrrev_b32_e32 v3, 8, v8
	s_movk_i32 s4, 0x7f
	v_cmp_gt_i16_sdwa s[6:7], v3, s4 src0_sel:BYTE_0 src1_sel:DWORD
	s_mov_b64 s[4:5], 0
                                        ; implicit-def: $sgpr10
	s_and_saveexec_b64 s[8:9], s[6:7]
	s_xor_b64 s[6:7], exec, s[8:9]
	s_cbranch_execz .LBB1_2377
; %bb.38217:
	s_getpc_b64 s[14:15]
.Lpost_getpc4772:
	s_add_u32 s14, s14, (.LBB1_16713-.Lpost_getpc4772)&4294967295
	s_addc_u32 s15, s15, (.LBB1_16713-.Lpost_getpc4772)>>32
	s_setpc_b64 s[14:15]
.LBB1_2377:
	s_or_saveexec_b64 s[6:7], s[6:7]
	v_mov_b32_e32 v2, s10
	s_xor_b64 exec, exec, s[6:7]
	s_cbranch_execz .LBB1_2378
; %bb.38219:
	s_getpc_b64 s[14:15]
.Lpost_getpc4773:
	s_add_u32 s14, s14, (.LBB1_16716-.Lpost_getpc4773)&4294967295
	s_addc_u32 s15, s15, (.LBB1_16716-.Lpost_getpc4773)>>32
	s_setpc_b64 s[14:15]
.LBB1_2378:
	s_or_b64 exec, exec, s[6:7]
	s_and_saveexec_b64 s[6:7], s[4:5]
	s_cbranch_execz .LBB1_2380
.LBB1_2379:
	v_bfe_u32 v2, v8, 8, 3
	v_ffbh_u32_e32 v7, v2
	v_min_u32_e32 v7, 32, v7
	v_lshrrev_b16_e32 v6, 3, v3
	v_subrev_u32_e32 v12, 28, v7
	v_and_b32_e32 v6, 15, v6
	v_lshlrev_b32_e32 v3, v12, v3
	v_sub_u32_e32 v7, 29, v7
	v_and_b32_e32 v3, 7, v3
	v_cmp_eq_u16_e32 vcc, 0, v6
	v_cndmask_b32_e32 v2, v2, v3, vcc
	v_cndmask_b32_e32 v3, v6, v7, vcc
	v_lshlrev_b32_e32 v6, 16, v8
	v_mov_b32_e32 v7, 0x3b800000
	v_lshlrev_b32_e32 v2, 20, v2
	v_and_b32_e32 v6, 0x80000000, v6
	v_lshl_add_u32 v3, v3, 23, v7
	v_or3_b32 v2, v6, v3, v2
.LBB1_2380:
	s_or_b64 exec, exec, s[6:7]
	v_lshrrev_b32_e32 v3, 8, v4
	s_movk_i32 s4, 0x7f
	v_cmp_gt_i16_sdwa s[6:7], v3, s4 src0_sel:BYTE_0 src1_sel:DWORD
	s_mov_b64 s[4:5], 0
                                        ; implicit-def: $sgpr10
	s_and_saveexec_b64 s[8:9], s[6:7]
	s_xor_b64 s[6:7], exec, s[8:9]
	s_cbranch_execz .LBB1_2381
; %bb.38221:
	s_getpc_b64 s[14:15]
.Lpost_getpc4774:
	s_add_u32 s14, s14, (.LBB1_16717-.Lpost_getpc4774)&4294967295
	s_addc_u32 s15, s15, (.LBB1_16717-.Lpost_getpc4774)>>32
	s_setpc_b64 s[14:15]
.LBB1_2381:
	s_or_saveexec_b64 s[6:7], s[6:7]
	v_mov_b32_e32 v6, s10
	s_xor_b64 exec, exec, s[6:7]
	s_cbranch_execz .LBB1_2382
; %bb.38223:
	s_getpc_b64 s[14:15]
.Lpost_getpc4775:
	s_add_u32 s14, s14, (.LBB1_16720-.Lpost_getpc4775)&4294967295
	s_addc_u32 s15, s15, (.LBB1_16720-.Lpost_getpc4775)>>32
	s_setpc_b64 s[14:15]
.LBB1_2382:
	s_or_b64 exec, exec, s[6:7]
	s_and_saveexec_b64 s[6:7], s[4:5]
	s_cbranch_execz .LBB1_2384
.LBB1_2383:
	v_bfe_u32 v6, v4, 8, 3
	v_ffbh_u32_e32 v12, v6
	v_min_u32_e32 v12, 32, v12
	v_lshrrev_b16_e32 v7, 3, v3
	v_subrev_u32_e32 v13, 28, v12
	v_and_b32_e32 v7, 15, v7
	v_lshlrev_b32_e32 v3, v13, v3
	v_sub_u32_e32 v12, 29, v12
	v_and_b32_e32 v3, 7, v3
	v_cmp_eq_u16_e32 vcc, 0, v7
	v_cndmask_b32_e32 v3, v6, v3, vcc
	v_cndmask_b32_e32 v6, v7, v12, vcc
	v_lshlrev_b32_e32 v7, 16, v4
	v_mov_b32_e32 v12, 0x3b800000
	v_lshlrev_b32_e32 v3, 20, v3
	v_and_b32_e32 v7, 0x80000000, v7
	v_lshl_add_u32 v6, v6, 23, v12
	v_or3_b32 v6, v7, v6, v3
.LBB1_2384:
	s_or_b64 exec, exec, s[6:7]
	s_nop 0
	v_mfma_f32_16x16x4f32 a[0:3], v2, v6, a[0:3]
	s_movk_i32 s4, 0xff
	v_and_b32_sdwa v3, v8, s4 dst_sel:DWORD dst_unused:UNUSED_PAD src0_sel:WORD_1 src1_sel:DWORD
	s_movk_i32 s4, 0x7f
	v_cmp_lt_i16_e32 vcc, s4, v3
	s_mov_b64 s[4:5], 0
                                        ; implicit-def: $sgpr10
	s_and_saveexec_b64 s[6:7], vcc
	s_xor_b64 s[6:7], exec, s[6:7]
	s_cbranch_execz .LBB1_2385
; %bb.38225:
	s_getpc_b64 s[14:15]
.Lpost_getpc4776:
	s_add_u32 s14, s14, (.LBB1_16721-.Lpost_getpc4776)&4294967295
	s_addc_u32 s15, s15, (.LBB1_16721-.Lpost_getpc4776)>>32
	s_setpc_b64 s[14:15]
.LBB1_2385:
	s_or_saveexec_b64 s[6:7], s[6:7]
	v_mov_b32_e32 v2, s10
	s_xor_b64 exec, exec, s[6:7]
	s_cbranch_execz .LBB1_2386
; %bb.38227:
	s_getpc_b64 s[14:15]
.Lpost_getpc4777:
	s_add_u32 s14, s14, (.LBB1_16724-.Lpost_getpc4777)&4294967295
	s_addc_u32 s15, s15, (.LBB1_16724-.Lpost_getpc4777)>>32
	s_setpc_b64 s[14:15]
.LBB1_2386:
	s_or_b64 exec, exec, s[6:7]
	s_and_saveexec_b64 s[6:7], s[4:5]
	s_cbranch_execz .LBB1_2388
.LBB1_2387:
	v_bfe_u32 v2, v8, 16, 3
	v_ffbh_u32_e32 v7, v2
	v_min_u32_e32 v7, 32, v7
	v_lshrrev_b32_e32 v3, 19, v8
	v_subrev_u32_e32 v12, 28, v7
	v_and_b32_e32 v3, 15, v3
	v_lshlrev_b32_sdwa v12, v12, v8 dst_sel:DWORD dst_unused:UNUSED_PAD src0_sel:DWORD src1_sel:WORD_1
	v_bfe_u32 v6, v8, 19, 4
	v_sub_u32_e32 v7, 29, v7
	v_and_b32_e32 v12, 7, v12
	v_cmp_eq_u16_e32 vcc, 0, v3
	v_cndmask_b32_e32 v2, v2, v12, vcc
	v_cndmask_b32_e32 v3, v6, v7, vcc
	v_lshlrev_b32_e32 v6, 8, v8
	v_mov_b32_e32 v7, 0x3b800000
	v_lshlrev_b32_e32 v2, 20, v2
	v_and_b32_e32 v6, 0x80000000, v6
	v_lshl_add_u32 v3, v3, 23, v7
	v_or3_b32 v2, v6, v3, v2
.LBB1_2388:
	s_or_b64 exec, exec, s[6:7]
	s_movk_i32 s4, 0xff
	v_and_b32_sdwa v3, v4, s4 dst_sel:DWORD dst_unused:UNUSED_PAD src0_sel:WORD_1 src1_sel:DWORD
	s_movk_i32 s4, 0x7f
	v_cmp_lt_i16_e32 vcc, s4, v3
	s_mov_b64 s[4:5], 0
                                        ; implicit-def: $sgpr10
	s_and_saveexec_b64 s[6:7], vcc
	s_xor_b64 s[6:7], exec, s[6:7]
	s_cbranch_execz .LBB1_2389
; %bb.38229:
	s_getpc_b64 s[14:15]
.Lpost_getpc4778:
	s_add_u32 s14, s14, (.LBB1_16725-.Lpost_getpc4778)&4294967295
	s_addc_u32 s15, s15, (.LBB1_16725-.Lpost_getpc4778)>>32
	s_setpc_b64 s[14:15]
.LBB1_2389:
	s_or_saveexec_b64 s[6:7], s[6:7]
	v_mov_b32_e32 v6, s10
	s_xor_b64 exec, exec, s[6:7]
	s_cbranch_execz .LBB1_2390
; %bb.38231:
	s_getpc_b64 s[14:15]
.Lpost_getpc4779:
	s_add_u32 s14, s14, (.LBB1_16728-.Lpost_getpc4779)&4294967295
	s_addc_u32 s15, s15, (.LBB1_16728-.Lpost_getpc4779)>>32
	s_setpc_b64 s[14:15]
.LBB1_2390:
	s_or_b64 exec, exec, s[6:7]
	s_and_saveexec_b64 s[6:7], s[4:5]
	s_cbranch_execz .LBB1_2392
.LBB1_2391:
	v_bfe_u32 v3, v4, 16, 3
	v_ffbh_u32_e32 v12, v3
	v_min_u32_e32 v12, 32, v12
	v_lshrrev_b32_e32 v6, 19, v4
	v_subrev_u32_e32 v13, 28, v12
	v_and_b32_e32 v6, 15, v6
	v_lshlrev_b32_sdwa v13, v13, v4 dst_sel:DWORD dst_unused:UNUSED_PAD src0_sel:DWORD src1_sel:WORD_1
	v_bfe_u32 v7, v4, 19, 4
	v_sub_u32_e32 v12, 29, v12
	v_and_b32_e32 v13, 7, v13
	v_cmp_eq_u16_e32 vcc, 0, v6
	v_cndmask_b32_e32 v3, v3, v13, vcc
	v_cndmask_b32_e32 v6, v7, v12, vcc
	v_lshlrev_b32_e32 v7, 8, v4
	v_mov_b32_e32 v12, 0x3b800000
	v_lshlrev_b32_e32 v3, 20, v3
	v_and_b32_e32 v7, 0x80000000, v7
	v_lshl_add_u32 v6, v6, 23, v12
	v_or3_b32 v6, v7, v6, v3
.LBB1_2392:
	s_or_b64 exec, exec, s[6:7]
	s_nop 0
	v_mfma_f32_16x16x4f32 a[0:3], v2, v6, a[0:3]
	s_movk_i32 s4, 0x7f
	v_cmp_gt_i16_sdwa s[6:7], v8, s4 src0_sel:BYTE_3 src1_sel:DWORD
	s_mov_b64 s[4:5], 0
                                        ; implicit-def: $sgpr10
	s_and_saveexec_b64 s[8:9], s[6:7]
	s_xor_b64 s[6:7], exec, s[8:9]
	s_cbranch_execz .LBB1_2393
; %bb.38233:
	s_getpc_b64 s[14:15]
.Lpost_getpc4780:
	s_add_u32 s14, s14, (.LBB1_16729-.Lpost_getpc4780)&4294967295
	s_addc_u32 s15, s15, (.LBB1_16729-.Lpost_getpc4780)>>32
	s_setpc_b64 s[14:15]
.LBB1_2393:
	s_or_saveexec_b64 s[6:7], s[6:7]
	v_mov_b32_e32 v2, s10
	s_xor_b64 exec, exec, s[6:7]
	s_cbranch_execz .LBB1_2394
; %bb.38235:
	s_getpc_b64 s[14:15]
.Lpost_getpc4781:
	s_add_u32 s14, s14, (.LBB1_16732-.Lpost_getpc4781)&4294967295
	s_addc_u32 s15, s15, (.LBB1_16732-.Lpost_getpc4781)>>32
	s_setpc_b64 s[14:15]
.LBB1_2394:
	s_or_b64 exec, exec, s[6:7]
	s_and_saveexec_b64 s[6:7], s[4:5]
	s_cbranch_execz .LBB1_2396
.LBB1_2395:
	v_bfe_u32 v2, v8, 24, 3
	v_ffbh_u32_e32 v12, v2
	v_min_u32_e32 v12, 32, v12
	v_lshrrev_b32_e32 v6, 27, v8
	v_subrev_u32_e32 v13, 28, v12
	v_and_b32_e32 v3, 0x80000000, v8
	v_and_b32_e32 v6, 15, v6
	v_bfe_u32 v7, v8, 27, 4
	v_lshlrev_b32_sdwa v8, v13, v8 dst_sel:DWORD dst_unused:UNUSED_PAD src0_sel:DWORD src1_sel:BYTE_3
	v_sub_u32_e32 v12, 29, v12
	v_and_b32_e32 v8, 7, v8
	v_cmp_eq_u16_e32 vcc, 0, v6
	v_cndmask_b32_e32 v2, v2, v8, vcc
	v_cndmask_b32_e32 v6, v7, v12, vcc
	v_mov_b32_e32 v7, 0x3b800000
	v_lshlrev_b32_e32 v2, 20, v2
	v_lshl_add_u32 v6, v6, 23, v7
	v_or3_b32 v2, v3, v6, v2
.LBB1_2396:
	s_or_b64 exec, exec, s[6:7]
	s_movk_i32 s4, 0x7f
	v_cmp_gt_i16_sdwa s[6:7], v4, s4 src0_sel:BYTE_3 src1_sel:DWORD
	s_mov_b64 s[4:5], 0
                                        ; implicit-def: $sgpr10
	s_and_saveexec_b64 s[8:9], s[6:7]
	s_xor_b64 s[6:7], exec, s[8:9]
	s_cbranch_execz .LBB1_2397
; %bb.38237:
	s_getpc_b64 s[14:15]
.Lpost_getpc4782:
	s_add_u32 s14, s14, (.LBB1_16733-.Lpost_getpc4782)&4294967295
	s_addc_u32 s15, s15, (.LBB1_16733-.Lpost_getpc4782)>>32
	s_setpc_b64 s[14:15]
.LBB1_2397:
	s_or_saveexec_b64 s[6:7], s[6:7]
	v_mov_b32_e32 v3, s10
	s_xor_b64 exec, exec, s[6:7]
	s_cbranch_execz .LBB1_2398
; %bb.38239:
	s_getpc_b64 s[14:15]
.Lpost_getpc4783:
	s_add_u32 s14, s14, (.LBB1_16736-.Lpost_getpc4783)&4294967295
	s_addc_u32 s15, s15, (.LBB1_16736-.Lpost_getpc4783)>>32
	s_setpc_b64 s[14:15]
.LBB1_2398:
	s_or_b64 exec, exec, s[6:7]
	s_and_saveexec_b64 s[6:7], s[4:5]
	s_cbranch_execz .LBB1_2400
.LBB1_2399:
	v_bfe_u32 v3, v4, 24, 3
	v_ffbh_u32_e32 v12, v3
	v_min_u32_e32 v12, 32, v12
	v_lshrrev_b32_e32 v7, 27, v4
	v_subrev_u32_e32 v13, 28, v12
	v_and_b32_e32 v6, 0x80000000, v4
	v_and_b32_e32 v7, 15, v7
	v_bfe_u32 v8, v4, 27, 4
	v_lshlrev_b32_sdwa v4, v13, v4 dst_sel:DWORD dst_unused:UNUSED_PAD src0_sel:DWORD src1_sel:BYTE_3
	v_sub_u32_e32 v12, 29, v12
	v_and_b32_e32 v4, 7, v4
	v_cmp_eq_u16_e32 vcc, 0, v7
	v_cndmask_b32_e32 v3, v3, v4, vcc
	v_cndmask_b32_e32 v4, v8, v12, vcc
	v_mov_b32_e32 v7, 0x3b800000
	v_lshlrev_b32_e32 v3, 20, v3
	v_lshl_add_u32 v4, v4, 23, v7
	v_or3_b32 v3, v6, v4, v3
.LBB1_2400:
	s_or_b64 exec, exec, s[6:7]
	s_nop 0
	v_mfma_f32_16x16x4f32 a[0:3], v2, v3, a[0:3]
	s_movk_i32 s4, 0x7f
	v_cmp_gt_i16_sdwa s[6:7], v9, s4 src0_sel:BYTE_0 src1_sel:DWORD
	s_mov_b64 s[4:5], 0
                                        ; implicit-def: $sgpr10
	s_and_saveexec_b64 s[8:9], s[6:7]
	s_xor_b64 s[6:7], exec, s[8:9]
	s_cbranch_execz .LBB1_2401
; %bb.38241:
	s_getpc_b64 s[14:15]
.Lpost_getpc4784:
	s_add_u32 s14, s14, (.LBB1_16737-.Lpost_getpc4784)&4294967295
	s_addc_u32 s15, s15, (.LBB1_16737-.Lpost_getpc4784)>>32
	s_setpc_b64 s[14:15]
.LBB1_2401:
	s_or_saveexec_b64 s[6:7], s[6:7]
	v_mov_b32_e32 v2, s10
	s_xor_b64 exec, exec, s[6:7]
	s_cbranch_execz .LBB1_2402
; %bb.38243:
	s_getpc_b64 s[14:15]
.Lpost_getpc4785:
	s_add_u32 s14, s14, (.LBB1_16740-.Lpost_getpc4785)&4294967295
	s_addc_u32 s15, s15, (.LBB1_16740-.Lpost_getpc4785)>>32
	s_setpc_b64 s[14:15]
.LBB1_2402:
	s_or_b64 exec, exec, s[6:7]
	s_and_saveexec_b64 s[6:7], s[4:5]
	s_cbranch_execz .LBB1_2404
.LBB1_2403:
	v_mov_b32_e32 v2, 8
	v_and_b32_e32 v3, 7, v9
	v_lshrrev_b32_sdwa v2, v2, v9 dst_sel:BYTE_1 dst_unused:UNUSED_PAD src0_sel:DWORD src1_sel:DWORD
	v_ffbh_u32_e32 v4, v3
	v_or_b32_sdwa v2, v9, v2 dst_sel:DWORD dst_unused:UNUSED_PAD src0_sel:BYTE_0 src1_sel:DWORD
	v_min_u32_e32 v4, 32, v4
	v_lshrrev_b16_e32 v2, 3, v2
	v_subrev_u32_e32 v6, 28, v4
	v_and_b32_e32 v2, 15, v2
	v_lshlrev_b32_e32 v6, v6, v9
	v_sub_u32_e32 v4, 29, v4
	v_and_b32_e32 v6, 7, v6
	v_cmp_eq_u16_e32 vcc, 0, v2
	v_cndmask_b32_e32 v3, v3, v6, vcc
	v_cndmask_b32_e32 v2, v2, v4, vcc
	v_lshlrev_b32_e32 v4, 24, v9
	v_mov_b32_e32 v6, 0x3b800000
	v_lshlrev_b32_e32 v3, 20, v3
	v_and_b32_e32 v4, 0x80000000, v4
	v_lshl_add_u32 v2, v2, 23, v6
	v_or3_b32 v2, v4, v2, v3
.LBB1_2404:
	s_or_b64 exec, exec, s[6:7]
	s_movk_i32 s4, 0x7f
	v_cmp_gt_i16_sdwa s[6:7], v5, s4 src0_sel:BYTE_0 src1_sel:DWORD
	s_mov_b64 s[4:5], 0
                                        ; implicit-def: $sgpr10
	s_and_saveexec_b64 s[8:9], s[6:7]
	s_xor_b64 s[6:7], exec, s[8:9]
	s_cbranch_execz .LBB1_2405
; %bb.38245:
	s_getpc_b64 s[14:15]
.Lpost_getpc4786:
	s_add_u32 s14, s14, (.LBB1_16741-.Lpost_getpc4786)&4294967295
	s_addc_u32 s15, s15, (.LBB1_16741-.Lpost_getpc4786)>>32
	s_setpc_b64 s[14:15]
.LBB1_2405:
	s_or_saveexec_b64 s[6:7], s[6:7]
	v_mov_b32_e32 v3, s10
	s_xor_b64 exec, exec, s[6:7]
	s_cbranch_execz .LBB1_2406
; %bb.38247:
	s_getpc_b64 s[14:15]
.Lpost_getpc4787:
	s_add_u32 s14, s14, (.LBB1_16744-.Lpost_getpc4787)&4294967295
	s_addc_u32 s15, s15, (.LBB1_16744-.Lpost_getpc4787)>>32
	s_setpc_b64 s[14:15]
.LBB1_2406:
	s_or_b64 exec, exec, s[6:7]
	s_and_saveexec_b64 s[6:7], s[4:5]
	s_cbranch_execz .LBB1_2408
.LBB1_2407:
	v_mov_b32_e32 v3, 8
	v_and_b32_e32 v4, 7, v5
	v_lshrrev_b32_sdwa v3, v3, v5 dst_sel:BYTE_1 dst_unused:UNUSED_PAD src0_sel:DWORD src1_sel:DWORD
	v_ffbh_u32_e32 v6, v4
	v_or_b32_sdwa v3, v5, v3 dst_sel:DWORD dst_unused:UNUSED_PAD src0_sel:BYTE_0 src1_sel:DWORD
	v_min_u32_e32 v6, 32, v6
	v_lshrrev_b16_e32 v3, 3, v3
	v_subrev_u32_e32 v7, 28, v6
	v_and_b32_e32 v3, 15, v3
	v_lshlrev_b32_e32 v7, v7, v5
	v_sub_u32_e32 v6, 29, v6
	v_and_b32_e32 v7, 7, v7
	v_cmp_eq_u16_e32 vcc, 0, v3
	v_cndmask_b32_e32 v4, v4, v7, vcc
	v_cndmask_b32_e32 v3, v3, v6, vcc
	v_lshlrev_b32_e32 v6, 24, v5
	v_mov_b32_e32 v7, 0x3b800000
	v_lshlrev_b32_e32 v4, 20, v4
	v_and_b32_e32 v6, 0x80000000, v6
	v_lshl_add_u32 v3, v3, 23, v7
	v_or3_b32 v3, v6, v3, v4
.LBB1_2408:
	s_or_b64 exec, exec, s[6:7]
	s_nop 0
	v_mfma_f32_16x16x4f32 a[0:3], v2, v3, a[0:3]
	v_lshrrev_b32_e32 v3, 8, v9
	s_movk_i32 s4, 0x7f
	v_cmp_gt_i16_sdwa s[6:7], v3, s4 src0_sel:BYTE_0 src1_sel:DWORD
	s_mov_b64 s[4:5], 0
                                        ; implicit-def: $sgpr10
	s_and_saveexec_b64 s[8:9], s[6:7]
	s_xor_b64 s[6:7], exec, s[8:9]
	s_cbranch_execz .LBB1_2409
; %bb.38249:
	s_getpc_b64 s[14:15]
.Lpost_getpc4788:
	s_add_u32 s14, s14, (.LBB1_16745-.Lpost_getpc4788)&4294967295
	s_addc_u32 s15, s15, (.LBB1_16745-.Lpost_getpc4788)>>32
	s_setpc_b64 s[14:15]
.LBB1_2409:
	s_or_saveexec_b64 s[6:7], s[6:7]
	v_mov_b32_e32 v2, s10
	s_xor_b64 exec, exec, s[6:7]
	s_cbranch_execz .LBB1_2410
; %bb.38251:
	s_getpc_b64 s[14:15]
.Lpost_getpc4789:
	s_add_u32 s14, s14, (.LBB1_16748-.Lpost_getpc4789)&4294967295
	s_addc_u32 s15, s15, (.LBB1_16748-.Lpost_getpc4789)>>32
	s_setpc_b64 s[14:15]
.LBB1_2410:
	s_or_b64 exec, exec, s[6:7]
	s_and_saveexec_b64 s[6:7], s[4:5]
	s_cbranch_execz .LBB1_2412
.LBB1_2411:
	v_bfe_u32 v2, v9, 8, 3
	v_ffbh_u32_e32 v6, v2
	v_min_u32_e32 v6, 32, v6
	v_lshrrev_b16_e32 v4, 3, v3
	v_subrev_u32_e32 v7, 28, v6
	v_and_b32_e32 v4, 15, v4
	v_lshlrev_b32_e32 v3, v7, v3
	v_sub_u32_e32 v6, 29, v6
	v_and_b32_e32 v3, 7, v3
	v_cmp_eq_u16_e32 vcc, 0, v4
	v_cndmask_b32_e32 v2, v2, v3, vcc
	v_cndmask_b32_e32 v3, v4, v6, vcc
	v_lshlrev_b32_e32 v4, 16, v9
	v_mov_b32_e32 v6, 0x3b800000
	v_lshlrev_b32_e32 v2, 20, v2
	v_and_b32_e32 v4, 0x80000000, v4
	v_lshl_add_u32 v3, v3, 23, v6
	v_or3_b32 v2, v4, v3, v2
.LBB1_2412:
	s_or_b64 exec, exec, s[6:7]
	v_lshrrev_b32_e32 v3, 8, v5
	s_movk_i32 s4, 0x7f
	v_cmp_gt_i16_sdwa s[6:7], v3, s4 src0_sel:BYTE_0 src1_sel:DWORD
	s_mov_b64 s[4:5], 0
                                        ; implicit-def: $sgpr10
	s_and_saveexec_b64 s[8:9], s[6:7]
	s_xor_b64 s[6:7], exec, s[8:9]
	s_cbranch_execz .LBB1_2413
; %bb.38253:
	s_getpc_b64 s[14:15]
.Lpost_getpc4790:
	s_add_u32 s14, s14, (.LBB1_16749-.Lpost_getpc4790)&4294967295
	s_addc_u32 s15, s15, (.LBB1_16749-.Lpost_getpc4790)>>32
	s_setpc_b64 s[14:15]
.LBB1_2413:
	s_or_saveexec_b64 s[6:7], s[6:7]
	v_mov_b32_e32 v4, s10
	s_xor_b64 exec, exec, s[6:7]
	s_cbranch_execz .LBB1_2414
; %bb.38255:
	s_getpc_b64 s[14:15]
.Lpost_getpc4791:
	s_add_u32 s14, s14, (.LBB1_16752-.Lpost_getpc4791)&4294967295
	s_addc_u32 s15, s15, (.LBB1_16752-.Lpost_getpc4791)>>32
	s_setpc_b64 s[14:15]
.LBB1_2414:
	s_or_b64 exec, exec, s[6:7]
	s_and_saveexec_b64 s[6:7], s[4:5]
	s_cbranch_execz .LBB1_2416
.LBB1_2415:
	v_bfe_u32 v4, v5, 8, 3
	v_ffbh_u32_e32 v7, v4
	v_min_u32_e32 v7, 32, v7
	v_lshrrev_b16_e32 v6, 3, v3
	v_subrev_u32_e32 v8, 28, v7
	v_and_b32_e32 v6, 15, v6
	v_lshlrev_b32_e32 v3, v8, v3
	v_sub_u32_e32 v7, 29, v7
	v_and_b32_e32 v3, 7, v3
	v_cmp_eq_u16_e32 vcc, 0, v6
	v_cndmask_b32_e32 v3, v4, v3, vcc
	v_cndmask_b32_e32 v4, v6, v7, vcc
	v_lshlrev_b32_e32 v6, 16, v5
	v_mov_b32_e32 v7, 0x3b800000
	v_lshlrev_b32_e32 v3, 20, v3
	v_and_b32_e32 v6, 0x80000000, v6
	v_lshl_add_u32 v4, v4, 23, v7
	v_or3_b32 v4, v6, v4, v3
.LBB1_2416:
	s_or_b64 exec, exec, s[6:7]
	s_nop 0
	v_mfma_f32_16x16x4f32 a[0:3], v2, v4, a[0:3]
	s_movk_i32 s4, 0xff
	v_and_b32_sdwa v3, v9, s4 dst_sel:DWORD dst_unused:UNUSED_PAD src0_sel:WORD_1 src1_sel:DWORD
	s_movk_i32 s4, 0x7f
	v_cmp_lt_i16_e32 vcc, s4, v3
	s_mov_b64 s[4:5], 0
                                        ; implicit-def: $sgpr10
	s_and_saveexec_b64 s[6:7], vcc
	s_xor_b64 s[6:7], exec, s[6:7]
	s_cbranch_execz .LBB1_2417
; %bb.38257:
	s_getpc_b64 s[14:15]
.Lpost_getpc4792:
	s_add_u32 s14, s14, (.LBB1_16753-.Lpost_getpc4792)&4294967295
	s_addc_u32 s15, s15, (.LBB1_16753-.Lpost_getpc4792)>>32
	s_setpc_b64 s[14:15]
.LBB1_2417:
	s_or_saveexec_b64 s[6:7], s[6:7]
	v_mov_b32_e32 v2, s10
	s_xor_b64 exec, exec, s[6:7]
	s_cbranch_execz .LBB1_2418
; %bb.38259:
	s_getpc_b64 s[14:15]
.Lpost_getpc4793:
	s_add_u32 s14, s14, (.LBB1_16756-.Lpost_getpc4793)&4294967295
	s_addc_u32 s15, s15, (.LBB1_16756-.Lpost_getpc4793)>>32
	s_setpc_b64 s[14:15]
.LBB1_2418:
	s_or_b64 exec, exec, s[6:7]
	s_and_saveexec_b64 s[6:7], s[4:5]
	s_cbranch_execz .LBB1_2420
.LBB1_2419:
	v_bfe_u32 v2, v9, 16, 3
	v_ffbh_u32_e32 v6, v2
	v_min_u32_e32 v6, 32, v6
	v_lshrrev_b32_e32 v3, 19, v9
	v_subrev_u32_e32 v7, 28, v6
	v_and_b32_e32 v3, 15, v3
	v_lshlrev_b32_sdwa v7, v7, v9 dst_sel:DWORD dst_unused:UNUSED_PAD src0_sel:DWORD src1_sel:WORD_1
	v_bfe_u32 v4, v9, 19, 4
	v_sub_u32_e32 v6, 29, v6
	v_and_b32_e32 v7, 7, v7
	v_cmp_eq_u16_e32 vcc, 0, v3
	v_cndmask_b32_e32 v2, v2, v7, vcc
	v_cndmask_b32_e32 v3, v4, v6, vcc
	v_lshlrev_b32_e32 v4, 8, v9
	v_mov_b32_e32 v6, 0x3b800000
	v_lshlrev_b32_e32 v2, 20, v2
	v_and_b32_e32 v4, 0x80000000, v4
	v_lshl_add_u32 v3, v3, 23, v6
	v_or3_b32 v2, v4, v3, v2
.LBB1_2420:
	s_or_b64 exec, exec, s[6:7]
	s_movk_i32 s4, 0xff
	v_and_b32_sdwa v3, v5, s4 dst_sel:DWORD dst_unused:UNUSED_PAD src0_sel:WORD_1 src1_sel:DWORD
	s_movk_i32 s4, 0x7f
	v_cmp_lt_i16_e32 vcc, s4, v3
	s_mov_b64 s[4:5], 0
                                        ; implicit-def: $sgpr10
	s_and_saveexec_b64 s[6:7], vcc
	s_xor_b64 s[6:7], exec, s[6:7]
	s_cbranch_execz .LBB1_2421
; %bb.38261:
	s_getpc_b64 s[14:15]
.Lpost_getpc4794:
	s_add_u32 s14, s14, (.LBB1_16757-.Lpost_getpc4794)&4294967295
	s_addc_u32 s15, s15, (.LBB1_16757-.Lpost_getpc4794)>>32
	s_setpc_b64 s[14:15]
.LBB1_2421:
	s_or_saveexec_b64 s[6:7], s[6:7]
	v_mov_b32_e32 v4, s10
	s_xor_b64 exec, exec, s[6:7]
	s_cbranch_execz .LBB1_2422
; %bb.38263:
	s_getpc_b64 s[14:15]
.Lpost_getpc4795:
	s_add_u32 s14, s14, (.LBB1_16760-.Lpost_getpc4795)&4294967295
	s_addc_u32 s15, s15, (.LBB1_16760-.Lpost_getpc4795)>>32
	s_setpc_b64 s[14:15]
.LBB1_2422:
	s_or_b64 exec, exec, s[6:7]
	s_and_saveexec_b64 s[6:7], s[4:5]
	s_cbranch_execz .LBB1_2424
.LBB1_2423:
	v_bfe_u32 v3, v5, 16, 3
	v_ffbh_u32_e32 v7, v3
	v_min_u32_e32 v7, 32, v7
	v_lshrrev_b32_e32 v4, 19, v5
	v_subrev_u32_e32 v8, 28, v7
	v_and_b32_e32 v4, 15, v4
	v_lshlrev_b32_sdwa v8, v8, v5 dst_sel:DWORD dst_unused:UNUSED_PAD src0_sel:DWORD src1_sel:WORD_1
	v_bfe_u32 v6, v5, 19, 4
	v_sub_u32_e32 v7, 29, v7
	v_and_b32_e32 v8, 7, v8
	v_cmp_eq_u16_e32 vcc, 0, v4
	v_cndmask_b32_e32 v3, v3, v8, vcc
	v_cndmask_b32_e32 v4, v6, v7, vcc
	v_lshlrev_b32_e32 v6, 8, v5
	v_mov_b32_e32 v7, 0x3b800000
	v_lshlrev_b32_e32 v3, 20, v3
	v_and_b32_e32 v6, 0x80000000, v6
	v_lshl_add_u32 v4, v4, 23, v7
	v_or3_b32 v4, v6, v4, v3
.LBB1_2424:
	s_or_b64 exec, exec, s[6:7]
	s_nop 0
	v_mfma_f32_16x16x4f32 a[0:3], v2, v4, a[0:3]
	s_movk_i32 s4, 0x7f
	v_cmp_gt_i16_sdwa s[6:7], v9, s4 src0_sel:BYTE_3 src1_sel:DWORD
	s_mov_b64 s[4:5], 0
                                        ; implicit-def: $sgpr10
	s_and_saveexec_b64 s[8:9], s[6:7]
	s_xor_b64 s[6:7], exec, s[8:9]
	s_cbranch_execz .LBB1_2425
; %bb.38265:
	s_getpc_b64 s[14:15]
.Lpost_getpc4796:
	s_add_u32 s14, s14, (.LBB1_16761-.Lpost_getpc4796)&4294967295
	s_addc_u32 s15, s15, (.LBB1_16761-.Lpost_getpc4796)>>32
	s_setpc_b64 s[14:15]
.LBB1_2425:
	s_or_saveexec_b64 s[6:7], s[6:7]
	v_mov_b32_e32 v2, s10
	s_xor_b64 exec, exec, s[6:7]
	s_cbranch_execz .LBB1_2426
; %bb.38267:
	s_getpc_b64 s[14:15]
.Lpost_getpc4797:
	s_add_u32 s14, s14, (.LBB1_16764-.Lpost_getpc4797)&4294967295
	s_addc_u32 s15, s15, (.LBB1_16764-.Lpost_getpc4797)>>32
	s_setpc_b64 s[14:15]
.LBB1_2426:
	s_or_b64 exec, exec, s[6:7]
	s_and_saveexec_b64 s[6:7], s[4:5]
	s_cbranch_execz .LBB1_2428
.LBB1_2427:
	v_bfe_u32 v2, v9, 24, 3
	v_ffbh_u32_e32 v7, v2
	v_min_u32_e32 v7, 32, v7
	v_lshrrev_b32_e32 v4, 27, v9
	v_subrev_u32_e32 v8, 28, v7
	v_and_b32_e32 v4, 15, v4
	v_lshlrev_b32_sdwa v8, v8, v9 dst_sel:DWORD dst_unused:UNUSED_PAD src0_sel:DWORD src1_sel:BYTE_3
	v_bfe_u32 v6, v9, 27, 4
	v_sub_u32_e32 v7, 29, v7
	v_and_b32_e32 v8, 7, v8
	v_cmp_eq_u16_e32 vcc, 0, v4
	v_cndmask_b32_e32 v2, v2, v8, vcc
	v_cndmask_b32_e32 v4, v6, v7, vcc
	v_mov_b32_e32 v6, 0x3b800000
	v_and_b32_e32 v3, 0x80000000, v9
	v_lshlrev_b32_e32 v2, 20, v2
	v_lshl_add_u32 v4, v4, 23, v6
	v_or3_b32 v2, v3, v4, v2
.LBB1_2428:
	s_or_b64 exec, exec, s[6:7]
	s_movk_i32 s4, 0x7f
	v_cmp_gt_i16_sdwa s[6:7], v5, s4 src0_sel:BYTE_3 src1_sel:DWORD
	s_mov_b64 s[4:5], 0
                                        ; implicit-def: $sgpr10
	s_and_saveexec_b64 s[8:9], s[6:7]
	s_xor_b64 s[6:7], exec, s[8:9]
	s_cbranch_execz .LBB1_2429
; %bb.38269:
	s_getpc_b64 s[14:15]
.Lpost_getpc4798:
	s_add_u32 s14, s14, (.LBB1_16765-.Lpost_getpc4798)&4294967295
	s_addc_u32 s15, s15, (.LBB1_16765-.Lpost_getpc4798)>>32
	s_setpc_b64 s[14:15]
.LBB1_2429:
	s_or_saveexec_b64 s[6:7], s[6:7]
	v_mov_b32_e32 v3, s10
	s_xor_b64 exec, exec, s[6:7]
	s_cbranch_execz .LBB1_2430
; %bb.38271:
	s_getpc_b64 s[14:15]
.Lpost_getpc4799:
	s_add_u32 s14, s14, (.LBB1_16768-.Lpost_getpc4799)&4294967295
	s_addc_u32 s15, s15, (.LBB1_16768-.Lpost_getpc4799)>>32
	s_setpc_b64 s[14:15]
.LBB1_2430:
	s_or_b64 exec, exec, s[6:7]
	s_and_saveexec_b64 s[6:7], s[4:5]
	s_cbranch_execz .LBB1_2432
.LBB1_2431:
	v_bfe_u32 v3, v5, 24, 3
	v_ffbh_u32_e32 v8, v3
	v_min_u32_e32 v8, 32, v8
	v_lshrrev_b32_e32 v6, 27, v5
	v_subrev_u32_e32 v9, 28, v8
	v_and_b32_e32 v4, 0x80000000, v5
	v_and_b32_e32 v6, 15, v6
	v_bfe_u32 v7, v5, 27, 4
	v_lshlrev_b32_sdwa v5, v9, v5 dst_sel:DWORD dst_unused:UNUSED_PAD src0_sel:DWORD src1_sel:BYTE_3
	v_sub_u32_e32 v8, 29, v8
	v_and_b32_e32 v5, 7, v5
	v_cmp_eq_u16_e32 vcc, 0, v6
	v_cndmask_b32_e32 v3, v3, v5, vcc
	v_cndmask_b32_e32 v5, v7, v8, vcc
	v_mov_b32_e32 v6, 0x3b800000
	v_lshlrev_b32_e32 v3, 20, v3
	v_lshl_add_u32 v5, v5, 23, v6
	v_or3_b32 v3, v4, v5, v3
.LBB1_2432:
	s_or_b64 exec, exec, s[6:7]
	s_nop 0
	v_mfma_f32_16x16x4f32 a[0:3], v2, v3, a[0:3]
	s_movk_i32 s4, 0x7f
                                        ; implicit-def: $sgpr10
	s_nop 7
	s_nop 1
	flat_store_dwordx4 v[10:11], a[0:3] offset:288
	flat_load_dwordx4 v[12:15], v[0:1]
	s_nop 0
	flat_load_dwordx2 v[10:11], v[0:1] offset:16
	s_waitcnt vmcnt(0) lgkmcnt(0)
	flat_load_dwordx4 v[6:9], v[12:13] offset:32
	flat_load_dwordx4 v[2:5], v[14:15] offset:48
	s_waitcnt vmcnt(0) lgkmcnt(0)
	v_cmp_gt_i16_sdwa s[6:7], v6, s4 src0_sel:BYTE_0 src1_sel:DWORD
	s_mov_b64 s[4:5], 0
	s_and_saveexec_b64 s[8:9], s[6:7]
	s_xor_b64 s[6:7], exec, s[8:9]
	s_cbranch_execz .LBB1_2433
; %bb.38273:
	s_getpc_b64 s[14:15]
.Lpost_getpc4800:
	s_add_u32 s14, s14, (.LBB1_16769-.Lpost_getpc4800)&4294967295
	s_addc_u32 s15, s15, (.LBB1_16769-.Lpost_getpc4800)>>32
	s_setpc_b64 s[14:15]
.LBB1_2433:
	s_or_saveexec_b64 s[6:7], s[6:7]
	v_mov_b32_e32 v12, s10
	s_xor_b64 exec, exec, s[6:7]
	s_cbranch_execz .LBB1_2434
; %bb.38275:
	s_getpc_b64 s[14:15]
.Lpost_getpc4801:
	s_add_u32 s14, s14, (.LBB1_16772-.Lpost_getpc4801)&4294967295
	s_addc_u32 s15, s15, (.LBB1_16772-.Lpost_getpc4801)>>32
	s_setpc_b64 s[14:15]
.LBB1_2434:
	s_or_b64 exec, exec, s[6:7]
	s_and_saveexec_b64 s[6:7], s[4:5]
	s_cbranch_execz .LBB1_2436
.LBB1_2435:
	v_and_b32_e32 v12, 7, v6
	v_ffbh_u32_e32 v14, v12
	v_min_u32_e32 v14, 32, v14
	v_lshrrev_b16_e32 v13, 3, v6
	v_subrev_u32_e32 v15, 28, v14
	v_and_b32_e32 v13, 15, v13
	v_lshlrev_b32_e32 v15, v15, v6
	v_sub_u32_e32 v14, 29, v14
	v_and_b32_e32 v15, 7, v15
	v_cmp_eq_u16_e32 vcc, 0, v13
	v_cndmask_b32_e32 v12, v12, v15, vcc
	v_cndmask_b32_e32 v13, v13, v14, vcc
	v_lshlrev_b32_e32 v14, 24, v6
	v_mov_b32_e32 v15, 0x3b800000
	v_lshlrev_b32_e32 v12, 20, v12
	v_and_b32_e32 v14, 0x80000000, v14
	v_lshl_add_u32 v13, v13, 23, v15
	v_or3_b32 v12, v14, v13, v12
.LBB1_2436:
	s_or_b64 exec, exec, s[6:7]
	s_movk_i32 s4, 0x7f
	v_cmp_gt_i16_sdwa s[6:7], v2, s4 src0_sel:BYTE_0 src1_sel:DWORD
	s_mov_b64 s[4:5], 0
                                        ; implicit-def: $sgpr10
	s_and_saveexec_b64 s[8:9], s[6:7]
	s_xor_b64 s[6:7], exec, s[8:9]
	s_cbranch_execz .LBB1_2437
; %bb.38277:
	s_getpc_b64 s[14:15]
.Lpost_getpc4802:
	s_add_u32 s14, s14, (.LBB1_16773-.Lpost_getpc4802)&4294967295
	s_addc_u32 s15, s15, (.LBB1_16773-.Lpost_getpc4802)>>32
	s_setpc_b64 s[14:15]
.LBB1_2437:
	s_or_saveexec_b64 s[6:7], s[6:7]
	v_mov_b32_e32 v13, s10
	s_xor_b64 exec, exec, s[6:7]
	s_cbranch_execz .LBB1_2438
; %bb.38279:
	s_getpc_b64 s[14:15]
.Lpost_getpc4803:
	s_add_u32 s14, s14, (.LBB1_16776-.Lpost_getpc4803)&4294967295
	s_addc_u32 s15, s15, (.LBB1_16776-.Lpost_getpc4803)>>32
	s_setpc_b64 s[14:15]
.LBB1_2438:
	s_or_b64 exec, exec, s[6:7]
	s_and_saveexec_b64 s[6:7], s[4:5]
	s_cbranch_execz .LBB1_2440
.LBB1_2439:
	v_and_b32_e32 v13, 7, v2
	v_ffbh_u32_e32 v15, v13
	v_min_u32_e32 v15, 32, v15
	v_lshrrev_b16_e32 v14, 3, v2
	v_subrev_u32_e32 v16, 28, v15
	v_and_b32_e32 v14, 15, v14
	v_lshlrev_b32_e32 v16, v16, v2
	v_sub_u32_e32 v15, 29, v15
	v_and_b32_e32 v16, 7, v16
	v_cmp_eq_u16_e32 vcc, 0, v14
	v_cndmask_b32_e32 v13, v13, v16, vcc
	v_cndmask_b32_e32 v14, v14, v15, vcc
	v_lshlrev_b32_e32 v15, 24, v2
	v_mov_b32_e32 v16, 0x3b800000
	v_lshlrev_b32_e32 v13, 20, v13
	v_and_b32_e32 v15, 0x80000000, v15
	v_lshl_add_u32 v14, v14, 23, v16
	v_or3_b32 v13, v15, v14, v13
.LBB1_2440:
	s_or_b64 exec, exec, s[6:7]
	flat_load_dwordx4 a[0:3], v[10:11] offset:304
	s_movk_i32 s4, 0x7f
                                        ; implicit-def: $sgpr10
	s_waitcnt vmcnt(0) lgkmcnt(0)
	v_mfma_f32_16x16x4f32 a[0:3], v12, v13, a[0:3]
	v_lshrrev_b32_e32 v13, 8, v6
	v_cmp_gt_i16_sdwa s[6:7], v13, s4 src0_sel:BYTE_0 src1_sel:DWORD
	s_mov_b64 s[4:5], 0
	s_and_saveexec_b64 s[8:9], s[6:7]
	s_xor_b64 s[6:7], exec, s[8:9]
	s_cbranch_execz .LBB1_2441
; %bb.38281:
	s_getpc_b64 s[14:15]
.Lpost_getpc4804:
	s_add_u32 s14, s14, (.LBB1_16777-.Lpost_getpc4804)&4294967295
	s_addc_u32 s15, s15, (.LBB1_16777-.Lpost_getpc4804)>>32
	s_setpc_b64 s[14:15]
.LBB1_2441:
	s_or_saveexec_b64 s[6:7], s[6:7]
	v_mov_b32_e32 v12, s10
	s_xor_b64 exec, exec, s[6:7]
	s_cbranch_execz .LBB1_2442
; %bb.38283:
	s_getpc_b64 s[14:15]
.Lpost_getpc4805:
	s_add_u32 s14, s14, (.LBB1_16780-.Lpost_getpc4805)&4294967295
	s_addc_u32 s15, s15, (.LBB1_16780-.Lpost_getpc4805)>>32
	s_setpc_b64 s[14:15]
.LBB1_2442:
	s_or_b64 exec, exec, s[6:7]
	s_and_saveexec_b64 s[6:7], s[4:5]
	s_cbranch_execz .LBB1_2444
.LBB1_2443:
	v_bfe_u32 v12, v6, 8, 3
	v_ffbh_u32_e32 v15, v12
	v_min_u32_e32 v15, 32, v15
	v_lshrrev_b16_e32 v14, 3, v13
	v_subrev_u32_e32 v16, 28, v15
	v_and_b32_e32 v14, 15, v14
	v_lshlrev_b32_e32 v13, v16, v13
	v_sub_u32_e32 v15, 29, v15
	v_and_b32_e32 v13, 7, v13
	v_cmp_eq_u16_e32 vcc, 0, v14
	v_cndmask_b32_e32 v12, v12, v13, vcc
	v_cndmask_b32_e32 v13, v14, v15, vcc
	v_lshlrev_b32_e32 v14, 16, v6
	v_mov_b32_e32 v15, 0x3b800000
	v_lshlrev_b32_e32 v12, 20, v12
	v_and_b32_e32 v14, 0x80000000, v14
	v_lshl_add_u32 v13, v13, 23, v15
	v_or3_b32 v12, v14, v13, v12
.LBB1_2444:
	s_or_b64 exec, exec, s[6:7]
	v_lshrrev_b32_e32 v13, 8, v2
	s_movk_i32 s4, 0x7f
	v_cmp_gt_i16_sdwa s[6:7], v13, s4 src0_sel:BYTE_0 src1_sel:DWORD
	s_mov_b64 s[4:5], 0
                                        ; implicit-def: $sgpr10
	s_and_saveexec_b64 s[8:9], s[6:7]
	s_xor_b64 s[6:7], exec, s[8:9]
	s_cbranch_execz .LBB1_2445
; %bb.38285:
	s_getpc_b64 s[14:15]
.Lpost_getpc4806:
	s_add_u32 s14, s14, (.LBB1_16781-.Lpost_getpc4806)&4294967295
	s_addc_u32 s15, s15, (.LBB1_16781-.Lpost_getpc4806)>>32
	s_setpc_b64 s[14:15]
.LBB1_2445:
	s_or_saveexec_b64 s[6:7], s[6:7]
	v_mov_b32_e32 v14, s10
	s_xor_b64 exec, exec, s[6:7]
	s_cbranch_execz .LBB1_2446
; %bb.38287:
	s_getpc_b64 s[14:15]
.Lpost_getpc4807:
	s_add_u32 s14, s14, (.LBB1_16784-.Lpost_getpc4807)&4294967295
	s_addc_u32 s15, s15, (.LBB1_16784-.Lpost_getpc4807)>>32
	s_setpc_b64 s[14:15]
.LBB1_2446:
	s_or_b64 exec, exec, s[6:7]
	s_and_saveexec_b64 s[6:7], s[4:5]
	s_cbranch_execz .LBB1_2448
.LBB1_2447:
	v_bfe_u32 v14, v2, 8, 3
	v_ffbh_u32_e32 v16, v14
	v_min_u32_e32 v16, 32, v16
	v_lshrrev_b16_e32 v15, 3, v13
	v_subrev_u32_e32 v17, 28, v16
	v_and_b32_e32 v15, 15, v15
	v_lshlrev_b32_e32 v13, v17, v13
	v_sub_u32_e32 v16, 29, v16
	v_and_b32_e32 v13, 7, v13
	v_cmp_eq_u16_e32 vcc, 0, v15
	v_cndmask_b32_e32 v13, v14, v13, vcc
	v_cndmask_b32_e32 v14, v15, v16, vcc
	v_lshlrev_b32_e32 v15, 16, v2
	v_mov_b32_e32 v16, 0x3b800000
	v_lshlrev_b32_e32 v13, 20, v13
	v_and_b32_e32 v15, 0x80000000, v15
	v_lshl_add_u32 v14, v14, 23, v16
	v_or3_b32 v14, v15, v14, v13
.LBB1_2448:
	s_or_b64 exec, exec, s[6:7]
	s_nop 0
	v_mfma_f32_16x16x4f32 a[0:3], v12, v14, a[0:3]
	s_movk_i32 s4, 0xff
	v_and_b32_sdwa v13, v6, s4 dst_sel:DWORD dst_unused:UNUSED_PAD src0_sel:WORD_1 src1_sel:DWORD
	s_movk_i32 s4, 0x7f
	v_cmp_lt_i16_e32 vcc, s4, v13
	s_mov_b64 s[4:5], 0
                                        ; implicit-def: $sgpr10
	s_and_saveexec_b64 s[6:7], vcc
	s_xor_b64 s[6:7], exec, s[6:7]
	s_cbranch_execz .LBB1_2449
; %bb.38289:
	s_getpc_b64 s[14:15]
.Lpost_getpc4808:
	s_add_u32 s14, s14, (.LBB1_16785-.Lpost_getpc4808)&4294967295
	s_addc_u32 s15, s15, (.LBB1_16785-.Lpost_getpc4808)>>32
	s_setpc_b64 s[14:15]
.LBB1_2449:
	s_or_saveexec_b64 s[6:7], s[6:7]
	v_mov_b32_e32 v12, s10
	s_xor_b64 exec, exec, s[6:7]
	s_cbranch_execz .LBB1_2450
; %bb.38291:
	s_getpc_b64 s[14:15]
.Lpost_getpc4809:
	s_add_u32 s14, s14, (.LBB1_16788-.Lpost_getpc4809)&4294967295
	s_addc_u32 s15, s15, (.LBB1_16788-.Lpost_getpc4809)>>32
	s_setpc_b64 s[14:15]
.LBB1_2450:
	s_or_b64 exec, exec, s[6:7]
	s_and_saveexec_b64 s[6:7], s[4:5]
	s_cbranch_execz .LBB1_2452
.LBB1_2451:
	v_bfe_u32 v12, v6, 16, 3
	v_ffbh_u32_e32 v15, v12
	v_min_u32_e32 v15, 32, v15
	v_lshrrev_b32_e32 v13, 19, v6
	v_subrev_u32_e32 v16, 28, v15
	v_and_b32_e32 v13, 15, v13
	v_lshlrev_b32_sdwa v16, v16, v6 dst_sel:DWORD dst_unused:UNUSED_PAD src0_sel:DWORD src1_sel:WORD_1
	v_bfe_u32 v14, v6, 19, 4
	v_sub_u32_e32 v15, 29, v15
	v_and_b32_e32 v16, 7, v16
	v_cmp_eq_u16_e32 vcc, 0, v13
	v_cndmask_b32_e32 v12, v12, v16, vcc
	v_cndmask_b32_e32 v13, v14, v15, vcc
	v_lshlrev_b32_e32 v14, 8, v6
	v_mov_b32_e32 v15, 0x3b800000
	v_lshlrev_b32_e32 v12, 20, v12
	v_and_b32_e32 v14, 0x80000000, v14
	v_lshl_add_u32 v13, v13, 23, v15
	v_or3_b32 v12, v14, v13, v12
.LBB1_2452:
	s_or_b64 exec, exec, s[6:7]
	s_movk_i32 s4, 0xff
	v_and_b32_sdwa v13, v2, s4 dst_sel:DWORD dst_unused:UNUSED_PAD src0_sel:WORD_1 src1_sel:DWORD
	s_movk_i32 s4, 0x7f
	v_cmp_lt_i16_e32 vcc, s4, v13
	s_mov_b64 s[4:5], 0
                                        ; implicit-def: $sgpr10
	s_and_saveexec_b64 s[6:7], vcc
	s_xor_b64 s[6:7], exec, s[6:7]
	s_cbranch_execz .LBB1_2453
; %bb.38293:
	s_getpc_b64 s[14:15]
.Lpost_getpc4810:
	s_add_u32 s14, s14, (.LBB1_16789-.Lpost_getpc4810)&4294967295
	s_addc_u32 s15, s15, (.LBB1_16789-.Lpost_getpc4810)>>32
	s_setpc_b64 s[14:15]
.LBB1_2453:
	s_or_saveexec_b64 s[6:7], s[6:7]
	v_mov_b32_e32 v14, s10
	s_xor_b64 exec, exec, s[6:7]
	s_cbranch_execz .LBB1_2454
; %bb.38295:
	s_getpc_b64 s[14:15]
.Lpost_getpc4811:
	s_add_u32 s14, s14, (.LBB1_16792-.Lpost_getpc4811)&4294967295
	s_addc_u32 s15, s15, (.LBB1_16792-.Lpost_getpc4811)>>32
	s_setpc_b64 s[14:15]
.LBB1_2454:
	s_or_b64 exec, exec, s[6:7]
	s_and_saveexec_b64 s[6:7], s[4:5]
	s_cbranch_execz .LBB1_2456
.LBB1_2455:
	v_bfe_u32 v13, v2, 16, 3
	v_ffbh_u32_e32 v16, v13
	v_min_u32_e32 v16, 32, v16
	v_lshrrev_b32_e32 v14, 19, v2
	v_subrev_u32_e32 v17, 28, v16
	v_and_b32_e32 v14, 15, v14
	v_lshlrev_b32_sdwa v17, v17, v2 dst_sel:DWORD dst_unused:UNUSED_PAD src0_sel:DWORD src1_sel:WORD_1
	v_bfe_u32 v15, v2, 19, 4
	v_sub_u32_e32 v16, 29, v16
	v_and_b32_e32 v17, 7, v17
	v_cmp_eq_u16_e32 vcc, 0, v14
	v_cndmask_b32_e32 v13, v13, v17, vcc
	v_cndmask_b32_e32 v14, v15, v16, vcc
	v_lshlrev_b32_e32 v15, 8, v2
	v_mov_b32_e32 v16, 0x3b800000
	v_lshlrev_b32_e32 v13, 20, v13
	v_and_b32_e32 v15, 0x80000000, v15
	v_lshl_add_u32 v14, v14, 23, v16
	v_or3_b32 v14, v15, v14, v13
.LBB1_2456:
	s_or_b64 exec, exec, s[6:7]
	s_nop 0
	v_mfma_f32_16x16x4f32 a[0:3], v12, v14, a[0:3]
	s_movk_i32 s4, 0x7f
	v_cmp_gt_i16_sdwa s[6:7], v6, s4 src0_sel:BYTE_3 src1_sel:DWORD
	s_mov_b64 s[4:5], 0
                                        ; implicit-def: $sgpr10
	s_and_saveexec_b64 s[8:9], s[6:7]
	s_xor_b64 s[6:7], exec, s[8:9]
	s_cbranch_execz .LBB1_2457
; %bb.38297:
	s_getpc_b64 s[14:15]
.Lpost_getpc4812:
	s_add_u32 s14, s14, (.LBB1_16793-.Lpost_getpc4812)&4294967295
	s_addc_u32 s15, s15, (.LBB1_16793-.Lpost_getpc4812)>>32
	s_setpc_b64 s[14:15]
.LBB1_2457:
	s_or_saveexec_b64 s[6:7], s[6:7]
	v_mov_b32_e32 v12, s10
	s_xor_b64 exec, exec, s[6:7]
	s_cbranch_execz .LBB1_2458
; %bb.38299:
	s_getpc_b64 s[14:15]
.Lpost_getpc4813:
	s_add_u32 s14, s14, (.LBB1_16796-.Lpost_getpc4813)&4294967295
	s_addc_u32 s15, s15, (.LBB1_16796-.Lpost_getpc4813)>>32
	s_setpc_b64 s[14:15]
.LBB1_2458:
	s_or_b64 exec, exec, s[6:7]
	s_and_saveexec_b64 s[6:7], s[4:5]
	s_cbranch_execz .LBB1_2460
.LBB1_2459:
	v_bfe_u32 v12, v6, 24, 3
	v_ffbh_u32_e32 v16, v12
	v_min_u32_e32 v16, 32, v16
	v_lshrrev_b32_e32 v14, 27, v6
	v_subrev_u32_e32 v17, 28, v16
	v_and_b32_e32 v13, 0x80000000, v6
	v_and_b32_e32 v14, 15, v14
	v_bfe_u32 v15, v6, 27, 4
	v_lshlrev_b32_sdwa v6, v17, v6 dst_sel:DWORD dst_unused:UNUSED_PAD src0_sel:DWORD src1_sel:BYTE_3
	v_sub_u32_e32 v16, 29, v16
	v_and_b32_e32 v6, 7, v6
	v_cmp_eq_u16_e32 vcc, 0, v14
	v_cndmask_b32_e32 v6, v12, v6, vcc
	v_cndmask_b32_e32 v12, v15, v16, vcc
	v_mov_b32_e32 v14, 0x3b800000
	v_lshlrev_b32_e32 v6, 20, v6
	v_lshl_add_u32 v12, v12, 23, v14
	v_or3_b32 v12, v13, v12, v6
.LBB1_2460:
	s_or_b64 exec, exec, s[6:7]
	s_movk_i32 s4, 0x7f
	v_cmp_gt_i16_sdwa s[6:7], v2, s4 src0_sel:BYTE_3 src1_sel:DWORD
	s_mov_b64 s[4:5], 0
                                        ; implicit-def: $sgpr10
	s_and_saveexec_b64 s[8:9], s[6:7]
	s_xor_b64 s[6:7], exec, s[8:9]
	s_cbranch_execz .LBB1_2461
; %bb.38301:
	s_getpc_b64 s[14:15]
.Lpost_getpc4814:
	s_add_u32 s14, s14, (.LBB1_16797-.Lpost_getpc4814)&4294967295
	s_addc_u32 s15, s15, (.LBB1_16797-.Lpost_getpc4814)>>32
	s_setpc_b64 s[14:15]
.LBB1_2461:
	s_or_saveexec_b64 s[6:7], s[6:7]
	v_mov_b32_e32 v6, s10
	s_xor_b64 exec, exec, s[6:7]
	s_cbranch_execz .LBB1_2462
; %bb.38303:
	s_getpc_b64 s[14:15]
.Lpost_getpc4815:
	s_add_u32 s14, s14, (.LBB1_16800-.Lpost_getpc4815)&4294967295
	s_addc_u32 s15, s15, (.LBB1_16800-.Lpost_getpc4815)>>32
	s_setpc_b64 s[14:15]
.LBB1_2462:
	s_or_b64 exec, exec, s[6:7]
	s_and_saveexec_b64 s[6:7], s[4:5]
	s_cbranch_execz .LBB1_2464
.LBB1_2463:
	v_bfe_u32 v6, v2, 24, 3
	v_ffbh_u32_e32 v16, v6
	v_min_u32_e32 v16, 32, v16
	v_lshrrev_b32_e32 v14, 27, v2
	v_subrev_u32_e32 v17, 28, v16
	v_and_b32_e32 v13, 0x80000000, v2
	v_and_b32_e32 v14, 15, v14
	v_bfe_u32 v15, v2, 27, 4
	v_lshlrev_b32_sdwa v2, v17, v2 dst_sel:DWORD dst_unused:UNUSED_PAD src0_sel:DWORD src1_sel:BYTE_3
	v_sub_u32_e32 v16, 29, v16
	v_and_b32_e32 v2, 7, v2
	v_cmp_eq_u16_e32 vcc, 0, v14
	v_cndmask_b32_e32 v2, v6, v2, vcc
	v_cndmask_b32_e32 v6, v15, v16, vcc
	v_mov_b32_e32 v14, 0x3b800000
	v_lshlrev_b32_e32 v2, 20, v2
	v_lshl_add_u32 v6, v6, 23, v14
	v_or3_b32 v6, v13, v6, v2
.LBB1_2464:
	s_or_b64 exec, exec, s[6:7]
	s_nop 0
	v_mfma_f32_16x16x4f32 a[0:3], v12, v6, a[0:3]
	s_movk_i32 s4, 0x7f
	v_cmp_gt_i16_sdwa s[6:7], v7, s4 src0_sel:BYTE_0 src1_sel:DWORD
	s_mov_b64 s[4:5], 0
                                        ; implicit-def: $sgpr10
	s_and_saveexec_b64 s[8:9], s[6:7]
	s_xor_b64 s[6:7], exec, s[8:9]
	s_cbranch_execz .LBB1_2465
; %bb.38305:
	s_getpc_b64 s[14:15]
.Lpost_getpc4816:
	s_add_u32 s14, s14, (.LBB1_16801-.Lpost_getpc4816)&4294967295
	s_addc_u32 s15, s15, (.LBB1_16801-.Lpost_getpc4816)>>32
	s_setpc_b64 s[14:15]
.LBB1_2465:
	s_or_saveexec_b64 s[6:7], s[6:7]
	v_mov_b32_e32 v2, s10
	s_xor_b64 exec, exec, s[6:7]
	s_cbranch_execz .LBB1_2466
; %bb.38307:
	s_getpc_b64 s[14:15]
.Lpost_getpc4817:
	s_add_u32 s14, s14, (.LBB1_16804-.Lpost_getpc4817)&4294967295
	s_addc_u32 s15, s15, (.LBB1_16804-.Lpost_getpc4817)>>32
	s_setpc_b64 s[14:15]
.LBB1_2466:
	s_or_b64 exec, exec, s[6:7]
	s_and_saveexec_b64 s[6:7], s[4:5]
	s_cbranch_execz .LBB1_2468
.LBB1_2467:
	v_and_b32_e32 v2, 7, v7
	v_ffbh_u32_e32 v12, v2
	v_min_u32_e32 v12, 32, v12
	v_lshrrev_b16_e32 v6, 3, v7
	v_subrev_u32_e32 v13, 28, v12
	v_and_b32_e32 v6, 15, v6
	v_lshlrev_b32_e32 v13, v13, v7
	v_sub_u32_e32 v12, 29, v12
	v_and_b32_e32 v13, 7, v13
	v_cmp_eq_u16_e32 vcc, 0, v6
	v_cndmask_b32_e32 v2, v2, v13, vcc
	v_cndmask_b32_e32 v6, v6, v12, vcc
	v_lshlrev_b32_e32 v12, 24, v7
	v_mov_b32_e32 v13, 0x3b800000
	v_lshlrev_b32_e32 v2, 20, v2
	v_and_b32_e32 v12, 0x80000000, v12
	v_lshl_add_u32 v6, v6, 23, v13
	v_or3_b32 v2, v12, v6, v2
.LBB1_2468:
	s_or_b64 exec, exec, s[6:7]
	s_movk_i32 s4, 0x7f
	v_cmp_gt_i16_sdwa s[6:7], v3, s4 src0_sel:BYTE_0 src1_sel:DWORD
	s_mov_b64 s[4:5], 0
                                        ; implicit-def: $sgpr10
	s_and_saveexec_b64 s[8:9], s[6:7]
	s_xor_b64 s[6:7], exec, s[8:9]
	s_cbranch_execz .LBB1_2469
; %bb.38309:
	s_getpc_b64 s[14:15]
.Lpost_getpc4818:
	s_add_u32 s14, s14, (.LBB1_16805-.Lpost_getpc4818)&4294967295
	s_addc_u32 s15, s15, (.LBB1_16805-.Lpost_getpc4818)>>32
	s_setpc_b64 s[14:15]
.LBB1_2469:
	s_or_saveexec_b64 s[6:7], s[6:7]
	v_mov_b32_e32 v6, s10
	s_xor_b64 exec, exec, s[6:7]
	s_cbranch_execz .LBB1_2470
; %bb.38311:
	s_getpc_b64 s[14:15]
.Lpost_getpc4819:
	s_add_u32 s14, s14, (.LBB1_16808-.Lpost_getpc4819)&4294967295
	s_addc_u32 s15, s15, (.LBB1_16808-.Lpost_getpc4819)>>32
	s_setpc_b64 s[14:15]
.LBB1_2470:
	s_or_b64 exec, exec, s[6:7]
	s_and_saveexec_b64 s[6:7], s[4:5]
	s_cbranch_execz .LBB1_2472
.LBB1_2471:
	v_and_b32_e32 v6, 7, v3
	v_ffbh_u32_e32 v13, v6
	v_min_u32_e32 v13, 32, v13
	v_lshrrev_b16_e32 v12, 3, v3
	v_subrev_u32_e32 v14, 28, v13
	v_and_b32_e32 v12, 15, v12
	v_lshlrev_b32_e32 v14, v14, v3
	v_sub_u32_e32 v13, 29, v13
	v_and_b32_e32 v14, 7, v14
	v_cmp_eq_u16_e32 vcc, 0, v12
	v_cndmask_b32_e32 v6, v6, v14, vcc
	v_cndmask_b32_e32 v12, v12, v13, vcc
	v_lshlrev_b32_e32 v13, 24, v3
	v_mov_b32_e32 v14, 0x3b800000
	v_lshlrev_b32_e32 v6, 20, v6
	v_and_b32_e32 v13, 0x80000000, v13
	v_lshl_add_u32 v12, v12, 23, v14
	v_or3_b32 v6, v13, v12, v6
.LBB1_2472:
	s_or_b64 exec, exec, s[6:7]
	s_nop 0
	v_mfma_f32_16x16x4f32 a[0:3], v2, v6, a[0:3]
	v_lshrrev_b32_e32 v6, 8, v7
	s_movk_i32 s4, 0x7f
	v_cmp_gt_i16_sdwa s[6:7], v6, s4 src0_sel:BYTE_0 src1_sel:DWORD
	s_mov_b64 s[4:5], 0
                                        ; implicit-def: $sgpr10
	s_and_saveexec_b64 s[8:9], s[6:7]
	s_xor_b64 s[6:7], exec, s[8:9]
	s_cbranch_execz .LBB1_2473
; %bb.38313:
	s_getpc_b64 s[14:15]
.Lpost_getpc4820:
	s_add_u32 s14, s14, (.LBB1_16809-.Lpost_getpc4820)&4294967295
	s_addc_u32 s15, s15, (.LBB1_16809-.Lpost_getpc4820)>>32
	s_setpc_b64 s[14:15]
.LBB1_2473:
	s_or_saveexec_b64 s[6:7], s[6:7]
	v_mov_b32_e32 v2, s10
	s_xor_b64 exec, exec, s[6:7]
	s_cbranch_execz .LBB1_2474
; %bb.38315:
	s_getpc_b64 s[14:15]
.Lpost_getpc4821:
	s_add_u32 s14, s14, (.LBB1_16812-.Lpost_getpc4821)&4294967295
	s_addc_u32 s15, s15, (.LBB1_16812-.Lpost_getpc4821)>>32
	s_setpc_b64 s[14:15]
.LBB1_2474:
	s_or_b64 exec, exec, s[6:7]
	s_and_saveexec_b64 s[6:7], s[4:5]
	s_cbranch_execz .LBB1_2476
.LBB1_2475:
	v_bfe_u32 v2, v7, 8, 3
	v_ffbh_u32_e32 v13, v2
	v_min_u32_e32 v13, 32, v13
	v_lshrrev_b16_e32 v12, 3, v6
	v_subrev_u32_e32 v14, 28, v13
	v_and_b32_e32 v12, 15, v12
	v_lshlrev_b32_e32 v6, v14, v6
	v_sub_u32_e32 v13, 29, v13
	v_and_b32_e32 v6, 7, v6
	v_cmp_eq_u16_e32 vcc, 0, v12
	v_cndmask_b32_e32 v2, v2, v6, vcc
	v_cndmask_b32_e32 v6, v12, v13, vcc
	v_lshlrev_b32_e32 v12, 16, v7
	v_mov_b32_e32 v13, 0x3b800000
	v_lshlrev_b32_e32 v2, 20, v2
	v_and_b32_e32 v12, 0x80000000, v12
	v_lshl_add_u32 v6, v6, 23, v13
	v_or3_b32 v2, v12, v6, v2
.LBB1_2476:
	s_or_b64 exec, exec, s[6:7]
	v_lshrrev_b32_e32 v6, 8, v3
	s_movk_i32 s4, 0x7f
	v_cmp_gt_i16_sdwa s[6:7], v6, s4 src0_sel:BYTE_0 src1_sel:DWORD
	s_mov_b64 s[4:5], 0
                                        ; implicit-def: $sgpr10
	s_and_saveexec_b64 s[8:9], s[6:7]
	s_xor_b64 s[6:7], exec, s[8:9]
	s_cbranch_execz .LBB1_2477
; %bb.38317:
	s_getpc_b64 s[14:15]
.Lpost_getpc4822:
	s_add_u32 s14, s14, (.LBB1_16813-.Lpost_getpc4822)&4294967295
	s_addc_u32 s15, s15, (.LBB1_16813-.Lpost_getpc4822)>>32
	s_setpc_b64 s[14:15]
.LBB1_2477:
	s_or_saveexec_b64 s[6:7], s[6:7]
	v_mov_b32_e32 v12, s10
	s_xor_b64 exec, exec, s[6:7]
	s_cbranch_execz .LBB1_2478
; %bb.38319:
	s_getpc_b64 s[14:15]
.Lpost_getpc4823:
	s_add_u32 s14, s14, (.LBB1_16816-.Lpost_getpc4823)&4294967295
	s_addc_u32 s15, s15, (.LBB1_16816-.Lpost_getpc4823)>>32
	s_setpc_b64 s[14:15]
.LBB1_2478:
	s_or_b64 exec, exec, s[6:7]
	s_and_saveexec_b64 s[6:7], s[4:5]
	s_cbranch_execz .LBB1_2480
.LBB1_2479:
	v_bfe_u32 v12, v3, 8, 3
	v_ffbh_u32_e32 v14, v12
	v_min_u32_e32 v14, 32, v14
	v_lshrrev_b16_e32 v13, 3, v6
	v_subrev_u32_e32 v15, 28, v14
	v_and_b32_e32 v13, 15, v13
	v_lshlrev_b32_e32 v6, v15, v6
	v_sub_u32_e32 v14, 29, v14
	v_and_b32_e32 v6, 7, v6
	v_cmp_eq_u16_e32 vcc, 0, v13
	v_cndmask_b32_e32 v6, v12, v6, vcc
	v_cndmask_b32_e32 v12, v13, v14, vcc
	v_lshlrev_b32_e32 v13, 16, v3
	v_mov_b32_e32 v14, 0x3b800000
	v_lshlrev_b32_e32 v6, 20, v6
	v_and_b32_e32 v13, 0x80000000, v13
	v_lshl_add_u32 v12, v12, 23, v14
	v_or3_b32 v12, v13, v12, v6
.LBB1_2480:
	s_or_b64 exec, exec, s[6:7]
	s_nop 0
	v_mfma_f32_16x16x4f32 a[0:3], v2, v12, a[0:3]
	s_movk_i32 s4, 0xff
	v_and_b32_sdwa v6, v7, s4 dst_sel:DWORD dst_unused:UNUSED_PAD src0_sel:WORD_1 src1_sel:DWORD
	s_movk_i32 s4, 0x7f
	v_cmp_lt_i16_e32 vcc, s4, v6
	s_mov_b64 s[4:5], 0
                                        ; implicit-def: $sgpr10
	s_and_saveexec_b64 s[6:7], vcc
	s_xor_b64 s[6:7], exec, s[6:7]
	s_cbranch_execz .LBB1_2481
; %bb.38321:
	s_getpc_b64 s[14:15]
.Lpost_getpc4824:
	s_add_u32 s14, s14, (.LBB1_16817-.Lpost_getpc4824)&4294967295
	s_addc_u32 s15, s15, (.LBB1_16817-.Lpost_getpc4824)>>32
	s_setpc_b64 s[14:15]
.LBB1_2481:
	s_or_saveexec_b64 s[6:7], s[6:7]
	v_mov_b32_e32 v2, s10
	s_xor_b64 exec, exec, s[6:7]
	s_cbranch_execz .LBB1_2482
; %bb.38323:
	s_getpc_b64 s[14:15]
.Lpost_getpc4825:
	s_add_u32 s14, s14, (.LBB1_16820-.Lpost_getpc4825)&4294967295
	s_addc_u32 s15, s15, (.LBB1_16820-.Lpost_getpc4825)>>32
	s_setpc_b64 s[14:15]
.LBB1_2482:
	s_or_b64 exec, exec, s[6:7]
	s_and_saveexec_b64 s[6:7], s[4:5]
	s_cbranch_execz .LBB1_2484
.LBB1_2483:
	v_bfe_u32 v2, v7, 16, 3
	v_ffbh_u32_e32 v13, v2
	v_min_u32_e32 v13, 32, v13
	v_lshrrev_b32_e32 v6, 19, v7
	v_subrev_u32_e32 v14, 28, v13
	v_and_b32_e32 v6, 15, v6
	v_lshlrev_b32_sdwa v14, v14, v7 dst_sel:DWORD dst_unused:UNUSED_PAD src0_sel:DWORD src1_sel:WORD_1
	v_bfe_u32 v12, v7, 19, 4
	v_sub_u32_e32 v13, 29, v13
	v_and_b32_e32 v14, 7, v14
	v_cmp_eq_u16_e32 vcc, 0, v6
	v_cndmask_b32_e32 v2, v2, v14, vcc
	v_cndmask_b32_e32 v6, v12, v13, vcc
	v_lshlrev_b32_e32 v12, 8, v7
	v_mov_b32_e32 v13, 0x3b800000
	v_lshlrev_b32_e32 v2, 20, v2
	v_and_b32_e32 v12, 0x80000000, v12
	v_lshl_add_u32 v6, v6, 23, v13
	v_or3_b32 v2, v12, v6, v2
.LBB1_2484:
	s_or_b64 exec, exec, s[6:7]
	s_movk_i32 s4, 0xff
	v_and_b32_sdwa v6, v3, s4 dst_sel:DWORD dst_unused:UNUSED_PAD src0_sel:WORD_1 src1_sel:DWORD
	s_movk_i32 s4, 0x7f
	v_cmp_lt_i16_e32 vcc, s4, v6
	s_mov_b64 s[4:5], 0
                                        ; implicit-def: $sgpr10
	s_and_saveexec_b64 s[6:7], vcc
	s_xor_b64 s[6:7], exec, s[6:7]
	s_cbranch_execz .LBB1_2485
; %bb.38325:
	s_getpc_b64 s[14:15]
.Lpost_getpc4826:
	s_add_u32 s14, s14, (.LBB1_16821-.Lpost_getpc4826)&4294967295
	s_addc_u32 s15, s15, (.LBB1_16821-.Lpost_getpc4826)>>32
	s_setpc_b64 s[14:15]
.LBB1_2485:
	s_or_saveexec_b64 s[6:7], s[6:7]
	v_mov_b32_e32 v12, s10
	s_xor_b64 exec, exec, s[6:7]
	s_cbranch_execz .LBB1_2486
; %bb.38327:
	s_getpc_b64 s[14:15]
.Lpost_getpc4827:
	s_add_u32 s14, s14, (.LBB1_16824-.Lpost_getpc4827)&4294967295
	s_addc_u32 s15, s15, (.LBB1_16824-.Lpost_getpc4827)>>32
	s_setpc_b64 s[14:15]
.LBB1_2486:
	s_or_b64 exec, exec, s[6:7]
	s_and_saveexec_b64 s[6:7], s[4:5]
	s_cbranch_execz .LBB1_2488
.LBB1_2487:
	v_bfe_u32 v6, v3, 16, 3
	v_ffbh_u32_e32 v14, v6
	v_min_u32_e32 v14, 32, v14
	v_lshrrev_b32_e32 v12, 19, v3
	v_subrev_u32_e32 v15, 28, v14
	v_and_b32_e32 v12, 15, v12
	v_lshlrev_b32_sdwa v15, v15, v3 dst_sel:DWORD dst_unused:UNUSED_PAD src0_sel:DWORD src1_sel:WORD_1
	v_bfe_u32 v13, v3, 19, 4
	v_sub_u32_e32 v14, 29, v14
	v_and_b32_e32 v15, 7, v15
	v_cmp_eq_u16_e32 vcc, 0, v12
	v_cndmask_b32_e32 v6, v6, v15, vcc
	v_cndmask_b32_e32 v12, v13, v14, vcc
	v_lshlrev_b32_e32 v13, 8, v3
	v_mov_b32_e32 v14, 0x3b800000
	v_lshlrev_b32_e32 v6, 20, v6
	v_and_b32_e32 v13, 0x80000000, v13
	v_lshl_add_u32 v12, v12, 23, v14
	v_or3_b32 v12, v13, v12, v6
.LBB1_2488:
	s_or_b64 exec, exec, s[6:7]
	s_nop 0
	v_mfma_f32_16x16x4f32 a[0:3], v2, v12, a[0:3]
	s_movk_i32 s4, 0x7f
	v_cmp_gt_i16_sdwa s[6:7], v7, s4 src0_sel:BYTE_3 src1_sel:DWORD
	s_mov_b64 s[4:5], 0
                                        ; implicit-def: $sgpr10
	s_and_saveexec_b64 s[8:9], s[6:7]
	s_xor_b64 s[6:7], exec, s[8:9]
	s_cbranch_execz .LBB1_2489
; %bb.38329:
	s_getpc_b64 s[14:15]
.Lpost_getpc4828:
	s_add_u32 s14, s14, (.LBB1_16825-.Lpost_getpc4828)&4294967295
	s_addc_u32 s15, s15, (.LBB1_16825-.Lpost_getpc4828)>>32
	s_setpc_b64 s[14:15]
.LBB1_2489:
	s_or_saveexec_b64 s[6:7], s[6:7]
	v_mov_b32_e32 v2, s10
	s_xor_b64 exec, exec, s[6:7]
	s_cbranch_execz .LBB1_2490
; %bb.38331:
	s_getpc_b64 s[14:15]
.Lpost_getpc4829:
	s_add_u32 s14, s14, (.LBB1_16828-.Lpost_getpc4829)&4294967295
	s_addc_u32 s15, s15, (.LBB1_16828-.Lpost_getpc4829)>>32
	s_setpc_b64 s[14:15]
.LBB1_2490:
	s_or_b64 exec, exec, s[6:7]
	s_and_saveexec_b64 s[6:7], s[4:5]
	s_cbranch_execz .LBB1_2492
.LBB1_2491:
	v_bfe_u32 v2, v7, 24, 3
	v_ffbh_u32_e32 v14, v2
	v_min_u32_e32 v14, 32, v14
	v_lshrrev_b32_e32 v12, 27, v7
	v_subrev_u32_e32 v15, 28, v14
	v_and_b32_e32 v6, 0x80000000, v7
	v_and_b32_e32 v12, 15, v12
	v_bfe_u32 v13, v7, 27, 4
	v_lshlrev_b32_sdwa v7, v15, v7 dst_sel:DWORD dst_unused:UNUSED_PAD src0_sel:DWORD src1_sel:BYTE_3
	v_sub_u32_e32 v14, 29, v14
	v_and_b32_e32 v7, 7, v7
	v_cmp_eq_u16_e32 vcc, 0, v12
	v_cndmask_b32_e32 v2, v2, v7, vcc
	v_cndmask_b32_e32 v7, v13, v14, vcc
	v_mov_b32_e32 v12, 0x3b800000
	v_lshlrev_b32_e32 v2, 20, v2
	v_lshl_add_u32 v7, v7, 23, v12
	v_or3_b32 v2, v6, v7, v2
.LBB1_2492:
	s_or_b64 exec, exec, s[6:7]
	s_movk_i32 s4, 0x7f
	v_cmp_gt_i16_sdwa s[6:7], v3, s4 src0_sel:BYTE_3 src1_sel:DWORD
	s_mov_b64 s[4:5], 0
                                        ; implicit-def: $sgpr10
	s_and_saveexec_b64 s[8:9], s[6:7]
	s_xor_b64 s[6:7], exec, s[8:9]
	s_cbranch_execz .LBB1_2493
; %bb.38333:
	s_getpc_b64 s[14:15]
.Lpost_getpc4830:
	s_add_u32 s14, s14, (.LBB1_16829-.Lpost_getpc4830)&4294967295
	s_addc_u32 s15, s15, (.LBB1_16829-.Lpost_getpc4830)>>32
	s_setpc_b64 s[14:15]
.LBB1_2493:
	s_or_saveexec_b64 s[6:7], s[6:7]
	v_mov_b32_e32 v6, s10
	s_xor_b64 exec, exec, s[6:7]
	s_cbranch_execz .LBB1_2494
; %bb.38335:
	s_getpc_b64 s[14:15]
.Lpost_getpc4831:
	s_add_u32 s14, s14, (.LBB1_16832-.Lpost_getpc4831)&4294967295
	s_addc_u32 s15, s15, (.LBB1_16832-.Lpost_getpc4831)>>32
	s_setpc_b64 s[14:15]
.LBB1_2494:
	s_or_b64 exec, exec, s[6:7]
	s_and_saveexec_b64 s[6:7], s[4:5]
	s_cbranch_execz .LBB1_2496
.LBB1_2495:
	v_bfe_u32 v6, v3, 24, 3
	v_ffbh_u32_e32 v14, v6
	v_min_u32_e32 v14, 32, v14
	v_lshrrev_b32_e32 v12, 27, v3
	v_subrev_u32_e32 v15, 28, v14
	v_and_b32_e32 v7, 0x80000000, v3
	v_and_b32_e32 v12, 15, v12
	v_bfe_u32 v13, v3, 27, 4
	v_lshlrev_b32_sdwa v3, v15, v3 dst_sel:DWORD dst_unused:UNUSED_PAD src0_sel:DWORD src1_sel:BYTE_3
	v_sub_u32_e32 v14, 29, v14
	v_and_b32_e32 v3, 7, v3
	v_cmp_eq_u16_e32 vcc, 0, v12
	v_cndmask_b32_e32 v3, v6, v3, vcc
	v_cndmask_b32_e32 v6, v13, v14, vcc
	v_mov_b32_e32 v12, 0x3b800000
	v_lshlrev_b32_e32 v3, 20, v3
	v_lshl_add_u32 v6, v6, 23, v12
	v_or3_b32 v6, v7, v6, v3
.LBB1_2496:
	s_or_b64 exec, exec, s[6:7]
	s_nop 0
	v_mfma_f32_16x16x4f32 a[0:3], v2, v6, a[0:3]
	s_movk_i32 s4, 0x7f
	v_cmp_gt_i16_sdwa s[6:7], v8, s4 src0_sel:BYTE_0 src1_sel:DWORD
	s_mov_b64 s[4:5], 0
                                        ; implicit-def: $sgpr10
	s_and_saveexec_b64 s[8:9], s[6:7]
	s_xor_b64 s[6:7], exec, s[8:9]
	s_cbranch_execz .LBB1_2497
; %bb.38337:
	s_getpc_b64 s[14:15]
.Lpost_getpc4832:
	s_add_u32 s14, s14, (.LBB1_16833-.Lpost_getpc4832)&4294967295
	s_addc_u32 s15, s15, (.LBB1_16833-.Lpost_getpc4832)>>32
	s_setpc_b64 s[14:15]
.LBB1_2497:
	s_or_saveexec_b64 s[6:7], s[6:7]
	v_mov_b32_e32 v2, s10
	s_xor_b64 exec, exec, s[6:7]
	s_cbranch_execz .LBB1_2498
; %bb.38339:
	s_getpc_b64 s[14:15]
.Lpost_getpc4833:
	s_add_u32 s14, s14, (.LBB1_16836-.Lpost_getpc4833)&4294967295
	s_addc_u32 s15, s15, (.LBB1_16836-.Lpost_getpc4833)>>32
	s_setpc_b64 s[14:15]
.LBB1_2498:
	s_or_b64 exec, exec, s[6:7]
	s_and_saveexec_b64 s[6:7], s[4:5]
	s_cbranch_execz .LBB1_2500
.LBB1_2499:
	v_and_b32_e32 v2, 7, v8
	v_ffbh_u32_e32 v6, v2
	v_min_u32_e32 v6, 32, v6
	v_lshrrev_b16_e32 v3, 3, v8
	v_subrev_u32_e32 v7, 28, v6
	v_and_b32_e32 v3, 15, v3
	v_lshlrev_b32_e32 v7, v7, v8
	v_sub_u32_e32 v6, 29, v6
	v_and_b32_e32 v7, 7, v7
	v_cmp_eq_u16_e32 vcc, 0, v3
	v_cndmask_b32_e32 v2, v2, v7, vcc
	v_cndmask_b32_e32 v3, v3, v6, vcc
	v_lshlrev_b32_e32 v6, 24, v8
	v_mov_b32_e32 v7, 0x3b800000
	v_lshlrev_b32_e32 v2, 20, v2
	v_and_b32_e32 v6, 0x80000000, v6
	v_lshl_add_u32 v3, v3, 23, v7
	v_or3_b32 v2, v6, v3, v2
.LBB1_2500:
	s_or_b64 exec, exec, s[6:7]
	s_movk_i32 s4, 0x7f
	v_cmp_gt_i16_sdwa s[6:7], v4, s4 src0_sel:BYTE_0 src1_sel:DWORD
	s_mov_b64 s[4:5], 0
                                        ; implicit-def: $sgpr10
	s_and_saveexec_b64 s[8:9], s[6:7]
	s_xor_b64 s[6:7], exec, s[8:9]
	s_cbranch_execz .LBB1_2501
; %bb.38341:
	s_getpc_b64 s[14:15]
.Lpost_getpc4834:
	s_add_u32 s14, s14, (.LBB1_16837-.Lpost_getpc4834)&4294967295
	s_addc_u32 s15, s15, (.LBB1_16837-.Lpost_getpc4834)>>32
	s_setpc_b64 s[14:15]
.LBB1_2501:
	s_or_saveexec_b64 s[6:7], s[6:7]
	v_mov_b32_e32 v3, s10
	s_xor_b64 exec, exec, s[6:7]
	s_cbranch_execz .LBB1_2502
; %bb.38343:
	s_getpc_b64 s[14:15]
.Lpost_getpc4835:
	s_add_u32 s14, s14, (.LBB1_16840-.Lpost_getpc4835)&4294967295
	s_addc_u32 s15, s15, (.LBB1_16840-.Lpost_getpc4835)>>32
	s_setpc_b64 s[14:15]
.LBB1_2502:
	s_or_b64 exec, exec, s[6:7]
	s_and_saveexec_b64 s[6:7], s[4:5]
	s_cbranch_execz .LBB1_2504
.LBB1_2503:
	v_and_b32_e32 v3, 7, v4
	v_ffbh_u32_e32 v7, v3
	v_min_u32_e32 v7, 32, v7
	v_lshrrev_b16_e32 v6, 3, v4
	v_subrev_u32_e32 v12, 28, v7
	v_and_b32_e32 v6, 15, v6
	v_lshlrev_b32_e32 v12, v12, v4
	v_sub_u32_e32 v7, 29, v7
	v_and_b32_e32 v12, 7, v12
	v_cmp_eq_u16_e32 vcc, 0, v6
	v_cndmask_b32_e32 v3, v3, v12, vcc
	v_cndmask_b32_e32 v6, v6, v7, vcc
	v_lshlrev_b32_e32 v7, 24, v4
	v_mov_b32_e32 v12, 0x3b800000
	v_lshlrev_b32_e32 v3, 20, v3
	v_and_b32_e32 v7, 0x80000000, v7
	v_lshl_add_u32 v6, v6, 23, v12
	v_or3_b32 v3, v7, v6, v3
.LBB1_2504:
	s_or_b64 exec, exec, s[6:7]
	s_nop 0
	v_mfma_f32_16x16x4f32 a[0:3], v2, v3, a[0:3]
	v_lshrrev_b32_e32 v3, 8, v8
	s_movk_i32 s4, 0x7f
	v_cmp_gt_i16_sdwa s[6:7], v3, s4 src0_sel:BYTE_0 src1_sel:DWORD
	s_mov_b64 s[4:5], 0
                                        ; implicit-def: $sgpr10
	s_and_saveexec_b64 s[8:9], s[6:7]
	s_xor_b64 s[6:7], exec, s[8:9]
	s_cbranch_execz .LBB1_2505
; %bb.38345:
	s_getpc_b64 s[14:15]
.Lpost_getpc4836:
	s_add_u32 s14, s14, (.LBB1_16841-.Lpost_getpc4836)&4294967295
	s_addc_u32 s15, s15, (.LBB1_16841-.Lpost_getpc4836)>>32
	s_setpc_b64 s[14:15]
.LBB1_2505:
	s_or_saveexec_b64 s[6:7], s[6:7]
	v_mov_b32_e32 v2, s10
	s_xor_b64 exec, exec, s[6:7]
	s_cbranch_execz .LBB1_2506
; %bb.38347:
	s_getpc_b64 s[14:15]
.Lpost_getpc4837:
	s_add_u32 s14, s14, (.LBB1_16844-.Lpost_getpc4837)&4294967295
	s_addc_u32 s15, s15, (.LBB1_16844-.Lpost_getpc4837)>>32
	s_setpc_b64 s[14:15]
.LBB1_2506:
	s_or_b64 exec, exec, s[6:7]
	s_and_saveexec_b64 s[6:7], s[4:5]
	s_cbranch_execz .LBB1_2508
.LBB1_2507:
	v_bfe_u32 v2, v8, 8, 3
	v_ffbh_u32_e32 v7, v2
	v_min_u32_e32 v7, 32, v7
	v_lshrrev_b16_e32 v6, 3, v3
	v_subrev_u32_e32 v12, 28, v7
	v_and_b32_e32 v6, 15, v6
	v_lshlrev_b32_e32 v3, v12, v3
	v_sub_u32_e32 v7, 29, v7
	v_and_b32_e32 v3, 7, v3
	v_cmp_eq_u16_e32 vcc, 0, v6
	v_cndmask_b32_e32 v2, v2, v3, vcc
	v_cndmask_b32_e32 v3, v6, v7, vcc
	v_lshlrev_b32_e32 v6, 16, v8
	v_mov_b32_e32 v7, 0x3b800000
	v_lshlrev_b32_e32 v2, 20, v2
	v_and_b32_e32 v6, 0x80000000, v6
	v_lshl_add_u32 v3, v3, 23, v7
	v_or3_b32 v2, v6, v3, v2
.LBB1_2508:
	s_or_b64 exec, exec, s[6:7]
	v_lshrrev_b32_e32 v3, 8, v4
	s_movk_i32 s4, 0x7f
	v_cmp_gt_i16_sdwa s[6:7], v3, s4 src0_sel:BYTE_0 src1_sel:DWORD
	s_mov_b64 s[4:5], 0
                                        ; implicit-def: $sgpr10
	s_and_saveexec_b64 s[8:9], s[6:7]
	s_xor_b64 s[6:7], exec, s[8:9]
	s_cbranch_execz .LBB1_2509
; %bb.38349:
	s_getpc_b64 s[14:15]
.Lpost_getpc4838:
	s_add_u32 s14, s14, (.LBB1_16845-.Lpost_getpc4838)&4294967295
	s_addc_u32 s15, s15, (.LBB1_16845-.Lpost_getpc4838)>>32
	s_setpc_b64 s[14:15]
.LBB1_2509:
	s_or_saveexec_b64 s[6:7], s[6:7]
	v_mov_b32_e32 v6, s10
	s_xor_b64 exec, exec, s[6:7]
	s_cbranch_execz .LBB1_2510
; %bb.38351:
	s_getpc_b64 s[14:15]
.Lpost_getpc4839:
	s_add_u32 s14, s14, (.LBB1_16848-.Lpost_getpc4839)&4294967295
	s_addc_u32 s15, s15, (.LBB1_16848-.Lpost_getpc4839)>>32
	s_setpc_b64 s[14:15]
.LBB1_2510:
	s_or_b64 exec, exec, s[6:7]
	s_and_saveexec_b64 s[6:7], s[4:5]
	s_cbranch_execz .LBB1_2512
.LBB1_2511:
	v_bfe_u32 v6, v4, 8, 3
	v_ffbh_u32_e32 v12, v6
	v_min_u32_e32 v12, 32, v12
	v_lshrrev_b16_e32 v7, 3, v3
	v_subrev_u32_e32 v13, 28, v12
	v_and_b32_e32 v7, 15, v7
	v_lshlrev_b32_e32 v3, v13, v3
	v_sub_u32_e32 v12, 29, v12
	v_and_b32_e32 v3, 7, v3
	v_cmp_eq_u16_e32 vcc, 0, v7
	v_cndmask_b32_e32 v3, v6, v3, vcc
	v_cndmask_b32_e32 v6, v7, v12, vcc
	v_lshlrev_b32_e32 v7, 16, v4
	v_mov_b32_e32 v12, 0x3b800000
	v_lshlrev_b32_e32 v3, 20, v3
	v_and_b32_e32 v7, 0x80000000, v7
	v_lshl_add_u32 v6, v6, 23, v12
	v_or3_b32 v6, v7, v6, v3
.LBB1_2512:
	s_or_b64 exec, exec, s[6:7]
	s_nop 0
	v_mfma_f32_16x16x4f32 a[0:3], v2, v6, a[0:3]
	s_movk_i32 s4, 0xff
	v_and_b32_sdwa v3, v8, s4 dst_sel:DWORD dst_unused:UNUSED_PAD src0_sel:WORD_1 src1_sel:DWORD
	s_movk_i32 s4, 0x7f
	v_cmp_lt_i16_e32 vcc, s4, v3
	s_mov_b64 s[4:5], 0
                                        ; implicit-def: $sgpr10
	s_and_saveexec_b64 s[6:7], vcc
	s_xor_b64 s[6:7], exec, s[6:7]
	s_cbranch_execz .LBB1_2513
; %bb.38353:
	s_getpc_b64 s[14:15]
.Lpost_getpc4840:
	s_add_u32 s14, s14, (.LBB1_16849-.Lpost_getpc4840)&4294967295
	s_addc_u32 s15, s15, (.LBB1_16849-.Lpost_getpc4840)>>32
	s_setpc_b64 s[14:15]
.LBB1_2513:
	s_or_saveexec_b64 s[6:7], s[6:7]
	v_mov_b32_e32 v2, s10
	s_xor_b64 exec, exec, s[6:7]
	s_cbranch_execz .LBB1_2514
; %bb.38355:
	s_getpc_b64 s[14:15]
.Lpost_getpc4841:
	s_add_u32 s14, s14, (.LBB1_16852-.Lpost_getpc4841)&4294967295
	s_addc_u32 s15, s15, (.LBB1_16852-.Lpost_getpc4841)>>32
	s_setpc_b64 s[14:15]
.LBB1_2514:
	s_or_b64 exec, exec, s[6:7]
	s_and_saveexec_b64 s[6:7], s[4:5]
	s_cbranch_execz .LBB1_2516
.LBB1_2515:
	v_bfe_u32 v2, v8, 16, 3
	v_ffbh_u32_e32 v7, v2
	v_min_u32_e32 v7, 32, v7
	v_lshrrev_b32_e32 v3, 19, v8
	v_subrev_u32_e32 v12, 28, v7
	v_and_b32_e32 v3, 15, v3
	v_lshlrev_b32_sdwa v12, v12, v8 dst_sel:DWORD dst_unused:UNUSED_PAD src0_sel:DWORD src1_sel:WORD_1
	v_bfe_u32 v6, v8, 19, 4
	v_sub_u32_e32 v7, 29, v7
	v_and_b32_e32 v12, 7, v12
	v_cmp_eq_u16_e32 vcc, 0, v3
	v_cndmask_b32_e32 v2, v2, v12, vcc
	v_cndmask_b32_e32 v3, v6, v7, vcc
	v_lshlrev_b32_e32 v6, 8, v8
	v_mov_b32_e32 v7, 0x3b800000
	v_lshlrev_b32_e32 v2, 20, v2
	v_and_b32_e32 v6, 0x80000000, v6
	v_lshl_add_u32 v3, v3, 23, v7
	v_or3_b32 v2, v6, v3, v2
.LBB1_2516:
	s_or_b64 exec, exec, s[6:7]
	s_movk_i32 s4, 0xff
	v_and_b32_sdwa v3, v4, s4 dst_sel:DWORD dst_unused:UNUSED_PAD src0_sel:WORD_1 src1_sel:DWORD
	s_movk_i32 s4, 0x7f
	v_cmp_lt_i16_e32 vcc, s4, v3
	s_mov_b64 s[4:5], 0
                                        ; implicit-def: $sgpr10
	s_and_saveexec_b64 s[6:7], vcc
	s_xor_b64 s[6:7], exec, s[6:7]
	s_cbranch_execz .LBB1_2517
; %bb.38357:
	s_getpc_b64 s[14:15]
.Lpost_getpc4842:
	s_add_u32 s14, s14, (.LBB1_16853-.Lpost_getpc4842)&4294967295
	s_addc_u32 s15, s15, (.LBB1_16853-.Lpost_getpc4842)>>32
	s_setpc_b64 s[14:15]
.LBB1_2517:
	s_or_saveexec_b64 s[6:7], s[6:7]
	v_mov_b32_e32 v6, s10
	s_xor_b64 exec, exec, s[6:7]
	s_cbranch_execz .LBB1_2518
; %bb.38359:
	s_getpc_b64 s[14:15]
.Lpost_getpc4843:
	s_add_u32 s14, s14, (.LBB1_16856-.Lpost_getpc4843)&4294967295
	s_addc_u32 s15, s15, (.LBB1_16856-.Lpost_getpc4843)>>32
	s_setpc_b64 s[14:15]
.LBB1_2518:
	s_or_b64 exec, exec, s[6:7]
	s_and_saveexec_b64 s[6:7], s[4:5]
	s_cbranch_execz .LBB1_2520
.LBB1_2519:
	v_bfe_u32 v3, v4, 16, 3
	v_ffbh_u32_e32 v12, v3
	v_min_u32_e32 v12, 32, v12
	v_lshrrev_b32_e32 v6, 19, v4
	v_subrev_u32_e32 v13, 28, v12
	v_and_b32_e32 v6, 15, v6
	v_lshlrev_b32_sdwa v13, v13, v4 dst_sel:DWORD dst_unused:UNUSED_PAD src0_sel:DWORD src1_sel:WORD_1
	v_bfe_u32 v7, v4, 19, 4
	v_sub_u32_e32 v12, 29, v12
	v_and_b32_e32 v13, 7, v13
	v_cmp_eq_u16_e32 vcc, 0, v6
	v_cndmask_b32_e32 v3, v3, v13, vcc
	v_cndmask_b32_e32 v6, v7, v12, vcc
	v_lshlrev_b32_e32 v7, 8, v4
	v_mov_b32_e32 v12, 0x3b800000
	v_lshlrev_b32_e32 v3, 20, v3
	v_and_b32_e32 v7, 0x80000000, v7
	v_lshl_add_u32 v6, v6, 23, v12
	v_or3_b32 v6, v7, v6, v3
.LBB1_2520:
	s_or_b64 exec, exec, s[6:7]
	s_nop 0
	v_mfma_f32_16x16x4f32 a[0:3], v2, v6, a[0:3]
	s_movk_i32 s4, 0x7f
	v_cmp_gt_i16_sdwa s[6:7], v8, s4 src0_sel:BYTE_3 src1_sel:DWORD
	s_mov_b64 s[4:5], 0
                                        ; implicit-def: $sgpr10
	s_and_saveexec_b64 s[8:9], s[6:7]
	s_xor_b64 s[6:7], exec, s[8:9]
	s_cbranch_execz .LBB1_2521
; %bb.38361:
	s_getpc_b64 s[14:15]
.Lpost_getpc4844:
	s_add_u32 s14, s14, (.LBB1_16857-.Lpost_getpc4844)&4294967295
	s_addc_u32 s15, s15, (.LBB1_16857-.Lpost_getpc4844)>>32
	s_setpc_b64 s[14:15]
.LBB1_2521:
	s_or_saveexec_b64 s[6:7], s[6:7]
	v_mov_b32_e32 v2, s10
	s_xor_b64 exec, exec, s[6:7]
	s_cbranch_execz .LBB1_2522
; %bb.38363:
	s_getpc_b64 s[14:15]
.Lpost_getpc4845:
	s_add_u32 s14, s14, (.LBB1_16860-.Lpost_getpc4845)&4294967295
	s_addc_u32 s15, s15, (.LBB1_16860-.Lpost_getpc4845)>>32
	s_setpc_b64 s[14:15]
.LBB1_2522:
	s_or_b64 exec, exec, s[6:7]
	s_and_saveexec_b64 s[6:7], s[4:5]
	s_cbranch_execz .LBB1_2524
.LBB1_2523:
	v_bfe_u32 v2, v8, 24, 3
	v_ffbh_u32_e32 v12, v2
	v_min_u32_e32 v12, 32, v12
	v_lshrrev_b32_e32 v6, 27, v8
	v_subrev_u32_e32 v13, 28, v12
	v_and_b32_e32 v3, 0x80000000, v8
	v_and_b32_e32 v6, 15, v6
	v_bfe_u32 v7, v8, 27, 4
	v_lshlrev_b32_sdwa v8, v13, v8 dst_sel:DWORD dst_unused:UNUSED_PAD src0_sel:DWORD src1_sel:BYTE_3
	v_sub_u32_e32 v12, 29, v12
	v_and_b32_e32 v8, 7, v8
	v_cmp_eq_u16_e32 vcc, 0, v6
	v_cndmask_b32_e32 v2, v2, v8, vcc
	v_cndmask_b32_e32 v6, v7, v12, vcc
	v_mov_b32_e32 v7, 0x3b800000
	v_lshlrev_b32_e32 v2, 20, v2
	v_lshl_add_u32 v6, v6, 23, v7
	v_or3_b32 v2, v3, v6, v2
.LBB1_2524:
	s_or_b64 exec, exec, s[6:7]
	s_movk_i32 s4, 0x7f
	v_cmp_gt_i16_sdwa s[6:7], v4, s4 src0_sel:BYTE_3 src1_sel:DWORD
	s_mov_b64 s[4:5], 0
                                        ; implicit-def: $sgpr10
	s_and_saveexec_b64 s[8:9], s[6:7]
	s_xor_b64 s[6:7], exec, s[8:9]
	s_cbranch_execz .LBB1_2525
; %bb.38365:
	s_getpc_b64 s[14:15]
.Lpost_getpc4846:
	s_add_u32 s14, s14, (.LBB1_16861-.Lpost_getpc4846)&4294967295
	s_addc_u32 s15, s15, (.LBB1_16861-.Lpost_getpc4846)>>32
	s_setpc_b64 s[14:15]
.LBB1_2525:
	s_or_saveexec_b64 s[6:7], s[6:7]
	v_mov_b32_e32 v3, s10
	s_xor_b64 exec, exec, s[6:7]
	s_cbranch_execz .LBB1_2526
; %bb.38367:
	s_getpc_b64 s[14:15]
.Lpost_getpc4847:
	s_add_u32 s14, s14, (.LBB1_16864-.Lpost_getpc4847)&4294967295
	s_addc_u32 s15, s15, (.LBB1_16864-.Lpost_getpc4847)>>32
	s_setpc_b64 s[14:15]
.LBB1_2526:
	s_or_b64 exec, exec, s[6:7]
	s_and_saveexec_b64 s[6:7], s[4:5]
	s_cbranch_execz .LBB1_2528
.LBB1_2527:
	v_bfe_u32 v3, v4, 24, 3
	v_ffbh_u32_e32 v12, v3
	v_min_u32_e32 v12, 32, v12
	v_lshrrev_b32_e32 v7, 27, v4
	v_subrev_u32_e32 v13, 28, v12
	v_and_b32_e32 v6, 0x80000000, v4
	v_and_b32_e32 v7, 15, v7
	v_bfe_u32 v8, v4, 27, 4
	v_lshlrev_b32_sdwa v4, v13, v4 dst_sel:DWORD dst_unused:UNUSED_PAD src0_sel:DWORD src1_sel:BYTE_3
	v_sub_u32_e32 v12, 29, v12
	v_and_b32_e32 v4, 7, v4
	v_cmp_eq_u16_e32 vcc, 0, v7
	v_cndmask_b32_e32 v3, v3, v4, vcc
	v_cndmask_b32_e32 v4, v8, v12, vcc
	v_mov_b32_e32 v7, 0x3b800000
	v_lshlrev_b32_e32 v3, 20, v3
	v_lshl_add_u32 v4, v4, 23, v7
	v_or3_b32 v3, v6, v4, v3
.LBB1_2528:
	s_or_b64 exec, exec, s[6:7]
	s_nop 0
	v_mfma_f32_16x16x4f32 a[0:3], v2, v3, a[0:3]
	s_movk_i32 s4, 0x7f
	v_cmp_gt_i16_sdwa s[6:7], v9, s4 src0_sel:BYTE_0 src1_sel:DWORD
	s_mov_b64 s[4:5], 0
                                        ; implicit-def: $sgpr10
	s_and_saveexec_b64 s[8:9], s[6:7]
	s_xor_b64 s[6:7], exec, s[8:9]
	s_cbranch_execz .LBB1_2529
; %bb.38369:
	s_getpc_b64 s[14:15]
.Lpost_getpc4848:
	s_add_u32 s14, s14, (.LBB1_16865-.Lpost_getpc4848)&4294967295
	s_addc_u32 s15, s15, (.LBB1_16865-.Lpost_getpc4848)>>32
	s_setpc_b64 s[14:15]
.LBB1_2529:
	s_or_saveexec_b64 s[6:7], s[6:7]
	v_mov_b32_e32 v2, s10
	s_xor_b64 exec, exec, s[6:7]
	s_cbranch_execz .LBB1_2530
; %bb.38371:
	s_getpc_b64 s[14:15]
.Lpost_getpc4849:
	s_add_u32 s14, s14, (.LBB1_16868-.Lpost_getpc4849)&4294967295
	s_addc_u32 s15, s15, (.LBB1_16868-.Lpost_getpc4849)>>32
	s_setpc_b64 s[14:15]
.LBB1_2530:
	s_or_b64 exec, exec, s[6:7]
	s_and_saveexec_b64 s[6:7], s[4:5]
	s_cbranch_execz .LBB1_2532
.LBB1_2531:
	v_mov_b32_e32 v2, 8
	v_and_b32_e32 v3, 7, v9
	v_lshrrev_b32_sdwa v2, v2, v9 dst_sel:BYTE_1 dst_unused:UNUSED_PAD src0_sel:DWORD src1_sel:DWORD
	v_ffbh_u32_e32 v4, v3
	v_or_b32_sdwa v2, v9, v2 dst_sel:DWORD dst_unused:UNUSED_PAD src0_sel:BYTE_0 src1_sel:DWORD
	v_min_u32_e32 v4, 32, v4
	v_lshrrev_b16_e32 v2, 3, v2
	v_subrev_u32_e32 v6, 28, v4
	v_and_b32_e32 v2, 15, v2
	v_lshlrev_b32_e32 v6, v6, v9
	v_sub_u32_e32 v4, 29, v4
	v_and_b32_e32 v6, 7, v6
	v_cmp_eq_u16_e32 vcc, 0, v2
	v_cndmask_b32_e32 v3, v3, v6, vcc
	v_cndmask_b32_e32 v2, v2, v4, vcc
	v_lshlrev_b32_e32 v4, 24, v9
	v_mov_b32_e32 v6, 0x3b800000
	v_lshlrev_b32_e32 v3, 20, v3
	v_and_b32_e32 v4, 0x80000000, v4
	v_lshl_add_u32 v2, v2, 23, v6
	v_or3_b32 v2, v4, v2, v3
.LBB1_2532:
	s_or_b64 exec, exec, s[6:7]
	s_movk_i32 s4, 0x7f
	v_cmp_gt_i16_sdwa s[6:7], v5, s4 src0_sel:BYTE_0 src1_sel:DWORD
	s_mov_b64 s[4:5], 0
                                        ; implicit-def: $sgpr10
	s_and_saveexec_b64 s[8:9], s[6:7]
	s_xor_b64 s[6:7], exec, s[8:9]
	s_cbranch_execz .LBB1_2533
; %bb.38373:
	s_getpc_b64 s[14:15]
.Lpost_getpc4850:
	s_add_u32 s14, s14, (.LBB1_16869-.Lpost_getpc4850)&4294967295
	s_addc_u32 s15, s15, (.LBB1_16869-.Lpost_getpc4850)>>32
	s_setpc_b64 s[14:15]
.LBB1_2533:
	s_or_saveexec_b64 s[6:7], s[6:7]
	v_mov_b32_e32 v3, s10
	s_xor_b64 exec, exec, s[6:7]
	s_cbranch_execz .LBB1_2534
; %bb.38375:
	s_getpc_b64 s[14:15]
.Lpost_getpc4851:
	s_add_u32 s14, s14, (.LBB1_16872-.Lpost_getpc4851)&4294967295
	s_addc_u32 s15, s15, (.LBB1_16872-.Lpost_getpc4851)>>32
	s_setpc_b64 s[14:15]
.LBB1_2534:
	s_or_b64 exec, exec, s[6:7]
	s_and_saveexec_b64 s[6:7], s[4:5]
	s_cbranch_execz .LBB1_2536
.LBB1_2535:
	v_mov_b32_e32 v3, 8
	v_and_b32_e32 v4, 7, v5
	v_lshrrev_b32_sdwa v3, v3, v5 dst_sel:BYTE_1 dst_unused:UNUSED_PAD src0_sel:DWORD src1_sel:DWORD
	v_ffbh_u32_e32 v6, v4
	v_or_b32_sdwa v3, v5, v3 dst_sel:DWORD dst_unused:UNUSED_PAD src0_sel:BYTE_0 src1_sel:DWORD
	v_min_u32_e32 v6, 32, v6
	v_lshrrev_b16_e32 v3, 3, v3
	v_subrev_u32_e32 v7, 28, v6
	v_and_b32_e32 v3, 15, v3
	v_lshlrev_b32_e32 v7, v7, v5
	v_sub_u32_e32 v6, 29, v6
	v_and_b32_e32 v7, 7, v7
	v_cmp_eq_u16_e32 vcc, 0, v3
	v_cndmask_b32_e32 v4, v4, v7, vcc
	v_cndmask_b32_e32 v3, v3, v6, vcc
	v_lshlrev_b32_e32 v6, 24, v5
	v_mov_b32_e32 v7, 0x3b800000
	v_lshlrev_b32_e32 v4, 20, v4
	v_and_b32_e32 v6, 0x80000000, v6
	v_lshl_add_u32 v3, v3, 23, v7
	v_or3_b32 v3, v6, v3, v4
.LBB1_2536:
	s_or_b64 exec, exec, s[6:7]
	s_nop 0
	v_mfma_f32_16x16x4f32 a[0:3], v2, v3, a[0:3]
	v_lshrrev_b32_e32 v3, 8, v9
	s_movk_i32 s4, 0x7f
	v_cmp_gt_i16_sdwa s[6:7], v3, s4 src0_sel:BYTE_0 src1_sel:DWORD
	s_mov_b64 s[4:5], 0
                                        ; implicit-def: $sgpr10
	s_and_saveexec_b64 s[8:9], s[6:7]
	s_xor_b64 s[6:7], exec, s[8:9]
	s_cbranch_execz .LBB1_2537
; %bb.38377:
	s_getpc_b64 s[14:15]
.Lpost_getpc4852:
	s_add_u32 s14, s14, (.LBB1_16873-.Lpost_getpc4852)&4294967295
	s_addc_u32 s15, s15, (.LBB1_16873-.Lpost_getpc4852)>>32
	s_setpc_b64 s[14:15]
.LBB1_2537:
	s_or_saveexec_b64 s[6:7], s[6:7]
	v_mov_b32_e32 v2, s10
	s_xor_b64 exec, exec, s[6:7]
	s_cbranch_execz .LBB1_2538
; %bb.38379:
	s_getpc_b64 s[14:15]
.Lpost_getpc4853:
	s_add_u32 s14, s14, (.LBB1_16876-.Lpost_getpc4853)&4294967295
	s_addc_u32 s15, s15, (.LBB1_16876-.Lpost_getpc4853)>>32
	s_setpc_b64 s[14:15]
.LBB1_2538:
	s_or_b64 exec, exec, s[6:7]
	s_and_saveexec_b64 s[6:7], s[4:5]
	s_cbranch_execz .LBB1_2540
.LBB1_2539:
	v_bfe_u32 v2, v9, 8, 3
	v_ffbh_u32_e32 v6, v2
	v_min_u32_e32 v6, 32, v6
	v_lshrrev_b16_e32 v4, 3, v3
	v_subrev_u32_e32 v7, 28, v6
	v_and_b32_e32 v4, 15, v4
	v_lshlrev_b32_e32 v3, v7, v3
	v_sub_u32_e32 v6, 29, v6
	v_and_b32_e32 v3, 7, v3
	v_cmp_eq_u16_e32 vcc, 0, v4
	v_cndmask_b32_e32 v2, v2, v3, vcc
	v_cndmask_b32_e32 v3, v4, v6, vcc
	v_lshlrev_b32_e32 v4, 16, v9
	v_mov_b32_e32 v6, 0x3b800000
	v_lshlrev_b32_e32 v2, 20, v2
	v_and_b32_e32 v4, 0x80000000, v4
	v_lshl_add_u32 v3, v3, 23, v6
	v_or3_b32 v2, v4, v3, v2
.LBB1_2540:
	s_or_b64 exec, exec, s[6:7]
	v_lshrrev_b32_e32 v3, 8, v5
	s_movk_i32 s4, 0x7f
	v_cmp_gt_i16_sdwa s[6:7], v3, s4 src0_sel:BYTE_0 src1_sel:DWORD
	s_mov_b64 s[4:5], 0
                                        ; implicit-def: $sgpr10
	s_and_saveexec_b64 s[8:9], s[6:7]
	s_xor_b64 s[6:7], exec, s[8:9]
	s_cbranch_execz .LBB1_2541
; %bb.38381:
	s_getpc_b64 s[14:15]
.Lpost_getpc4854:
	s_add_u32 s14, s14, (.LBB1_16877-.Lpost_getpc4854)&4294967295
	s_addc_u32 s15, s15, (.LBB1_16877-.Lpost_getpc4854)>>32
	s_setpc_b64 s[14:15]
.LBB1_2541:
	s_or_saveexec_b64 s[6:7], s[6:7]
	v_mov_b32_e32 v4, s10
	s_xor_b64 exec, exec, s[6:7]
	s_cbranch_execz .LBB1_2542
; %bb.38383:
	s_getpc_b64 s[14:15]
.Lpost_getpc4855:
	s_add_u32 s14, s14, (.LBB1_16880-.Lpost_getpc4855)&4294967295
	s_addc_u32 s15, s15, (.LBB1_16880-.Lpost_getpc4855)>>32
	s_setpc_b64 s[14:15]
.LBB1_2542:
	s_or_b64 exec, exec, s[6:7]
	s_and_saveexec_b64 s[6:7], s[4:5]
	s_cbranch_execz .LBB1_2544
.LBB1_2543:
	v_bfe_u32 v4, v5, 8, 3
	v_ffbh_u32_e32 v7, v4
	v_min_u32_e32 v7, 32, v7
	v_lshrrev_b16_e32 v6, 3, v3
	v_subrev_u32_e32 v8, 28, v7
	v_and_b32_e32 v6, 15, v6
	v_lshlrev_b32_e32 v3, v8, v3
	v_sub_u32_e32 v7, 29, v7
	v_and_b32_e32 v3, 7, v3
	v_cmp_eq_u16_e32 vcc, 0, v6
	v_cndmask_b32_e32 v3, v4, v3, vcc
	v_cndmask_b32_e32 v4, v6, v7, vcc
	v_lshlrev_b32_e32 v6, 16, v5
	v_mov_b32_e32 v7, 0x3b800000
	v_lshlrev_b32_e32 v3, 20, v3
	v_and_b32_e32 v6, 0x80000000, v6
	v_lshl_add_u32 v4, v4, 23, v7
	v_or3_b32 v4, v6, v4, v3
.LBB1_2544:
	s_or_b64 exec, exec, s[6:7]
	s_nop 0
	v_mfma_f32_16x16x4f32 a[0:3], v2, v4, a[0:3]
	s_movk_i32 s4, 0xff
	v_and_b32_sdwa v3, v9, s4 dst_sel:DWORD dst_unused:UNUSED_PAD src0_sel:WORD_1 src1_sel:DWORD
	s_movk_i32 s4, 0x7f
	v_cmp_lt_i16_e32 vcc, s4, v3
	s_mov_b64 s[4:5], 0
                                        ; implicit-def: $sgpr10
	s_and_saveexec_b64 s[6:7], vcc
	s_xor_b64 s[6:7], exec, s[6:7]
	s_cbranch_execz .LBB1_2545
; %bb.38385:
	s_getpc_b64 s[14:15]
.Lpost_getpc4856:
	s_add_u32 s14, s14, (.LBB1_16881-.Lpost_getpc4856)&4294967295
	s_addc_u32 s15, s15, (.LBB1_16881-.Lpost_getpc4856)>>32
	s_setpc_b64 s[14:15]
.LBB1_2545:
	s_or_saveexec_b64 s[6:7], s[6:7]
	v_mov_b32_e32 v2, s10
	s_xor_b64 exec, exec, s[6:7]
	s_cbranch_execz .LBB1_2546
; %bb.38387:
	s_getpc_b64 s[14:15]
.Lpost_getpc4857:
	s_add_u32 s14, s14, (.LBB1_16884-.Lpost_getpc4857)&4294967295
	s_addc_u32 s15, s15, (.LBB1_16884-.Lpost_getpc4857)>>32
	s_setpc_b64 s[14:15]
.LBB1_2546:
	s_or_b64 exec, exec, s[6:7]
	s_and_saveexec_b64 s[6:7], s[4:5]
	s_cbranch_execz .LBB1_2548
.LBB1_2547:
	v_bfe_u32 v2, v9, 16, 3
	v_ffbh_u32_e32 v6, v2
	v_min_u32_e32 v6, 32, v6
	v_lshrrev_b32_e32 v3, 19, v9
	v_subrev_u32_e32 v7, 28, v6
	v_and_b32_e32 v3, 15, v3
	v_lshlrev_b32_sdwa v7, v7, v9 dst_sel:DWORD dst_unused:UNUSED_PAD src0_sel:DWORD src1_sel:WORD_1
	v_bfe_u32 v4, v9, 19, 4
	v_sub_u32_e32 v6, 29, v6
	v_and_b32_e32 v7, 7, v7
	v_cmp_eq_u16_e32 vcc, 0, v3
	v_cndmask_b32_e32 v2, v2, v7, vcc
	v_cndmask_b32_e32 v3, v4, v6, vcc
	v_lshlrev_b32_e32 v4, 8, v9
	v_mov_b32_e32 v6, 0x3b800000
	v_lshlrev_b32_e32 v2, 20, v2
	v_and_b32_e32 v4, 0x80000000, v4
	v_lshl_add_u32 v3, v3, 23, v6
	v_or3_b32 v2, v4, v3, v2
.LBB1_2548:
	s_or_b64 exec, exec, s[6:7]
	s_movk_i32 s4, 0xff
	v_and_b32_sdwa v3, v5, s4 dst_sel:DWORD dst_unused:UNUSED_PAD src0_sel:WORD_1 src1_sel:DWORD
	s_movk_i32 s4, 0x7f
	v_cmp_lt_i16_e32 vcc, s4, v3
	s_mov_b64 s[4:5], 0
                                        ; implicit-def: $sgpr10
	s_and_saveexec_b64 s[6:7], vcc
	s_xor_b64 s[6:7], exec, s[6:7]
	s_cbranch_execz .LBB1_2549
; %bb.38389:
	s_getpc_b64 s[14:15]
.Lpost_getpc4858:
	s_add_u32 s14, s14, (.LBB1_16885-.Lpost_getpc4858)&4294967295
	s_addc_u32 s15, s15, (.LBB1_16885-.Lpost_getpc4858)>>32
	s_setpc_b64 s[14:15]
.LBB1_2549:
	s_or_saveexec_b64 s[6:7], s[6:7]
	v_mov_b32_e32 v4, s10
	s_xor_b64 exec, exec, s[6:7]
	s_cbranch_execz .LBB1_2550
; %bb.38391:
	s_getpc_b64 s[14:15]
.Lpost_getpc4859:
	s_add_u32 s14, s14, (.LBB1_16888-.Lpost_getpc4859)&4294967295
	s_addc_u32 s15, s15, (.LBB1_16888-.Lpost_getpc4859)>>32
	s_setpc_b64 s[14:15]
.LBB1_2550:
	s_or_b64 exec, exec, s[6:7]
	s_and_saveexec_b64 s[6:7], s[4:5]
	s_cbranch_execz .LBB1_2552
.LBB1_2551:
	v_bfe_u32 v3, v5, 16, 3
	v_ffbh_u32_e32 v7, v3
	v_min_u32_e32 v7, 32, v7
	v_lshrrev_b32_e32 v4, 19, v5
	v_subrev_u32_e32 v8, 28, v7
	v_and_b32_e32 v4, 15, v4
	v_lshlrev_b32_sdwa v8, v8, v5 dst_sel:DWORD dst_unused:UNUSED_PAD src0_sel:DWORD src1_sel:WORD_1
	v_bfe_u32 v6, v5, 19, 4
	v_sub_u32_e32 v7, 29, v7
	v_and_b32_e32 v8, 7, v8
	v_cmp_eq_u16_e32 vcc, 0, v4
	v_cndmask_b32_e32 v3, v3, v8, vcc
	v_cndmask_b32_e32 v4, v6, v7, vcc
	v_lshlrev_b32_e32 v6, 8, v5
	v_mov_b32_e32 v7, 0x3b800000
	v_lshlrev_b32_e32 v3, 20, v3
	v_and_b32_e32 v6, 0x80000000, v6
	v_lshl_add_u32 v4, v4, 23, v7
	v_or3_b32 v4, v6, v4, v3
.LBB1_2552:
	s_or_b64 exec, exec, s[6:7]
	s_nop 0
	v_mfma_f32_16x16x4f32 a[0:3], v2, v4, a[0:3]
	s_movk_i32 s4, 0x7f
	v_cmp_gt_i16_sdwa s[6:7], v9, s4 src0_sel:BYTE_3 src1_sel:DWORD
	s_mov_b64 s[4:5], 0
                                        ; implicit-def: $sgpr10
	s_and_saveexec_b64 s[8:9], s[6:7]
	s_xor_b64 s[6:7], exec, s[8:9]
	s_cbranch_execz .LBB1_2553
; %bb.38393:
	s_getpc_b64 s[14:15]
.Lpost_getpc4860:
	s_add_u32 s14, s14, (.LBB1_16889-.Lpost_getpc4860)&4294967295
	s_addc_u32 s15, s15, (.LBB1_16889-.Lpost_getpc4860)>>32
	s_setpc_b64 s[14:15]
.LBB1_2553:
	s_or_saveexec_b64 s[6:7], s[6:7]
	v_mov_b32_e32 v2, s10
	s_xor_b64 exec, exec, s[6:7]
	s_cbranch_execz .LBB1_2554
; %bb.38395:
	s_getpc_b64 s[14:15]
.Lpost_getpc4861:
	s_add_u32 s14, s14, (.LBB1_16892-.Lpost_getpc4861)&4294967295
	s_addc_u32 s15, s15, (.LBB1_16892-.Lpost_getpc4861)>>32
	s_setpc_b64 s[14:15]
.LBB1_2554:
	s_or_b64 exec, exec, s[6:7]
	s_and_saveexec_b64 s[6:7], s[4:5]
	s_cbranch_execz .LBB1_2556
.LBB1_2555:
	v_bfe_u32 v2, v9, 24, 3
	v_ffbh_u32_e32 v7, v2
	v_min_u32_e32 v7, 32, v7
	v_lshrrev_b32_e32 v4, 27, v9
	v_subrev_u32_e32 v8, 28, v7
	v_and_b32_e32 v4, 15, v4
	v_lshlrev_b32_sdwa v8, v8, v9 dst_sel:DWORD dst_unused:UNUSED_PAD src0_sel:DWORD src1_sel:BYTE_3
	v_bfe_u32 v6, v9, 27, 4
	v_sub_u32_e32 v7, 29, v7
	v_and_b32_e32 v8, 7, v8
	v_cmp_eq_u16_e32 vcc, 0, v4
	v_cndmask_b32_e32 v2, v2, v8, vcc
	v_cndmask_b32_e32 v4, v6, v7, vcc
	v_mov_b32_e32 v6, 0x3b800000
	v_and_b32_e32 v3, 0x80000000, v9
	v_lshlrev_b32_e32 v2, 20, v2
	v_lshl_add_u32 v4, v4, 23, v6
	v_or3_b32 v2, v3, v4, v2
.LBB1_2556:
	s_or_b64 exec, exec, s[6:7]
	s_movk_i32 s4, 0x7f
	v_cmp_gt_i16_sdwa s[6:7], v5, s4 src0_sel:BYTE_3 src1_sel:DWORD
	s_mov_b64 s[4:5], 0
                                        ; implicit-def: $sgpr10
	s_and_saveexec_b64 s[8:9], s[6:7]
	s_xor_b64 s[6:7], exec, s[8:9]
	s_cbranch_execz .LBB1_2557
; %bb.38397:
	s_getpc_b64 s[14:15]
.Lpost_getpc4862:
	s_add_u32 s14, s14, (.LBB1_16893-.Lpost_getpc4862)&4294967295
	s_addc_u32 s15, s15, (.LBB1_16893-.Lpost_getpc4862)>>32
	s_setpc_b64 s[14:15]
.LBB1_2557:
	s_or_saveexec_b64 s[6:7], s[6:7]
	v_mov_b32_e32 v3, s10
	s_xor_b64 exec, exec, s[6:7]
	s_cbranch_execz .LBB1_2558
; %bb.38399:
	s_getpc_b64 s[14:15]
.Lpost_getpc4863:
	s_add_u32 s14, s14, (.LBB1_16896-.Lpost_getpc4863)&4294967295
	s_addc_u32 s15, s15, (.LBB1_16896-.Lpost_getpc4863)>>32
	s_setpc_b64 s[14:15]
.LBB1_2558:
	s_or_b64 exec, exec, s[6:7]
	s_and_saveexec_b64 s[6:7], s[4:5]
	s_cbranch_execz .LBB1_2560
.LBB1_2559:
	v_bfe_u32 v3, v5, 24, 3
	v_ffbh_u32_e32 v8, v3
	v_min_u32_e32 v8, 32, v8
	v_lshrrev_b32_e32 v6, 27, v5
	v_subrev_u32_e32 v9, 28, v8
	v_and_b32_e32 v4, 0x80000000, v5
	v_and_b32_e32 v6, 15, v6
	v_bfe_u32 v7, v5, 27, 4
	v_lshlrev_b32_sdwa v5, v9, v5 dst_sel:DWORD dst_unused:UNUSED_PAD src0_sel:DWORD src1_sel:BYTE_3
	v_sub_u32_e32 v8, 29, v8
	v_and_b32_e32 v5, 7, v5
	v_cmp_eq_u16_e32 vcc, 0, v6
	v_cndmask_b32_e32 v3, v3, v5, vcc
	v_cndmask_b32_e32 v5, v7, v8, vcc
	v_mov_b32_e32 v6, 0x3b800000
	v_lshlrev_b32_e32 v3, 20, v3
	v_lshl_add_u32 v5, v5, 23, v6
	v_or3_b32 v3, v4, v5, v3
.LBB1_2560:
	s_or_b64 exec, exec, s[6:7]
	s_nop 0
	v_mfma_f32_16x16x4f32 a[0:3], v2, v3, a[0:3]
	s_movk_i32 s4, 0x7f
                                        ; implicit-def: $sgpr10
	s_nop 7
	s_nop 1
	flat_store_dwordx4 v[10:11], a[0:3] offset:304
	flat_load_dwordx4 v[12:15], v[0:1]
	s_nop 0
	flat_load_dwordx2 v[10:11], v[0:1] offset:16
	s_waitcnt vmcnt(0) lgkmcnt(0)
	flat_load_dwordx4 v[6:9], v[12:13] offset:32
	flat_load_dwordx4 v[2:5], v[14:15] offset:64
	s_waitcnt vmcnt(0) lgkmcnt(0)
	v_cmp_gt_i16_sdwa s[6:7], v6, s4 src0_sel:BYTE_0 src1_sel:DWORD
	s_mov_b64 s[4:5], 0
	s_and_saveexec_b64 s[8:9], s[6:7]
	s_xor_b64 s[6:7], exec, s[8:9]
	s_cbranch_execz .LBB1_2561
; %bb.38401:
	s_getpc_b64 s[14:15]
.Lpost_getpc4864:
	s_add_u32 s14, s14, (.LBB1_16897-.Lpost_getpc4864)&4294967295
	s_addc_u32 s15, s15, (.LBB1_16897-.Lpost_getpc4864)>>32
	s_setpc_b64 s[14:15]
.LBB1_2561:
	s_or_saveexec_b64 s[6:7], s[6:7]
	v_mov_b32_e32 v12, s10
	s_xor_b64 exec, exec, s[6:7]
	s_cbranch_execz .LBB1_2562
; %bb.38403:
	s_getpc_b64 s[14:15]
.Lpost_getpc4865:
	s_add_u32 s14, s14, (.LBB1_16900-.Lpost_getpc4865)&4294967295
	s_addc_u32 s15, s15, (.LBB1_16900-.Lpost_getpc4865)>>32
	s_setpc_b64 s[14:15]
.LBB1_2562:
	s_or_b64 exec, exec, s[6:7]
	s_and_saveexec_b64 s[6:7], s[4:5]
	s_cbranch_execz .LBB1_2564
.LBB1_2563:
	v_and_b32_e32 v12, 7, v6
	v_ffbh_u32_e32 v14, v12
	v_min_u32_e32 v14, 32, v14
	v_lshrrev_b16_e32 v13, 3, v6
	v_subrev_u32_e32 v15, 28, v14
	v_and_b32_e32 v13, 15, v13
	v_lshlrev_b32_e32 v15, v15, v6
	v_sub_u32_e32 v14, 29, v14
	v_and_b32_e32 v15, 7, v15
	v_cmp_eq_u16_e32 vcc, 0, v13
	v_cndmask_b32_e32 v12, v12, v15, vcc
	v_cndmask_b32_e32 v13, v13, v14, vcc
	v_lshlrev_b32_e32 v14, 24, v6
	v_mov_b32_e32 v15, 0x3b800000
	v_lshlrev_b32_e32 v12, 20, v12
	v_and_b32_e32 v14, 0x80000000, v14
	v_lshl_add_u32 v13, v13, 23, v15
	v_or3_b32 v12, v14, v13, v12
.LBB1_2564:
	s_or_b64 exec, exec, s[6:7]
	s_movk_i32 s4, 0x7f
	v_cmp_gt_i16_sdwa s[6:7], v2, s4 src0_sel:BYTE_0 src1_sel:DWORD
	s_mov_b64 s[4:5], 0
                                        ; implicit-def: $sgpr10
	s_and_saveexec_b64 s[8:9], s[6:7]
	s_xor_b64 s[6:7], exec, s[8:9]
	s_cbranch_execz .LBB1_2565
; %bb.38405:
	s_getpc_b64 s[14:15]
.Lpost_getpc4866:
	s_add_u32 s14, s14, (.LBB1_16901-.Lpost_getpc4866)&4294967295
	s_addc_u32 s15, s15, (.LBB1_16901-.Lpost_getpc4866)>>32
	s_setpc_b64 s[14:15]
.LBB1_2565:
	s_or_saveexec_b64 s[6:7], s[6:7]
	v_mov_b32_e32 v13, s10
	s_xor_b64 exec, exec, s[6:7]
	s_cbranch_execz .LBB1_2566
; %bb.38407:
	s_getpc_b64 s[14:15]
.Lpost_getpc4867:
	s_add_u32 s14, s14, (.LBB1_16904-.Lpost_getpc4867)&4294967295
	s_addc_u32 s15, s15, (.LBB1_16904-.Lpost_getpc4867)>>32
	s_setpc_b64 s[14:15]
.LBB1_2566:
	s_or_b64 exec, exec, s[6:7]
	s_and_saveexec_b64 s[6:7], s[4:5]
	s_cbranch_execz .LBB1_2568
.LBB1_2567:
	v_and_b32_e32 v13, 7, v2
	v_ffbh_u32_e32 v15, v13
	v_min_u32_e32 v15, 32, v15
	v_lshrrev_b16_e32 v14, 3, v2
	v_subrev_u32_e32 v16, 28, v15
	v_and_b32_e32 v14, 15, v14
	v_lshlrev_b32_e32 v16, v16, v2
	v_sub_u32_e32 v15, 29, v15
	v_and_b32_e32 v16, 7, v16
	v_cmp_eq_u16_e32 vcc, 0, v14
	v_cndmask_b32_e32 v13, v13, v16, vcc
	v_cndmask_b32_e32 v14, v14, v15, vcc
	v_lshlrev_b32_e32 v15, 24, v2
	v_mov_b32_e32 v16, 0x3b800000
	v_lshlrev_b32_e32 v13, 20, v13
	v_and_b32_e32 v15, 0x80000000, v15
	v_lshl_add_u32 v14, v14, 23, v16
	v_or3_b32 v13, v15, v14, v13
.LBB1_2568:
	s_or_b64 exec, exec, s[6:7]
	flat_load_dwordx4 a[0:3], v[10:11] offset:320
	s_movk_i32 s4, 0x7f
                                        ; implicit-def: $sgpr10
	s_waitcnt vmcnt(0) lgkmcnt(0)
	v_mfma_f32_16x16x4f32 a[0:3], v12, v13, a[0:3]
	v_lshrrev_b32_e32 v13, 8, v6
	v_cmp_gt_i16_sdwa s[6:7], v13, s4 src0_sel:BYTE_0 src1_sel:DWORD
	s_mov_b64 s[4:5], 0
	s_and_saveexec_b64 s[8:9], s[6:7]
	s_xor_b64 s[6:7], exec, s[8:9]
	s_cbranch_execz .LBB1_2569
; %bb.38409:
	s_getpc_b64 s[14:15]
.Lpost_getpc4868:
	s_add_u32 s14, s14, (.LBB1_16905-.Lpost_getpc4868)&4294967295
	s_addc_u32 s15, s15, (.LBB1_16905-.Lpost_getpc4868)>>32
	s_setpc_b64 s[14:15]
.LBB1_2569:
	s_or_saveexec_b64 s[6:7], s[6:7]
	v_mov_b32_e32 v12, s10
	s_xor_b64 exec, exec, s[6:7]
	s_cbranch_execz .LBB1_2570
; %bb.38411:
	s_getpc_b64 s[14:15]
.Lpost_getpc4869:
	s_add_u32 s14, s14, (.LBB1_16908-.Lpost_getpc4869)&4294967295
	s_addc_u32 s15, s15, (.LBB1_16908-.Lpost_getpc4869)>>32
	s_setpc_b64 s[14:15]
.LBB1_2570:
	s_or_b64 exec, exec, s[6:7]
	s_and_saveexec_b64 s[6:7], s[4:5]
	s_cbranch_execz .LBB1_2572
.LBB1_2571:
	v_bfe_u32 v12, v6, 8, 3
	v_ffbh_u32_e32 v15, v12
	v_min_u32_e32 v15, 32, v15
	v_lshrrev_b16_e32 v14, 3, v13
	v_subrev_u32_e32 v16, 28, v15
	v_and_b32_e32 v14, 15, v14
	v_lshlrev_b32_e32 v13, v16, v13
	v_sub_u32_e32 v15, 29, v15
	v_and_b32_e32 v13, 7, v13
	v_cmp_eq_u16_e32 vcc, 0, v14
	v_cndmask_b32_e32 v12, v12, v13, vcc
	v_cndmask_b32_e32 v13, v14, v15, vcc
	v_lshlrev_b32_e32 v14, 16, v6
	v_mov_b32_e32 v15, 0x3b800000
	v_lshlrev_b32_e32 v12, 20, v12
	v_and_b32_e32 v14, 0x80000000, v14
	v_lshl_add_u32 v13, v13, 23, v15
	v_or3_b32 v12, v14, v13, v12
.LBB1_2572:
	s_or_b64 exec, exec, s[6:7]
	v_lshrrev_b32_e32 v13, 8, v2
	s_movk_i32 s4, 0x7f
	v_cmp_gt_i16_sdwa s[6:7], v13, s4 src0_sel:BYTE_0 src1_sel:DWORD
	s_mov_b64 s[4:5], 0
                                        ; implicit-def: $sgpr10
	s_and_saveexec_b64 s[8:9], s[6:7]
	s_xor_b64 s[6:7], exec, s[8:9]
	s_cbranch_execz .LBB1_2573
; %bb.38413:
	s_getpc_b64 s[14:15]
.Lpost_getpc4870:
	s_add_u32 s14, s14, (.LBB1_16909-.Lpost_getpc4870)&4294967295
	s_addc_u32 s15, s15, (.LBB1_16909-.Lpost_getpc4870)>>32
	s_setpc_b64 s[14:15]
.LBB1_2573:
	s_or_saveexec_b64 s[6:7], s[6:7]
	v_mov_b32_e32 v14, s10
	s_xor_b64 exec, exec, s[6:7]
	s_cbranch_execz .LBB1_2574
; %bb.38415:
	s_getpc_b64 s[14:15]
.Lpost_getpc4871:
	s_add_u32 s14, s14, (.LBB1_16912-.Lpost_getpc4871)&4294967295
	s_addc_u32 s15, s15, (.LBB1_16912-.Lpost_getpc4871)>>32
	s_setpc_b64 s[14:15]
.LBB1_2574:
	s_or_b64 exec, exec, s[6:7]
	s_and_saveexec_b64 s[6:7], s[4:5]
	s_cbranch_execz .LBB1_2576
.LBB1_2575:
	v_bfe_u32 v14, v2, 8, 3
	v_ffbh_u32_e32 v16, v14
	v_min_u32_e32 v16, 32, v16
	v_lshrrev_b16_e32 v15, 3, v13
	v_subrev_u32_e32 v17, 28, v16
	v_and_b32_e32 v15, 15, v15
	v_lshlrev_b32_e32 v13, v17, v13
	v_sub_u32_e32 v16, 29, v16
	v_and_b32_e32 v13, 7, v13
	v_cmp_eq_u16_e32 vcc, 0, v15
	v_cndmask_b32_e32 v13, v14, v13, vcc
	v_cndmask_b32_e32 v14, v15, v16, vcc
	v_lshlrev_b32_e32 v15, 16, v2
	v_mov_b32_e32 v16, 0x3b800000
	v_lshlrev_b32_e32 v13, 20, v13
	v_and_b32_e32 v15, 0x80000000, v15
	v_lshl_add_u32 v14, v14, 23, v16
	v_or3_b32 v14, v15, v14, v13
.LBB1_2576:
	s_or_b64 exec, exec, s[6:7]
	s_nop 0
	v_mfma_f32_16x16x4f32 a[0:3], v12, v14, a[0:3]
	s_movk_i32 s4, 0xff
	v_and_b32_sdwa v13, v6, s4 dst_sel:DWORD dst_unused:UNUSED_PAD src0_sel:WORD_1 src1_sel:DWORD
	s_movk_i32 s4, 0x7f
	v_cmp_lt_i16_e32 vcc, s4, v13
	s_mov_b64 s[4:5], 0
                                        ; implicit-def: $sgpr10
	s_and_saveexec_b64 s[6:7], vcc
	s_xor_b64 s[6:7], exec, s[6:7]
	s_cbranch_execz .LBB1_2577
; %bb.38417:
	s_getpc_b64 s[14:15]
.Lpost_getpc4872:
	s_add_u32 s14, s14, (.LBB1_16913-.Lpost_getpc4872)&4294967295
	s_addc_u32 s15, s15, (.LBB1_16913-.Lpost_getpc4872)>>32
	s_setpc_b64 s[14:15]
.LBB1_2577:
	s_or_saveexec_b64 s[6:7], s[6:7]
	v_mov_b32_e32 v12, s10
	s_xor_b64 exec, exec, s[6:7]
	s_cbranch_execz .LBB1_2578
; %bb.38419:
	s_getpc_b64 s[14:15]
.Lpost_getpc4873:
	s_add_u32 s14, s14, (.LBB1_16916-.Lpost_getpc4873)&4294967295
	s_addc_u32 s15, s15, (.LBB1_16916-.Lpost_getpc4873)>>32
	s_setpc_b64 s[14:15]
.LBB1_2578:
	s_or_b64 exec, exec, s[6:7]
	s_and_saveexec_b64 s[6:7], s[4:5]
	s_cbranch_execz .LBB1_2580
.LBB1_2579:
	v_bfe_u32 v12, v6, 16, 3
	v_ffbh_u32_e32 v15, v12
	v_min_u32_e32 v15, 32, v15
	v_lshrrev_b32_e32 v13, 19, v6
	v_subrev_u32_e32 v16, 28, v15
	v_and_b32_e32 v13, 15, v13
	v_lshlrev_b32_sdwa v16, v16, v6 dst_sel:DWORD dst_unused:UNUSED_PAD src0_sel:DWORD src1_sel:WORD_1
	v_bfe_u32 v14, v6, 19, 4
	v_sub_u32_e32 v15, 29, v15
	v_and_b32_e32 v16, 7, v16
	v_cmp_eq_u16_e32 vcc, 0, v13
	v_cndmask_b32_e32 v12, v12, v16, vcc
	v_cndmask_b32_e32 v13, v14, v15, vcc
	v_lshlrev_b32_e32 v14, 8, v6
	v_mov_b32_e32 v15, 0x3b800000
	v_lshlrev_b32_e32 v12, 20, v12
	v_and_b32_e32 v14, 0x80000000, v14
	v_lshl_add_u32 v13, v13, 23, v15
	v_or3_b32 v12, v14, v13, v12
.LBB1_2580:
	s_or_b64 exec, exec, s[6:7]
	s_movk_i32 s4, 0xff
	v_and_b32_sdwa v13, v2, s4 dst_sel:DWORD dst_unused:UNUSED_PAD src0_sel:WORD_1 src1_sel:DWORD
	s_movk_i32 s4, 0x7f
	v_cmp_lt_i16_e32 vcc, s4, v13
	s_mov_b64 s[4:5], 0
                                        ; implicit-def: $sgpr10
	s_and_saveexec_b64 s[6:7], vcc
	s_xor_b64 s[6:7], exec, s[6:7]
	s_cbranch_execz .LBB1_2581
; %bb.38421:
	s_getpc_b64 s[14:15]
.Lpost_getpc4874:
	s_add_u32 s14, s14, (.LBB1_16917-.Lpost_getpc4874)&4294967295
	s_addc_u32 s15, s15, (.LBB1_16917-.Lpost_getpc4874)>>32
	s_setpc_b64 s[14:15]
.LBB1_2581:
	s_or_saveexec_b64 s[6:7], s[6:7]
	v_mov_b32_e32 v14, s10
	s_xor_b64 exec, exec, s[6:7]
	s_cbranch_execz .LBB1_2582
; %bb.38423:
	s_getpc_b64 s[14:15]
.Lpost_getpc4875:
	s_add_u32 s14, s14, (.LBB1_16920-.Lpost_getpc4875)&4294967295
	s_addc_u32 s15, s15, (.LBB1_16920-.Lpost_getpc4875)>>32
	s_setpc_b64 s[14:15]
.LBB1_2582:
	s_or_b64 exec, exec, s[6:7]
	s_and_saveexec_b64 s[6:7], s[4:5]
	s_cbranch_execz .LBB1_2584
.LBB1_2583:
	v_bfe_u32 v13, v2, 16, 3
	v_ffbh_u32_e32 v16, v13
	v_min_u32_e32 v16, 32, v16
	v_lshrrev_b32_e32 v14, 19, v2
	v_subrev_u32_e32 v17, 28, v16
	v_and_b32_e32 v14, 15, v14
	v_lshlrev_b32_sdwa v17, v17, v2 dst_sel:DWORD dst_unused:UNUSED_PAD src0_sel:DWORD src1_sel:WORD_1
	v_bfe_u32 v15, v2, 19, 4
	v_sub_u32_e32 v16, 29, v16
	v_and_b32_e32 v17, 7, v17
	v_cmp_eq_u16_e32 vcc, 0, v14
	v_cndmask_b32_e32 v13, v13, v17, vcc
	v_cndmask_b32_e32 v14, v15, v16, vcc
	v_lshlrev_b32_e32 v15, 8, v2
	v_mov_b32_e32 v16, 0x3b800000
	v_lshlrev_b32_e32 v13, 20, v13
	v_and_b32_e32 v15, 0x80000000, v15
	v_lshl_add_u32 v14, v14, 23, v16
	v_or3_b32 v14, v15, v14, v13
.LBB1_2584:
	s_or_b64 exec, exec, s[6:7]
	s_nop 0
	v_mfma_f32_16x16x4f32 a[0:3], v12, v14, a[0:3]
	s_movk_i32 s4, 0x7f
	v_cmp_gt_i16_sdwa s[6:7], v6, s4 src0_sel:BYTE_3 src1_sel:DWORD
	s_mov_b64 s[4:5], 0
                                        ; implicit-def: $sgpr10
	s_and_saveexec_b64 s[8:9], s[6:7]
	s_xor_b64 s[6:7], exec, s[8:9]
	s_cbranch_execz .LBB1_2585
; %bb.38425:
	s_getpc_b64 s[14:15]
.Lpost_getpc4876:
	s_add_u32 s14, s14, (.LBB1_16921-.Lpost_getpc4876)&4294967295
	s_addc_u32 s15, s15, (.LBB1_16921-.Lpost_getpc4876)>>32
	s_setpc_b64 s[14:15]
.LBB1_2585:
	s_or_saveexec_b64 s[6:7], s[6:7]
	v_mov_b32_e32 v12, s10
	s_xor_b64 exec, exec, s[6:7]
	s_cbranch_execz .LBB1_2586
; %bb.38427:
	s_getpc_b64 s[14:15]
.Lpost_getpc4877:
	s_add_u32 s14, s14, (.LBB1_16924-.Lpost_getpc4877)&4294967295
	s_addc_u32 s15, s15, (.LBB1_16924-.Lpost_getpc4877)>>32
	s_setpc_b64 s[14:15]
.LBB1_2586:
	s_or_b64 exec, exec, s[6:7]
	s_and_saveexec_b64 s[6:7], s[4:5]
	s_cbranch_execz .LBB1_2588
.LBB1_2587:
	v_bfe_u32 v12, v6, 24, 3
	v_ffbh_u32_e32 v16, v12
	v_min_u32_e32 v16, 32, v16
	v_lshrrev_b32_e32 v14, 27, v6
	v_subrev_u32_e32 v17, 28, v16
	v_and_b32_e32 v13, 0x80000000, v6
	v_and_b32_e32 v14, 15, v14
	v_bfe_u32 v15, v6, 27, 4
	v_lshlrev_b32_sdwa v6, v17, v6 dst_sel:DWORD dst_unused:UNUSED_PAD src0_sel:DWORD src1_sel:BYTE_3
	v_sub_u32_e32 v16, 29, v16
	v_and_b32_e32 v6, 7, v6
	v_cmp_eq_u16_e32 vcc, 0, v14
	v_cndmask_b32_e32 v6, v12, v6, vcc
	v_cndmask_b32_e32 v12, v15, v16, vcc
	v_mov_b32_e32 v14, 0x3b800000
	v_lshlrev_b32_e32 v6, 20, v6
	v_lshl_add_u32 v12, v12, 23, v14
	v_or3_b32 v12, v13, v12, v6
.LBB1_2588:
	s_or_b64 exec, exec, s[6:7]
	s_movk_i32 s4, 0x7f
	v_cmp_gt_i16_sdwa s[6:7], v2, s4 src0_sel:BYTE_3 src1_sel:DWORD
	s_mov_b64 s[4:5], 0
                                        ; implicit-def: $sgpr10
	s_and_saveexec_b64 s[8:9], s[6:7]
	s_xor_b64 s[6:7], exec, s[8:9]
	s_cbranch_execz .LBB1_2589
; %bb.38429:
	s_getpc_b64 s[14:15]
.Lpost_getpc4878:
	s_add_u32 s14, s14, (.LBB1_16925-.Lpost_getpc4878)&4294967295
	s_addc_u32 s15, s15, (.LBB1_16925-.Lpost_getpc4878)>>32
	s_setpc_b64 s[14:15]
.LBB1_2589:
	s_or_saveexec_b64 s[6:7], s[6:7]
	v_mov_b32_e32 v6, s10
	s_xor_b64 exec, exec, s[6:7]
	s_cbranch_execz .LBB1_2590
; %bb.38431:
	s_getpc_b64 s[14:15]
.Lpost_getpc4879:
	s_add_u32 s14, s14, (.LBB1_16928-.Lpost_getpc4879)&4294967295
	s_addc_u32 s15, s15, (.LBB1_16928-.Lpost_getpc4879)>>32
	s_setpc_b64 s[14:15]
.LBB1_2590:
	s_or_b64 exec, exec, s[6:7]
	s_and_saveexec_b64 s[6:7], s[4:5]
	s_cbranch_execz .LBB1_2592
.LBB1_2591:
	v_bfe_u32 v6, v2, 24, 3
	v_ffbh_u32_e32 v16, v6
	v_min_u32_e32 v16, 32, v16
	v_lshrrev_b32_e32 v14, 27, v2
	v_subrev_u32_e32 v17, 28, v16
	v_and_b32_e32 v13, 0x80000000, v2
	v_and_b32_e32 v14, 15, v14
	v_bfe_u32 v15, v2, 27, 4
	v_lshlrev_b32_sdwa v2, v17, v2 dst_sel:DWORD dst_unused:UNUSED_PAD src0_sel:DWORD src1_sel:BYTE_3
	v_sub_u32_e32 v16, 29, v16
	v_and_b32_e32 v2, 7, v2
	v_cmp_eq_u16_e32 vcc, 0, v14
	v_cndmask_b32_e32 v2, v6, v2, vcc
	v_cndmask_b32_e32 v6, v15, v16, vcc
	v_mov_b32_e32 v14, 0x3b800000
	v_lshlrev_b32_e32 v2, 20, v2
	v_lshl_add_u32 v6, v6, 23, v14
	v_or3_b32 v6, v13, v6, v2
.LBB1_2592:
	s_or_b64 exec, exec, s[6:7]
	s_nop 0
	v_mfma_f32_16x16x4f32 a[0:3], v12, v6, a[0:3]
	s_movk_i32 s4, 0x7f
	v_cmp_gt_i16_sdwa s[6:7], v7, s4 src0_sel:BYTE_0 src1_sel:DWORD
	s_mov_b64 s[4:5], 0
                                        ; implicit-def: $sgpr10
	s_and_saveexec_b64 s[8:9], s[6:7]
	s_xor_b64 s[6:7], exec, s[8:9]
	s_cbranch_execz .LBB1_2593
; %bb.38433:
	s_getpc_b64 s[14:15]
.Lpost_getpc4880:
	s_add_u32 s14, s14, (.LBB1_16929-.Lpost_getpc4880)&4294967295
	s_addc_u32 s15, s15, (.LBB1_16929-.Lpost_getpc4880)>>32
	s_setpc_b64 s[14:15]
.LBB1_2593:
	s_or_saveexec_b64 s[6:7], s[6:7]
	v_mov_b32_e32 v2, s10
	s_xor_b64 exec, exec, s[6:7]
	s_cbranch_execz .LBB1_2594
; %bb.38435:
	s_getpc_b64 s[14:15]
.Lpost_getpc4881:
	s_add_u32 s14, s14, (.LBB1_16932-.Lpost_getpc4881)&4294967295
	s_addc_u32 s15, s15, (.LBB1_16932-.Lpost_getpc4881)>>32
	s_setpc_b64 s[14:15]
.LBB1_2594:
	s_or_b64 exec, exec, s[6:7]
	s_and_saveexec_b64 s[6:7], s[4:5]
	s_cbranch_execz .LBB1_2596
.LBB1_2595:
	v_and_b32_e32 v2, 7, v7
	v_ffbh_u32_e32 v12, v2
	v_min_u32_e32 v12, 32, v12
	v_lshrrev_b16_e32 v6, 3, v7
	v_subrev_u32_e32 v13, 28, v12
	v_and_b32_e32 v6, 15, v6
	v_lshlrev_b32_e32 v13, v13, v7
	v_sub_u32_e32 v12, 29, v12
	v_and_b32_e32 v13, 7, v13
	v_cmp_eq_u16_e32 vcc, 0, v6
	v_cndmask_b32_e32 v2, v2, v13, vcc
	v_cndmask_b32_e32 v6, v6, v12, vcc
	v_lshlrev_b32_e32 v12, 24, v7
	v_mov_b32_e32 v13, 0x3b800000
	v_lshlrev_b32_e32 v2, 20, v2
	v_and_b32_e32 v12, 0x80000000, v12
	v_lshl_add_u32 v6, v6, 23, v13
	v_or3_b32 v2, v12, v6, v2
.LBB1_2596:
	s_or_b64 exec, exec, s[6:7]
	s_movk_i32 s4, 0x7f
	v_cmp_gt_i16_sdwa s[6:7], v3, s4 src0_sel:BYTE_0 src1_sel:DWORD
	s_mov_b64 s[4:5], 0
                                        ; implicit-def: $sgpr10
	s_and_saveexec_b64 s[8:9], s[6:7]
	s_xor_b64 s[6:7], exec, s[8:9]
	s_cbranch_execz .LBB1_2597
; %bb.38437:
	s_getpc_b64 s[14:15]
.Lpost_getpc4882:
	s_add_u32 s14, s14, (.LBB1_16933-.Lpost_getpc4882)&4294967295
	s_addc_u32 s15, s15, (.LBB1_16933-.Lpost_getpc4882)>>32
	s_setpc_b64 s[14:15]
.LBB1_2597:
	s_or_saveexec_b64 s[6:7], s[6:7]
	v_mov_b32_e32 v6, s10
	s_xor_b64 exec, exec, s[6:7]
	s_cbranch_execz .LBB1_2598
; %bb.38439:
	s_getpc_b64 s[14:15]
.Lpost_getpc4883:
	s_add_u32 s14, s14, (.LBB1_16936-.Lpost_getpc4883)&4294967295
	s_addc_u32 s15, s15, (.LBB1_16936-.Lpost_getpc4883)>>32
	s_setpc_b64 s[14:15]
.LBB1_2598:
	s_or_b64 exec, exec, s[6:7]
	s_and_saveexec_b64 s[6:7], s[4:5]
	s_cbranch_execz .LBB1_2600
.LBB1_2599:
	v_and_b32_e32 v6, 7, v3
	v_ffbh_u32_e32 v13, v6
	v_min_u32_e32 v13, 32, v13
	v_lshrrev_b16_e32 v12, 3, v3
	v_subrev_u32_e32 v14, 28, v13
	v_and_b32_e32 v12, 15, v12
	v_lshlrev_b32_e32 v14, v14, v3
	v_sub_u32_e32 v13, 29, v13
	v_and_b32_e32 v14, 7, v14
	v_cmp_eq_u16_e32 vcc, 0, v12
	v_cndmask_b32_e32 v6, v6, v14, vcc
	v_cndmask_b32_e32 v12, v12, v13, vcc
	v_lshlrev_b32_e32 v13, 24, v3
	v_mov_b32_e32 v14, 0x3b800000
	v_lshlrev_b32_e32 v6, 20, v6
	v_and_b32_e32 v13, 0x80000000, v13
	v_lshl_add_u32 v12, v12, 23, v14
	v_or3_b32 v6, v13, v12, v6
.LBB1_2600:
	s_or_b64 exec, exec, s[6:7]
	s_nop 0
	v_mfma_f32_16x16x4f32 a[0:3], v2, v6, a[0:3]
	v_lshrrev_b32_e32 v6, 8, v7
	s_movk_i32 s4, 0x7f
	v_cmp_gt_i16_sdwa s[6:7], v6, s4 src0_sel:BYTE_0 src1_sel:DWORD
	s_mov_b64 s[4:5], 0
                                        ; implicit-def: $sgpr10
	s_and_saveexec_b64 s[8:9], s[6:7]
	s_xor_b64 s[6:7], exec, s[8:9]
	s_cbranch_execz .LBB1_2601
; %bb.38441:
	s_getpc_b64 s[14:15]
.Lpost_getpc4884:
	s_add_u32 s14, s14, (.LBB1_16937-.Lpost_getpc4884)&4294967295
	s_addc_u32 s15, s15, (.LBB1_16937-.Lpost_getpc4884)>>32
	s_setpc_b64 s[14:15]
.LBB1_2601:
	s_or_saveexec_b64 s[6:7], s[6:7]
	v_mov_b32_e32 v2, s10
	s_xor_b64 exec, exec, s[6:7]
	s_cbranch_execz .LBB1_2602
; %bb.38443:
	s_getpc_b64 s[14:15]
.Lpost_getpc4885:
	s_add_u32 s14, s14, (.LBB1_16940-.Lpost_getpc4885)&4294967295
	s_addc_u32 s15, s15, (.LBB1_16940-.Lpost_getpc4885)>>32
	s_setpc_b64 s[14:15]
.LBB1_2602:
	s_or_b64 exec, exec, s[6:7]
	s_and_saveexec_b64 s[6:7], s[4:5]
	s_cbranch_execz .LBB1_2604
.LBB1_2603:
	v_bfe_u32 v2, v7, 8, 3
	v_ffbh_u32_e32 v13, v2
	v_min_u32_e32 v13, 32, v13
	v_lshrrev_b16_e32 v12, 3, v6
	v_subrev_u32_e32 v14, 28, v13
	v_and_b32_e32 v12, 15, v12
	v_lshlrev_b32_e32 v6, v14, v6
	v_sub_u32_e32 v13, 29, v13
	v_and_b32_e32 v6, 7, v6
	v_cmp_eq_u16_e32 vcc, 0, v12
	v_cndmask_b32_e32 v2, v2, v6, vcc
	v_cndmask_b32_e32 v6, v12, v13, vcc
	v_lshlrev_b32_e32 v12, 16, v7
	v_mov_b32_e32 v13, 0x3b800000
	v_lshlrev_b32_e32 v2, 20, v2
	v_and_b32_e32 v12, 0x80000000, v12
	v_lshl_add_u32 v6, v6, 23, v13
	v_or3_b32 v2, v12, v6, v2
.LBB1_2604:
	s_or_b64 exec, exec, s[6:7]
	v_lshrrev_b32_e32 v6, 8, v3
	s_movk_i32 s4, 0x7f
	v_cmp_gt_i16_sdwa s[6:7], v6, s4 src0_sel:BYTE_0 src1_sel:DWORD
	s_mov_b64 s[4:5], 0
                                        ; implicit-def: $sgpr10
	s_and_saveexec_b64 s[8:9], s[6:7]
	s_xor_b64 s[6:7], exec, s[8:9]
	s_cbranch_execz .LBB1_2605
; %bb.38445:
	s_getpc_b64 s[14:15]
.Lpost_getpc4886:
	s_add_u32 s14, s14, (.LBB1_16941-.Lpost_getpc4886)&4294967295
	s_addc_u32 s15, s15, (.LBB1_16941-.Lpost_getpc4886)>>32
	s_setpc_b64 s[14:15]
.LBB1_2605:
	s_or_saveexec_b64 s[6:7], s[6:7]
	v_mov_b32_e32 v12, s10
	s_xor_b64 exec, exec, s[6:7]
	s_cbranch_execz .LBB1_2606
; %bb.38447:
	s_getpc_b64 s[14:15]
.Lpost_getpc4887:
	s_add_u32 s14, s14, (.LBB1_16944-.Lpost_getpc4887)&4294967295
	s_addc_u32 s15, s15, (.LBB1_16944-.Lpost_getpc4887)>>32
	s_setpc_b64 s[14:15]
.LBB1_2606:
	s_or_b64 exec, exec, s[6:7]
	s_and_saveexec_b64 s[6:7], s[4:5]
	s_cbranch_execz .LBB1_2608
.LBB1_2607:
	v_bfe_u32 v12, v3, 8, 3
	v_ffbh_u32_e32 v14, v12
	v_min_u32_e32 v14, 32, v14
	v_lshrrev_b16_e32 v13, 3, v6
	v_subrev_u32_e32 v15, 28, v14
	v_and_b32_e32 v13, 15, v13
	v_lshlrev_b32_e32 v6, v15, v6
	v_sub_u32_e32 v14, 29, v14
	v_and_b32_e32 v6, 7, v6
	v_cmp_eq_u16_e32 vcc, 0, v13
	v_cndmask_b32_e32 v6, v12, v6, vcc
	v_cndmask_b32_e32 v12, v13, v14, vcc
	v_lshlrev_b32_e32 v13, 16, v3
	v_mov_b32_e32 v14, 0x3b800000
	v_lshlrev_b32_e32 v6, 20, v6
	v_and_b32_e32 v13, 0x80000000, v13
	v_lshl_add_u32 v12, v12, 23, v14
	v_or3_b32 v12, v13, v12, v6
.LBB1_2608:
	s_or_b64 exec, exec, s[6:7]
	s_nop 0
	v_mfma_f32_16x16x4f32 a[0:3], v2, v12, a[0:3]
	s_movk_i32 s4, 0xff
	v_and_b32_sdwa v6, v7, s4 dst_sel:DWORD dst_unused:UNUSED_PAD src0_sel:WORD_1 src1_sel:DWORD
	s_movk_i32 s4, 0x7f
	v_cmp_lt_i16_e32 vcc, s4, v6
	s_mov_b64 s[4:5], 0
                                        ; implicit-def: $sgpr10
	s_and_saveexec_b64 s[6:7], vcc
	s_xor_b64 s[6:7], exec, s[6:7]
	s_cbranch_execz .LBB1_2609
; %bb.38449:
	s_getpc_b64 s[14:15]
.Lpost_getpc4888:
	s_add_u32 s14, s14, (.LBB1_16945-.Lpost_getpc4888)&4294967295
	s_addc_u32 s15, s15, (.LBB1_16945-.Lpost_getpc4888)>>32
	s_setpc_b64 s[14:15]
.LBB1_2609:
	s_or_saveexec_b64 s[6:7], s[6:7]
	v_mov_b32_e32 v2, s10
	s_xor_b64 exec, exec, s[6:7]
	s_cbranch_execz .LBB1_2610
; %bb.38451:
	s_getpc_b64 s[14:15]
.Lpost_getpc4889:
	s_add_u32 s14, s14, (.LBB1_16948-.Lpost_getpc4889)&4294967295
	s_addc_u32 s15, s15, (.LBB1_16948-.Lpost_getpc4889)>>32
	s_setpc_b64 s[14:15]
.LBB1_2610:
	s_or_b64 exec, exec, s[6:7]
	s_and_saveexec_b64 s[6:7], s[4:5]
	s_cbranch_execz .LBB1_2612
.LBB1_2611:
	v_bfe_u32 v2, v7, 16, 3
	v_ffbh_u32_e32 v13, v2
	v_min_u32_e32 v13, 32, v13
	v_lshrrev_b32_e32 v6, 19, v7
	v_subrev_u32_e32 v14, 28, v13
	v_and_b32_e32 v6, 15, v6
	v_lshlrev_b32_sdwa v14, v14, v7 dst_sel:DWORD dst_unused:UNUSED_PAD src0_sel:DWORD src1_sel:WORD_1
	v_bfe_u32 v12, v7, 19, 4
	v_sub_u32_e32 v13, 29, v13
	v_and_b32_e32 v14, 7, v14
	v_cmp_eq_u16_e32 vcc, 0, v6
	v_cndmask_b32_e32 v2, v2, v14, vcc
	v_cndmask_b32_e32 v6, v12, v13, vcc
	v_lshlrev_b32_e32 v12, 8, v7
	v_mov_b32_e32 v13, 0x3b800000
	v_lshlrev_b32_e32 v2, 20, v2
	v_and_b32_e32 v12, 0x80000000, v12
	v_lshl_add_u32 v6, v6, 23, v13
	v_or3_b32 v2, v12, v6, v2
.LBB1_2612:
	s_or_b64 exec, exec, s[6:7]
	s_movk_i32 s4, 0xff
	v_and_b32_sdwa v6, v3, s4 dst_sel:DWORD dst_unused:UNUSED_PAD src0_sel:WORD_1 src1_sel:DWORD
	s_movk_i32 s4, 0x7f
	v_cmp_lt_i16_e32 vcc, s4, v6
	s_mov_b64 s[4:5], 0
                                        ; implicit-def: $sgpr10
	s_and_saveexec_b64 s[6:7], vcc
	s_xor_b64 s[6:7], exec, s[6:7]
	s_cbranch_execz .LBB1_2613
; %bb.38453:
	s_getpc_b64 s[14:15]
.Lpost_getpc4890:
	s_add_u32 s14, s14, (.LBB1_16949-.Lpost_getpc4890)&4294967295
	s_addc_u32 s15, s15, (.LBB1_16949-.Lpost_getpc4890)>>32
	s_setpc_b64 s[14:15]
.LBB1_2613:
	s_or_saveexec_b64 s[6:7], s[6:7]
	v_mov_b32_e32 v12, s10
	s_xor_b64 exec, exec, s[6:7]
	s_cbranch_execz .LBB1_2614
; %bb.38455:
	s_getpc_b64 s[14:15]
.Lpost_getpc4891:
	s_add_u32 s14, s14, (.LBB1_16952-.Lpost_getpc4891)&4294967295
	s_addc_u32 s15, s15, (.LBB1_16952-.Lpost_getpc4891)>>32
	s_setpc_b64 s[14:15]
.LBB1_2614:
	s_or_b64 exec, exec, s[6:7]
	s_and_saveexec_b64 s[6:7], s[4:5]
	s_cbranch_execz .LBB1_2616
.LBB1_2615:
	v_bfe_u32 v6, v3, 16, 3
	v_ffbh_u32_e32 v14, v6
	v_min_u32_e32 v14, 32, v14
	v_lshrrev_b32_e32 v12, 19, v3
	v_subrev_u32_e32 v15, 28, v14
	v_and_b32_e32 v12, 15, v12
	v_lshlrev_b32_sdwa v15, v15, v3 dst_sel:DWORD dst_unused:UNUSED_PAD src0_sel:DWORD src1_sel:WORD_1
	v_bfe_u32 v13, v3, 19, 4
	v_sub_u32_e32 v14, 29, v14
	v_and_b32_e32 v15, 7, v15
	v_cmp_eq_u16_e32 vcc, 0, v12
	v_cndmask_b32_e32 v6, v6, v15, vcc
	v_cndmask_b32_e32 v12, v13, v14, vcc
	v_lshlrev_b32_e32 v13, 8, v3
	v_mov_b32_e32 v14, 0x3b800000
	v_lshlrev_b32_e32 v6, 20, v6
	v_and_b32_e32 v13, 0x80000000, v13
	v_lshl_add_u32 v12, v12, 23, v14
	v_or3_b32 v12, v13, v12, v6
.LBB1_2616:
	s_or_b64 exec, exec, s[6:7]
	s_nop 0
	v_mfma_f32_16x16x4f32 a[0:3], v2, v12, a[0:3]
	s_movk_i32 s4, 0x7f
	v_cmp_gt_i16_sdwa s[6:7], v7, s4 src0_sel:BYTE_3 src1_sel:DWORD
	s_mov_b64 s[4:5], 0
                                        ; implicit-def: $sgpr10
	s_and_saveexec_b64 s[8:9], s[6:7]
	s_xor_b64 s[6:7], exec, s[8:9]
	s_cbranch_execz .LBB1_2617
; %bb.38457:
	s_getpc_b64 s[14:15]
.Lpost_getpc4892:
	s_add_u32 s14, s14, (.LBB1_16953-.Lpost_getpc4892)&4294967295
	s_addc_u32 s15, s15, (.LBB1_16953-.Lpost_getpc4892)>>32
	s_setpc_b64 s[14:15]
.LBB1_2617:
	s_or_saveexec_b64 s[6:7], s[6:7]
	v_mov_b32_e32 v2, s10
	s_xor_b64 exec, exec, s[6:7]
	s_cbranch_execz .LBB1_2618
; %bb.38459:
	s_getpc_b64 s[14:15]
.Lpost_getpc4893:
	s_add_u32 s14, s14, (.LBB1_16956-.Lpost_getpc4893)&4294967295
	s_addc_u32 s15, s15, (.LBB1_16956-.Lpost_getpc4893)>>32
	s_setpc_b64 s[14:15]
.LBB1_2618:
	s_or_b64 exec, exec, s[6:7]
	s_and_saveexec_b64 s[6:7], s[4:5]
	s_cbranch_execz .LBB1_2620
.LBB1_2619:
	v_bfe_u32 v2, v7, 24, 3
	v_ffbh_u32_e32 v14, v2
	v_min_u32_e32 v14, 32, v14
	v_lshrrev_b32_e32 v12, 27, v7
	v_subrev_u32_e32 v15, 28, v14
	v_and_b32_e32 v6, 0x80000000, v7
	v_and_b32_e32 v12, 15, v12
	v_bfe_u32 v13, v7, 27, 4
	v_lshlrev_b32_sdwa v7, v15, v7 dst_sel:DWORD dst_unused:UNUSED_PAD src0_sel:DWORD src1_sel:BYTE_3
	v_sub_u32_e32 v14, 29, v14
	v_and_b32_e32 v7, 7, v7
	v_cmp_eq_u16_e32 vcc, 0, v12
	v_cndmask_b32_e32 v2, v2, v7, vcc
	v_cndmask_b32_e32 v7, v13, v14, vcc
	v_mov_b32_e32 v12, 0x3b800000
	v_lshlrev_b32_e32 v2, 20, v2
	v_lshl_add_u32 v7, v7, 23, v12
	v_or3_b32 v2, v6, v7, v2
.LBB1_2620:
	s_or_b64 exec, exec, s[6:7]
	s_movk_i32 s4, 0x7f
	v_cmp_gt_i16_sdwa s[6:7], v3, s4 src0_sel:BYTE_3 src1_sel:DWORD
	s_mov_b64 s[4:5], 0
                                        ; implicit-def: $sgpr10
	s_and_saveexec_b64 s[8:9], s[6:7]
	s_xor_b64 s[6:7], exec, s[8:9]
	s_cbranch_execz .LBB1_2621
; %bb.38461:
	s_getpc_b64 s[14:15]
.Lpost_getpc4894:
	s_add_u32 s14, s14, (.LBB1_16957-.Lpost_getpc4894)&4294967295
	s_addc_u32 s15, s15, (.LBB1_16957-.Lpost_getpc4894)>>32
	s_setpc_b64 s[14:15]
.LBB1_2621:
	s_or_saveexec_b64 s[6:7], s[6:7]
	v_mov_b32_e32 v6, s10
	s_xor_b64 exec, exec, s[6:7]
	s_cbranch_execz .LBB1_2622
; %bb.38463:
	s_getpc_b64 s[14:15]
.Lpost_getpc4895:
	s_add_u32 s14, s14, (.LBB1_16960-.Lpost_getpc4895)&4294967295
	s_addc_u32 s15, s15, (.LBB1_16960-.Lpost_getpc4895)>>32
	s_setpc_b64 s[14:15]
.LBB1_2622:
	s_or_b64 exec, exec, s[6:7]
	s_and_saveexec_b64 s[6:7], s[4:5]
	s_cbranch_execz .LBB1_2624
.LBB1_2623:
	v_bfe_u32 v6, v3, 24, 3
	v_ffbh_u32_e32 v14, v6
	v_min_u32_e32 v14, 32, v14
	v_lshrrev_b32_e32 v12, 27, v3
	v_subrev_u32_e32 v15, 28, v14
	v_and_b32_e32 v7, 0x80000000, v3
	v_and_b32_e32 v12, 15, v12
	v_bfe_u32 v13, v3, 27, 4
	v_lshlrev_b32_sdwa v3, v15, v3 dst_sel:DWORD dst_unused:UNUSED_PAD src0_sel:DWORD src1_sel:BYTE_3
	v_sub_u32_e32 v14, 29, v14
	v_and_b32_e32 v3, 7, v3
	v_cmp_eq_u16_e32 vcc, 0, v12
	v_cndmask_b32_e32 v3, v6, v3, vcc
	v_cndmask_b32_e32 v6, v13, v14, vcc
	v_mov_b32_e32 v12, 0x3b800000
	v_lshlrev_b32_e32 v3, 20, v3
	v_lshl_add_u32 v6, v6, 23, v12
	v_or3_b32 v6, v7, v6, v3
.LBB1_2624:
	s_or_b64 exec, exec, s[6:7]
	s_nop 0
	v_mfma_f32_16x16x4f32 a[0:3], v2, v6, a[0:3]
	s_movk_i32 s4, 0x7f
	v_cmp_gt_i16_sdwa s[6:7], v8, s4 src0_sel:BYTE_0 src1_sel:DWORD
	s_mov_b64 s[4:5], 0
                                        ; implicit-def: $sgpr10
	s_and_saveexec_b64 s[8:9], s[6:7]
	s_xor_b64 s[6:7], exec, s[8:9]
	s_cbranch_execz .LBB1_2625
; %bb.38465:
	s_getpc_b64 s[14:15]
.Lpost_getpc4896:
	s_add_u32 s14, s14, (.LBB1_16961-.Lpost_getpc4896)&4294967295
	s_addc_u32 s15, s15, (.LBB1_16961-.Lpost_getpc4896)>>32
	s_setpc_b64 s[14:15]
.LBB1_2625:
	s_or_saveexec_b64 s[6:7], s[6:7]
	v_mov_b32_e32 v2, s10
	s_xor_b64 exec, exec, s[6:7]
	s_cbranch_execz .LBB1_2626
; %bb.38467:
	s_getpc_b64 s[14:15]
.Lpost_getpc4897:
	s_add_u32 s14, s14, (.LBB1_16964-.Lpost_getpc4897)&4294967295
	s_addc_u32 s15, s15, (.LBB1_16964-.Lpost_getpc4897)>>32
	s_setpc_b64 s[14:15]
.LBB1_2626:
	s_or_b64 exec, exec, s[6:7]
	s_and_saveexec_b64 s[6:7], s[4:5]
	s_cbranch_execz .LBB1_2628
.LBB1_2627:
	v_and_b32_e32 v2, 7, v8
	v_ffbh_u32_e32 v6, v2
	v_min_u32_e32 v6, 32, v6
	v_lshrrev_b16_e32 v3, 3, v8
	v_subrev_u32_e32 v7, 28, v6
	v_and_b32_e32 v3, 15, v3
	v_lshlrev_b32_e32 v7, v7, v8
	v_sub_u32_e32 v6, 29, v6
	v_and_b32_e32 v7, 7, v7
	v_cmp_eq_u16_e32 vcc, 0, v3
	v_cndmask_b32_e32 v2, v2, v7, vcc
	v_cndmask_b32_e32 v3, v3, v6, vcc
	v_lshlrev_b32_e32 v6, 24, v8
	v_mov_b32_e32 v7, 0x3b800000
	v_lshlrev_b32_e32 v2, 20, v2
	v_and_b32_e32 v6, 0x80000000, v6
	v_lshl_add_u32 v3, v3, 23, v7
	v_or3_b32 v2, v6, v3, v2
.LBB1_2628:
	s_or_b64 exec, exec, s[6:7]
	s_movk_i32 s4, 0x7f
	v_cmp_gt_i16_sdwa s[6:7], v4, s4 src0_sel:BYTE_0 src1_sel:DWORD
	s_mov_b64 s[4:5], 0
                                        ; implicit-def: $sgpr10
	s_and_saveexec_b64 s[8:9], s[6:7]
	s_xor_b64 s[6:7], exec, s[8:9]
	s_cbranch_execz .LBB1_2629
; %bb.38469:
	s_getpc_b64 s[14:15]
.Lpost_getpc4898:
	s_add_u32 s14, s14, (.LBB1_16965-.Lpost_getpc4898)&4294967295
	s_addc_u32 s15, s15, (.LBB1_16965-.Lpost_getpc4898)>>32
	s_setpc_b64 s[14:15]
.LBB1_2629:
	s_or_saveexec_b64 s[6:7], s[6:7]
	v_mov_b32_e32 v3, s10
	s_xor_b64 exec, exec, s[6:7]
	s_cbranch_execz .LBB1_2630
; %bb.38471:
	s_getpc_b64 s[14:15]
.Lpost_getpc4899:
	s_add_u32 s14, s14, (.LBB1_16968-.Lpost_getpc4899)&4294967295
	s_addc_u32 s15, s15, (.LBB1_16968-.Lpost_getpc4899)>>32
	s_setpc_b64 s[14:15]
.LBB1_2630:
	s_or_b64 exec, exec, s[6:7]
	s_and_saveexec_b64 s[6:7], s[4:5]
	s_cbranch_execz .LBB1_2632
.LBB1_2631:
	v_and_b32_e32 v3, 7, v4
	v_ffbh_u32_e32 v7, v3
	v_min_u32_e32 v7, 32, v7
	v_lshrrev_b16_e32 v6, 3, v4
	v_subrev_u32_e32 v12, 28, v7
	v_and_b32_e32 v6, 15, v6
	v_lshlrev_b32_e32 v12, v12, v4
	v_sub_u32_e32 v7, 29, v7
	v_and_b32_e32 v12, 7, v12
	v_cmp_eq_u16_e32 vcc, 0, v6
	v_cndmask_b32_e32 v3, v3, v12, vcc
	v_cndmask_b32_e32 v6, v6, v7, vcc
	v_lshlrev_b32_e32 v7, 24, v4
	v_mov_b32_e32 v12, 0x3b800000
	v_lshlrev_b32_e32 v3, 20, v3
	v_and_b32_e32 v7, 0x80000000, v7
	v_lshl_add_u32 v6, v6, 23, v12
	v_or3_b32 v3, v7, v6, v3
.LBB1_2632:
	s_or_b64 exec, exec, s[6:7]
	s_nop 0
	v_mfma_f32_16x16x4f32 a[0:3], v2, v3, a[0:3]
	v_lshrrev_b32_e32 v3, 8, v8
	s_movk_i32 s4, 0x7f
	v_cmp_gt_i16_sdwa s[6:7], v3, s4 src0_sel:BYTE_0 src1_sel:DWORD
	s_mov_b64 s[4:5], 0
                                        ; implicit-def: $sgpr10
	s_and_saveexec_b64 s[8:9], s[6:7]
	s_xor_b64 s[6:7], exec, s[8:9]
	s_cbranch_execz .LBB1_2633
; %bb.38473:
	s_getpc_b64 s[14:15]
.Lpost_getpc4900:
	s_add_u32 s14, s14, (.LBB1_16969-.Lpost_getpc4900)&4294967295
	s_addc_u32 s15, s15, (.LBB1_16969-.Lpost_getpc4900)>>32
	s_setpc_b64 s[14:15]
.LBB1_2633:
	s_or_saveexec_b64 s[6:7], s[6:7]
	v_mov_b32_e32 v2, s10
	s_xor_b64 exec, exec, s[6:7]
	s_cbranch_execz .LBB1_2634
; %bb.38475:
	s_getpc_b64 s[14:15]
.Lpost_getpc4901:
	s_add_u32 s14, s14, (.LBB1_16972-.Lpost_getpc4901)&4294967295
	s_addc_u32 s15, s15, (.LBB1_16972-.Lpost_getpc4901)>>32
	s_setpc_b64 s[14:15]
.LBB1_2634:
	s_or_b64 exec, exec, s[6:7]
	s_and_saveexec_b64 s[6:7], s[4:5]
	s_cbranch_execz .LBB1_2636
.LBB1_2635:
	v_bfe_u32 v2, v8, 8, 3
	v_ffbh_u32_e32 v7, v2
	v_min_u32_e32 v7, 32, v7
	v_lshrrev_b16_e32 v6, 3, v3
	v_subrev_u32_e32 v12, 28, v7
	v_and_b32_e32 v6, 15, v6
	v_lshlrev_b32_e32 v3, v12, v3
	v_sub_u32_e32 v7, 29, v7
	v_and_b32_e32 v3, 7, v3
	v_cmp_eq_u16_e32 vcc, 0, v6
	v_cndmask_b32_e32 v2, v2, v3, vcc
	v_cndmask_b32_e32 v3, v6, v7, vcc
	v_lshlrev_b32_e32 v6, 16, v8
	v_mov_b32_e32 v7, 0x3b800000
	v_lshlrev_b32_e32 v2, 20, v2
	v_and_b32_e32 v6, 0x80000000, v6
	v_lshl_add_u32 v3, v3, 23, v7
	v_or3_b32 v2, v6, v3, v2
.LBB1_2636:
	s_or_b64 exec, exec, s[6:7]
	v_lshrrev_b32_e32 v3, 8, v4
	s_movk_i32 s4, 0x7f
	v_cmp_gt_i16_sdwa s[6:7], v3, s4 src0_sel:BYTE_0 src1_sel:DWORD
	s_mov_b64 s[4:5], 0
                                        ; implicit-def: $sgpr10
	s_and_saveexec_b64 s[8:9], s[6:7]
	s_xor_b64 s[6:7], exec, s[8:9]
	s_cbranch_execz .LBB1_2637
; %bb.38477:
	s_getpc_b64 s[14:15]
.Lpost_getpc4902:
	s_add_u32 s14, s14, (.LBB1_16973-.Lpost_getpc4902)&4294967295
	s_addc_u32 s15, s15, (.LBB1_16973-.Lpost_getpc4902)>>32
	s_setpc_b64 s[14:15]
.LBB1_2637:
	s_or_saveexec_b64 s[6:7], s[6:7]
	v_mov_b32_e32 v6, s10
	s_xor_b64 exec, exec, s[6:7]
	s_cbranch_execz .LBB1_2638
; %bb.38479:
	s_getpc_b64 s[14:15]
.Lpost_getpc4903:
	s_add_u32 s14, s14, (.LBB1_16976-.Lpost_getpc4903)&4294967295
	s_addc_u32 s15, s15, (.LBB1_16976-.Lpost_getpc4903)>>32
	s_setpc_b64 s[14:15]
.LBB1_2638:
	s_or_b64 exec, exec, s[6:7]
	s_and_saveexec_b64 s[6:7], s[4:5]
	s_cbranch_execz .LBB1_2640
.LBB1_2639:
	v_bfe_u32 v6, v4, 8, 3
	v_ffbh_u32_e32 v12, v6
	v_min_u32_e32 v12, 32, v12
	v_lshrrev_b16_e32 v7, 3, v3
	v_subrev_u32_e32 v13, 28, v12
	v_and_b32_e32 v7, 15, v7
	v_lshlrev_b32_e32 v3, v13, v3
	v_sub_u32_e32 v12, 29, v12
	v_and_b32_e32 v3, 7, v3
	v_cmp_eq_u16_e32 vcc, 0, v7
	v_cndmask_b32_e32 v3, v6, v3, vcc
	v_cndmask_b32_e32 v6, v7, v12, vcc
	v_lshlrev_b32_e32 v7, 16, v4
	v_mov_b32_e32 v12, 0x3b800000
	v_lshlrev_b32_e32 v3, 20, v3
	v_and_b32_e32 v7, 0x80000000, v7
	v_lshl_add_u32 v6, v6, 23, v12
	v_or3_b32 v6, v7, v6, v3
.LBB1_2640:
	s_or_b64 exec, exec, s[6:7]
	s_nop 0
	v_mfma_f32_16x16x4f32 a[0:3], v2, v6, a[0:3]
	s_movk_i32 s4, 0xff
	v_and_b32_sdwa v3, v8, s4 dst_sel:DWORD dst_unused:UNUSED_PAD src0_sel:WORD_1 src1_sel:DWORD
	s_movk_i32 s4, 0x7f
	v_cmp_lt_i16_e32 vcc, s4, v3
	s_mov_b64 s[4:5], 0
                                        ; implicit-def: $sgpr10
	s_and_saveexec_b64 s[6:7], vcc
	s_xor_b64 s[6:7], exec, s[6:7]
	s_cbranch_execz .LBB1_2641
; %bb.38481:
	s_getpc_b64 s[14:15]
.Lpost_getpc4904:
	s_add_u32 s14, s14, (.LBB1_16977-.Lpost_getpc4904)&4294967295
	s_addc_u32 s15, s15, (.LBB1_16977-.Lpost_getpc4904)>>32
	s_setpc_b64 s[14:15]
.LBB1_2641:
	s_or_saveexec_b64 s[6:7], s[6:7]
	v_mov_b32_e32 v2, s10
	s_xor_b64 exec, exec, s[6:7]
	s_cbranch_execz .LBB1_2642
; %bb.38483:
	s_getpc_b64 s[14:15]
.Lpost_getpc4905:
	s_add_u32 s14, s14, (.LBB1_16980-.Lpost_getpc4905)&4294967295
	s_addc_u32 s15, s15, (.LBB1_16980-.Lpost_getpc4905)>>32
	s_setpc_b64 s[14:15]
.LBB1_2642:
	s_or_b64 exec, exec, s[6:7]
	s_and_saveexec_b64 s[6:7], s[4:5]
	s_cbranch_execz .LBB1_2644
.LBB1_2643:
	v_bfe_u32 v2, v8, 16, 3
	v_ffbh_u32_e32 v7, v2
	v_min_u32_e32 v7, 32, v7
	v_lshrrev_b32_e32 v3, 19, v8
	v_subrev_u32_e32 v12, 28, v7
	v_and_b32_e32 v3, 15, v3
	v_lshlrev_b32_sdwa v12, v12, v8 dst_sel:DWORD dst_unused:UNUSED_PAD src0_sel:DWORD src1_sel:WORD_1
	v_bfe_u32 v6, v8, 19, 4
	v_sub_u32_e32 v7, 29, v7
	v_and_b32_e32 v12, 7, v12
	v_cmp_eq_u16_e32 vcc, 0, v3
	v_cndmask_b32_e32 v2, v2, v12, vcc
	v_cndmask_b32_e32 v3, v6, v7, vcc
	v_lshlrev_b32_e32 v6, 8, v8
	v_mov_b32_e32 v7, 0x3b800000
	v_lshlrev_b32_e32 v2, 20, v2
	v_and_b32_e32 v6, 0x80000000, v6
	v_lshl_add_u32 v3, v3, 23, v7
	v_or3_b32 v2, v6, v3, v2
.LBB1_2644:
	s_or_b64 exec, exec, s[6:7]
	s_movk_i32 s4, 0xff
	v_and_b32_sdwa v3, v4, s4 dst_sel:DWORD dst_unused:UNUSED_PAD src0_sel:WORD_1 src1_sel:DWORD
	s_movk_i32 s4, 0x7f
	v_cmp_lt_i16_e32 vcc, s4, v3
	s_mov_b64 s[4:5], 0
                                        ; implicit-def: $sgpr10
	s_and_saveexec_b64 s[6:7], vcc
	s_xor_b64 s[6:7], exec, s[6:7]
	s_cbranch_execz .LBB1_2645
; %bb.38485:
	s_getpc_b64 s[14:15]
.Lpost_getpc4906:
	s_add_u32 s14, s14, (.LBB1_16981-.Lpost_getpc4906)&4294967295
	s_addc_u32 s15, s15, (.LBB1_16981-.Lpost_getpc4906)>>32
	s_setpc_b64 s[14:15]
.LBB1_2645:
	s_or_saveexec_b64 s[6:7], s[6:7]
	v_mov_b32_e32 v6, s10
	s_xor_b64 exec, exec, s[6:7]
	s_cbranch_execz .LBB1_2646
; %bb.38487:
	s_getpc_b64 s[14:15]
.Lpost_getpc4907:
	s_add_u32 s14, s14, (.LBB1_16984-.Lpost_getpc4907)&4294967295
	s_addc_u32 s15, s15, (.LBB1_16984-.Lpost_getpc4907)>>32
	s_setpc_b64 s[14:15]
.LBB1_2646:
	s_or_b64 exec, exec, s[6:7]
	s_and_saveexec_b64 s[6:7], s[4:5]
	s_cbranch_execz .LBB1_2648
.LBB1_2647:
	v_bfe_u32 v3, v4, 16, 3
	v_ffbh_u32_e32 v12, v3
	v_min_u32_e32 v12, 32, v12
	v_lshrrev_b32_e32 v6, 19, v4
	v_subrev_u32_e32 v13, 28, v12
	v_and_b32_e32 v6, 15, v6
	v_lshlrev_b32_sdwa v13, v13, v4 dst_sel:DWORD dst_unused:UNUSED_PAD src0_sel:DWORD src1_sel:WORD_1
	v_bfe_u32 v7, v4, 19, 4
	v_sub_u32_e32 v12, 29, v12
	v_and_b32_e32 v13, 7, v13
	v_cmp_eq_u16_e32 vcc, 0, v6
	v_cndmask_b32_e32 v3, v3, v13, vcc
	v_cndmask_b32_e32 v6, v7, v12, vcc
	v_lshlrev_b32_e32 v7, 8, v4
	v_mov_b32_e32 v12, 0x3b800000
	v_lshlrev_b32_e32 v3, 20, v3
	v_and_b32_e32 v7, 0x80000000, v7
	v_lshl_add_u32 v6, v6, 23, v12
	v_or3_b32 v6, v7, v6, v3
.LBB1_2648:
	s_or_b64 exec, exec, s[6:7]
	s_nop 0
	v_mfma_f32_16x16x4f32 a[0:3], v2, v6, a[0:3]
	s_movk_i32 s4, 0x7f
	v_cmp_gt_i16_sdwa s[6:7], v8, s4 src0_sel:BYTE_3 src1_sel:DWORD
	s_mov_b64 s[4:5], 0
                                        ; implicit-def: $sgpr10
	s_and_saveexec_b64 s[8:9], s[6:7]
	s_xor_b64 s[6:7], exec, s[8:9]
	s_cbranch_execz .LBB1_2649
; %bb.38489:
	s_getpc_b64 s[14:15]
.Lpost_getpc4908:
	s_add_u32 s14, s14, (.LBB1_16985-.Lpost_getpc4908)&4294967295
	s_addc_u32 s15, s15, (.LBB1_16985-.Lpost_getpc4908)>>32
	s_setpc_b64 s[14:15]
.LBB1_2649:
	s_or_saveexec_b64 s[6:7], s[6:7]
	v_mov_b32_e32 v2, s10
	s_xor_b64 exec, exec, s[6:7]
	s_cbranch_execz .LBB1_2650
; %bb.38491:
	s_getpc_b64 s[14:15]
.Lpost_getpc4909:
	s_add_u32 s14, s14, (.LBB1_16988-.Lpost_getpc4909)&4294967295
	s_addc_u32 s15, s15, (.LBB1_16988-.Lpost_getpc4909)>>32
	s_setpc_b64 s[14:15]
.LBB1_2650:
	s_or_b64 exec, exec, s[6:7]
	s_and_saveexec_b64 s[6:7], s[4:5]
	s_cbranch_execz .LBB1_2652
.LBB1_2651:
	v_bfe_u32 v2, v8, 24, 3
	v_ffbh_u32_e32 v12, v2
	v_min_u32_e32 v12, 32, v12
	v_lshrrev_b32_e32 v6, 27, v8
	v_subrev_u32_e32 v13, 28, v12
	v_and_b32_e32 v3, 0x80000000, v8
	v_and_b32_e32 v6, 15, v6
	v_bfe_u32 v7, v8, 27, 4
	v_lshlrev_b32_sdwa v8, v13, v8 dst_sel:DWORD dst_unused:UNUSED_PAD src0_sel:DWORD src1_sel:BYTE_3
	v_sub_u32_e32 v12, 29, v12
	v_and_b32_e32 v8, 7, v8
	v_cmp_eq_u16_e32 vcc, 0, v6
	v_cndmask_b32_e32 v2, v2, v8, vcc
	v_cndmask_b32_e32 v6, v7, v12, vcc
	v_mov_b32_e32 v7, 0x3b800000
	v_lshlrev_b32_e32 v2, 20, v2
	v_lshl_add_u32 v6, v6, 23, v7
	v_or3_b32 v2, v3, v6, v2
.LBB1_2652:
	s_or_b64 exec, exec, s[6:7]
	s_movk_i32 s4, 0x7f
	v_cmp_gt_i16_sdwa s[6:7], v4, s4 src0_sel:BYTE_3 src1_sel:DWORD
	s_mov_b64 s[4:5], 0
                                        ; implicit-def: $sgpr10
	s_and_saveexec_b64 s[8:9], s[6:7]
	s_xor_b64 s[6:7], exec, s[8:9]
	s_cbranch_execz .LBB1_2653
; %bb.38493:
	s_getpc_b64 s[14:15]
.Lpost_getpc4910:
	s_add_u32 s14, s14, (.LBB1_16989-.Lpost_getpc4910)&4294967295
	s_addc_u32 s15, s15, (.LBB1_16989-.Lpost_getpc4910)>>32
	s_setpc_b64 s[14:15]
.LBB1_2653:
	s_or_saveexec_b64 s[6:7], s[6:7]
	v_mov_b32_e32 v3, s10
	s_xor_b64 exec, exec, s[6:7]
	s_cbranch_execz .LBB1_2654
; %bb.38495:
	s_getpc_b64 s[14:15]
.Lpost_getpc4911:
	s_add_u32 s14, s14, (.LBB1_16992-.Lpost_getpc4911)&4294967295
	s_addc_u32 s15, s15, (.LBB1_16992-.Lpost_getpc4911)>>32
	s_setpc_b64 s[14:15]
.LBB1_2654:
	s_or_b64 exec, exec, s[6:7]
	s_and_saveexec_b64 s[6:7], s[4:5]
	s_cbranch_execz .LBB1_2656
.LBB1_2655:
	v_bfe_u32 v3, v4, 24, 3
	v_ffbh_u32_e32 v12, v3
	v_min_u32_e32 v12, 32, v12
	v_lshrrev_b32_e32 v7, 27, v4
	v_subrev_u32_e32 v13, 28, v12
	v_and_b32_e32 v6, 0x80000000, v4
	v_and_b32_e32 v7, 15, v7
	v_bfe_u32 v8, v4, 27, 4
	v_lshlrev_b32_sdwa v4, v13, v4 dst_sel:DWORD dst_unused:UNUSED_PAD src0_sel:DWORD src1_sel:BYTE_3
	v_sub_u32_e32 v12, 29, v12
	v_and_b32_e32 v4, 7, v4
	v_cmp_eq_u16_e32 vcc, 0, v7
	v_cndmask_b32_e32 v3, v3, v4, vcc
	v_cndmask_b32_e32 v4, v8, v12, vcc
	v_mov_b32_e32 v7, 0x3b800000
	v_lshlrev_b32_e32 v3, 20, v3
	v_lshl_add_u32 v4, v4, 23, v7
	v_or3_b32 v3, v6, v4, v3
.LBB1_2656:
	s_or_b64 exec, exec, s[6:7]
	s_nop 0
	v_mfma_f32_16x16x4f32 a[0:3], v2, v3, a[0:3]
	s_movk_i32 s4, 0x7f
	v_cmp_gt_i16_sdwa s[6:7], v9, s4 src0_sel:BYTE_0 src1_sel:DWORD
	s_mov_b64 s[4:5], 0
                                        ; implicit-def: $sgpr10
	s_and_saveexec_b64 s[8:9], s[6:7]
	s_xor_b64 s[6:7], exec, s[8:9]
	s_cbranch_execz .LBB1_2657
; %bb.38497:
	s_getpc_b64 s[14:15]
.Lpost_getpc4912:
	s_add_u32 s14, s14, (.LBB1_16993-.Lpost_getpc4912)&4294967295
	s_addc_u32 s15, s15, (.LBB1_16993-.Lpost_getpc4912)>>32
	s_setpc_b64 s[14:15]
.LBB1_2657:
	s_or_saveexec_b64 s[6:7], s[6:7]
	v_mov_b32_e32 v2, s10
	s_xor_b64 exec, exec, s[6:7]
	s_cbranch_execz .LBB1_2658
; %bb.38499:
	s_getpc_b64 s[14:15]
.Lpost_getpc4913:
	s_add_u32 s14, s14, (.LBB1_16996-.Lpost_getpc4913)&4294967295
	s_addc_u32 s15, s15, (.LBB1_16996-.Lpost_getpc4913)>>32
	s_setpc_b64 s[14:15]
.LBB1_2658:
	s_or_b64 exec, exec, s[6:7]
	s_and_saveexec_b64 s[6:7], s[4:5]
	s_cbranch_execz .LBB1_2660
.LBB1_2659:
	v_mov_b32_e32 v2, 8
	v_and_b32_e32 v3, 7, v9
	v_lshrrev_b32_sdwa v2, v2, v9 dst_sel:BYTE_1 dst_unused:UNUSED_PAD src0_sel:DWORD src1_sel:DWORD
	v_ffbh_u32_e32 v4, v3
	v_or_b32_sdwa v2, v9, v2 dst_sel:DWORD dst_unused:UNUSED_PAD src0_sel:BYTE_0 src1_sel:DWORD
	v_min_u32_e32 v4, 32, v4
	v_lshrrev_b16_e32 v2, 3, v2
	v_subrev_u32_e32 v6, 28, v4
	v_and_b32_e32 v2, 15, v2
	v_lshlrev_b32_e32 v6, v6, v9
	v_sub_u32_e32 v4, 29, v4
	v_and_b32_e32 v6, 7, v6
	v_cmp_eq_u16_e32 vcc, 0, v2
	v_cndmask_b32_e32 v3, v3, v6, vcc
	v_cndmask_b32_e32 v2, v2, v4, vcc
	v_lshlrev_b32_e32 v4, 24, v9
	v_mov_b32_e32 v6, 0x3b800000
	v_lshlrev_b32_e32 v3, 20, v3
	v_and_b32_e32 v4, 0x80000000, v4
	v_lshl_add_u32 v2, v2, 23, v6
	v_or3_b32 v2, v4, v2, v3
.LBB1_2660:
	s_or_b64 exec, exec, s[6:7]
	s_movk_i32 s4, 0x7f
	v_cmp_gt_i16_sdwa s[6:7], v5, s4 src0_sel:BYTE_0 src1_sel:DWORD
	s_mov_b64 s[4:5], 0
                                        ; implicit-def: $sgpr10
	s_and_saveexec_b64 s[8:9], s[6:7]
	s_xor_b64 s[6:7], exec, s[8:9]
	s_cbranch_execz .LBB1_2661
; %bb.38501:
	s_getpc_b64 s[14:15]
.Lpost_getpc4914:
	s_add_u32 s14, s14, (.LBB1_16997-.Lpost_getpc4914)&4294967295
	s_addc_u32 s15, s15, (.LBB1_16997-.Lpost_getpc4914)>>32
	s_setpc_b64 s[14:15]
.LBB1_2661:
	s_or_saveexec_b64 s[6:7], s[6:7]
	v_mov_b32_e32 v3, s10
	s_xor_b64 exec, exec, s[6:7]
	s_cbranch_execz .LBB1_2662
; %bb.38503:
	s_getpc_b64 s[14:15]
.Lpost_getpc4915:
	s_add_u32 s14, s14, (.LBB1_17000-.Lpost_getpc4915)&4294967295
	s_addc_u32 s15, s15, (.LBB1_17000-.Lpost_getpc4915)>>32
	s_setpc_b64 s[14:15]
.LBB1_2662:
	s_or_b64 exec, exec, s[6:7]
	s_and_saveexec_b64 s[6:7], s[4:5]
	s_cbranch_execz .LBB1_2664
.LBB1_2663:
	v_mov_b32_e32 v3, 8
	v_and_b32_e32 v4, 7, v5
	v_lshrrev_b32_sdwa v3, v3, v5 dst_sel:BYTE_1 dst_unused:UNUSED_PAD src0_sel:DWORD src1_sel:DWORD
	v_ffbh_u32_e32 v6, v4
	v_or_b32_sdwa v3, v5, v3 dst_sel:DWORD dst_unused:UNUSED_PAD src0_sel:BYTE_0 src1_sel:DWORD
	v_min_u32_e32 v6, 32, v6
	v_lshrrev_b16_e32 v3, 3, v3
	v_subrev_u32_e32 v7, 28, v6
	v_and_b32_e32 v3, 15, v3
	v_lshlrev_b32_e32 v7, v7, v5
	v_sub_u32_e32 v6, 29, v6
	v_and_b32_e32 v7, 7, v7
	v_cmp_eq_u16_e32 vcc, 0, v3
	v_cndmask_b32_e32 v4, v4, v7, vcc
	v_cndmask_b32_e32 v3, v3, v6, vcc
	v_lshlrev_b32_e32 v6, 24, v5
	v_mov_b32_e32 v7, 0x3b800000
	v_lshlrev_b32_e32 v4, 20, v4
	v_and_b32_e32 v6, 0x80000000, v6
	v_lshl_add_u32 v3, v3, 23, v7
	v_or3_b32 v3, v6, v3, v4
.LBB1_2664:
	s_or_b64 exec, exec, s[6:7]
	s_nop 0
	v_mfma_f32_16x16x4f32 a[0:3], v2, v3, a[0:3]
	v_lshrrev_b32_e32 v3, 8, v9
	s_movk_i32 s4, 0x7f
	v_cmp_gt_i16_sdwa s[6:7], v3, s4 src0_sel:BYTE_0 src1_sel:DWORD
	s_mov_b64 s[4:5], 0
                                        ; implicit-def: $sgpr10
	s_and_saveexec_b64 s[8:9], s[6:7]
	s_xor_b64 s[6:7], exec, s[8:9]
	s_cbranch_execz .LBB1_2665
; %bb.38505:
	s_getpc_b64 s[14:15]
.Lpost_getpc4916:
	s_add_u32 s14, s14, (.LBB1_17001-.Lpost_getpc4916)&4294967295
	s_addc_u32 s15, s15, (.LBB1_17001-.Lpost_getpc4916)>>32
	s_setpc_b64 s[14:15]
.LBB1_2665:
	s_or_saveexec_b64 s[6:7], s[6:7]
	v_mov_b32_e32 v2, s10
	s_xor_b64 exec, exec, s[6:7]
	s_cbranch_execz .LBB1_2666
; %bb.38507:
	s_getpc_b64 s[14:15]
.Lpost_getpc4917:
	s_add_u32 s14, s14, (.LBB1_17004-.Lpost_getpc4917)&4294967295
	s_addc_u32 s15, s15, (.LBB1_17004-.Lpost_getpc4917)>>32
	s_setpc_b64 s[14:15]
.LBB1_2666:
	s_or_b64 exec, exec, s[6:7]
	s_and_saveexec_b64 s[6:7], s[4:5]
	s_cbranch_execz .LBB1_2668
.LBB1_2667:
	v_bfe_u32 v2, v9, 8, 3
	v_ffbh_u32_e32 v6, v2
	v_min_u32_e32 v6, 32, v6
	v_lshrrev_b16_e32 v4, 3, v3
	v_subrev_u32_e32 v7, 28, v6
	v_and_b32_e32 v4, 15, v4
	v_lshlrev_b32_e32 v3, v7, v3
	v_sub_u32_e32 v6, 29, v6
	v_and_b32_e32 v3, 7, v3
	v_cmp_eq_u16_e32 vcc, 0, v4
	v_cndmask_b32_e32 v2, v2, v3, vcc
	v_cndmask_b32_e32 v3, v4, v6, vcc
	v_lshlrev_b32_e32 v4, 16, v9
	v_mov_b32_e32 v6, 0x3b800000
	v_lshlrev_b32_e32 v2, 20, v2
	v_and_b32_e32 v4, 0x80000000, v4
	v_lshl_add_u32 v3, v3, 23, v6
	v_or3_b32 v2, v4, v3, v2
.LBB1_2668:
	s_or_b64 exec, exec, s[6:7]
	v_lshrrev_b32_e32 v3, 8, v5
	s_movk_i32 s4, 0x7f
	v_cmp_gt_i16_sdwa s[6:7], v3, s4 src0_sel:BYTE_0 src1_sel:DWORD
	s_mov_b64 s[4:5], 0
                                        ; implicit-def: $sgpr10
	s_and_saveexec_b64 s[8:9], s[6:7]
	s_xor_b64 s[6:7], exec, s[8:9]
	s_cbranch_execz .LBB1_2669
; %bb.38509:
	s_getpc_b64 s[14:15]
.Lpost_getpc4918:
	s_add_u32 s14, s14, (.LBB1_17005-.Lpost_getpc4918)&4294967295
	s_addc_u32 s15, s15, (.LBB1_17005-.Lpost_getpc4918)>>32
	s_setpc_b64 s[14:15]
.LBB1_2669:
	s_or_saveexec_b64 s[6:7], s[6:7]
	v_mov_b32_e32 v4, s10
	s_xor_b64 exec, exec, s[6:7]
	s_cbranch_execz .LBB1_2670
; %bb.38511:
	s_getpc_b64 s[14:15]
.Lpost_getpc4919:
	s_add_u32 s14, s14, (.LBB1_17008-.Lpost_getpc4919)&4294967295
	s_addc_u32 s15, s15, (.LBB1_17008-.Lpost_getpc4919)>>32
	s_setpc_b64 s[14:15]
.LBB1_2670:
	s_or_b64 exec, exec, s[6:7]
	s_and_saveexec_b64 s[6:7], s[4:5]
	s_cbranch_execz .LBB1_2672
.LBB1_2671:
	v_bfe_u32 v4, v5, 8, 3
	v_ffbh_u32_e32 v7, v4
	v_min_u32_e32 v7, 32, v7
	v_lshrrev_b16_e32 v6, 3, v3
	v_subrev_u32_e32 v8, 28, v7
	v_and_b32_e32 v6, 15, v6
	v_lshlrev_b32_e32 v3, v8, v3
	v_sub_u32_e32 v7, 29, v7
	v_and_b32_e32 v3, 7, v3
	v_cmp_eq_u16_e32 vcc, 0, v6
	v_cndmask_b32_e32 v3, v4, v3, vcc
	v_cndmask_b32_e32 v4, v6, v7, vcc
	v_lshlrev_b32_e32 v6, 16, v5
	v_mov_b32_e32 v7, 0x3b800000
	v_lshlrev_b32_e32 v3, 20, v3
	v_and_b32_e32 v6, 0x80000000, v6
	v_lshl_add_u32 v4, v4, 23, v7
	v_or3_b32 v4, v6, v4, v3
.LBB1_2672:
	s_or_b64 exec, exec, s[6:7]
	s_nop 0
	v_mfma_f32_16x16x4f32 a[0:3], v2, v4, a[0:3]
	s_movk_i32 s4, 0xff
	v_and_b32_sdwa v3, v9, s4 dst_sel:DWORD dst_unused:UNUSED_PAD src0_sel:WORD_1 src1_sel:DWORD
	s_movk_i32 s4, 0x7f
	v_cmp_lt_i16_e32 vcc, s4, v3
	s_mov_b64 s[4:5], 0
                                        ; implicit-def: $sgpr10
	s_and_saveexec_b64 s[6:7], vcc
	s_xor_b64 s[6:7], exec, s[6:7]
	s_cbranch_execz .LBB1_2673
; %bb.38513:
	s_getpc_b64 s[14:15]
.Lpost_getpc4920:
	s_add_u32 s14, s14, (.LBB1_17009-.Lpost_getpc4920)&4294967295
	s_addc_u32 s15, s15, (.LBB1_17009-.Lpost_getpc4920)>>32
	s_setpc_b64 s[14:15]
.LBB1_2673:
	s_or_saveexec_b64 s[6:7], s[6:7]
	v_mov_b32_e32 v2, s10
	s_xor_b64 exec, exec, s[6:7]
	s_cbranch_execz .LBB1_2674
; %bb.38515:
	s_getpc_b64 s[14:15]
.Lpost_getpc4921:
	s_add_u32 s14, s14, (.LBB1_17012-.Lpost_getpc4921)&4294967295
	s_addc_u32 s15, s15, (.LBB1_17012-.Lpost_getpc4921)>>32
	s_setpc_b64 s[14:15]
.LBB1_2674:
	s_or_b64 exec, exec, s[6:7]
	s_and_saveexec_b64 s[6:7], s[4:5]
	s_cbranch_execz .LBB1_2676
.LBB1_2675:
	v_bfe_u32 v2, v9, 16, 3
	v_ffbh_u32_e32 v6, v2
	v_min_u32_e32 v6, 32, v6
	v_lshrrev_b32_e32 v3, 19, v9
	v_subrev_u32_e32 v7, 28, v6
	v_and_b32_e32 v3, 15, v3
	v_lshlrev_b32_sdwa v7, v7, v9 dst_sel:DWORD dst_unused:UNUSED_PAD src0_sel:DWORD src1_sel:WORD_1
	v_bfe_u32 v4, v9, 19, 4
	v_sub_u32_e32 v6, 29, v6
	v_and_b32_e32 v7, 7, v7
	v_cmp_eq_u16_e32 vcc, 0, v3
	v_cndmask_b32_e32 v2, v2, v7, vcc
	v_cndmask_b32_e32 v3, v4, v6, vcc
	v_lshlrev_b32_e32 v4, 8, v9
	v_mov_b32_e32 v6, 0x3b800000
	v_lshlrev_b32_e32 v2, 20, v2
	v_and_b32_e32 v4, 0x80000000, v4
	v_lshl_add_u32 v3, v3, 23, v6
	v_or3_b32 v2, v4, v3, v2
.LBB1_2676:
	s_or_b64 exec, exec, s[6:7]
	s_movk_i32 s4, 0xff
	v_and_b32_sdwa v3, v5, s4 dst_sel:DWORD dst_unused:UNUSED_PAD src0_sel:WORD_1 src1_sel:DWORD
	s_movk_i32 s4, 0x7f
	v_cmp_lt_i16_e32 vcc, s4, v3
	s_mov_b64 s[4:5], 0
                                        ; implicit-def: $sgpr10
	s_and_saveexec_b64 s[6:7], vcc
	s_xor_b64 s[6:7], exec, s[6:7]
	s_cbranch_execz .LBB1_2677
; %bb.38517:
	s_getpc_b64 s[14:15]
.Lpost_getpc4922:
	s_add_u32 s14, s14, (.LBB1_17013-.Lpost_getpc4922)&4294967295
	s_addc_u32 s15, s15, (.LBB1_17013-.Lpost_getpc4922)>>32
	s_setpc_b64 s[14:15]
.LBB1_2677:
	s_or_saveexec_b64 s[6:7], s[6:7]
	v_mov_b32_e32 v4, s10
	s_xor_b64 exec, exec, s[6:7]
	s_cbranch_execz .LBB1_2678
; %bb.38519:
	s_getpc_b64 s[14:15]
.Lpost_getpc4923:
	s_add_u32 s14, s14, (.LBB1_17016-.Lpost_getpc4923)&4294967295
	s_addc_u32 s15, s15, (.LBB1_17016-.Lpost_getpc4923)>>32
	s_setpc_b64 s[14:15]
.LBB1_2678:
	s_or_b64 exec, exec, s[6:7]
	s_and_saveexec_b64 s[6:7], s[4:5]
	s_cbranch_execz .LBB1_2680
.LBB1_2679:
	v_bfe_u32 v3, v5, 16, 3
	v_ffbh_u32_e32 v7, v3
	v_min_u32_e32 v7, 32, v7
	v_lshrrev_b32_e32 v4, 19, v5
	v_subrev_u32_e32 v8, 28, v7
	v_and_b32_e32 v4, 15, v4
	v_lshlrev_b32_sdwa v8, v8, v5 dst_sel:DWORD dst_unused:UNUSED_PAD src0_sel:DWORD src1_sel:WORD_1
	v_bfe_u32 v6, v5, 19, 4
	v_sub_u32_e32 v7, 29, v7
	v_and_b32_e32 v8, 7, v8
	v_cmp_eq_u16_e32 vcc, 0, v4
	v_cndmask_b32_e32 v3, v3, v8, vcc
	v_cndmask_b32_e32 v4, v6, v7, vcc
	v_lshlrev_b32_e32 v6, 8, v5
	v_mov_b32_e32 v7, 0x3b800000
	v_lshlrev_b32_e32 v3, 20, v3
	v_and_b32_e32 v6, 0x80000000, v6
	v_lshl_add_u32 v4, v4, 23, v7
	v_or3_b32 v4, v6, v4, v3
.LBB1_2680:
	s_or_b64 exec, exec, s[6:7]
	s_nop 0
	v_mfma_f32_16x16x4f32 a[0:3], v2, v4, a[0:3]
	s_movk_i32 s4, 0x7f
	v_cmp_gt_i16_sdwa s[6:7], v9, s4 src0_sel:BYTE_3 src1_sel:DWORD
	s_mov_b64 s[4:5], 0
                                        ; implicit-def: $sgpr10
	s_and_saveexec_b64 s[8:9], s[6:7]
	s_xor_b64 s[6:7], exec, s[8:9]
	s_cbranch_execz .LBB1_2681
; %bb.38521:
	s_getpc_b64 s[14:15]
.Lpost_getpc4924:
	s_add_u32 s14, s14, (.LBB1_17017-.Lpost_getpc4924)&4294967295
	s_addc_u32 s15, s15, (.LBB1_17017-.Lpost_getpc4924)>>32
	s_setpc_b64 s[14:15]
.LBB1_2681:
	s_or_saveexec_b64 s[6:7], s[6:7]
	v_mov_b32_e32 v2, s10
	s_xor_b64 exec, exec, s[6:7]
	s_cbranch_execz .LBB1_2682
; %bb.38523:
	s_getpc_b64 s[14:15]
.Lpost_getpc4925:
	s_add_u32 s14, s14, (.LBB1_17020-.Lpost_getpc4925)&4294967295
	s_addc_u32 s15, s15, (.LBB1_17020-.Lpost_getpc4925)>>32
	s_setpc_b64 s[14:15]
.LBB1_2682:
	s_or_b64 exec, exec, s[6:7]
	s_and_saveexec_b64 s[6:7], s[4:5]
	s_cbranch_execz .LBB1_2684
.LBB1_2683:
	v_bfe_u32 v2, v9, 24, 3
	v_ffbh_u32_e32 v7, v2
	v_min_u32_e32 v7, 32, v7
	v_lshrrev_b32_e32 v4, 27, v9
	v_subrev_u32_e32 v8, 28, v7
	v_and_b32_e32 v4, 15, v4
	v_lshlrev_b32_sdwa v8, v8, v9 dst_sel:DWORD dst_unused:UNUSED_PAD src0_sel:DWORD src1_sel:BYTE_3
	v_bfe_u32 v6, v9, 27, 4
	v_sub_u32_e32 v7, 29, v7
	v_and_b32_e32 v8, 7, v8
	v_cmp_eq_u16_e32 vcc, 0, v4
	v_cndmask_b32_e32 v2, v2, v8, vcc
	v_cndmask_b32_e32 v4, v6, v7, vcc
	v_mov_b32_e32 v6, 0x3b800000
	v_and_b32_e32 v3, 0x80000000, v9
	v_lshlrev_b32_e32 v2, 20, v2
	v_lshl_add_u32 v4, v4, 23, v6
	v_or3_b32 v2, v3, v4, v2
.LBB1_2684:
	s_or_b64 exec, exec, s[6:7]
	s_movk_i32 s4, 0x7f
	v_cmp_gt_i16_sdwa s[6:7], v5, s4 src0_sel:BYTE_3 src1_sel:DWORD
	s_mov_b64 s[4:5], 0
                                        ; implicit-def: $sgpr10
	s_and_saveexec_b64 s[8:9], s[6:7]
	s_xor_b64 s[6:7], exec, s[8:9]
	s_cbranch_execz .LBB1_2685
; %bb.38525:
	s_getpc_b64 s[14:15]
.Lpost_getpc4926:
	s_add_u32 s14, s14, (.LBB1_17021-.Lpost_getpc4926)&4294967295
	s_addc_u32 s15, s15, (.LBB1_17021-.Lpost_getpc4926)>>32
	s_setpc_b64 s[14:15]
.LBB1_2685:
	s_or_saveexec_b64 s[6:7], s[6:7]
	v_mov_b32_e32 v3, s10
	s_xor_b64 exec, exec, s[6:7]
	s_cbranch_execz .LBB1_2686
; %bb.38527:
	s_getpc_b64 s[14:15]
.Lpost_getpc4927:
	s_add_u32 s14, s14, (.LBB1_17024-.Lpost_getpc4927)&4294967295
	s_addc_u32 s15, s15, (.LBB1_17024-.Lpost_getpc4927)>>32
	s_setpc_b64 s[14:15]
.LBB1_2686:
	s_or_b64 exec, exec, s[6:7]
	s_and_saveexec_b64 s[6:7], s[4:5]
	s_cbranch_execz .LBB1_2688
.LBB1_2687:
	v_bfe_u32 v3, v5, 24, 3
	v_ffbh_u32_e32 v8, v3
	v_min_u32_e32 v8, 32, v8
	v_lshrrev_b32_e32 v6, 27, v5
	v_subrev_u32_e32 v9, 28, v8
	v_and_b32_e32 v4, 0x80000000, v5
	v_and_b32_e32 v6, 15, v6
	v_bfe_u32 v7, v5, 27, 4
	v_lshlrev_b32_sdwa v5, v9, v5 dst_sel:DWORD dst_unused:UNUSED_PAD src0_sel:DWORD src1_sel:BYTE_3
	v_sub_u32_e32 v8, 29, v8
	v_and_b32_e32 v5, 7, v5
	v_cmp_eq_u16_e32 vcc, 0, v6
	v_cndmask_b32_e32 v3, v3, v5, vcc
	v_cndmask_b32_e32 v5, v7, v8, vcc
	v_mov_b32_e32 v6, 0x3b800000
	v_lshlrev_b32_e32 v3, 20, v3
	v_lshl_add_u32 v5, v5, 23, v6
	v_or3_b32 v3, v4, v5, v3
.LBB1_2688:
	s_or_b64 exec, exec, s[6:7]
	s_nop 0
	v_mfma_f32_16x16x4f32 a[0:3], v2, v3, a[0:3]
	s_movk_i32 s4, 0x7f
                                        ; implicit-def: $sgpr10
	s_nop 7
	s_nop 1
	flat_store_dwordx4 v[10:11], a[0:3] offset:320
	flat_load_dwordx4 v[12:15], v[0:1]
	s_nop 0
	flat_load_dwordx2 v[10:11], v[0:1] offset:16
	s_waitcnt vmcnt(0) lgkmcnt(0)
	flat_load_dwordx4 v[6:9], v[12:13] offset:32
	flat_load_dwordx4 v[2:5], v[14:15] offset:80
	s_waitcnt vmcnt(0) lgkmcnt(0)
	v_cmp_gt_i16_sdwa s[6:7], v6, s4 src0_sel:BYTE_0 src1_sel:DWORD
	s_mov_b64 s[4:5], 0
	s_and_saveexec_b64 s[8:9], s[6:7]
	s_xor_b64 s[6:7], exec, s[8:9]
	s_cbranch_execz .LBB1_2689
; %bb.38529:
	s_getpc_b64 s[14:15]
.Lpost_getpc4928:
	s_add_u32 s14, s14, (.LBB1_17025-.Lpost_getpc4928)&4294967295
	s_addc_u32 s15, s15, (.LBB1_17025-.Lpost_getpc4928)>>32
	s_setpc_b64 s[14:15]
.LBB1_2689:
	s_or_saveexec_b64 s[6:7], s[6:7]
	v_mov_b32_e32 v12, s10
	s_xor_b64 exec, exec, s[6:7]
	s_cbranch_execz .LBB1_2690
; %bb.38531:
	s_getpc_b64 s[14:15]
.Lpost_getpc4929:
	s_add_u32 s14, s14, (.LBB1_17028-.Lpost_getpc4929)&4294967295
	s_addc_u32 s15, s15, (.LBB1_17028-.Lpost_getpc4929)>>32
	s_setpc_b64 s[14:15]
.LBB1_2690:
	s_or_b64 exec, exec, s[6:7]
	s_and_saveexec_b64 s[6:7], s[4:5]
	s_cbranch_execz .LBB1_2692
.LBB1_2691:
	v_and_b32_e32 v12, 7, v6
	v_ffbh_u32_e32 v14, v12
	v_min_u32_e32 v14, 32, v14
	v_lshrrev_b16_e32 v13, 3, v6
	v_subrev_u32_e32 v15, 28, v14
	v_and_b32_e32 v13, 15, v13
	v_lshlrev_b32_e32 v15, v15, v6
	v_sub_u32_e32 v14, 29, v14
	v_and_b32_e32 v15, 7, v15
	v_cmp_eq_u16_e32 vcc, 0, v13
	v_cndmask_b32_e32 v12, v12, v15, vcc
	v_cndmask_b32_e32 v13, v13, v14, vcc
	v_lshlrev_b32_e32 v14, 24, v6
	v_mov_b32_e32 v15, 0x3b800000
	v_lshlrev_b32_e32 v12, 20, v12
	v_and_b32_e32 v14, 0x80000000, v14
	v_lshl_add_u32 v13, v13, 23, v15
	v_or3_b32 v12, v14, v13, v12
.LBB1_2692:
	s_or_b64 exec, exec, s[6:7]
	s_movk_i32 s4, 0x7f
	v_cmp_gt_i16_sdwa s[6:7], v2, s4 src0_sel:BYTE_0 src1_sel:DWORD
	s_mov_b64 s[4:5], 0
                                        ; implicit-def: $sgpr10
	s_and_saveexec_b64 s[8:9], s[6:7]
	s_xor_b64 s[6:7], exec, s[8:9]
	s_cbranch_execz .LBB1_2693
; %bb.38533:
	s_getpc_b64 s[14:15]
.Lpost_getpc4930:
	s_add_u32 s14, s14, (.LBB1_17029-.Lpost_getpc4930)&4294967295
	s_addc_u32 s15, s15, (.LBB1_17029-.Lpost_getpc4930)>>32
	s_setpc_b64 s[14:15]
.LBB1_2693:
	s_or_saveexec_b64 s[6:7], s[6:7]
	v_mov_b32_e32 v13, s10
	s_xor_b64 exec, exec, s[6:7]
	s_cbranch_execz .LBB1_2694
; %bb.38535:
	s_getpc_b64 s[14:15]
.Lpost_getpc4931:
	s_add_u32 s14, s14, (.LBB1_17032-.Lpost_getpc4931)&4294967295
	s_addc_u32 s15, s15, (.LBB1_17032-.Lpost_getpc4931)>>32
	s_setpc_b64 s[14:15]
.LBB1_2694:
	s_or_b64 exec, exec, s[6:7]
	s_and_saveexec_b64 s[6:7], s[4:5]
	s_cbranch_execz .LBB1_2696
.LBB1_2695:
	v_and_b32_e32 v13, 7, v2
	v_ffbh_u32_e32 v15, v13
	v_min_u32_e32 v15, 32, v15
	v_lshrrev_b16_e32 v14, 3, v2
	v_subrev_u32_e32 v16, 28, v15
	v_and_b32_e32 v14, 15, v14
	v_lshlrev_b32_e32 v16, v16, v2
	v_sub_u32_e32 v15, 29, v15
	v_and_b32_e32 v16, 7, v16
	v_cmp_eq_u16_e32 vcc, 0, v14
	v_cndmask_b32_e32 v13, v13, v16, vcc
	v_cndmask_b32_e32 v14, v14, v15, vcc
	v_lshlrev_b32_e32 v15, 24, v2
	v_mov_b32_e32 v16, 0x3b800000
	v_lshlrev_b32_e32 v13, 20, v13
	v_and_b32_e32 v15, 0x80000000, v15
	v_lshl_add_u32 v14, v14, 23, v16
	v_or3_b32 v13, v15, v14, v13
.LBB1_2696:
	s_or_b64 exec, exec, s[6:7]
	flat_load_dwordx4 a[0:3], v[10:11] offset:336
	s_movk_i32 s4, 0x7f
                                        ; implicit-def: $sgpr10
	s_waitcnt vmcnt(0) lgkmcnt(0)
	v_mfma_f32_16x16x4f32 a[0:3], v12, v13, a[0:3]
	v_lshrrev_b32_e32 v13, 8, v6
	v_cmp_gt_i16_sdwa s[6:7], v13, s4 src0_sel:BYTE_0 src1_sel:DWORD
	s_mov_b64 s[4:5], 0
	s_and_saveexec_b64 s[8:9], s[6:7]
	s_xor_b64 s[6:7], exec, s[8:9]
	s_cbranch_execz .LBB1_2697
; %bb.38537:
	s_getpc_b64 s[14:15]
.Lpost_getpc4932:
	s_add_u32 s14, s14, (.LBB1_17033-.Lpost_getpc4932)&4294967295
	s_addc_u32 s15, s15, (.LBB1_17033-.Lpost_getpc4932)>>32
	s_setpc_b64 s[14:15]
.LBB1_2697:
	s_or_saveexec_b64 s[6:7], s[6:7]
	v_mov_b32_e32 v12, s10
	s_xor_b64 exec, exec, s[6:7]
	s_cbranch_execz .LBB1_2698
; %bb.38539:
	s_getpc_b64 s[14:15]
.Lpost_getpc4933:
	s_add_u32 s14, s14, (.LBB1_17036-.Lpost_getpc4933)&4294967295
	s_addc_u32 s15, s15, (.LBB1_17036-.Lpost_getpc4933)>>32
	s_setpc_b64 s[14:15]
.LBB1_2698:
	s_or_b64 exec, exec, s[6:7]
	s_and_saveexec_b64 s[6:7], s[4:5]
	s_cbranch_execz .LBB1_2700
.LBB1_2699:
	v_bfe_u32 v12, v6, 8, 3
	v_ffbh_u32_e32 v15, v12
	v_min_u32_e32 v15, 32, v15
	v_lshrrev_b16_e32 v14, 3, v13
	v_subrev_u32_e32 v16, 28, v15
	v_and_b32_e32 v14, 15, v14
	v_lshlrev_b32_e32 v13, v16, v13
	v_sub_u32_e32 v15, 29, v15
	v_and_b32_e32 v13, 7, v13
	v_cmp_eq_u16_e32 vcc, 0, v14
	v_cndmask_b32_e32 v12, v12, v13, vcc
	v_cndmask_b32_e32 v13, v14, v15, vcc
	v_lshlrev_b32_e32 v14, 16, v6
	v_mov_b32_e32 v15, 0x3b800000
	v_lshlrev_b32_e32 v12, 20, v12
	v_and_b32_e32 v14, 0x80000000, v14
	v_lshl_add_u32 v13, v13, 23, v15
	v_or3_b32 v12, v14, v13, v12
.LBB1_2700:
	s_or_b64 exec, exec, s[6:7]
	v_lshrrev_b32_e32 v13, 8, v2
	s_movk_i32 s4, 0x7f
	v_cmp_gt_i16_sdwa s[6:7], v13, s4 src0_sel:BYTE_0 src1_sel:DWORD
	s_mov_b64 s[4:5], 0
                                        ; implicit-def: $sgpr10
	s_and_saveexec_b64 s[8:9], s[6:7]
	s_xor_b64 s[6:7], exec, s[8:9]
	s_cbranch_execz .LBB1_2701
; %bb.38541:
	s_getpc_b64 s[14:15]
.Lpost_getpc4934:
	s_add_u32 s14, s14, (.LBB1_17037-.Lpost_getpc4934)&4294967295
	s_addc_u32 s15, s15, (.LBB1_17037-.Lpost_getpc4934)>>32
	s_setpc_b64 s[14:15]
.LBB1_2701:
	s_or_saveexec_b64 s[6:7], s[6:7]
	v_mov_b32_e32 v14, s10
	s_xor_b64 exec, exec, s[6:7]
	s_cbranch_execz .LBB1_2702
; %bb.38543:
	s_getpc_b64 s[14:15]
.Lpost_getpc4935:
	s_add_u32 s14, s14, (.LBB1_17040-.Lpost_getpc4935)&4294967295
	s_addc_u32 s15, s15, (.LBB1_17040-.Lpost_getpc4935)>>32
	s_setpc_b64 s[14:15]
.LBB1_2702:
	s_or_b64 exec, exec, s[6:7]
	s_and_saveexec_b64 s[6:7], s[4:5]
	s_cbranch_execz .LBB1_2704
.LBB1_2703:
	v_bfe_u32 v14, v2, 8, 3
	v_ffbh_u32_e32 v16, v14
	v_min_u32_e32 v16, 32, v16
	v_lshrrev_b16_e32 v15, 3, v13
	v_subrev_u32_e32 v17, 28, v16
	v_and_b32_e32 v15, 15, v15
	v_lshlrev_b32_e32 v13, v17, v13
	v_sub_u32_e32 v16, 29, v16
	v_and_b32_e32 v13, 7, v13
	v_cmp_eq_u16_e32 vcc, 0, v15
	v_cndmask_b32_e32 v13, v14, v13, vcc
	v_cndmask_b32_e32 v14, v15, v16, vcc
	v_lshlrev_b32_e32 v15, 16, v2
	v_mov_b32_e32 v16, 0x3b800000
	v_lshlrev_b32_e32 v13, 20, v13
	v_and_b32_e32 v15, 0x80000000, v15
	v_lshl_add_u32 v14, v14, 23, v16
	v_or3_b32 v14, v15, v14, v13
.LBB1_2704:
	s_or_b64 exec, exec, s[6:7]
	s_nop 0
	v_mfma_f32_16x16x4f32 a[0:3], v12, v14, a[0:3]
	s_movk_i32 s4, 0xff
	v_and_b32_sdwa v13, v6, s4 dst_sel:DWORD dst_unused:UNUSED_PAD src0_sel:WORD_1 src1_sel:DWORD
	s_movk_i32 s4, 0x7f
	v_cmp_lt_i16_e32 vcc, s4, v13
	s_mov_b64 s[4:5], 0
                                        ; implicit-def: $sgpr10
	s_and_saveexec_b64 s[6:7], vcc
	s_xor_b64 s[6:7], exec, s[6:7]
	s_cbranch_execz .LBB1_2705
; %bb.38545:
	s_getpc_b64 s[14:15]
.Lpost_getpc4936:
	s_add_u32 s14, s14, (.LBB1_17041-.Lpost_getpc4936)&4294967295
	s_addc_u32 s15, s15, (.LBB1_17041-.Lpost_getpc4936)>>32
	s_setpc_b64 s[14:15]
.LBB1_2705:
	s_or_saveexec_b64 s[6:7], s[6:7]
	v_mov_b32_e32 v12, s10
	s_xor_b64 exec, exec, s[6:7]
	s_cbranch_execz .LBB1_2706
; %bb.38547:
	s_getpc_b64 s[14:15]
.Lpost_getpc4937:
	s_add_u32 s14, s14, (.LBB1_17044-.Lpost_getpc4937)&4294967295
	s_addc_u32 s15, s15, (.LBB1_17044-.Lpost_getpc4937)>>32
	s_setpc_b64 s[14:15]
.LBB1_2706:
	s_or_b64 exec, exec, s[6:7]
	s_and_saveexec_b64 s[6:7], s[4:5]
	s_cbranch_execz .LBB1_2708
.LBB1_2707:
	v_bfe_u32 v12, v6, 16, 3
	v_ffbh_u32_e32 v15, v12
	v_min_u32_e32 v15, 32, v15
	v_lshrrev_b32_e32 v13, 19, v6
	v_subrev_u32_e32 v16, 28, v15
	v_and_b32_e32 v13, 15, v13
	v_lshlrev_b32_sdwa v16, v16, v6 dst_sel:DWORD dst_unused:UNUSED_PAD src0_sel:DWORD src1_sel:WORD_1
	v_bfe_u32 v14, v6, 19, 4
	v_sub_u32_e32 v15, 29, v15
	v_and_b32_e32 v16, 7, v16
	v_cmp_eq_u16_e32 vcc, 0, v13
	v_cndmask_b32_e32 v12, v12, v16, vcc
	v_cndmask_b32_e32 v13, v14, v15, vcc
	v_lshlrev_b32_e32 v14, 8, v6
	v_mov_b32_e32 v15, 0x3b800000
	v_lshlrev_b32_e32 v12, 20, v12
	v_and_b32_e32 v14, 0x80000000, v14
	v_lshl_add_u32 v13, v13, 23, v15
	v_or3_b32 v12, v14, v13, v12
.LBB1_2708:
	s_or_b64 exec, exec, s[6:7]
	s_movk_i32 s4, 0xff
	v_and_b32_sdwa v13, v2, s4 dst_sel:DWORD dst_unused:UNUSED_PAD src0_sel:WORD_1 src1_sel:DWORD
	s_movk_i32 s4, 0x7f
	v_cmp_lt_i16_e32 vcc, s4, v13
	s_mov_b64 s[4:5], 0
                                        ; implicit-def: $sgpr10
	s_and_saveexec_b64 s[6:7], vcc
	s_xor_b64 s[6:7], exec, s[6:7]
	s_cbranch_execz .LBB1_2709
; %bb.38549:
	s_getpc_b64 s[14:15]
.Lpost_getpc4938:
	s_add_u32 s14, s14, (.LBB1_17045-.Lpost_getpc4938)&4294967295
	s_addc_u32 s15, s15, (.LBB1_17045-.Lpost_getpc4938)>>32
	s_setpc_b64 s[14:15]
.LBB1_2709:
	s_or_saveexec_b64 s[6:7], s[6:7]
	v_mov_b32_e32 v14, s10
	s_xor_b64 exec, exec, s[6:7]
	s_cbranch_execz .LBB1_2710
; %bb.38551:
	s_getpc_b64 s[14:15]
.Lpost_getpc4939:
	s_add_u32 s14, s14, (.LBB1_17048-.Lpost_getpc4939)&4294967295
	s_addc_u32 s15, s15, (.LBB1_17048-.Lpost_getpc4939)>>32
	s_setpc_b64 s[14:15]
.LBB1_2710:
	s_or_b64 exec, exec, s[6:7]
	s_and_saveexec_b64 s[6:7], s[4:5]
	s_cbranch_execz .LBB1_2712
.LBB1_2711:
	v_bfe_u32 v13, v2, 16, 3
	v_ffbh_u32_e32 v16, v13
	v_min_u32_e32 v16, 32, v16
	v_lshrrev_b32_e32 v14, 19, v2
	v_subrev_u32_e32 v17, 28, v16
	v_and_b32_e32 v14, 15, v14
	v_lshlrev_b32_sdwa v17, v17, v2 dst_sel:DWORD dst_unused:UNUSED_PAD src0_sel:DWORD src1_sel:WORD_1
	v_bfe_u32 v15, v2, 19, 4
	v_sub_u32_e32 v16, 29, v16
	v_and_b32_e32 v17, 7, v17
	v_cmp_eq_u16_e32 vcc, 0, v14
	v_cndmask_b32_e32 v13, v13, v17, vcc
	v_cndmask_b32_e32 v14, v15, v16, vcc
	v_lshlrev_b32_e32 v15, 8, v2
	v_mov_b32_e32 v16, 0x3b800000
	v_lshlrev_b32_e32 v13, 20, v13
	v_and_b32_e32 v15, 0x80000000, v15
	v_lshl_add_u32 v14, v14, 23, v16
	v_or3_b32 v14, v15, v14, v13
.LBB1_2712:
	s_or_b64 exec, exec, s[6:7]
	s_nop 0
	v_mfma_f32_16x16x4f32 a[0:3], v12, v14, a[0:3]
	s_movk_i32 s4, 0x7f
	v_cmp_gt_i16_sdwa s[6:7], v6, s4 src0_sel:BYTE_3 src1_sel:DWORD
	s_mov_b64 s[4:5], 0
                                        ; implicit-def: $sgpr10
	s_and_saveexec_b64 s[8:9], s[6:7]
	s_xor_b64 s[6:7], exec, s[8:9]
	s_cbranch_execz .LBB1_2713
; %bb.38553:
	s_getpc_b64 s[14:15]
.Lpost_getpc4940:
	s_add_u32 s14, s14, (.LBB1_17049-.Lpost_getpc4940)&4294967295
	s_addc_u32 s15, s15, (.LBB1_17049-.Lpost_getpc4940)>>32
	s_setpc_b64 s[14:15]
.LBB1_2713:
	s_or_saveexec_b64 s[6:7], s[6:7]
	v_mov_b32_e32 v12, s10
	s_xor_b64 exec, exec, s[6:7]
	s_cbranch_execz .LBB1_2714
; %bb.38555:
	s_getpc_b64 s[14:15]
.Lpost_getpc4941:
	s_add_u32 s14, s14, (.LBB1_17052-.Lpost_getpc4941)&4294967295
	s_addc_u32 s15, s15, (.LBB1_17052-.Lpost_getpc4941)>>32
	s_setpc_b64 s[14:15]
.LBB1_2714:
	s_or_b64 exec, exec, s[6:7]
	s_and_saveexec_b64 s[6:7], s[4:5]
	s_cbranch_execz .LBB1_2716
.LBB1_2715:
	v_bfe_u32 v12, v6, 24, 3
	v_ffbh_u32_e32 v16, v12
	v_min_u32_e32 v16, 32, v16
	v_lshrrev_b32_e32 v14, 27, v6
	v_subrev_u32_e32 v17, 28, v16
	v_and_b32_e32 v13, 0x80000000, v6
	v_and_b32_e32 v14, 15, v14
	v_bfe_u32 v15, v6, 27, 4
	v_lshlrev_b32_sdwa v6, v17, v6 dst_sel:DWORD dst_unused:UNUSED_PAD src0_sel:DWORD src1_sel:BYTE_3
	v_sub_u32_e32 v16, 29, v16
	v_and_b32_e32 v6, 7, v6
	v_cmp_eq_u16_e32 vcc, 0, v14
	v_cndmask_b32_e32 v6, v12, v6, vcc
	v_cndmask_b32_e32 v12, v15, v16, vcc
	v_mov_b32_e32 v14, 0x3b800000
	v_lshlrev_b32_e32 v6, 20, v6
	v_lshl_add_u32 v12, v12, 23, v14
	v_or3_b32 v12, v13, v12, v6
.LBB1_2716:
	s_or_b64 exec, exec, s[6:7]
	s_movk_i32 s4, 0x7f
	v_cmp_gt_i16_sdwa s[6:7], v2, s4 src0_sel:BYTE_3 src1_sel:DWORD
	s_mov_b64 s[4:5], 0
                                        ; implicit-def: $sgpr10
	s_and_saveexec_b64 s[8:9], s[6:7]
	s_xor_b64 s[6:7], exec, s[8:9]
	s_cbranch_execz .LBB1_2717
; %bb.38557:
	s_getpc_b64 s[14:15]
.Lpost_getpc4942:
	s_add_u32 s14, s14, (.LBB1_17053-.Lpost_getpc4942)&4294967295
	s_addc_u32 s15, s15, (.LBB1_17053-.Lpost_getpc4942)>>32
	s_setpc_b64 s[14:15]
.LBB1_2717:
	s_or_saveexec_b64 s[6:7], s[6:7]
	v_mov_b32_e32 v6, s10
	s_xor_b64 exec, exec, s[6:7]
	s_cbranch_execz .LBB1_2718
; %bb.38559:
	s_getpc_b64 s[14:15]
.Lpost_getpc4943:
	s_add_u32 s14, s14, (.LBB1_17056-.Lpost_getpc4943)&4294967295
	s_addc_u32 s15, s15, (.LBB1_17056-.Lpost_getpc4943)>>32
	s_setpc_b64 s[14:15]
.LBB1_2718:
	s_or_b64 exec, exec, s[6:7]
	s_and_saveexec_b64 s[6:7], s[4:5]
	s_cbranch_execz .LBB1_2720
.LBB1_2719:
	v_bfe_u32 v6, v2, 24, 3
	v_ffbh_u32_e32 v16, v6
	v_min_u32_e32 v16, 32, v16
	v_lshrrev_b32_e32 v14, 27, v2
	v_subrev_u32_e32 v17, 28, v16
	v_and_b32_e32 v13, 0x80000000, v2
	v_and_b32_e32 v14, 15, v14
	v_bfe_u32 v15, v2, 27, 4
	v_lshlrev_b32_sdwa v2, v17, v2 dst_sel:DWORD dst_unused:UNUSED_PAD src0_sel:DWORD src1_sel:BYTE_3
	v_sub_u32_e32 v16, 29, v16
	v_and_b32_e32 v2, 7, v2
	v_cmp_eq_u16_e32 vcc, 0, v14
	v_cndmask_b32_e32 v2, v6, v2, vcc
	v_cndmask_b32_e32 v6, v15, v16, vcc
	v_mov_b32_e32 v14, 0x3b800000
	v_lshlrev_b32_e32 v2, 20, v2
	v_lshl_add_u32 v6, v6, 23, v14
	v_or3_b32 v6, v13, v6, v2
.LBB1_2720:
	s_or_b64 exec, exec, s[6:7]
	s_nop 0
	v_mfma_f32_16x16x4f32 a[0:3], v12, v6, a[0:3]
	s_movk_i32 s4, 0x7f
	v_cmp_gt_i16_sdwa s[6:7], v7, s4 src0_sel:BYTE_0 src1_sel:DWORD
	s_mov_b64 s[4:5], 0
                                        ; implicit-def: $sgpr10
	s_and_saveexec_b64 s[8:9], s[6:7]
	s_xor_b64 s[6:7], exec, s[8:9]
	s_cbranch_execz .LBB1_2721
; %bb.38561:
	s_getpc_b64 s[14:15]
.Lpost_getpc4944:
	s_add_u32 s14, s14, (.LBB1_17057-.Lpost_getpc4944)&4294967295
	s_addc_u32 s15, s15, (.LBB1_17057-.Lpost_getpc4944)>>32
	s_setpc_b64 s[14:15]
.LBB1_2721:
	s_or_saveexec_b64 s[6:7], s[6:7]
	v_mov_b32_e32 v2, s10
	s_xor_b64 exec, exec, s[6:7]
	s_cbranch_execz .LBB1_2722
; %bb.38563:
	s_getpc_b64 s[14:15]
.Lpost_getpc4945:
	s_add_u32 s14, s14, (.LBB1_17060-.Lpost_getpc4945)&4294967295
	s_addc_u32 s15, s15, (.LBB1_17060-.Lpost_getpc4945)>>32
	s_setpc_b64 s[14:15]
.LBB1_2722:
	s_or_b64 exec, exec, s[6:7]
	s_and_saveexec_b64 s[6:7], s[4:5]
	s_cbranch_execz .LBB1_2724
.LBB1_2723:
	v_and_b32_e32 v2, 7, v7
	v_ffbh_u32_e32 v12, v2
	v_min_u32_e32 v12, 32, v12
	v_lshrrev_b16_e32 v6, 3, v7
	v_subrev_u32_e32 v13, 28, v12
	v_and_b32_e32 v6, 15, v6
	v_lshlrev_b32_e32 v13, v13, v7
	v_sub_u32_e32 v12, 29, v12
	v_and_b32_e32 v13, 7, v13
	v_cmp_eq_u16_e32 vcc, 0, v6
	v_cndmask_b32_e32 v2, v2, v13, vcc
	v_cndmask_b32_e32 v6, v6, v12, vcc
	v_lshlrev_b32_e32 v12, 24, v7
	v_mov_b32_e32 v13, 0x3b800000
	v_lshlrev_b32_e32 v2, 20, v2
	v_and_b32_e32 v12, 0x80000000, v12
	v_lshl_add_u32 v6, v6, 23, v13
	v_or3_b32 v2, v12, v6, v2
.LBB1_2724:
	s_or_b64 exec, exec, s[6:7]
	s_movk_i32 s4, 0x7f
	v_cmp_gt_i16_sdwa s[6:7], v3, s4 src0_sel:BYTE_0 src1_sel:DWORD
	s_mov_b64 s[4:5], 0
                                        ; implicit-def: $sgpr10
	s_and_saveexec_b64 s[8:9], s[6:7]
	s_xor_b64 s[6:7], exec, s[8:9]
	s_cbranch_execz .LBB1_2725
; %bb.38565:
	s_getpc_b64 s[14:15]
.Lpost_getpc4946:
	s_add_u32 s14, s14, (.LBB1_17061-.Lpost_getpc4946)&4294967295
	s_addc_u32 s15, s15, (.LBB1_17061-.Lpost_getpc4946)>>32
	s_setpc_b64 s[14:15]
.LBB1_2725:
	s_or_saveexec_b64 s[6:7], s[6:7]
	v_mov_b32_e32 v6, s10
	s_xor_b64 exec, exec, s[6:7]
	s_cbranch_execz .LBB1_2726
; %bb.38567:
	s_getpc_b64 s[14:15]
.Lpost_getpc4947:
	s_add_u32 s14, s14, (.LBB1_17064-.Lpost_getpc4947)&4294967295
	s_addc_u32 s15, s15, (.LBB1_17064-.Lpost_getpc4947)>>32
	s_setpc_b64 s[14:15]
.LBB1_2726:
	s_or_b64 exec, exec, s[6:7]
	s_and_saveexec_b64 s[6:7], s[4:5]
	s_cbranch_execz .LBB1_2728
.LBB1_2727:
	v_and_b32_e32 v6, 7, v3
	v_ffbh_u32_e32 v13, v6
	v_min_u32_e32 v13, 32, v13
	v_lshrrev_b16_e32 v12, 3, v3
	v_subrev_u32_e32 v14, 28, v13
	v_and_b32_e32 v12, 15, v12
	v_lshlrev_b32_e32 v14, v14, v3
	v_sub_u32_e32 v13, 29, v13
	v_and_b32_e32 v14, 7, v14
	v_cmp_eq_u16_e32 vcc, 0, v12
	v_cndmask_b32_e32 v6, v6, v14, vcc
	v_cndmask_b32_e32 v12, v12, v13, vcc
	v_lshlrev_b32_e32 v13, 24, v3
	v_mov_b32_e32 v14, 0x3b800000
	v_lshlrev_b32_e32 v6, 20, v6
	v_and_b32_e32 v13, 0x80000000, v13
	v_lshl_add_u32 v12, v12, 23, v14
	v_or3_b32 v6, v13, v12, v6
.LBB1_2728:
	s_or_b64 exec, exec, s[6:7]
	s_nop 0
	v_mfma_f32_16x16x4f32 a[0:3], v2, v6, a[0:3]
	v_lshrrev_b32_e32 v6, 8, v7
	s_movk_i32 s4, 0x7f
	v_cmp_gt_i16_sdwa s[6:7], v6, s4 src0_sel:BYTE_0 src1_sel:DWORD
	s_mov_b64 s[4:5], 0
                                        ; implicit-def: $sgpr10
	s_and_saveexec_b64 s[8:9], s[6:7]
	s_xor_b64 s[6:7], exec, s[8:9]
	s_cbranch_execz .LBB1_2729
; %bb.38569:
	s_getpc_b64 s[14:15]
.Lpost_getpc4948:
	s_add_u32 s14, s14, (.LBB1_17065-.Lpost_getpc4948)&4294967295
	s_addc_u32 s15, s15, (.LBB1_17065-.Lpost_getpc4948)>>32
	s_setpc_b64 s[14:15]
.LBB1_2729:
	s_or_saveexec_b64 s[6:7], s[6:7]
	v_mov_b32_e32 v2, s10
	s_xor_b64 exec, exec, s[6:7]
	s_cbranch_execz .LBB1_2730
; %bb.38571:
	s_getpc_b64 s[14:15]
.Lpost_getpc4949:
	s_add_u32 s14, s14, (.LBB1_17068-.Lpost_getpc4949)&4294967295
	s_addc_u32 s15, s15, (.LBB1_17068-.Lpost_getpc4949)>>32
	s_setpc_b64 s[14:15]
.LBB1_2730:
	s_or_b64 exec, exec, s[6:7]
	s_and_saveexec_b64 s[6:7], s[4:5]
	s_cbranch_execz .LBB1_2732
.LBB1_2731:
	v_bfe_u32 v2, v7, 8, 3
	v_ffbh_u32_e32 v13, v2
	v_min_u32_e32 v13, 32, v13
	v_lshrrev_b16_e32 v12, 3, v6
	v_subrev_u32_e32 v14, 28, v13
	v_and_b32_e32 v12, 15, v12
	v_lshlrev_b32_e32 v6, v14, v6
	v_sub_u32_e32 v13, 29, v13
	v_and_b32_e32 v6, 7, v6
	v_cmp_eq_u16_e32 vcc, 0, v12
	v_cndmask_b32_e32 v2, v2, v6, vcc
	v_cndmask_b32_e32 v6, v12, v13, vcc
	v_lshlrev_b32_e32 v12, 16, v7
	v_mov_b32_e32 v13, 0x3b800000
	v_lshlrev_b32_e32 v2, 20, v2
	v_and_b32_e32 v12, 0x80000000, v12
	v_lshl_add_u32 v6, v6, 23, v13
	v_or3_b32 v2, v12, v6, v2
.LBB1_2732:
	s_or_b64 exec, exec, s[6:7]
	v_lshrrev_b32_e32 v6, 8, v3
	s_movk_i32 s4, 0x7f
	v_cmp_gt_i16_sdwa s[6:7], v6, s4 src0_sel:BYTE_0 src1_sel:DWORD
	s_mov_b64 s[4:5], 0
                                        ; implicit-def: $sgpr10
	s_and_saveexec_b64 s[8:9], s[6:7]
	s_xor_b64 s[6:7], exec, s[8:9]
	s_cbranch_execz .LBB1_2733
; %bb.38573:
	s_getpc_b64 s[14:15]
.Lpost_getpc4950:
	s_add_u32 s14, s14, (.LBB1_17069-.Lpost_getpc4950)&4294967295
	s_addc_u32 s15, s15, (.LBB1_17069-.Lpost_getpc4950)>>32
	s_setpc_b64 s[14:15]
.LBB1_2733:
	s_or_saveexec_b64 s[6:7], s[6:7]
	v_mov_b32_e32 v12, s10
	s_xor_b64 exec, exec, s[6:7]
	s_cbranch_execz .LBB1_2734
; %bb.38575:
	s_getpc_b64 s[14:15]
.Lpost_getpc4951:
	s_add_u32 s14, s14, (.LBB1_17072-.Lpost_getpc4951)&4294967295
	s_addc_u32 s15, s15, (.LBB1_17072-.Lpost_getpc4951)>>32
	s_setpc_b64 s[14:15]
.LBB1_2734:
	s_or_b64 exec, exec, s[6:7]
	s_and_saveexec_b64 s[6:7], s[4:5]
	s_cbranch_execz .LBB1_2736
.LBB1_2735:
	v_bfe_u32 v12, v3, 8, 3
	v_ffbh_u32_e32 v14, v12
	v_min_u32_e32 v14, 32, v14
	v_lshrrev_b16_e32 v13, 3, v6
	v_subrev_u32_e32 v15, 28, v14
	v_and_b32_e32 v13, 15, v13
	v_lshlrev_b32_e32 v6, v15, v6
	v_sub_u32_e32 v14, 29, v14
	v_and_b32_e32 v6, 7, v6
	v_cmp_eq_u16_e32 vcc, 0, v13
	v_cndmask_b32_e32 v6, v12, v6, vcc
	v_cndmask_b32_e32 v12, v13, v14, vcc
	v_lshlrev_b32_e32 v13, 16, v3
	v_mov_b32_e32 v14, 0x3b800000
	v_lshlrev_b32_e32 v6, 20, v6
	v_and_b32_e32 v13, 0x80000000, v13
	v_lshl_add_u32 v12, v12, 23, v14
	v_or3_b32 v12, v13, v12, v6
.LBB1_2736:
	s_or_b64 exec, exec, s[6:7]
	s_nop 0
	v_mfma_f32_16x16x4f32 a[0:3], v2, v12, a[0:3]
	s_movk_i32 s4, 0xff
	v_and_b32_sdwa v6, v7, s4 dst_sel:DWORD dst_unused:UNUSED_PAD src0_sel:WORD_1 src1_sel:DWORD
	s_movk_i32 s4, 0x7f
	v_cmp_lt_i16_e32 vcc, s4, v6
	s_mov_b64 s[4:5], 0
                                        ; implicit-def: $sgpr10
	s_and_saveexec_b64 s[6:7], vcc
	s_xor_b64 s[6:7], exec, s[6:7]
	s_cbranch_execz .LBB1_2737
; %bb.38577:
	s_getpc_b64 s[14:15]
.Lpost_getpc4952:
	s_add_u32 s14, s14, (.LBB1_17073-.Lpost_getpc4952)&4294967295
	s_addc_u32 s15, s15, (.LBB1_17073-.Lpost_getpc4952)>>32
	s_setpc_b64 s[14:15]
.LBB1_2737:
	s_or_saveexec_b64 s[6:7], s[6:7]
	v_mov_b32_e32 v2, s10
	s_xor_b64 exec, exec, s[6:7]
	s_cbranch_execz .LBB1_2738
; %bb.38579:
	s_getpc_b64 s[14:15]
.Lpost_getpc4953:
	s_add_u32 s14, s14, (.LBB1_17076-.Lpost_getpc4953)&4294967295
	s_addc_u32 s15, s15, (.LBB1_17076-.Lpost_getpc4953)>>32
	s_setpc_b64 s[14:15]
.LBB1_2738:
	s_or_b64 exec, exec, s[6:7]
	s_and_saveexec_b64 s[6:7], s[4:5]
	s_cbranch_execz .LBB1_2740
.LBB1_2739:
	v_bfe_u32 v2, v7, 16, 3
	v_ffbh_u32_e32 v13, v2
	v_min_u32_e32 v13, 32, v13
	v_lshrrev_b32_e32 v6, 19, v7
	v_subrev_u32_e32 v14, 28, v13
	v_and_b32_e32 v6, 15, v6
	v_lshlrev_b32_sdwa v14, v14, v7 dst_sel:DWORD dst_unused:UNUSED_PAD src0_sel:DWORD src1_sel:WORD_1
	v_bfe_u32 v12, v7, 19, 4
	v_sub_u32_e32 v13, 29, v13
	v_and_b32_e32 v14, 7, v14
	v_cmp_eq_u16_e32 vcc, 0, v6
	v_cndmask_b32_e32 v2, v2, v14, vcc
	v_cndmask_b32_e32 v6, v12, v13, vcc
	v_lshlrev_b32_e32 v12, 8, v7
	v_mov_b32_e32 v13, 0x3b800000
	v_lshlrev_b32_e32 v2, 20, v2
	v_and_b32_e32 v12, 0x80000000, v12
	v_lshl_add_u32 v6, v6, 23, v13
	v_or3_b32 v2, v12, v6, v2
.LBB1_2740:
	s_or_b64 exec, exec, s[6:7]
	s_movk_i32 s4, 0xff
	v_and_b32_sdwa v6, v3, s4 dst_sel:DWORD dst_unused:UNUSED_PAD src0_sel:WORD_1 src1_sel:DWORD
	s_movk_i32 s4, 0x7f
	v_cmp_lt_i16_e32 vcc, s4, v6
	s_mov_b64 s[4:5], 0
                                        ; implicit-def: $sgpr10
	s_and_saveexec_b64 s[6:7], vcc
	s_xor_b64 s[6:7], exec, s[6:7]
	s_cbranch_execz .LBB1_2741
; %bb.38581:
	s_getpc_b64 s[14:15]
.Lpost_getpc4954:
	s_add_u32 s14, s14, (.LBB1_17077-.Lpost_getpc4954)&4294967295
	s_addc_u32 s15, s15, (.LBB1_17077-.Lpost_getpc4954)>>32
	s_setpc_b64 s[14:15]
.LBB1_2741:
	s_or_saveexec_b64 s[6:7], s[6:7]
	v_mov_b32_e32 v12, s10
	s_xor_b64 exec, exec, s[6:7]
	s_cbranch_execz .LBB1_2742
; %bb.38583:
	s_getpc_b64 s[14:15]
.Lpost_getpc4955:
	s_add_u32 s14, s14, (.LBB1_17080-.Lpost_getpc4955)&4294967295
	s_addc_u32 s15, s15, (.LBB1_17080-.Lpost_getpc4955)>>32
	s_setpc_b64 s[14:15]
.LBB1_2742:
	s_or_b64 exec, exec, s[6:7]
	s_and_saveexec_b64 s[6:7], s[4:5]
	s_cbranch_execz .LBB1_2744
.LBB1_2743:
	v_bfe_u32 v6, v3, 16, 3
	v_ffbh_u32_e32 v14, v6
	v_min_u32_e32 v14, 32, v14
	v_lshrrev_b32_e32 v12, 19, v3
	v_subrev_u32_e32 v15, 28, v14
	v_and_b32_e32 v12, 15, v12
	v_lshlrev_b32_sdwa v15, v15, v3 dst_sel:DWORD dst_unused:UNUSED_PAD src0_sel:DWORD src1_sel:WORD_1
	v_bfe_u32 v13, v3, 19, 4
	v_sub_u32_e32 v14, 29, v14
	v_and_b32_e32 v15, 7, v15
	v_cmp_eq_u16_e32 vcc, 0, v12
	v_cndmask_b32_e32 v6, v6, v15, vcc
	v_cndmask_b32_e32 v12, v13, v14, vcc
	v_lshlrev_b32_e32 v13, 8, v3
	v_mov_b32_e32 v14, 0x3b800000
	v_lshlrev_b32_e32 v6, 20, v6
	v_and_b32_e32 v13, 0x80000000, v13
	v_lshl_add_u32 v12, v12, 23, v14
	v_or3_b32 v12, v13, v12, v6
.LBB1_2744:
	s_or_b64 exec, exec, s[6:7]
	s_nop 0
	v_mfma_f32_16x16x4f32 a[0:3], v2, v12, a[0:3]
	s_movk_i32 s4, 0x7f
	v_cmp_gt_i16_sdwa s[6:7], v7, s4 src0_sel:BYTE_3 src1_sel:DWORD
	s_mov_b64 s[4:5], 0
                                        ; implicit-def: $sgpr10
	s_and_saveexec_b64 s[8:9], s[6:7]
	s_xor_b64 s[6:7], exec, s[8:9]
	s_cbranch_execz .LBB1_2745
; %bb.38585:
	s_getpc_b64 s[14:15]
.Lpost_getpc4956:
	s_add_u32 s14, s14, (.LBB1_17081-.Lpost_getpc4956)&4294967295
	s_addc_u32 s15, s15, (.LBB1_17081-.Lpost_getpc4956)>>32
	s_setpc_b64 s[14:15]
.LBB1_2745:
	s_or_saveexec_b64 s[6:7], s[6:7]
	v_mov_b32_e32 v2, s10
	s_xor_b64 exec, exec, s[6:7]
	s_cbranch_execz .LBB1_2746
; %bb.38587:
	s_getpc_b64 s[14:15]
.Lpost_getpc4957:
	s_add_u32 s14, s14, (.LBB1_17084-.Lpost_getpc4957)&4294967295
	s_addc_u32 s15, s15, (.LBB1_17084-.Lpost_getpc4957)>>32
	s_setpc_b64 s[14:15]
.LBB1_2746:
	s_or_b64 exec, exec, s[6:7]
	s_and_saveexec_b64 s[6:7], s[4:5]
	s_cbranch_execz .LBB1_2748
.LBB1_2747:
	v_bfe_u32 v2, v7, 24, 3
	v_ffbh_u32_e32 v14, v2
	v_min_u32_e32 v14, 32, v14
	v_lshrrev_b32_e32 v12, 27, v7
	v_subrev_u32_e32 v15, 28, v14
	v_and_b32_e32 v6, 0x80000000, v7
	v_and_b32_e32 v12, 15, v12
	v_bfe_u32 v13, v7, 27, 4
	v_lshlrev_b32_sdwa v7, v15, v7 dst_sel:DWORD dst_unused:UNUSED_PAD src0_sel:DWORD src1_sel:BYTE_3
	v_sub_u32_e32 v14, 29, v14
	v_and_b32_e32 v7, 7, v7
	v_cmp_eq_u16_e32 vcc, 0, v12
	v_cndmask_b32_e32 v2, v2, v7, vcc
	v_cndmask_b32_e32 v7, v13, v14, vcc
	v_mov_b32_e32 v12, 0x3b800000
	v_lshlrev_b32_e32 v2, 20, v2
	v_lshl_add_u32 v7, v7, 23, v12
	v_or3_b32 v2, v6, v7, v2
.LBB1_2748:
	s_or_b64 exec, exec, s[6:7]
	s_movk_i32 s4, 0x7f
	v_cmp_gt_i16_sdwa s[6:7], v3, s4 src0_sel:BYTE_3 src1_sel:DWORD
	s_mov_b64 s[4:5], 0
                                        ; implicit-def: $sgpr10
	s_and_saveexec_b64 s[8:9], s[6:7]
	s_xor_b64 s[6:7], exec, s[8:9]
	s_cbranch_execz .LBB1_2749
; %bb.38589:
	s_getpc_b64 s[14:15]
.Lpost_getpc4958:
	s_add_u32 s14, s14, (.LBB1_17085-.Lpost_getpc4958)&4294967295
	s_addc_u32 s15, s15, (.LBB1_17085-.Lpost_getpc4958)>>32
	s_setpc_b64 s[14:15]
.LBB1_2749:
	s_or_saveexec_b64 s[6:7], s[6:7]
	v_mov_b32_e32 v6, s10
	s_xor_b64 exec, exec, s[6:7]
	s_cbranch_execz .LBB1_2750
; %bb.38591:
	s_getpc_b64 s[14:15]
.Lpost_getpc4959:
	s_add_u32 s14, s14, (.LBB1_17088-.Lpost_getpc4959)&4294967295
	s_addc_u32 s15, s15, (.LBB1_17088-.Lpost_getpc4959)>>32
	s_setpc_b64 s[14:15]
.LBB1_2750:
	s_or_b64 exec, exec, s[6:7]
	s_and_saveexec_b64 s[6:7], s[4:5]
	s_cbranch_execz .LBB1_2752
.LBB1_2751:
	v_bfe_u32 v6, v3, 24, 3
	v_ffbh_u32_e32 v14, v6
	v_min_u32_e32 v14, 32, v14
	v_lshrrev_b32_e32 v12, 27, v3
	v_subrev_u32_e32 v15, 28, v14
	v_and_b32_e32 v7, 0x80000000, v3
	v_and_b32_e32 v12, 15, v12
	v_bfe_u32 v13, v3, 27, 4
	v_lshlrev_b32_sdwa v3, v15, v3 dst_sel:DWORD dst_unused:UNUSED_PAD src0_sel:DWORD src1_sel:BYTE_3
	v_sub_u32_e32 v14, 29, v14
	v_and_b32_e32 v3, 7, v3
	v_cmp_eq_u16_e32 vcc, 0, v12
	v_cndmask_b32_e32 v3, v6, v3, vcc
	v_cndmask_b32_e32 v6, v13, v14, vcc
	v_mov_b32_e32 v12, 0x3b800000
	v_lshlrev_b32_e32 v3, 20, v3
	v_lshl_add_u32 v6, v6, 23, v12
	v_or3_b32 v6, v7, v6, v3
.LBB1_2752:
	s_or_b64 exec, exec, s[6:7]
	s_nop 0
	v_mfma_f32_16x16x4f32 a[0:3], v2, v6, a[0:3]
	s_movk_i32 s4, 0x7f
	v_cmp_gt_i16_sdwa s[6:7], v8, s4 src0_sel:BYTE_0 src1_sel:DWORD
	s_mov_b64 s[4:5], 0
                                        ; implicit-def: $sgpr10
	s_and_saveexec_b64 s[8:9], s[6:7]
	s_xor_b64 s[6:7], exec, s[8:9]
	s_cbranch_execz .LBB1_2753
; %bb.38593:
	s_getpc_b64 s[14:15]
.Lpost_getpc4960:
	s_add_u32 s14, s14, (.LBB1_17089-.Lpost_getpc4960)&4294967295
	s_addc_u32 s15, s15, (.LBB1_17089-.Lpost_getpc4960)>>32
	s_setpc_b64 s[14:15]
.LBB1_2753:
	s_or_saveexec_b64 s[6:7], s[6:7]
	v_mov_b32_e32 v2, s10
	s_xor_b64 exec, exec, s[6:7]
	s_cbranch_execz .LBB1_2754
; %bb.38595:
	s_getpc_b64 s[14:15]
.Lpost_getpc4961:
	s_add_u32 s14, s14, (.LBB1_17092-.Lpost_getpc4961)&4294967295
	s_addc_u32 s15, s15, (.LBB1_17092-.Lpost_getpc4961)>>32
	s_setpc_b64 s[14:15]
.LBB1_2754:
	s_or_b64 exec, exec, s[6:7]
	s_and_saveexec_b64 s[6:7], s[4:5]
	s_cbranch_execz .LBB1_2756
.LBB1_2755:
	v_and_b32_e32 v2, 7, v8
	v_ffbh_u32_e32 v6, v2
	v_min_u32_e32 v6, 32, v6
	v_lshrrev_b16_e32 v3, 3, v8
	v_subrev_u32_e32 v7, 28, v6
	v_and_b32_e32 v3, 15, v3
	v_lshlrev_b32_e32 v7, v7, v8
	v_sub_u32_e32 v6, 29, v6
	v_and_b32_e32 v7, 7, v7
	v_cmp_eq_u16_e32 vcc, 0, v3
	v_cndmask_b32_e32 v2, v2, v7, vcc
	v_cndmask_b32_e32 v3, v3, v6, vcc
	v_lshlrev_b32_e32 v6, 24, v8
	v_mov_b32_e32 v7, 0x3b800000
	v_lshlrev_b32_e32 v2, 20, v2
	v_and_b32_e32 v6, 0x80000000, v6
	v_lshl_add_u32 v3, v3, 23, v7
	v_or3_b32 v2, v6, v3, v2
.LBB1_2756:
	s_or_b64 exec, exec, s[6:7]
	s_movk_i32 s4, 0x7f
	v_cmp_gt_i16_sdwa s[6:7], v4, s4 src0_sel:BYTE_0 src1_sel:DWORD
	s_mov_b64 s[4:5], 0
                                        ; implicit-def: $sgpr10
	s_and_saveexec_b64 s[8:9], s[6:7]
	s_xor_b64 s[6:7], exec, s[8:9]
	s_cbranch_execz .LBB1_2757
; %bb.38597:
	s_getpc_b64 s[14:15]
.Lpost_getpc4962:
	s_add_u32 s14, s14, (.LBB1_17093-.Lpost_getpc4962)&4294967295
	s_addc_u32 s15, s15, (.LBB1_17093-.Lpost_getpc4962)>>32
	s_setpc_b64 s[14:15]
.LBB1_2757:
	s_or_saveexec_b64 s[6:7], s[6:7]
	v_mov_b32_e32 v3, s10
	s_xor_b64 exec, exec, s[6:7]
	s_cbranch_execz .LBB1_2758
; %bb.38599:
	s_getpc_b64 s[14:15]
.Lpost_getpc4963:
	s_add_u32 s14, s14, (.LBB1_17096-.Lpost_getpc4963)&4294967295
	s_addc_u32 s15, s15, (.LBB1_17096-.Lpost_getpc4963)>>32
	s_setpc_b64 s[14:15]
.LBB1_2758:
	s_or_b64 exec, exec, s[6:7]
	s_and_saveexec_b64 s[6:7], s[4:5]
	s_cbranch_execz .LBB1_2760
.LBB1_2759:
	v_and_b32_e32 v3, 7, v4
	v_ffbh_u32_e32 v7, v3
	v_min_u32_e32 v7, 32, v7
	v_lshrrev_b16_e32 v6, 3, v4
	v_subrev_u32_e32 v12, 28, v7
	v_and_b32_e32 v6, 15, v6
	v_lshlrev_b32_e32 v12, v12, v4
	v_sub_u32_e32 v7, 29, v7
	v_and_b32_e32 v12, 7, v12
	v_cmp_eq_u16_e32 vcc, 0, v6
	v_cndmask_b32_e32 v3, v3, v12, vcc
	v_cndmask_b32_e32 v6, v6, v7, vcc
	v_lshlrev_b32_e32 v7, 24, v4
	v_mov_b32_e32 v12, 0x3b800000
	v_lshlrev_b32_e32 v3, 20, v3
	v_and_b32_e32 v7, 0x80000000, v7
	v_lshl_add_u32 v6, v6, 23, v12
	v_or3_b32 v3, v7, v6, v3
.LBB1_2760:
	s_or_b64 exec, exec, s[6:7]
	s_nop 0
	v_mfma_f32_16x16x4f32 a[0:3], v2, v3, a[0:3]
	v_lshrrev_b32_e32 v3, 8, v8
	s_movk_i32 s4, 0x7f
	v_cmp_gt_i16_sdwa s[6:7], v3, s4 src0_sel:BYTE_0 src1_sel:DWORD
	s_mov_b64 s[4:5], 0
                                        ; implicit-def: $sgpr10
	s_and_saveexec_b64 s[8:9], s[6:7]
	s_xor_b64 s[6:7], exec, s[8:9]
	s_cbranch_execz .LBB1_2761
; %bb.38601:
	s_getpc_b64 s[14:15]
.Lpost_getpc4964:
	s_add_u32 s14, s14, (.LBB1_17097-.Lpost_getpc4964)&4294967295
	s_addc_u32 s15, s15, (.LBB1_17097-.Lpost_getpc4964)>>32
	s_setpc_b64 s[14:15]
.LBB1_2761:
	s_or_saveexec_b64 s[6:7], s[6:7]
	v_mov_b32_e32 v2, s10
	s_xor_b64 exec, exec, s[6:7]
	s_cbranch_execz .LBB1_2762
; %bb.38603:
	s_getpc_b64 s[14:15]
.Lpost_getpc4965:
	s_add_u32 s14, s14, (.LBB1_17100-.Lpost_getpc4965)&4294967295
	s_addc_u32 s15, s15, (.LBB1_17100-.Lpost_getpc4965)>>32
	s_setpc_b64 s[14:15]
.LBB1_2762:
	s_or_b64 exec, exec, s[6:7]
	s_and_saveexec_b64 s[6:7], s[4:5]
	s_cbranch_execz .LBB1_2764
.LBB1_2763:
	v_bfe_u32 v2, v8, 8, 3
	v_ffbh_u32_e32 v7, v2
	v_min_u32_e32 v7, 32, v7
	v_lshrrev_b16_e32 v6, 3, v3
	v_subrev_u32_e32 v12, 28, v7
	v_and_b32_e32 v6, 15, v6
	v_lshlrev_b32_e32 v3, v12, v3
	v_sub_u32_e32 v7, 29, v7
	v_and_b32_e32 v3, 7, v3
	v_cmp_eq_u16_e32 vcc, 0, v6
	v_cndmask_b32_e32 v2, v2, v3, vcc
	v_cndmask_b32_e32 v3, v6, v7, vcc
	v_lshlrev_b32_e32 v6, 16, v8
	v_mov_b32_e32 v7, 0x3b800000
	v_lshlrev_b32_e32 v2, 20, v2
	v_and_b32_e32 v6, 0x80000000, v6
	v_lshl_add_u32 v3, v3, 23, v7
	v_or3_b32 v2, v6, v3, v2
.LBB1_2764:
	s_or_b64 exec, exec, s[6:7]
	v_lshrrev_b32_e32 v3, 8, v4
	s_movk_i32 s4, 0x7f
	v_cmp_gt_i16_sdwa s[6:7], v3, s4 src0_sel:BYTE_0 src1_sel:DWORD
	s_mov_b64 s[4:5], 0
                                        ; implicit-def: $sgpr10
	s_and_saveexec_b64 s[8:9], s[6:7]
	s_xor_b64 s[6:7], exec, s[8:9]
	s_cbranch_execz .LBB1_2765
; %bb.38605:
	s_getpc_b64 s[14:15]
.Lpost_getpc4966:
	s_add_u32 s14, s14, (.LBB1_17101-.Lpost_getpc4966)&4294967295
	s_addc_u32 s15, s15, (.LBB1_17101-.Lpost_getpc4966)>>32
	s_setpc_b64 s[14:15]
.LBB1_2765:
	s_or_saveexec_b64 s[6:7], s[6:7]
	v_mov_b32_e32 v6, s10
	s_xor_b64 exec, exec, s[6:7]
	s_cbranch_execz .LBB1_2766
; %bb.38607:
	s_getpc_b64 s[14:15]
.Lpost_getpc4967:
	s_add_u32 s14, s14, (.LBB1_17104-.Lpost_getpc4967)&4294967295
	s_addc_u32 s15, s15, (.LBB1_17104-.Lpost_getpc4967)>>32
	s_setpc_b64 s[14:15]
.LBB1_2766:
	s_or_b64 exec, exec, s[6:7]
	s_and_saveexec_b64 s[6:7], s[4:5]
	s_cbranch_execz .LBB1_2768
.LBB1_2767:
	v_bfe_u32 v6, v4, 8, 3
	v_ffbh_u32_e32 v12, v6
	v_min_u32_e32 v12, 32, v12
	v_lshrrev_b16_e32 v7, 3, v3
	v_subrev_u32_e32 v13, 28, v12
	v_and_b32_e32 v7, 15, v7
	v_lshlrev_b32_e32 v3, v13, v3
	v_sub_u32_e32 v12, 29, v12
	v_and_b32_e32 v3, 7, v3
	v_cmp_eq_u16_e32 vcc, 0, v7
	v_cndmask_b32_e32 v3, v6, v3, vcc
	v_cndmask_b32_e32 v6, v7, v12, vcc
	v_lshlrev_b32_e32 v7, 16, v4
	v_mov_b32_e32 v12, 0x3b800000
	v_lshlrev_b32_e32 v3, 20, v3
	v_and_b32_e32 v7, 0x80000000, v7
	v_lshl_add_u32 v6, v6, 23, v12
	v_or3_b32 v6, v7, v6, v3
.LBB1_2768:
	s_or_b64 exec, exec, s[6:7]
	s_nop 0
	v_mfma_f32_16x16x4f32 a[0:3], v2, v6, a[0:3]
	s_movk_i32 s4, 0xff
	v_and_b32_sdwa v3, v8, s4 dst_sel:DWORD dst_unused:UNUSED_PAD src0_sel:WORD_1 src1_sel:DWORD
	s_movk_i32 s4, 0x7f
	v_cmp_lt_i16_e32 vcc, s4, v3
	s_mov_b64 s[4:5], 0
                                        ; implicit-def: $sgpr10
	s_and_saveexec_b64 s[6:7], vcc
	s_xor_b64 s[6:7], exec, s[6:7]
	s_cbranch_execz .LBB1_2769
; %bb.38609:
	s_getpc_b64 s[14:15]
.Lpost_getpc4968:
	s_add_u32 s14, s14, (.LBB1_17105-.Lpost_getpc4968)&4294967295
	s_addc_u32 s15, s15, (.LBB1_17105-.Lpost_getpc4968)>>32
	s_setpc_b64 s[14:15]
.LBB1_2769:
	s_or_saveexec_b64 s[6:7], s[6:7]
	v_mov_b32_e32 v2, s10
	s_xor_b64 exec, exec, s[6:7]
	s_cbranch_execz .LBB1_2770
; %bb.38611:
	s_getpc_b64 s[14:15]
.Lpost_getpc4969:
	s_add_u32 s14, s14, (.LBB1_17108-.Lpost_getpc4969)&4294967295
	s_addc_u32 s15, s15, (.LBB1_17108-.Lpost_getpc4969)>>32
	s_setpc_b64 s[14:15]
.LBB1_2770:
	s_or_b64 exec, exec, s[6:7]
	s_and_saveexec_b64 s[6:7], s[4:5]
	s_cbranch_execz .LBB1_2772
.LBB1_2771:
	v_bfe_u32 v2, v8, 16, 3
	v_ffbh_u32_e32 v7, v2
	v_min_u32_e32 v7, 32, v7
	v_lshrrev_b32_e32 v3, 19, v8
	v_subrev_u32_e32 v12, 28, v7
	v_and_b32_e32 v3, 15, v3
	v_lshlrev_b32_sdwa v12, v12, v8 dst_sel:DWORD dst_unused:UNUSED_PAD src0_sel:DWORD src1_sel:WORD_1
	v_bfe_u32 v6, v8, 19, 4
	v_sub_u32_e32 v7, 29, v7
	v_and_b32_e32 v12, 7, v12
	v_cmp_eq_u16_e32 vcc, 0, v3
	v_cndmask_b32_e32 v2, v2, v12, vcc
	v_cndmask_b32_e32 v3, v6, v7, vcc
	v_lshlrev_b32_e32 v6, 8, v8
	v_mov_b32_e32 v7, 0x3b800000
	v_lshlrev_b32_e32 v2, 20, v2
	v_and_b32_e32 v6, 0x80000000, v6
	v_lshl_add_u32 v3, v3, 23, v7
	v_or3_b32 v2, v6, v3, v2
.LBB1_2772:
	s_or_b64 exec, exec, s[6:7]
	s_movk_i32 s4, 0xff
	v_and_b32_sdwa v3, v4, s4 dst_sel:DWORD dst_unused:UNUSED_PAD src0_sel:WORD_1 src1_sel:DWORD
	s_movk_i32 s4, 0x7f
	v_cmp_lt_i16_e32 vcc, s4, v3
	s_mov_b64 s[4:5], 0
                                        ; implicit-def: $sgpr10
	s_and_saveexec_b64 s[6:7], vcc
	s_xor_b64 s[6:7], exec, s[6:7]
	s_cbranch_execz .LBB1_2773
; %bb.38613:
	s_getpc_b64 s[14:15]
.Lpost_getpc4970:
	s_add_u32 s14, s14, (.LBB1_17109-.Lpost_getpc4970)&4294967295
	s_addc_u32 s15, s15, (.LBB1_17109-.Lpost_getpc4970)>>32
	s_setpc_b64 s[14:15]
.LBB1_2773:
	s_or_saveexec_b64 s[6:7], s[6:7]
	v_mov_b32_e32 v6, s10
	s_xor_b64 exec, exec, s[6:7]
	s_cbranch_execz .LBB1_2774
; %bb.38615:
	s_getpc_b64 s[14:15]
.Lpost_getpc4971:
	s_add_u32 s14, s14, (.LBB1_17112-.Lpost_getpc4971)&4294967295
	s_addc_u32 s15, s15, (.LBB1_17112-.Lpost_getpc4971)>>32
	s_setpc_b64 s[14:15]
.LBB1_2774:
	s_or_b64 exec, exec, s[6:7]
	s_and_saveexec_b64 s[6:7], s[4:5]
	s_cbranch_execz .LBB1_2776
.LBB1_2775:
	v_bfe_u32 v3, v4, 16, 3
	v_ffbh_u32_e32 v12, v3
	v_min_u32_e32 v12, 32, v12
	v_lshrrev_b32_e32 v6, 19, v4
	v_subrev_u32_e32 v13, 28, v12
	v_and_b32_e32 v6, 15, v6
	v_lshlrev_b32_sdwa v13, v13, v4 dst_sel:DWORD dst_unused:UNUSED_PAD src0_sel:DWORD src1_sel:WORD_1
	v_bfe_u32 v7, v4, 19, 4
	v_sub_u32_e32 v12, 29, v12
	v_and_b32_e32 v13, 7, v13
	v_cmp_eq_u16_e32 vcc, 0, v6
	v_cndmask_b32_e32 v3, v3, v13, vcc
	v_cndmask_b32_e32 v6, v7, v12, vcc
	v_lshlrev_b32_e32 v7, 8, v4
	v_mov_b32_e32 v12, 0x3b800000
	v_lshlrev_b32_e32 v3, 20, v3
	v_and_b32_e32 v7, 0x80000000, v7
	v_lshl_add_u32 v6, v6, 23, v12
	v_or3_b32 v6, v7, v6, v3
.LBB1_2776:
	s_or_b64 exec, exec, s[6:7]
	s_nop 0
	v_mfma_f32_16x16x4f32 a[0:3], v2, v6, a[0:3]
	s_movk_i32 s4, 0x7f
	v_cmp_gt_i16_sdwa s[6:7], v8, s4 src0_sel:BYTE_3 src1_sel:DWORD
	s_mov_b64 s[4:5], 0
                                        ; implicit-def: $sgpr10
	s_and_saveexec_b64 s[8:9], s[6:7]
	s_xor_b64 s[6:7], exec, s[8:9]
	s_cbranch_execz .LBB1_2777
; %bb.38617:
	s_getpc_b64 s[14:15]
.Lpost_getpc4972:
	s_add_u32 s14, s14, (.LBB1_17113-.Lpost_getpc4972)&4294967295
	s_addc_u32 s15, s15, (.LBB1_17113-.Lpost_getpc4972)>>32
	s_setpc_b64 s[14:15]
.LBB1_2777:
	s_or_saveexec_b64 s[6:7], s[6:7]
	v_mov_b32_e32 v2, s10
	s_xor_b64 exec, exec, s[6:7]
	s_cbranch_execz .LBB1_2778
; %bb.38619:
	s_getpc_b64 s[14:15]
.Lpost_getpc4973:
	s_add_u32 s14, s14, (.LBB1_17116-.Lpost_getpc4973)&4294967295
	s_addc_u32 s15, s15, (.LBB1_17116-.Lpost_getpc4973)>>32
	s_setpc_b64 s[14:15]
.LBB1_2778:
	s_or_b64 exec, exec, s[6:7]
	s_and_saveexec_b64 s[6:7], s[4:5]
	s_cbranch_execz .LBB1_2780
.LBB1_2779:
	v_bfe_u32 v2, v8, 24, 3
	v_ffbh_u32_e32 v12, v2
	v_min_u32_e32 v12, 32, v12
	v_lshrrev_b32_e32 v6, 27, v8
	v_subrev_u32_e32 v13, 28, v12
	v_and_b32_e32 v3, 0x80000000, v8
	v_and_b32_e32 v6, 15, v6
	v_bfe_u32 v7, v8, 27, 4
	v_lshlrev_b32_sdwa v8, v13, v8 dst_sel:DWORD dst_unused:UNUSED_PAD src0_sel:DWORD src1_sel:BYTE_3
	v_sub_u32_e32 v12, 29, v12
	v_and_b32_e32 v8, 7, v8
	v_cmp_eq_u16_e32 vcc, 0, v6
	v_cndmask_b32_e32 v2, v2, v8, vcc
	v_cndmask_b32_e32 v6, v7, v12, vcc
	v_mov_b32_e32 v7, 0x3b800000
	v_lshlrev_b32_e32 v2, 20, v2
	v_lshl_add_u32 v6, v6, 23, v7
	v_or3_b32 v2, v3, v6, v2
.LBB1_2780:
	s_or_b64 exec, exec, s[6:7]
	s_movk_i32 s4, 0x7f
	v_cmp_gt_i16_sdwa s[6:7], v4, s4 src0_sel:BYTE_3 src1_sel:DWORD
	s_mov_b64 s[4:5], 0
                                        ; implicit-def: $sgpr10
	s_and_saveexec_b64 s[8:9], s[6:7]
	s_xor_b64 s[6:7], exec, s[8:9]
	s_cbranch_execz .LBB1_2781
; %bb.38621:
	s_getpc_b64 s[14:15]
.Lpost_getpc4974:
	s_add_u32 s14, s14, (.LBB1_17117-.Lpost_getpc4974)&4294967295
	s_addc_u32 s15, s15, (.LBB1_17117-.Lpost_getpc4974)>>32
	s_setpc_b64 s[14:15]
.LBB1_2781:
	s_or_saveexec_b64 s[6:7], s[6:7]
	v_mov_b32_e32 v3, s10
	s_xor_b64 exec, exec, s[6:7]
	s_cbranch_execz .LBB1_2782
; %bb.38623:
	s_getpc_b64 s[14:15]
.Lpost_getpc4975:
	s_add_u32 s14, s14, (.LBB1_17120-.Lpost_getpc4975)&4294967295
	s_addc_u32 s15, s15, (.LBB1_17120-.Lpost_getpc4975)>>32
	s_setpc_b64 s[14:15]
.LBB1_2782:
	s_or_b64 exec, exec, s[6:7]
	s_and_saveexec_b64 s[6:7], s[4:5]
	s_cbranch_execz .LBB1_2784
.LBB1_2783:
	v_bfe_u32 v3, v4, 24, 3
	v_ffbh_u32_e32 v12, v3
	v_min_u32_e32 v12, 32, v12
	v_lshrrev_b32_e32 v7, 27, v4
	v_subrev_u32_e32 v13, 28, v12
	v_and_b32_e32 v6, 0x80000000, v4
	v_and_b32_e32 v7, 15, v7
	v_bfe_u32 v8, v4, 27, 4
	v_lshlrev_b32_sdwa v4, v13, v4 dst_sel:DWORD dst_unused:UNUSED_PAD src0_sel:DWORD src1_sel:BYTE_3
	v_sub_u32_e32 v12, 29, v12
	v_and_b32_e32 v4, 7, v4
	v_cmp_eq_u16_e32 vcc, 0, v7
	v_cndmask_b32_e32 v3, v3, v4, vcc
	v_cndmask_b32_e32 v4, v8, v12, vcc
	v_mov_b32_e32 v7, 0x3b800000
	v_lshlrev_b32_e32 v3, 20, v3
	v_lshl_add_u32 v4, v4, 23, v7
	v_or3_b32 v3, v6, v4, v3
.LBB1_2784:
	s_or_b64 exec, exec, s[6:7]
	s_nop 0
	v_mfma_f32_16x16x4f32 a[0:3], v2, v3, a[0:3]
	s_movk_i32 s4, 0x7f
	v_cmp_gt_i16_sdwa s[6:7], v9, s4 src0_sel:BYTE_0 src1_sel:DWORD
	s_mov_b64 s[4:5], 0
                                        ; implicit-def: $sgpr10
	s_and_saveexec_b64 s[8:9], s[6:7]
	s_xor_b64 s[6:7], exec, s[8:9]
	s_cbranch_execz .LBB1_2785
; %bb.38625:
	s_getpc_b64 s[14:15]
.Lpost_getpc4976:
	s_add_u32 s14, s14, (.LBB1_17121-.Lpost_getpc4976)&4294967295
	s_addc_u32 s15, s15, (.LBB1_17121-.Lpost_getpc4976)>>32
	s_setpc_b64 s[14:15]
.LBB1_2785:
	s_or_saveexec_b64 s[6:7], s[6:7]
	v_mov_b32_e32 v2, s10
	s_xor_b64 exec, exec, s[6:7]
	s_cbranch_execz .LBB1_2786
; %bb.38627:
	s_getpc_b64 s[14:15]
.Lpost_getpc4977:
	s_add_u32 s14, s14, (.LBB1_17124-.Lpost_getpc4977)&4294967295
	s_addc_u32 s15, s15, (.LBB1_17124-.Lpost_getpc4977)>>32
	s_setpc_b64 s[14:15]
.LBB1_2786:
	s_or_b64 exec, exec, s[6:7]
	s_and_saveexec_b64 s[6:7], s[4:5]
	s_cbranch_execz .LBB1_2788
.LBB1_2787:
	v_mov_b32_e32 v2, 8
	v_and_b32_e32 v3, 7, v9
	v_lshrrev_b32_sdwa v2, v2, v9 dst_sel:BYTE_1 dst_unused:UNUSED_PAD src0_sel:DWORD src1_sel:DWORD
	v_ffbh_u32_e32 v4, v3
	v_or_b32_sdwa v2, v9, v2 dst_sel:DWORD dst_unused:UNUSED_PAD src0_sel:BYTE_0 src1_sel:DWORD
	v_min_u32_e32 v4, 32, v4
	v_lshrrev_b16_e32 v2, 3, v2
	v_subrev_u32_e32 v6, 28, v4
	v_and_b32_e32 v2, 15, v2
	v_lshlrev_b32_e32 v6, v6, v9
	v_sub_u32_e32 v4, 29, v4
	v_and_b32_e32 v6, 7, v6
	v_cmp_eq_u16_e32 vcc, 0, v2
	v_cndmask_b32_e32 v3, v3, v6, vcc
	v_cndmask_b32_e32 v2, v2, v4, vcc
	v_lshlrev_b32_e32 v4, 24, v9
	v_mov_b32_e32 v6, 0x3b800000
	v_lshlrev_b32_e32 v3, 20, v3
	v_and_b32_e32 v4, 0x80000000, v4
	v_lshl_add_u32 v2, v2, 23, v6
	v_or3_b32 v2, v4, v2, v3
.LBB1_2788:
	s_or_b64 exec, exec, s[6:7]
	s_movk_i32 s4, 0x7f
	v_cmp_gt_i16_sdwa s[6:7], v5, s4 src0_sel:BYTE_0 src1_sel:DWORD
	s_mov_b64 s[4:5], 0
                                        ; implicit-def: $sgpr10
	s_and_saveexec_b64 s[8:9], s[6:7]
	s_xor_b64 s[6:7], exec, s[8:9]
	s_cbranch_execz .LBB1_2789
; %bb.38629:
	s_getpc_b64 s[14:15]
.Lpost_getpc4978:
	s_add_u32 s14, s14, (.LBB1_17125-.Lpost_getpc4978)&4294967295
	s_addc_u32 s15, s15, (.LBB1_17125-.Lpost_getpc4978)>>32
	s_setpc_b64 s[14:15]
.LBB1_2789:
	s_or_saveexec_b64 s[6:7], s[6:7]
	v_mov_b32_e32 v3, s10
	s_xor_b64 exec, exec, s[6:7]
	s_cbranch_execz .LBB1_2790
; %bb.38631:
	s_getpc_b64 s[14:15]
.Lpost_getpc4979:
	s_add_u32 s14, s14, (.LBB1_17128-.Lpost_getpc4979)&4294967295
	s_addc_u32 s15, s15, (.LBB1_17128-.Lpost_getpc4979)>>32
	s_setpc_b64 s[14:15]
.LBB1_2790:
	s_or_b64 exec, exec, s[6:7]
	s_and_saveexec_b64 s[6:7], s[4:5]
	s_cbranch_execz .LBB1_2792
.LBB1_2791:
	v_mov_b32_e32 v3, 8
	v_and_b32_e32 v4, 7, v5
	v_lshrrev_b32_sdwa v3, v3, v5 dst_sel:BYTE_1 dst_unused:UNUSED_PAD src0_sel:DWORD src1_sel:DWORD
	v_ffbh_u32_e32 v6, v4
	v_or_b32_sdwa v3, v5, v3 dst_sel:DWORD dst_unused:UNUSED_PAD src0_sel:BYTE_0 src1_sel:DWORD
	v_min_u32_e32 v6, 32, v6
	v_lshrrev_b16_e32 v3, 3, v3
	v_subrev_u32_e32 v7, 28, v6
	v_and_b32_e32 v3, 15, v3
	v_lshlrev_b32_e32 v7, v7, v5
	v_sub_u32_e32 v6, 29, v6
	v_and_b32_e32 v7, 7, v7
	v_cmp_eq_u16_e32 vcc, 0, v3
	v_cndmask_b32_e32 v4, v4, v7, vcc
	v_cndmask_b32_e32 v3, v3, v6, vcc
	v_lshlrev_b32_e32 v6, 24, v5
	v_mov_b32_e32 v7, 0x3b800000
	v_lshlrev_b32_e32 v4, 20, v4
	v_and_b32_e32 v6, 0x80000000, v6
	v_lshl_add_u32 v3, v3, 23, v7
	v_or3_b32 v3, v6, v3, v4
.LBB1_2792:
	s_or_b64 exec, exec, s[6:7]
	s_nop 0
	v_mfma_f32_16x16x4f32 a[0:3], v2, v3, a[0:3]
	v_lshrrev_b32_e32 v3, 8, v9
	s_movk_i32 s4, 0x7f
	v_cmp_gt_i16_sdwa s[6:7], v3, s4 src0_sel:BYTE_0 src1_sel:DWORD
	s_mov_b64 s[4:5], 0
                                        ; implicit-def: $sgpr10
	s_and_saveexec_b64 s[8:9], s[6:7]
	s_xor_b64 s[6:7], exec, s[8:9]
	s_cbranch_execz .LBB1_2793
; %bb.38633:
	s_getpc_b64 s[14:15]
.Lpost_getpc4980:
	s_add_u32 s14, s14, (.LBB1_17129-.Lpost_getpc4980)&4294967295
	s_addc_u32 s15, s15, (.LBB1_17129-.Lpost_getpc4980)>>32
	s_setpc_b64 s[14:15]
.LBB1_2793:
	s_or_saveexec_b64 s[6:7], s[6:7]
	v_mov_b32_e32 v2, s10
	s_xor_b64 exec, exec, s[6:7]
	s_cbranch_execz .LBB1_2794
; %bb.38635:
	s_getpc_b64 s[14:15]
.Lpost_getpc4981:
	s_add_u32 s14, s14, (.LBB1_17132-.Lpost_getpc4981)&4294967295
	s_addc_u32 s15, s15, (.LBB1_17132-.Lpost_getpc4981)>>32
	s_setpc_b64 s[14:15]
.LBB1_2794:
	s_or_b64 exec, exec, s[6:7]
	s_and_saveexec_b64 s[6:7], s[4:5]
	s_cbranch_execz .LBB1_2796
.LBB1_2795:
	v_bfe_u32 v2, v9, 8, 3
	v_ffbh_u32_e32 v6, v2
	v_min_u32_e32 v6, 32, v6
	v_lshrrev_b16_e32 v4, 3, v3
	v_subrev_u32_e32 v7, 28, v6
	v_and_b32_e32 v4, 15, v4
	v_lshlrev_b32_e32 v3, v7, v3
	v_sub_u32_e32 v6, 29, v6
	v_and_b32_e32 v3, 7, v3
	v_cmp_eq_u16_e32 vcc, 0, v4
	v_cndmask_b32_e32 v2, v2, v3, vcc
	v_cndmask_b32_e32 v3, v4, v6, vcc
	v_lshlrev_b32_e32 v4, 16, v9
	v_mov_b32_e32 v6, 0x3b800000
	v_lshlrev_b32_e32 v2, 20, v2
	v_and_b32_e32 v4, 0x80000000, v4
	v_lshl_add_u32 v3, v3, 23, v6
	v_or3_b32 v2, v4, v3, v2
.LBB1_2796:
	s_or_b64 exec, exec, s[6:7]
	v_lshrrev_b32_e32 v3, 8, v5
	s_movk_i32 s4, 0x7f
	v_cmp_gt_i16_sdwa s[6:7], v3, s4 src0_sel:BYTE_0 src1_sel:DWORD
	s_mov_b64 s[4:5], 0
                                        ; implicit-def: $sgpr10
	s_and_saveexec_b64 s[8:9], s[6:7]
	s_xor_b64 s[6:7], exec, s[8:9]
	s_cbranch_execz .LBB1_2797
; %bb.38637:
	s_getpc_b64 s[14:15]
.Lpost_getpc4982:
	s_add_u32 s14, s14, (.LBB1_17133-.Lpost_getpc4982)&4294967295
	s_addc_u32 s15, s15, (.LBB1_17133-.Lpost_getpc4982)>>32
	s_setpc_b64 s[14:15]
.LBB1_2797:
	s_or_saveexec_b64 s[6:7], s[6:7]
	v_mov_b32_e32 v4, s10
	s_xor_b64 exec, exec, s[6:7]
	s_cbranch_execz .LBB1_2798
; %bb.38639:
	s_getpc_b64 s[14:15]
.Lpost_getpc4983:
	s_add_u32 s14, s14, (.LBB1_17136-.Lpost_getpc4983)&4294967295
	s_addc_u32 s15, s15, (.LBB1_17136-.Lpost_getpc4983)>>32
	s_setpc_b64 s[14:15]
.LBB1_2798:
	s_or_b64 exec, exec, s[6:7]
	s_and_saveexec_b64 s[6:7], s[4:5]
	s_cbranch_execz .LBB1_2800
.LBB1_2799:
	v_bfe_u32 v4, v5, 8, 3
	v_ffbh_u32_e32 v7, v4
	v_min_u32_e32 v7, 32, v7
	v_lshrrev_b16_e32 v6, 3, v3
	v_subrev_u32_e32 v8, 28, v7
	v_and_b32_e32 v6, 15, v6
	v_lshlrev_b32_e32 v3, v8, v3
	v_sub_u32_e32 v7, 29, v7
	v_and_b32_e32 v3, 7, v3
	v_cmp_eq_u16_e32 vcc, 0, v6
	v_cndmask_b32_e32 v3, v4, v3, vcc
	v_cndmask_b32_e32 v4, v6, v7, vcc
	v_lshlrev_b32_e32 v6, 16, v5
	v_mov_b32_e32 v7, 0x3b800000
	v_lshlrev_b32_e32 v3, 20, v3
	v_and_b32_e32 v6, 0x80000000, v6
	v_lshl_add_u32 v4, v4, 23, v7
	v_or3_b32 v4, v6, v4, v3
.LBB1_2800:
	s_or_b64 exec, exec, s[6:7]
	s_nop 0
	v_mfma_f32_16x16x4f32 a[0:3], v2, v4, a[0:3]
	s_movk_i32 s4, 0xff
	v_and_b32_sdwa v3, v9, s4 dst_sel:DWORD dst_unused:UNUSED_PAD src0_sel:WORD_1 src1_sel:DWORD
	s_movk_i32 s4, 0x7f
	v_cmp_lt_i16_e32 vcc, s4, v3
	s_mov_b64 s[4:5], 0
                                        ; implicit-def: $sgpr10
	s_and_saveexec_b64 s[6:7], vcc
	s_xor_b64 s[6:7], exec, s[6:7]
	s_cbranch_execz .LBB1_2801
; %bb.38641:
	s_getpc_b64 s[14:15]
.Lpost_getpc4984:
	s_add_u32 s14, s14, (.LBB1_17137-.Lpost_getpc4984)&4294967295
	s_addc_u32 s15, s15, (.LBB1_17137-.Lpost_getpc4984)>>32
	s_setpc_b64 s[14:15]
.LBB1_2801:
	s_or_saveexec_b64 s[6:7], s[6:7]
	v_mov_b32_e32 v2, s10
	s_xor_b64 exec, exec, s[6:7]
	s_cbranch_execz .LBB1_2802
; %bb.38643:
	s_getpc_b64 s[14:15]
.Lpost_getpc4985:
	s_add_u32 s14, s14, (.LBB1_17140-.Lpost_getpc4985)&4294967295
	s_addc_u32 s15, s15, (.LBB1_17140-.Lpost_getpc4985)>>32
	s_setpc_b64 s[14:15]
.LBB1_2802:
	s_or_b64 exec, exec, s[6:7]
	s_and_saveexec_b64 s[6:7], s[4:5]
	s_cbranch_execz .LBB1_2804
.LBB1_2803:
	v_bfe_u32 v2, v9, 16, 3
	v_ffbh_u32_e32 v6, v2
	v_min_u32_e32 v6, 32, v6
	v_lshrrev_b32_e32 v3, 19, v9
	v_subrev_u32_e32 v7, 28, v6
	v_and_b32_e32 v3, 15, v3
	v_lshlrev_b32_sdwa v7, v7, v9 dst_sel:DWORD dst_unused:UNUSED_PAD src0_sel:DWORD src1_sel:WORD_1
	v_bfe_u32 v4, v9, 19, 4
	v_sub_u32_e32 v6, 29, v6
	v_and_b32_e32 v7, 7, v7
	v_cmp_eq_u16_e32 vcc, 0, v3
	v_cndmask_b32_e32 v2, v2, v7, vcc
	v_cndmask_b32_e32 v3, v4, v6, vcc
	v_lshlrev_b32_e32 v4, 8, v9
	v_mov_b32_e32 v6, 0x3b800000
	v_lshlrev_b32_e32 v2, 20, v2
	v_and_b32_e32 v4, 0x80000000, v4
	v_lshl_add_u32 v3, v3, 23, v6
	v_or3_b32 v2, v4, v3, v2
.LBB1_2804:
	s_or_b64 exec, exec, s[6:7]
	s_movk_i32 s4, 0xff
	v_and_b32_sdwa v3, v5, s4 dst_sel:DWORD dst_unused:UNUSED_PAD src0_sel:WORD_1 src1_sel:DWORD
	s_movk_i32 s4, 0x7f
	v_cmp_lt_i16_e32 vcc, s4, v3
	s_mov_b64 s[4:5], 0
                                        ; implicit-def: $sgpr10
	s_and_saveexec_b64 s[6:7], vcc
	s_xor_b64 s[6:7], exec, s[6:7]
	s_cbranch_execz .LBB1_2805
; %bb.38645:
	s_getpc_b64 s[14:15]
.Lpost_getpc4986:
	s_add_u32 s14, s14, (.LBB1_17141-.Lpost_getpc4986)&4294967295
	s_addc_u32 s15, s15, (.LBB1_17141-.Lpost_getpc4986)>>32
	s_setpc_b64 s[14:15]
.LBB1_2805:
	s_or_saveexec_b64 s[6:7], s[6:7]
	v_mov_b32_e32 v4, s10
	s_xor_b64 exec, exec, s[6:7]
	s_cbranch_execz .LBB1_2806
; %bb.38647:
	s_getpc_b64 s[14:15]
.Lpost_getpc4987:
	s_add_u32 s14, s14, (.LBB1_17144-.Lpost_getpc4987)&4294967295
	s_addc_u32 s15, s15, (.LBB1_17144-.Lpost_getpc4987)>>32
	s_setpc_b64 s[14:15]
.LBB1_2806:
	s_or_b64 exec, exec, s[6:7]
	s_and_saveexec_b64 s[6:7], s[4:5]
	s_cbranch_execz .LBB1_2808
.LBB1_2807:
	v_bfe_u32 v3, v5, 16, 3
	v_ffbh_u32_e32 v7, v3
	v_min_u32_e32 v7, 32, v7
	v_lshrrev_b32_e32 v4, 19, v5
	v_subrev_u32_e32 v8, 28, v7
	v_and_b32_e32 v4, 15, v4
	v_lshlrev_b32_sdwa v8, v8, v5 dst_sel:DWORD dst_unused:UNUSED_PAD src0_sel:DWORD src1_sel:WORD_1
	v_bfe_u32 v6, v5, 19, 4
	v_sub_u32_e32 v7, 29, v7
	v_and_b32_e32 v8, 7, v8
	v_cmp_eq_u16_e32 vcc, 0, v4
	v_cndmask_b32_e32 v3, v3, v8, vcc
	v_cndmask_b32_e32 v4, v6, v7, vcc
	v_lshlrev_b32_e32 v6, 8, v5
	v_mov_b32_e32 v7, 0x3b800000
	v_lshlrev_b32_e32 v3, 20, v3
	v_and_b32_e32 v6, 0x80000000, v6
	v_lshl_add_u32 v4, v4, 23, v7
	v_or3_b32 v4, v6, v4, v3
.LBB1_2808:
	s_or_b64 exec, exec, s[6:7]
	s_nop 0
	v_mfma_f32_16x16x4f32 a[0:3], v2, v4, a[0:3]
	s_movk_i32 s4, 0x7f
	v_cmp_gt_i16_sdwa s[6:7], v9, s4 src0_sel:BYTE_3 src1_sel:DWORD
	s_mov_b64 s[4:5], 0
                                        ; implicit-def: $sgpr10
	s_and_saveexec_b64 s[8:9], s[6:7]
	s_xor_b64 s[6:7], exec, s[8:9]
	s_cbranch_execz .LBB1_2809
; %bb.38649:
	s_getpc_b64 s[14:15]
.Lpost_getpc4988:
	s_add_u32 s14, s14, (.LBB1_17145-.Lpost_getpc4988)&4294967295
	s_addc_u32 s15, s15, (.LBB1_17145-.Lpost_getpc4988)>>32
	s_setpc_b64 s[14:15]
.LBB1_2809:
	s_or_saveexec_b64 s[6:7], s[6:7]
	v_mov_b32_e32 v2, s10
	s_xor_b64 exec, exec, s[6:7]
	s_cbranch_execz .LBB1_2810
; %bb.38651:
	s_getpc_b64 s[14:15]
.Lpost_getpc4989:
	s_add_u32 s14, s14, (.LBB1_17148-.Lpost_getpc4989)&4294967295
	s_addc_u32 s15, s15, (.LBB1_17148-.Lpost_getpc4989)>>32
	s_setpc_b64 s[14:15]
.LBB1_2810:
	s_or_b64 exec, exec, s[6:7]
	s_and_saveexec_b64 s[6:7], s[4:5]
	s_cbranch_execz .LBB1_2812
.LBB1_2811:
	v_bfe_u32 v2, v9, 24, 3
	v_ffbh_u32_e32 v7, v2
	v_min_u32_e32 v7, 32, v7
	v_lshrrev_b32_e32 v4, 27, v9
	v_subrev_u32_e32 v8, 28, v7
	v_and_b32_e32 v4, 15, v4
	v_lshlrev_b32_sdwa v8, v8, v9 dst_sel:DWORD dst_unused:UNUSED_PAD src0_sel:DWORD src1_sel:BYTE_3
	v_bfe_u32 v6, v9, 27, 4
	v_sub_u32_e32 v7, 29, v7
	v_and_b32_e32 v8, 7, v8
	v_cmp_eq_u16_e32 vcc, 0, v4
	v_cndmask_b32_e32 v2, v2, v8, vcc
	v_cndmask_b32_e32 v4, v6, v7, vcc
	v_mov_b32_e32 v6, 0x3b800000
	v_and_b32_e32 v3, 0x80000000, v9
	v_lshlrev_b32_e32 v2, 20, v2
	v_lshl_add_u32 v4, v4, 23, v6
	v_or3_b32 v2, v3, v4, v2
.LBB1_2812:
	s_or_b64 exec, exec, s[6:7]
	s_movk_i32 s4, 0x7f
	v_cmp_gt_i16_sdwa s[6:7], v5, s4 src0_sel:BYTE_3 src1_sel:DWORD
	s_mov_b64 s[4:5], 0
                                        ; implicit-def: $sgpr10
	s_and_saveexec_b64 s[8:9], s[6:7]
	s_xor_b64 s[6:7], exec, s[8:9]
	s_cbranch_execz .LBB1_2813
; %bb.38653:
	s_getpc_b64 s[14:15]
.Lpost_getpc4990:
	s_add_u32 s14, s14, (.LBB1_17149-.Lpost_getpc4990)&4294967295
	s_addc_u32 s15, s15, (.LBB1_17149-.Lpost_getpc4990)>>32
	s_setpc_b64 s[14:15]
.LBB1_2813:
	s_or_saveexec_b64 s[6:7], s[6:7]
	v_mov_b32_e32 v3, s10
	s_xor_b64 exec, exec, s[6:7]
	s_cbranch_execz .LBB1_2814
; %bb.38655:
	s_getpc_b64 s[14:15]
.Lpost_getpc4991:
	s_add_u32 s14, s14, (.LBB1_17152-.Lpost_getpc4991)&4294967295
	s_addc_u32 s15, s15, (.LBB1_17152-.Lpost_getpc4991)>>32
	s_setpc_b64 s[14:15]
.LBB1_2814:
	s_or_b64 exec, exec, s[6:7]
	s_and_saveexec_b64 s[6:7], s[4:5]
	s_cbranch_execz .LBB1_2816
.LBB1_2815:
	v_bfe_u32 v3, v5, 24, 3
	v_ffbh_u32_e32 v8, v3
	v_min_u32_e32 v8, 32, v8
	v_lshrrev_b32_e32 v6, 27, v5
	v_subrev_u32_e32 v9, 28, v8
	v_and_b32_e32 v4, 0x80000000, v5
	v_and_b32_e32 v6, 15, v6
	v_bfe_u32 v7, v5, 27, 4
	v_lshlrev_b32_sdwa v5, v9, v5 dst_sel:DWORD dst_unused:UNUSED_PAD src0_sel:DWORD src1_sel:BYTE_3
	v_sub_u32_e32 v8, 29, v8
	v_and_b32_e32 v5, 7, v5
	v_cmp_eq_u16_e32 vcc, 0, v6
	v_cndmask_b32_e32 v3, v3, v5, vcc
	v_cndmask_b32_e32 v5, v7, v8, vcc
	v_mov_b32_e32 v6, 0x3b800000
	v_lshlrev_b32_e32 v3, 20, v3
	v_lshl_add_u32 v5, v5, 23, v6
	v_or3_b32 v3, v4, v5, v3
.LBB1_2816:
	s_or_b64 exec, exec, s[6:7]
	s_nop 0
	v_mfma_f32_16x16x4f32 a[0:3], v2, v3, a[0:3]
	s_movk_i32 s4, 0x7f
                                        ; implicit-def: $sgpr10
	s_nop 7
	s_nop 1
	flat_store_dwordx4 v[10:11], a[0:3] offset:336
	flat_load_dwordx4 v[12:15], v[0:1]
	s_nop 0
	flat_load_dwordx2 v[10:11], v[0:1] offset:16
	s_waitcnt vmcnt(0) lgkmcnt(0)
	flat_load_dwordx4 v[6:9], v[12:13] offset:32
	flat_load_dwordx4 v[2:5], v[14:15] offset:96
	s_waitcnt vmcnt(0) lgkmcnt(0)
	v_cmp_gt_i16_sdwa s[6:7], v6, s4 src0_sel:BYTE_0 src1_sel:DWORD
	s_mov_b64 s[4:5], 0
	s_and_saveexec_b64 s[8:9], s[6:7]
	s_xor_b64 s[6:7], exec, s[8:9]
	s_cbranch_execz .LBB1_2817
; %bb.38657:
	s_getpc_b64 s[14:15]
.Lpost_getpc4992:
	s_add_u32 s14, s14, (.LBB1_17153-.Lpost_getpc4992)&4294967295
	s_addc_u32 s15, s15, (.LBB1_17153-.Lpost_getpc4992)>>32
	s_setpc_b64 s[14:15]
.LBB1_2817:
	s_or_saveexec_b64 s[6:7], s[6:7]
	v_mov_b32_e32 v12, s10
	s_xor_b64 exec, exec, s[6:7]
	s_cbranch_execz .LBB1_2818
; %bb.38659:
	s_getpc_b64 s[14:15]
.Lpost_getpc4993:
	s_add_u32 s14, s14, (.LBB1_17156-.Lpost_getpc4993)&4294967295
	s_addc_u32 s15, s15, (.LBB1_17156-.Lpost_getpc4993)>>32
	s_setpc_b64 s[14:15]
.LBB1_2818:
	s_or_b64 exec, exec, s[6:7]
	s_and_saveexec_b64 s[6:7], s[4:5]
	s_cbranch_execz .LBB1_2820
.LBB1_2819:
	v_and_b32_e32 v12, 7, v6
	v_ffbh_u32_e32 v14, v12
	v_min_u32_e32 v14, 32, v14
	v_lshrrev_b16_e32 v13, 3, v6
	v_subrev_u32_e32 v15, 28, v14
	v_and_b32_e32 v13, 15, v13
	v_lshlrev_b32_e32 v15, v15, v6
	v_sub_u32_e32 v14, 29, v14
	v_and_b32_e32 v15, 7, v15
	v_cmp_eq_u16_e32 vcc, 0, v13
	v_cndmask_b32_e32 v12, v12, v15, vcc
	v_cndmask_b32_e32 v13, v13, v14, vcc
	v_lshlrev_b32_e32 v14, 24, v6
	v_mov_b32_e32 v15, 0x3b800000
	v_lshlrev_b32_e32 v12, 20, v12
	v_and_b32_e32 v14, 0x80000000, v14
	v_lshl_add_u32 v13, v13, 23, v15
	v_or3_b32 v12, v14, v13, v12
.LBB1_2820:
	s_or_b64 exec, exec, s[6:7]
	s_movk_i32 s4, 0x7f
	v_cmp_gt_i16_sdwa s[6:7], v2, s4 src0_sel:BYTE_0 src1_sel:DWORD
	s_mov_b64 s[4:5], 0
                                        ; implicit-def: $sgpr10
	s_and_saveexec_b64 s[8:9], s[6:7]
	s_xor_b64 s[6:7], exec, s[8:9]
	s_cbranch_execz .LBB1_2821
; %bb.38661:
	s_getpc_b64 s[14:15]
.Lpost_getpc4994:
	s_add_u32 s14, s14, (.LBB1_17157-.Lpost_getpc4994)&4294967295
	s_addc_u32 s15, s15, (.LBB1_17157-.Lpost_getpc4994)>>32
	s_setpc_b64 s[14:15]
.LBB1_2821:
	s_or_saveexec_b64 s[6:7], s[6:7]
	v_mov_b32_e32 v13, s10
	s_xor_b64 exec, exec, s[6:7]
	s_cbranch_execz .LBB1_2822
; %bb.38663:
	s_getpc_b64 s[14:15]
.Lpost_getpc4995:
	s_add_u32 s14, s14, (.LBB1_17160-.Lpost_getpc4995)&4294967295
	s_addc_u32 s15, s15, (.LBB1_17160-.Lpost_getpc4995)>>32
	s_setpc_b64 s[14:15]
.LBB1_2822:
	s_or_b64 exec, exec, s[6:7]
	s_and_saveexec_b64 s[6:7], s[4:5]
	s_cbranch_execz .LBB1_2824
.LBB1_2823:
	v_and_b32_e32 v13, 7, v2
	v_ffbh_u32_e32 v15, v13
	v_min_u32_e32 v15, 32, v15
	v_lshrrev_b16_e32 v14, 3, v2
	v_subrev_u32_e32 v16, 28, v15
	v_and_b32_e32 v14, 15, v14
	v_lshlrev_b32_e32 v16, v16, v2
	v_sub_u32_e32 v15, 29, v15
	v_and_b32_e32 v16, 7, v16
	v_cmp_eq_u16_e32 vcc, 0, v14
	v_cndmask_b32_e32 v13, v13, v16, vcc
	v_cndmask_b32_e32 v14, v14, v15, vcc
	v_lshlrev_b32_e32 v15, 24, v2
	v_mov_b32_e32 v16, 0x3b800000
	v_lshlrev_b32_e32 v13, 20, v13
	v_and_b32_e32 v15, 0x80000000, v15
	v_lshl_add_u32 v14, v14, 23, v16
	v_or3_b32 v13, v15, v14, v13
.LBB1_2824:
	s_or_b64 exec, exec, s[6:7]
	flat_load_dwordx4 a[0:3], v[10:11] offset:352
	s_movk_i32 s4, 0x7f
                                        ; implicit-def: $sgpr10
	s_waitcnt vmcnt(0) lgkmcnt(0)
	v_mfma_f32_16x16x4f32 a[0:3], v12, v13, a[0:3]
	v_lshrrev_b32_e32 v13, 8, v6
	v_cmp_gt_i16_sdwa s[6:7], v13, s4 src0_sel:BYTE_0 src1_sel:DWORD
	s_mov_b64 s[4:5], 0
	s_and_saveexec_b64 s[8:9], s[6:7]
	s_xor_b64 s[6:7], exec, s[8:9]
	s_cbranch_execz .LBB1_2825
; %bb.38665:
	s_getpc_b64 s[14:15]
.Lpost_getpc4996:
	s_add_u32 s14, s14, (.LBB1_17161-.Lpost_getpc4996)&4294967295
	s_addc_u32 s15, s15, (.LBB1_17161-.Lpost_getpc4996)>>32
	s_setpc_b64 s[14:15]
.LBB1_2825:
	s_or_saveexec_b64 s[6:7], s[6:7]
	v_mov_b32_e32 v12, s10
	s_xor_b64 exec, exec, s[6:7]
	s_cbranch_execz .LBB1_2826
; %bb.38667:
	s_getpc_b64 s[14:15]
.Lpost_getpc4997:
	s_add_u32 s14, s14, (.LBB1_17164-.Lpost_getpc4997)&4294967295
	s_addc_u32 s15, s15, (.LBB1_17164-.Lpost_getpc4997)>>32
	s_setpc_b64 s[14:15]
.LBB1_2826:
	s_or_b64 exec, exec, s[6:7]
	s_and_saveexec_b64 s[6:7], s[4:5]
	s_cbranch_execz .LBB1_2828
.LBB1_2827:
	v_bfe_u32 v12, v6, 8, 3
	v_ffbh_u32_e32 v15, v12
	v_min_u32_e32 v15, 32, v15
	v_lshrrev_b16_e32 v14, 3, v13
	v_subrev_u32_e32 v16, 28, v15
	v_and_b32_e32 v14, 15, v14
	v_lshlrev_b32_e32 v13, v16, v13
	v_sub_u32_e32 v15, 29, v15
	v_and_b32_e32 v13, 7, v13
	v_cmp_eq_u16_e32 vcc, 0, v14
	v_cndmask_b32_e32 v12, v12, v13, vcc
	v_cndmask_b32_e32 v13, v14, v15, vcc
	v_lshlrev_b32_e32 v14, 16, v6
	v_mov_b32_e32 v15, 0x3b800000
	v_lshlrev_b32_e32 v12, 20, v12
	v_and_b32_e32 v14, 0x80000000, v14
	v_lshl_add_u32 v13, v13, 23, v15
	v_or3_b32 v12, v14, v13, v12
.LBB1_2828:
	s_or_b64 exec, exec, s[6:7]
	v_lshrrev_b32_e32 v13, 8, v2
	s_movk_i32 s4, 0x7f
	v_cmp_gt_i16_sdwa s[6:7], v13, s4 src0_sel:BYTE_0 src1_sel:DWORD
	s_mov_b64 s[4:5], 0
                                        ; implicit-def: $sgpr10
	s_and_saveexec_b64 s[8:9], s[6:7]
	s_xor_b64 s[6:7], exec, s[8:9]
	s_cbranch_execz .LBB1_2829
; %bb.38669:
	s_getpc_b64 s[14:15]
.Lpost_getpc4998:
	s_add_u32 s14, s14, (.LBB1_17165-.Lpost_getpc4998)&4294967295
	s_addc_u32 s15, s15, (.LBB1_17165-.Lpost_getpc4998)>>32
	s_setpc_b64 s[14:15]
.LBB1_2829:
	s_or_saveexec_b64 s[6:7], s[6:7]
	v_mov_b32_e32 v14, s10
	s_xor_b64 exec, exec, s[6:7]
	s_cbranch_execz .LBB1_2830
; %bb.38671:
	s_getpc_b64 s[14:15]
.Lpost_getpc4999:
	s_add_u32 s14, s14, (.LBB1_17168-.Lpost_getpc4999)&4294967295
	s_addc_u32 s15, s15, (.LBB1_17168-.Lpost_getpc4999)>>32
	s_setpc_b64 s[14:15]
.LBB1_2830:
	s_or_b64 exec, exec, s[6:7]
	s_and_saveexec_b64 s[6:7], s[4:5]
	s_cbranch_execz .LBB1_2832
.LBB1_2831:
	v_bfe_u32 v14, v2, 8, 3
	v_ffbh_u32_e32 v16, v14
	v_min_u32_e32 v16, 32, v16
	v_lshrrev_b16_e32 v15, 3, v13
	v_subrev_u32_e32 v17, 28, v16
	v_and_b32_e32 v15, 15, v15
	v_lshlrev_b32_e32 v13, v17, v13
	v_sub_u32_e32 v16, 29, v16
	v_and_b32_e32 v13, 7, v13
	v_cmp_eq_u16_e32 vcc, 0, v15
	v_cndmask_b32_e32 v13, v14, v13, vcc
	v_cndmask_b32_e32 v14, v15, v16, vcc
	v_lshlrev_b32_e32 v15, 16, v2
	v_mov_b32_e32 v16, 0x3b800000
	v_lshlrev_b32_e32 v13, 20, v13
	v_and_b32_e32 v15, 0x80000000, v15
	v_lshl_add_u32 v14, v14, 23, v16
	v_or3_b32 v14, v15, v14, v13
.LBB1_2832:
	s_or_b64 exec, exec, s[6:7]
	s_nop 0
	v_mfma_f32_16x16x4f32 a[0:3], v12, v14, a[0:3]
	s_movk_i32 s4, 0xff
	v_and_b32_sdwa v13, v6, s4 dst_sel:DWORD dst_unused:UNUSED_PAD src0_sel:WORD_1 src1_sel:DWORD
	s_movk_i32 s4, 0x7f
	v_cmp_lt_i16_e32 vcc, s4, v13
	s_mov_b64 s[4:5], 0
                                        ; implicit-def: $sgpr10
	s_and_saveexec_b64 s[6:7], vcc
	s_xor_b64 s[6:7], exec, s[6:7]
	s_cbranch_execz .LBB1_2833
; %bb.38673:
	s_getpc_b64 s[14:15]
.Lpost_getpc5000:
	s_add_u32 s14, s14, (.LBB1_17169-.Lpost_getpc5000)&4294967295
	s_addc_u32 s15, s15, (.LBB1_17169-.Lpost_getpc5000)>>32
	s_setpc_b64 s[14:15]
.LBB1_2833:
	s_or_saveexec_b64 s[6:7], s[6:7]
	v_mov_b32_e32 v12, s10
	s_xor_b64 exec, exec, s[6:7]
	s_cbranch_execz .LBB1_2834
; %bb.38675:
	s_getpc_b64 s[14:15]
.Lpost_getpc5001:
	s_add_u32 s14, s14, (.LBB1_17172-.Lpost_getpc5001)&4294967295
	s_addc_u32 s15, s15, (.LBB1_17172-.Lpost_getpc5001)>>32
	s_setpc_b64 s[14:15]
.LBB1_2834:
	s_or_b64 exec, exec, s[6:7]
	s_and_saveexec_b64 s[6:7], s[4:5]
	s_cbranch_execz .LBB1_2836
.LBB1_2835:
	v_bfe_u32 v12, v6, 16, 3
	v_ffbh_u32_e32 v15, v12
	v_min_u32_e32 v15, 32, v15
	v_lshrrev_b32_e32 v13, 19, v6
	v_subrev_u32_e32 v16, 28, v15
	v_and_b32_e32 v13, 15, v13
	v_lshlrev_b32_sdwa v16, v16, v6 dst_sel:DWORD dst_unused:UNUSED_PAD src0_sel:DWORD src1_sel:WORD_1
	v_bfe_u32 v14, v6, 19, 4
	v_sub_u32_e32 v15, 29, v15
	v_and_b32_e32 v16, 7, v16
	v_cmp_eq_u16_e32 vcc, 0, v13
	v_cndmask_b32_e32 v12, v12, v16, vcc
	v_cndmask_b32_e32 v13, v14, v15, vcc
	v_lshlrev_b32_e32 v14, 8, v6
	v_mov_b32_e32 v15, 0x3b800000
	v_lshlrev_b32_e32 v12, 20, v12
	v_and_b32_e32 v14, 0x80000000, v14
	v_lshl_add_u32 v13, v13, 23, v15
	v_or3_b32 v12, v14, v13, v12
.LBB1_2836:
	s_or_b64 exec, exec, s[6:7]
	s_movk_i32 s4, 0xff
	v_and_b32_sdwa v13, v2, s4 dst_sel:DWORD dst_unused:UNUSED_PAD src0_sel:WORD_1 src1_sel:DWORD
	s_movk_i32 s4, 0x7f
	v_cmp_lt_i16_e32 vcc, s4, v13
	s_mov_b64 s[4:5], 0
                                        ; implicit-def: $sgpr10
	s_and_saveexec_b64 s[6:7], vcc
	s_xor_b64 s[6:7], exec, s[6:7]
	s_cbranch_execz .LBB1_2837
; %bb.38677:
	s_getpc_b64 s[14:15]
.Lpost_getpc5002:
	s_add_u32 s14, s14, (.LBB1_17173-.Lpost_getpc5002)&4294967295
	s_addc_u32 s15, s15, (.LBB1_17173-.Lpost_getpc5002)>>32
	s_setpc_b64 s[14:15]
.LBB1_2837:
	s_or_saveexec_b64 s[6:7], s[6:7]
	v_mov_b32_e32 v14, s10
	s_xor_b64 exec, exec, s[6:7]
	s_cbranch_execz .LBB1_2838
; %bb.38679:
	s_getpc_b64 s[14:15]
.Lpost_getpc5003:
	s_add_u32 s14, s14, (.LBB1_17176-.Lpost_getpc5003)&4294967295
	s_addc_u32 s15, s15, (.LBB1_17176-.Lpost_getpc5003)>>32
	s_setpc_b64 s[14:15]
.LBB1_2838:
	s_or_b64 exec, exec, s[6:7]
	s_and_saveexec_b64 s[6:7], s[4:5]
	s_cbranch_execz .LBB1_2840
.LBB1_2839:
	v_bfe_u32 v13, v2, 16, 3
	v_ffbh_u32_e32 v16, v13
	v_min_u32_e32 v16, 32, v16
	v_lshrrev_b32_e32 v14, 19, v2
	v_subrev_u32_e32 v17, 28, v16
	v_and_b32_e32 v14, 15, v14
	v_lshlrev_b32_sdwa v17, v17, v2 dst_sel:DWORD dst_unused:UNUSED_PAD src0_sel:DWORD src1_sel:WORD_1
	v_bfe_u32 v15, v2, 19, 4
	v_sub_u32_e32 v16, 29, v16
	v_and_b32_e32 v17, 7, v17
	v_cmp_eq_u16_e32 vcc, 0, v14
	v_cndmask_b32_e32 v13, v13, v17, vcc
	v_cndmask_b32_e32 v14, v15, v16, vcc
	v_lshlrev_b32_e32 v15, 8, v2
	v_mov_b32_e32 v16, 0x3b800000
	v_lshlrev_b32_e32 v13, 20, v13
	v_and_b32_e32 v15, 0x80000000, v15
	v_lshl_add_u32 v14, v14, 23, v16
	v_or3_b32 v14, v15, v14, v13
.LBB1_2840:
	s_or_b64 exec, exec, s[6:7]
	s_nop 0
	v_mfma_f32_16x16x4f32 a[0:3], v12, v14, a[0:3]
	s_movk_i32 s4, 0x7f
	v_cmp_gt_i16_sdwa s[6:7], v6, s4 src0_sel:BYTE_3 src1_sel:DWORD
	s_mov_b64 s[4:5], 0
                                        ; implicit-def: $sgpr10
	s_and_saveexec_b64 s[8:9], s[6:7]
	s_xor_b64 s[6:7], exec, s[8:9]
	s_cbranch_execz .LBB1_2841
; %bb.38681:
	s_getpc_b64 s[14:15]
.Lpost_getpc5004:
	s_add_u32 s14, s14, (.LBB1_17177-.Lpost_getpc5004)&4294967295
	s_addc_u32 s15, s15, (.LBB1_17177-.Lpost_getpc5004)>>32
	s_setpc_b64 s[14:15]
.LBB1_2841:
	s_or_saveexec_b64 s[6:7], s[6:7]
	v_mov_b32_e32 v12, s10
	s_xor_b64 exec, exec, s[6:7]
	s_cbranch_execz .LBB1_2842
; %bb.38683:
	s_getpc_b64 s[14:15]
.Lpost_getpc5005:
	s_add_u32 s14, s14, (.LBB1_17180-.Lpost_getpc5005)&4294967295
	s_addc_u32 s15, s15, (.LBB1_17180-.Lpost_getpc5005)>>32
	s_setpc_b64 s[14:15]
.LBB1_2842:
	s_or_b64 exec, exec, s[6:7]
	s_and_saveexec_b64 s[6:7], s[4:5]
	s_cbranch_execz .LBB1_2844
.LBB1_2843:
	v_bfe_u32 v12, v6, 24, 3
	v_ffbh_u32_e32 v16, v12
	v_min_u32_e32 v16, 32, v16
	v_lshrrev_b32_e32 v14, 27, v6
	v_subrev_u32_e32 v17, 28, v16
	v_and_b32_e32 v13, 0x80000000, v6
	v_and_b32_e32 v14, 15, v14
	v_bfe_u32 v15, v6, 27, 4
	v_lshlrev_b32_sdwa v6, v17, v6 dst_sel:DWORD dst_unused:UNUSED_PAD src0_sel:DWORD src1_sel:BYTE_3
	v_sub_u32_e32 v16, 29, v16
	v_and_b32_e32 v6, 7, v6
	v_cmp_eq_u16_e32 vcc, 0, v14
	v_cndmask_b32_e32 v6, v12, v6, vcc
	v_cndmask_b32_e32 v12, v15, v16, vcc
	v_mov_b32_e32 v14, 0x3b800000
	v_lshlrev_b32_e32 v6, 20, v6
	v_lshl_add_u32 v12, v12, 23, v14
	v_or3_b32 v12, v13, v12, v6
.LBB1_2844:
	s_or_b64 exec, exec, s[6:7]
	s_movk_i32 s4, 0x7f
	v_cmp_gt_i16_sdwa s[6:7], v2, s4 src0_sel:BYTE_3 src1_sel:DWORD
	s_mov_b64 s[4:5], 0
                                        ; implicit-def: $sgpr10
	s_and_saveexec_b64 s[8:9], s[6:7]
	s_xor_b64 s[6:7], exec, s[8:9]
	s_cbranch_execz .LBB1_2845
; %bb.38685:
	s_getpc_b64 s[14:15]
.Lpost_getpc5006:
	s_add_u32 s14, s14, (.LBB1_17181-.Lpost_getpc5006)&4294967295
	s_addc_u32 s15, s15, (.LBB1_17181-.Lpost_getpc5006)>>32
	s_setpc_b64 s[14:15]
.LBB1_2845:
	s_or_saveexec_b64 s[6:7], s[6:7]
	v_mov_b32_e32 v6, s10
	s_xor_b64 exec, exec, s[6:7]
	s_cbranch_execz .LBB1_2846
; %bb.38687:
	s_getpc_b64 s[14:15]
.Lpost_getpc5007:
	s_add_u32 s14, s14, (.LBB1_17184-.Lpost_getpc5007)&4294967295
	s_addc_u32 s15, s15, (.LBB1_17184-.Lpost_getpc5007)>>32
	s_setpc_b64 s[14:15]
.LBB1_2846:
	s_or_b64 exec, exec, s[6:7]
	s_and_saveexec_b64 s[6:7], s[4:5]
	s_cbranch_execz .LBB1_2848
.LBB1_2847:
	v_bfe_u32 v6, v2, 24, 3
	v_ffbh_u32_e32 v16, v6
	v_min_u32_e32 v16, 32, v16
	v_lshrrev_b32_e32 v14, 27, v2
	v_subrev_u32_e32 v17, 28, v16
	v_and_b32_e32 v13, 0x80000000, v2
	v_and_b32_e32 v14, 15, v14
	v_bfe_u32 v15, v2, 27, 4
	v_lshlrev_b32_sdwa v2, v17, v2 dst_sel:DWORD dst_unused:UNUSED_PAD src0_sel:DWORD src1_sel:BYTE_3
	v_sub_u32_e32 v16, 29, v16
	v_and_b32_e32 v2, 7, v2
	v_cmp_eq_u16_e32 vcc, 0, v14
	v_cndmask_b32_e32 v2, v6, v2, vcc
	v_cndmask_b32_e32 v6, v15, v16, vcc
	v_mov_b32_e32 v14, 0x3b800000
	v_lshlrev_b32_e32 v2, 20, v2
	v_lshl_add_u32 v6, v6, 23, v14
	v_or3_b32 v6, v13, v6, v2
.LBB1_2848:
	s_or_b64 exec, exec, s[6:7]
	s_nop 0
	v_mfma_f32_16x16x4f32 a[0:3], v12, v6, a[0:3]
	s_movk_i32 s4, 0x7f
	v_cmp_gt_i16_sdwa s[6:7], v7, s4 src0_sel:BYTE_0 src1_sel:DWORD
	s_mov_b64 s[4:5], 0
                                        ; implicit-def: $sgpr10
	s_and_saveexec_b64 s[8:9], s[6:7]
	s_xor_b64 s[6:7], exec, s[8:9]
	s_cbranch_execz .LBB1_2849
; %bb.38689:
	s_getpc_b64 s[14:15]
.Lpost_getpc5008:
	s_add_u32 s14, s14, (.LBB1_17185-.Lpost_getpc5008)&4294967295
	s_addc_u32 s15, s15, (.LBB1_17185-.Lpost_getpc5008)>>32
	s_setpc_b64 s[14:15]
.LBB1_2849:
	s_or_saveexec_b64 s[6:7], s[6:7]
	v_mov_b32_e32 v2, s10
	s_xor_b64 exec, exec, s[6:7]
	s_cbranch_execz .LBB1_2850
; %bb.38691:
	s_getpc_b64 s[14:15]
.Lpost_getpc5009:
	s_add_u32 s14, s14, (.LBB1_17188-.Lpost_getpc5009)&4294967295
	s_addc_u32 s15, s15, (.LBB1_17188-.Lpost_getpc5009)>>32
	s_setpc_b64 s[14:15]
.LBB1_2850:
	s_or_b64 exec, exec, s[6:7]
	s_and_saveexec_b64 s[6:7], s[4:5]
	s_cbranch_execz .LBB1_2852
.LBB1_2851:
	v_and_b32_e32 v2, 7, v7
	v_ffbh_u32_e32 v12, v2
	v_min_u32_e32 v12, 32, v12
	v_lshrrev_b16_e32 v6, 3, v7
	v_subrev_u32_e32 v13, 28, v12
	v_and_b32_e32 v6, 15, v6
	v_lshlrev_b32_e32 v13, v13, v7
	v_sub_u32_e32 v12, 29, v12
	v_and_b32_e32 v13, 7, v13
	v_cmp_eq_u16_e32 vcc, 0, v6
	v_cndmask_b32_e32 v2, v2, v13, vcc
	v_cndmask_b32_e32 v6, v6, v12, vcc
	v_lshlrev_b32_e32 v12, 24, v7
	v_mov_b32_e32 v13, 0x3b800000
	v_lshlrev_b32_e32 v2, 20, v2
	v_and_b32_e32 v12, 0x80000000, v12
	v_lshl_add_u32 v6, v6, 23, v13
	v_or3_b32 v2, v12, v6, v2
.LBB1_2852:
	s_or_b64 exec, exec, s[6:7]
	s_movk_i32 s4, 0x7f
	v_cmp_gt_i16_sdwa s[6:7], v3, s4 src0_sel:BYTE_0 src1_sel:DWORD
	s_mov_b64 s[4:5], 0
                                        ; implicit-def: $sgpr10
	s_and_saveexec_b64 s[8:9], s[6:7]
	s_xor_b64 s[6:7], exec, s[8:9]
	s_cbranch_execz .LBB1_2853
; %bb.38693:
	s_getpc_b64 s[14:15]
.Lpost_getpc5010:
	s_add_u32 s14, s14, (.LBB1_17189-.Lpost_getpc5010)&4294967295
	s_addc_u32 s15, s15, (.LBB1_17189-.Lpost_getpc5010)>>32
	s_setpc_b64 s[14:15]
.LBB1_2853:
	s_or_saveexec_b64 s[6:7], s[6:7]
	v_mov_b32_e32 v6, s10
	s_xor_b64 exec, exec, s[6:7]
	s_cbranch_execz .LBB1_2854
; %bb.38695:
	s_getpc_b64 s[14:15]
.Lpost_getpc5011:
	s_add_u32 s14, s14, (.LBB1_17192-.Lpost_getpc5011)&4294967295
	s_addc_u32 s15, s15, (.LBB1_17192-.Lpost_getpc5011)>>32
	s_setpc_b64 s[14:15]
.LBB1_2854:
	s_or_b64 exec, exec, s[6:7]
	s_and_saveexec_b64 s[6:7], s[4:5]
	s_cbranch_execz .LBB1_2856
.LBB1_2855:
	v_and_b32_e32 v6, 7, v3
	v_ffbh_u32_e32 v13, v6
	v_min_u32_e32 v13, 32, v13
	v_lshrrev_b16_e32 v12, 3, v3
	v_subrev_u32_e32 v14, 28, v13
	v_and_b32_e32 v12, 15, v12
	v_lshlrev_b32_e32 v14, v14, v3
	v_sub_u32_e32 v13, 29, v13
	v_and_b32_e32 v14, 7, v14
	v_cmp_eq_u16_e32 vcc, 0, v12
	v_cndmask_b32_e32 v6, v6, v14, vcc
	v_cndmask_b32_e32 v12, v12, v13, vcc
	v_lshlrev_b32_e32 v13, 24, v3
	v_mov_b32_e32 v14, 0x3b800000
	v_lshlrev_b32_e32 v6, 20, v6
	v_and_b32_e32 v13, 0x80000000, v13
	v_lshl_add_u32 v12, v12, 23, v14
	v_or3_b32 v6, v13, v12, v6
.LBB1_2856:
	s_or_b64 exec, exec, s[6:7]
	s_nop 0
	v_mfma_f32_16x16x4f32 a[0:3], v2, v6, a[0:3]
	v_lshrrev_b32_e32 v6, 8, v7
	s_movk_i32 s4, 0x7f
	v_cmp_gt_i16_sdwa s[6:7], v6, s4 src0_sel:BYTE_0 src1_sel:DWORD
	s_mov_b64 s[4:5], 0
                                        ; implicit-def: $sgpr10
	s_and_saveexec_b64 s[8:9], s[6:7]
	s_xor_b64 s[6:7], exec, s[8:9]
	s_cbranch_execz .LBB1_2857
; %bb.38697:
	s_getpc_b64 s[14:15]
.Lpost_getpc5012:
	s_add_u32 s14, s14, (.LBB1_17193-.Lpost_getpc5012)&4294967295
	s_addc_u32 s15, s15, (.LBB1_17193-.Lpost_getpc5012)>>32
	s_setpc_b64 s[14:15]
.LBB1_2857:
	s_or_saveexec_b64 s[6:7], s[6:7]
	v_mov_b32_e32 v2, s10
	s_xor_b64 exec, exec, s[6:7]
	s_cbranch_execz .LBB1_2858
; %bb.38699:
	s_getpc_b64 s[14:15]
.Lpost_getpc5013:
	s_add_u32 s14, s14, (.LBB1_17196-.Lpost_getpc5013)&4294967295
	s_addc_u32 s15, s15, (.LBB1_17196-.Lpost_getpc5013)>>32
	s_setpc_b64 s[14:15]
.LBB1_2858:
	s_or_b64 exec, exec, s[6:7]
	s_and_saveexec_b64 s[6:7], s[4:5]
	s_cbranch_execz .LBB1_2860
.LBB1_2859:
	v_bfe_u32 v2, v7, 8, 3
	v_ffbh_u32_e32 v13, v2
	v_min_u32_e32 v13, 32, v13
	v_lshrrev_b16_e32 v12, 3, v6
	v_subrev_u32_e32 v14, 28, v13
	v_and_b32_e32 v12, 15, v12
	v_lshlrev_b32_e32 v6, v14, v6
	v_sub_u32_e32 v13, 29, v13
	v_and_b32_e32 v6, 7, v6
	v_cmp_eq_u16_e32 vcc, 0, v12
	v_cndmask_b32_e32 v2, v2, v6, vcc
	v_cndmask_b32_e32 v6, v12, v13, vcc
	v_lshlrev_b32_e32 v12, 16, v7
	v_mov_b32_e32 v13, 0x3b800000
	v_lshlrev_b32_e32 v2, 20, v2
	v_and_b32_e32 v12, 0x80000000, v12
	v_lshl_add_u32 v6, v6, 23, v13
	v_or3_b32 v2, v12, v6, v2
.LBB1_2860:
	s_or_b64 exec, exec, s[6:7]
	v_lshrrev_b32_e32 v6, 8, v3
	s_movk_i32 s4, 0x7f
	v_cmp_gt_i16_sdwa s[6:7], v6, s4 src0_sel:BYTE_0 src1_sel:DWORD
	s_mov_b64 s[4:5], 0
                                        ; implicit-def: $sgpr10
	s_and_saveexec_b64 s[8:9], s[6:7]
	s_xor_b64 s[6:7], exec, s[8:9]
	s_cbranch_execz .LBB1_2861
; %bb.38701:
	s_getpc_b64 s[14:15]
.Lpost_getpc5014:
	s_add_u32 s14, s14, (.LBB1_17197-.Lpost_getpc5014)&4294967295
	s_addc_u32 s15, s15, (.LBB1_17197-.Lpost_getpc5014)>>32
	s_setpc_b64 s[14:15]
.LBB1_2861:
	s_or_saveexec_b64 s[6:7], s[6:7]
	v_mov_b32_e32 v12, s10
	s_xor_b64 exec, exec, s[6:7]
	s_cbranch_execz .LBB1_2862
; %bb.38703:
	s_getpc_b64 s[14:15]
.Lpost_getpc5015:
	s_add_u32 s14, s14, (.LBB1_17200-.Lpost_getpc5015)&4294967295
	s_addc_u32 s15, s15, (.LBB1_17200-.Lpost_getpc5015)>>32
	s_setpc_b64 s[14:15]
.LBB1_2862:
	s_or_b64 exec, exec, s[6:7]
	s_and_saveexec_b64 s[6:7], s[4:5]
	s_cbranch_execz .LBB1_2864
.LBB1_2863:
	v_bfe_u32 v12, v3, 8, 3
	v_ffbh_u32_e32 v14, v12
	v_min_u32_e32 v14, 32, v14
	v_lshrrev_b16_e32 v13, 3, v6
	v_subrev_u32_e32 v15, 28, v14
	v_and_b32_e32 v13, 15, v13
	v_lshlrev_b32_e32 v6, v15, v6
	v_sub_u32_e32 v14, 29, v14
	v_and_b32_e32 v6, 7, v6
	v_cmp_eq_u16_e32 vcc, 0, v13
	v_cndmask_b32_e32 v6, v12, v6, vcc
	v_cndmask_b32_e32 v12, v13, v14, vcc
	v_lshlrev_b32_e32 v13, 16, v3
	v_mov_b32_e32 v14, 0x3b800000
	v_lshlrev_b32_e32 v6, 20, v6
	v_and_b32_e32 v13, 0x80000000, v13
	v_lshl_add_u32 v12, v12, 23, v14
	v_or3_b32 v12, v13, v12, v6
.LBB1_2864:
	s_or_b64 exec, exec, s[6:7]
	s_nop 0
	v_mfma_f32_16x16x4f32 a[0:3], v2, v12, a[0:3]
	s_movk_i32 s4, 0xff
	v_and_b32_sdwa v6, v7, s4 dst_sel:DWORD dst_unused:UNUSED_PAD src0_sel:WORD_1 src1_sel:DWORD
	s_movk_i32 s4, 0x7f
	v_cmp_lt_i16_e32 vcc, s4, v6
	s_mov_b64 s[4:5], 0
                                        ; implicit-def: $sgpr10
	s_and_saveexec_b64 s[6:7], vcc
	s_xor_b64 s[6:7], exec, s[6:7]
	s_cbranch_execz .LBB1_2865
; %bb.38705:
	s_getpc_b64 s[14:15]
.Lpost_getpc5016:
	s_add_u32 s14, s14, (.LBB1_17201-.Lpost_getpc5016)&4294967295
	s_addc_u32 s15, s15, (.LBB1_17201-.Lpost_getpc5016)>>32
	s_setpc_b64 s[14:15]
.LBB1_2865:
	s_or_saveexec_b64 s[6:7], s[6:7]
	v_mov_b32_e32 v2, s10
	s_xor_b64 exec, exec, s[6:7]
	s_cbranch_execz .LBB1_2866
; %bb.38707:
	s_getpc_b64 s[14:15]
.Lpost_getpc5017:
	s_add_u32 s14, s14, (.LBB1_17204-.Lpost_getpc5017)&4294967295
	s_addc_u32 s15, s15, (.LBB1_17204-.Lpost_getpc5017)>>32
	s_setpc_b64 s[14:15]
.LBB1_2866:
	s_or_b64 exec, exec, s[6:7]
	s_and_saveexec_b64 s[6:7], s[4:5]
	s_cbranch_execz .LBB1_2868
.LBB1_2867:
	v_bfe_u32 v2, v7, 16, 3
	v_ffbh_u32_e32 v13, v2
	v_min_u32_e32 v13, 32, v13
	v_lshrrev_b32_e32 v6, 19, v7
	v_subrev_u32_e32 v14, 28, v13
	v_and_b32_e32 v6, 15, v6
	v_lshlrev_b32_sdwa v14, v14, v7 dst_sel:DWORD dst_unused:UNUSED_PAD src0_sel:DWORD src1_sel:WORD_1
	v_bfe_u32 v12, v7, 19, 4
	v_sub_u32_e32 v13, 29, v13
	v_and_b32_e32 v14, 7, v14
	v_cmp_eq_u16_e32 vcc, 0, v6
	v_cndmask_b32_e32 v2, v2, v14, vcc
	v_cndmask_b32_e32 v6, v12, v13, vcc
	v_lshlrev_b32_e32 v12, 8, v7
	v_mov_b32_e32 v13, 0x3b800000
	v_lshlrev_b32_e32 v2, 20, v2
	v_and_b32_e32 v12, 0x80000000, v12
	v_lshl_add_u32 v6, v6, 23, v13
	v_or3_b32 v2, v12, v6, v2
.LBB1_2868:
	s_or_b64 exec, exec, s[6:7]
	s_movk_i32 s4, 0xff
	v_and_b32_sdwa v6, v3, s4 dst_sel:DWORD dst_unused:UNUSED_PAD src0_sel:WORD_1 src1_sel:DWORD
	s_movk_i32 s4, 0x7f
	v_cmp_lt_i16_e32 vcc, s4, v6
	s_mov_b64 s[4:5], 0
                                        ; implicit-def: $sgpr10
	s_and_saveexec_b64 s[6:7], vcc
	s_xor_b64 s[6:7], exec, s[6:7]
	s_cbranch_execz .LBB1_2869
; %bb.38709:
	s_getpc_b64 s[14:15]
.Lpost_getpc5018:
	s_add_u32 s14, s14, (.LBB1_17205-.Lpost_getpc5018)&4294967295
	s_addc_u32 s15, s15, (.LBB1_17205-.Lpost_getpc5018)>>32
	s_setpc_b64 s[14:15]
.LBB1_2869:
	s_or_saveexec_b64 s[6:7], s[6:7]
	v_mov_b32_e32 v12, s10
	s_xor_b64 exec, exec, s[6:7]
	s_cbranch_execz .LBB1_2870
; %bb.38711:
	s_getpc_b64 s[14:15]
.Lpost_getpc5019:
	s_add_u32 s14, s14, (.LBB1_17208-.Lpost_getpc5019)&4294967295
	s_addc_u32 s15, s15, (.LBB1_17208-.Lpost_getpc5019)>>32
	s_setpc_b64 s[14:15]
.LBB1_2870:
	s_or_b64 exec, exec, s[6:7]
	s_and_saveexec_b64 s[6:7], s[4:5]
	s_cbranch_execz .LBB1_2872
.LBB1_2871:
	v_bfe_u32 v6, v3, 16, 3
	v_ffbh_u32_e32 v14, v6
	v_min_u32_e32 v14, 32, v14
	v_lshrrev_b32_e32 v12, 19, v3
	v_subrev_u32_e32 v15, 28, v14
	v_and_b32_e32 v12, 15, v12
	v_lshlrev_b32_sdwa v15, v15, v3 dst_sel:DWORD dst_unused:UNUSED_PAD src0_sel:DWORD src1_sel:WORD_1
	v_bfe_u32 v13, v3, 19, 4
	v_sub_u32_e32 v14, 29, v14
	v_and_b32_e32 v15, 7, v15
	v_cmp_eq_u16_e32 vcc, 0, v12
	v_cndmask_b32_e32 v6, v6, v15, vcc
	v_cndmask_b32_e32 v12, v13, v14, vcc
	v_lshlrev_b32_e32 v13, 8, v3
	v_mov_b32_e32 v14, 0x3b800000
	v_lshlrev_b32_e32 v6, 20, v6
	v_and_b32_e32 v13, 0x80000000, v13
	v_lshl_add_u32 v12, v12, 23, v14
	v_or3_b32 v12, v13, v12, v6
.LBB1_2872:
	s_or_b64 exec, exec, s[6:7]
	s_nop 0
	v_mfma_f32_16x16x4f32 a[0:3], v2, v12, a[0:3]
	s_movk_i32 s4, 0x7f
	v_cmp_gt_i16_sdwa s[6:7], v7, s4 src0_sel:BYTE_3 src1_sel:DWORD
	s_mov_b64 s[4:5], 0
                                        ; implicit-def: $sgpr10
	s_and_saveexec_b64 s[8:9], s[6:7]
	s_xor_b64 s[6:7], exec, s[8:9]
	s_cbranch_execz .LBB1_2873
; %bb.38713:
	s_getpc_b64 s[14:15]
.Lpost_getpc5020:
	s_add_u32 s14, s14, (.LBB1_17209-.Lpost_getpc5020)&4294967295
	s_addc_u32 s15, s15, (.LBB1_17209-.Lpost_getpc5020)>>32
	s_setpc_b64 s[14:15]
.LBB1_2873:
	s_or_saveexec_b64 s[6:7], s[6:7]
	v_mov_b32_e32 v2, s10
	s_xor_b64 exec, exec, s[6:7]
	s_cbranch_execz .LBB1_2874
; %bb.38715:
	s_getpc_b64 s[14:15]
.Lpost_getpc5021:
	s_add_u32 s14, s14, (.LBB1_17212-.Lpost_getpc5021)&4294967295
	s_addc_u32 s15, s15, (.LBB1_17212-.Lpost_getpc5021)>>32
	s_setpc_b64 s[14:15]
.LBB1_2874:
	s_or_b64 exec, exec, s[6:7]
	s_and_saveexec_b64 s[6:7], s[4:5]
	s_cbranch_execz .LBB1_2876
.LBB1_2875:
	v_bfe_u32 v2, v7, 24, 3
	v_ffbh_u32_e32 v14, v2
	v_min_u32_e32 v14, 32, v14
	v_lshrrev_b32_e32 v12, 27, v7
	v_subrev_u32_e32 v15, 28, v14
	v_and_b32_e32 v6, 0x80000000, v7
	v_and_b32_e32 v12, 15, v12
	v_bfe_u32 v13, v7, 27, 4
	v_lshlrev_b32_sdwa v7, v15, v7 dst_sel:DWORD dst_unused:UNUSED_PAD src0_sel:DWORD src1_sel:BYTE_3
	v_sub_u32_e32 v14, 29, v14
	v_and_b32_e32 v7, 7, v7
	v_cmp_eq_u16_e32 vcc, 0, v12
	v_cndmask_b32_e32 v2, v2, v7, vcc
	v_cndmask_b32_e32 v7, v13, v14, vcc
	v_mov_b32_e32 v12, 0x3b800000
	v_lshlrev_b32_e32 v2, 20, v2
	v_lshl_add_u32 v7, v7, 23, v12
	v_or3_b32 v2, v6, v7, v2
.LBB1_2876:
	s_or_b64 exec, exec, s[6:7]
	s_movk_i32 s4, 0x7f
	v_cmp_gt_i16_sdwa s[6:7], v3, s4 src0_sel:BYTE_3 src1_sel:DWORD
	s_mov_b64 s[4:5], 0
                                        ; implicit-def: $sgpr10
	s_and_saveexec_b64 s[8:9], s[6:7]
	s_xor_b64 s[6:7], exec, s[8:9]
	s_cbranch_execz .LBB1_2877
; %bb.38717:
	s_getpc_b64 s[14:15]
.Lpost_getpc5022:
	s_add_u32 s14, s14, (.LBB1_17213-.Lpost_getpc5022)&4294967295
	s_addc_u32 s15, s15, (.LBB1_17213-.Lpost_getpc5022)>>32
	s_setpc_b64 s[14:15]
.LBB1_2877:
	s_or_saveexec_b64 s[6:7], s[6:7]
	v_mov_b32_e32 v6, s10
	s_xor_b64 exec, exec, s[6:7]
	s_cbranch_execz .LBB1_2878
; %bb.38719:
	s_getpc_b64 s[14:15]
.Lpost_getpc5023:
	s_add_u32 s14, s14, (.LBB1_17216-.Lpost_getpc5023)&4294967295
	s_addc_u32 s15, s15, (.LBB1_17216-.Lpost_getpc5023)>>32
	s_setpc_b64 s[14:15]
.LBB1_2878:
	s_or_b64 exec, exec, s[6:7]
	s_and_saveexec_b64 s[6:7], s[4:5]
	s_cbranch_execz .LBB1_2880
.LBB1_2879:
	v_bfe_u32 v6, v3, 24, 3
	v_ffbh_u32_e32 v14, v6
	v_min_u32_e32 v14, 32, v14
	v_lshrrev_b32_e32 v12, 27, v3
	v_subrev_u32_e32 v15, 28, v14
	v_and_b32_e32 v7, 0x80000000, v3
	v_and_b32_e32 v12, 15, v12
	v_bfe_u32 v13, v3, 27, 4
	v_lshlrev_b32_sdwa v3, v15, v3 dst_sel:DWORD dst_unused:UNUSED_PAD src0_sel:DWORD src1_sel:BYTE_3
	v_sub_u32_e32 v14, 29, v14
	v_and_b32_e32 v3, 7, v3
	v_cmp_eq_u16_e32 vcc, 0, v12
	v_cndmask_b32_e32 v3, v6, v3, vcc
	v_cndmask_b32_e32 v6, v13, v14, vcc
	v_mov_b32_e32 v12, 0x3b800000
	v_lshlrev_b32_e32 v3, 20, v3
	v_lshl_add_u32 v6, v6, 23, v12
	v_or3_b32 v6, v7, v6, v3
.LBB1_2880:
	s_or_b64 exec, exec, s[6:7]
	s_nop 0
	v_mfma_f32_16x16x4f32 a[0:3], v2, v6, a[0:3]
	s_movk_i32 s4, 0x7f
	v_cmp_gt_i16_sdwa s[6:7], v8, s4 src0_sel:BYTE_0 src1_sel:DWORD
	s_mov_b64 s[4:5], 0
                                        ; implicit-def: $sgpr10
	s_and_saveexec_b64 s[8:9], s[6:7]
	s_xor_b64 s[6:7], exec, s[8:9]
	s_cbranch_execz .LBB1_2881
; %bb.38721:
	s_getpc_b64 s[14:15]
.Lpost_getpc5024:
	s_add_u32 s14, s14, (.LBB1_17217-.Lpost_getpc5024)&4294967295
	s_addc_u32 s15, s15, (.LBB1_17217-.Lpost_getpc5024)>>32
	s_setpc_b64 s[14:15]
.LBB1_2881:
	s_or_saveexec_b64 s[6:7], s[6:7]
	v_mov_b32_e32 v2, s10
	s_xor_b64 exec, exec, s[6:7]
	s_cbranch_execz .LBB1_2882
; %bb.38723:
	s_getpc_b64 s[14:15]
.Lpost_getpc5025:
	s_add_u32 s14, s14, (.LBB1_17220-.Lpost_getpc5025)&4294967295
	s_addc_u32 s15, s15, (.LBB1_17220-.Lpost_getpc5025)>>32
	s_setpc_b64 s[14:15]
.LBB1_2882:
	s_or_b64 exec, exec, s[6:7]
	s_and_saveexec_b64 s[6:7], s[4:5]
	s_cbranch_execz .LBB1_2884
.LBB1_2883:
	v_and_b32_e32 v2, 7, v8
	v_ffbh_u32_e32 v6, v2
	v_min_u32_e32 v6, 32, v6
	v_lshrrev_b16_e32 v3, 3, v8
	v_subrev_u32_e32 v7, 28, v6
	v_and_b32_e32 v3, 15, v3
	v_lshlrev_b32_e32 v7, v7, v8
	v_sub_u32_e32 v6, 29, v6
	v_and_b32_e32 v7, 7, v7
	v_cmp_eq_u16_e32 vcc, 0, v3
	v_cndmask_b32_e32 v2, v2, v7, vcc
	v_cndmask_b32_e32 v3, v3, v6, vcc
	v_lshlrev_b32_e32 v6, 24, v8
	v_mov_b32_e32 v7, 0x3b800000
	v_lshlrev_b32_e32 v2, 20, v2
	v_and_b32_e32 v6, 0x80000000, v6
	v_lshl_add_u32 v3, v3, 23, v7
	v_or3_b32 v2, v6, v3, v2
.LBB1_2884:
	s_or_b64 exec, exec, s[6:7]
	s_movk_i32 s4, 0x7f
	v_cmp_gt_i16_sdwa s[6:7], v4, s4 src0_sel:BYTE_0 src1_sel:DWORD
	s_mov_b64 s[4:5], 0
                                        ; implicit-def: $sgpr10
	s_and_saveexec_b64 s[8:9], s[6:7]
	s_xor_b64 s[6:7], exec, s[8:9]
	s_cbranch_execz .LBB1_2885
; %bb.38725:
	s_getpc_b64 s[14:15]
.Lpost_getpc5026:
	s_add_u32 s14, s14, (.LBB1_17221-.Lpost_getpc5026)&4294967295
	s_addc_u32 s15, s15, (.LBB1_17221-.Lpost_getpc5026)>>32
	s_setpc_b64 s[14:15]
.LBB1_2885:
	s_or_saveexec_b64 s[6:7], s[6:7]
	v_mov_b32_e32 v3, s10
	s_xor_b64 exec, exec, s[6:7]
	s_cbranch_execz .LBB1_2886
; %bb.38727:
	s_getpc_b64 s[14:15]
.Lpost_getpc5027:
	s_add_u32 s14, s14, (.LBB1_17224-.Lpost_getpc5027)&4294967295
	s_addc_u32 s15, s15, (.LBB1_17224-.Lpost_getpc5027)>>32
	s_setpc_b64 s[14:15]
.LBB1_2886:
	s_or_b64 exec, exec, s[6:7]
	s_and_saveexec_b64 s[6:7], s[4:5]
	s_cbranch_execz .LBB1_2888
.LBB1_2887:
	v_and_b32_e32 v3, 7, v4
	v_ffbh_u32_e32 v7, v3
	v_min_u32_e32 v7, 32, v7
	v_lshrrev_b16_e32 v6, 3, v4
	v_subrev_u32_e32 v12, 28, v7
	v_and_b32_e32 v6, 15, v6
	v_lshlrev_b32_e32 v12, v12, v4
	v_sub_u32_e32 v7, 29, v7
	v_and_b32_e32 v12, 7, v12
	v_cmp_eq_u16_e32 vcc, 0, v6
	v_cndmask_b32_e32 v3, v3, v12, vcc
	v_cndmask_b32_e32 v6, v6, v7, vcc
	v_lshlrev_b32_e32 v7, 24, v4
	v_mov_b32_e32 v12, 0x3b800000
	v_lshlrev_b32_e32 v3, 20, v3
	v_and_b32_e32 v7, 0x80000000, v7
	v_lshl_add_u32 v6, v6, 23, v12
	v_or3_b32 v3, v7, v6, v3
.LBB1_2888:
	s_or_b64 exec, exec, s[6:7]
	s_nop 0
	v_mfma_f32_16x16x4f32 a[0:3], v2, v3, a[0:3]
	v_lshrrev_b32_e32 v3, 8, v8
	s_movk_i32 s4, 0x7f
	v_cmp_gt_i16_sdwa s[6:7], v3, s4 src0_sel:BYTE_0 src1_sel:DWORD
	s_mov_b64 s[4:5], 0
                                        ; implicit-def: $sgpr10
	s_and_saveexec_b64 s[8:9], s[6:7]
	s_xor_b64 s[6:7], exec, s[8:9]
	s_cbranch_execz .LBB1_2889
; %bb.38729:
	s_getpc_b64 s[14:15]
.Lpost_getpc5028:
	s_add_u32 s14, s14, (.LBB1_17225-.Lpost_getpc5028)&4294967295
	s_addc_u32 s15, s15, (.LBB1_17225-.Lpost_getpc5028)>>32
	s_setpc_b64 s[14:15]
.LBB1_2889:
	s_or_saveexec_b64 s[6:7], s[6:7]
	v_mov_b32_e32 v2, s10
	s_xor_b64 exec, exec, s[6:7]
	s_cbranch_execz .LBB1_2890
; %bb.38731:
	s_getpc_b64 s[14:15]
.Lpost_getpc5029:
	s_add_u32 s14, s14, (.LBB1_17228-.Lpost_getpc5029)&4294967295
	s_addc_u32 s15, s15, (.LBB1_17228-.Lpost_getpc5029)>>32
	s_setpc_b64 s[14:15]
.LBB1_2890:
	s_or_b64 exec, exec, s[6:7]
	s_and_saveexec_b64 s[6:7], s[4:5]
	s_cbranch_execz .LBB1_2892
.LBB1_2891:
	v_bfe_u32 v2, v8, 8, 3
	v_ffbh_u32_e32 v7, v2
	v_min_u32_e32 v7, 32, v7
	v_lshrrev_b16_e32 v6, 3, v3
	v_subrev_u32_e32 v12, 28, v7
	v_and_b32_e32 v6, 15, v6
	v_lshlrev_b32_e32 v3, v12, v3
	v_sub_u32_e32 v7, 29, v7
	v_and_b32_e32 v3, 7, v3
	v_cmp_eq_u16_e32 vcc, 0, v6
	v_cndmask_b32_e32 v2, v2, v3, vcc
	v_cndmask_b32_e32 v3, v6, v7, vcc
	v_lshlrev_b32_e32 v6, 16, v8
	v_mov_b32_e32 v7, 0x3b800000
	v_lshlrev_b32_e32 v2, 20, v2
	v_and_b32_e32 v6, 0x80000000, v6
	v_lshl_add_u32 v3, v3, 23, v7
	v_or3_b32 v2, v6, v3, v2
.LBB1_2892:
	s_or_b64 exec, exec, s[6:7]
	v_lshrrev_b32_e32 v3, 8, v4
	s_movk_i32 s4, 0x7f
	v_cmp_gt_i16_sdwa s[6:7], v3, s4 src0_sel:BYTE_0 src1_sel:DWORD
	s_mov_b64 s[4:5], 0
                                        ; implicit-def: $sgpr10
	s_and_saveexec_b64 s[8:9], s[6:7]
	s_xor_b64 s[6:7], exec, s[8:9]
	s_cbranch_execz .LBB1_2893
; %bb.38733:
	s_getpc_b64 s[14:15]
.Lpost_getpc5030:
	s_add_u32 s14, s14, (.LBB1_17229-.Lpost_getpc5030)&4294967295
	s_addc_u32 s15, s15, (.LBB1_17229-.Lpost_getpc5030)>>32
	s_setpc_b64 s[14:15]
.LBB1_2893:
	s_or_saveexec_b64 s[6:7], s[6:7]
	v_mov_b32_e32 v6, s10
	s_xor_b64 exec, exec, s[6:7]
	s_cbranch_execz .LBB1_2894
; %bb.38735:
	s_getpc_b64 s[14:15]
.Lpost_getpc5031:
	s_add_u32 s14, s14, (.LBB1_17232-.Lpost_getpc5031)&4294967295
	s_addc_u32 s15, s15, (.LBB1_17232-.Lpost_getpc5031)>>32
	s_setpc_b64 s[14:15]
.LBB1_2894:
	s_or_b64 exec, exec, s[6:7]
	s_and_saveexec_b64 s[6:7], s[4:5]
	s_cbranch_execz .LBB1_2896
.LBB1_2895:
	v_bfe_u32 v6, v4, 8, 3
	v_ffbh_u32_e32 v12, v6
	v_min_u32_e32 v12, 32, v12
	v_lshrrev_b16_e32 v7, 3, v3
	v_subrev_u32_e32 v13, 28, v12
	v_and_b32_e32 v7, 15, v7
	v_lshlrev_b32_e32 v3, v13, v3
	v_sub_u32_e32 v12, 29, v12
	v_and_b32_e32 v3, 7, v3
	v_cmp_eq_u16_e32 vcc, 0, v7
	v_cndmask_b32_e32 v3, v6, v3, vcc
	v_cndmask_b32_e32 v6, v7, v12, vcc
	v_lshlrev_b32_e32 v7, 16, v4
	v_mov_b32_e32 v12, 0x3b800000
	v_lshlrev_b32_e32 v3, 20, v3
	v_and_b32_e32 v7, 0x80000000, v7
	v_lshl_add_u32 v6, v6, 23, v12
	v_or3_b32 v6, v7, v6, v3
.LBB1_2896:
	s_or_b64 exec, exec, s[6:7]
	s_nop 0
	v_mfma_f32_16x16x4f32 a[0:3], v2, v6, a[0:3]
	s_movk_i32 s4, 0xff
	v_and_b32_sdwa v3, v8, s4 dst_sel:DWORD dst_unused:UNUSED_PAD src0_sel:WORD_1 src1_sel:DWORD
	s_movk_i32 s4, 0x7f
	v_cmp_lt_i16_e32 vcc, s4, v3
	s_mov_b64 s[4:5], 0
                                        ; implicit-def: $sgpr10
	s_and_saveexec_b64 s[6:7], vcc
	s_xor_b64 s[6:7], exec, s[6:7]
	s_cbranch_execz .LBB1_2897
; %bb.38737:
	s_getpc_b64 s[14:15]
.Lpost_getpc5032:
	s_add_u32 s14, s14, (.LBB1_17233-.Lpost_getpc5032)&4294967295
	s_addc_u32 s15, s15, (.LBB1_17233-.Lpost_getpc5032)>>32
	s_setpc_b64 s[14:15]
.LBB1_2897:
	s_or_saveexec_b64 s[6:7], s[6:7]
	v_mov_b32_e32 v2, s10
	s_xor_b64 exec, exec, s[6:7]
	s_cbranch_execz .LBB1_2898
; %bb.38739:
	s_getpc_b64 s[14:15]
.Lpost_getpc5033:
	s_add_u32 s14, s14, (.LBB1_17236-.Lpost_getpc5033)&4294967295
	s_addc_u32 s15, s15, (.LBB1_17236-.Lpost_getpc5033)>>32
	s_setpc_b64 s[14:15]
.LBB1_2898:
	s_or_b64 exec, exec, s[6:7]
	s_and_saveexec_b64 s[6:7], s[4:5]
	s_cbranch_execz .LBB1_2900
.LBB1_2899:
	v_bfe_u32 v2, v8, 16, 3
	v_ffbh_u32_e32 v7, v2
	v_min_u32_e32 v7, 32, v7
	v_lshrrev_b32_e32 v3, 19, v8
	v_subrev_u32_e32 v12, 28, v7
	v_and_b32_e32 v3, 15, v3
	v_lshlrev_b32_sdwa v12, v12, v8 dst_sel:DWORD dst_unused:UNUSED_PAD src0_sel:DWORD src1_sel:WORD_1
	v_bfe_u32 v6, v8, 19, 4
	v_sub_u32_e32 v7, 29, v7
	v_and_b32_e32 v12, 7, v12
	v_cmp_eq_u16_e32 vcc, 0, v3
	v_cndmask_b32_e32 v2, v2, v12, vcc
	v_cndmask_b32_e32 v3, v6, v7, vcc
	v_lshlrev_b32_e32 v6, 8, v8
	v_mov_b32_e32 v7, 0x3b800000
	v_lshlrev_b32_e32 v2, 20, v2
	v_and_b32_e32 v6, 0x80000000, v6
	v_lshl_add_u32 v3, v3, 23, v7
	v_or3_b32 v2, v6, v3, v2
.LBB1_2900:
	s_or_b64 exec, exec, s[6:7]
	s_movk_i32 s4, 0xff
	v_and_b32_sdwa v3, v4, s4 dst_sel:DWORD dst_unused:UNUSED_PAD src0_sel:WORD_1 src1_sel:DWORD
	s_movk_i32 s4, 0x7f
	v_cmp_lt_i16_e32 vcc, s4, v3
	s_mov_b64 s[4:5], 0
                                        ; implicit-def: $sgpr10
	s_and_saveexec_b64 s[6:7], vcc
	s_xor_b64 s[6:7], exec, s[6:7]
	s_cbranch_execz .LBB1_2901
; %bb.38741:
	s_getpc_b64 s[14:15]
.Lpost_getpc5034:
	s_add_u32 s14, s14, (.LBB1_17237-.Lpost_getpc5034)&4294967295
	s_addc_u32 s15, s15, (.LBB1_17237-.Lpost_getpc5034)>>32
	s_setpc_b64 s[14:15]
.LBB1_2901:
	s_or_saveexec_b64 s[6:7], s[6:7]
	v_mov_b32_e32 v6, s10
	s_xor_b64 exec, exec, s[6:7]
	s_cbranch_execz .LBB1_2902
; %bb.38743:
	s_getpc_b64 s[14:15]
.Lpost_getpc5035:
	s_add_u32 s14, s14, (.LBB1_17240-.Lpost_getpc5035)&4294967295
	s_addc_u32 s15, s15, (.LBB1_17240-.Lpost_getpc5035)>>32
	s_setpc_b64 s[14:15]
.LBB1_2902:
	s_or_b64 exec, exec, s[6:7]
	s_and_saveexec_b64 s[6:7], s[4:5]
	s_cbranch_execz .LBB1_2904
.LBB1_2903:
	v_bfe_u32 v3, v4, 16, 3
	v_ffbh_u32_e32 v12, v3
	v_min_u32_e32 v12, 32, v12
	v_lshrrev_b32_e32 v6, 19, v4
	v_subrev_u32_e32 v13, 28, v12
	v_and_b32_e32 v6, 15, v6
	v_lshlrev_b32_sdwa v13, v13, v4 dst_sel:DWORD dst_unused:UNUSED_PAD src0_sel:DWORD src1_sel:WORD_1
	v_bfe_u32 v7, v4, 19, 4
	v_sub_u32_e32 v12, 29, v12
	v_and_b32_e32 v13, 7, v13
	v_cmp_eq_u16_e32 vcc, 0, v6
	v_cndmask_b32_e32 v3, v3, v13, vcc
	v_cndmask_b32_e32 v6, v7, v12, vcc
	v_lshlrev_b32_e32 v7, 8, v4
	v_mov_b32_e32 v12, 0x3b800000
	v_lshlrev_b32_e32 v3, 20, v3
	v_and_b32_e32 v7, 0x80000000, v7
	v_lshl_add_u32 v6, v6, 23, v12
	v_or3_b32 v6, v7, v6, v3
.LBB1_2904:
	s_or_b64 exec, exec, s[6:7]
	s_nop 0
	v_mfma_f32_16x16x4f32 a[0:3], v2, v6, a[0:3]
	s_movk_i32 s4, 0x7f
	v_cmp_gt_i16_sdwa s[6:7], v8, s4 src0_sel:BYTE_3 src1_sel:DWORD
	s_mov_b64 s[4:5], 0
                                        ; implicit-def: $sgpr10
	s_and_saveexec_b64 s[8:9], s[6:7]
	s_xor_b64 s[6:7], exec, s[8:9]
	s_cbranch_execz .LBB1_2905
; %bb.38745:
	s_getpc_b64 s[14:15]
.Lpost_getpc5036:
	s_add_u32 s14, s14, (.LBB1_17241-.Lpost_getpc5036)&4294967295
	s_addc_u32 s15, s15, (.LBB1_17241-.Lpost_getpc5036)>>32
	s_setpc_b64 s[14:15]
.LBB1_2905:
	s_or_saveexec_b64 s[6:7], s[6:7]
	v_mov_b32_e32 v2, s10
	s_xor_b64 exec, exec, s[6:7]
	s_cbranch_execz .LBB1_2906
; %bb.38747:
	s_getpc_b64 s[14:15]
.Lpost_getpc5037:
	s_add_u32 s14, s14, (.LBB1_17244-.Lpost_getpc5037)&4294967295
	s_addc_u32 s15, s15, (.LBB1_17244-.Lpost_getpc5037)>>32
	s_setpc_b64 s[14:15]
.LBB1_2906:
	s_or_b64 exec, exec, s[6:7]
	s_and_saveexec_b64 s[6:7], s[4:5]
	s_cbranch_execz .LBB1_2908
.LBB1_2907:
	v_bfe_u32 v2, v8, 24, 3
	v_ffbh_u32_e32 v12, v2
	v_min_u32_e32 v12, 32, v12
	v_lshrrev_b32_e32 v6, 27, v8
	v_subrev_u32_e32 v13, 28, v12
	v_and_b32_e32 v3, 0x80000000, v8
	v_and_b32_e32 v6, 15, v6
	v_bfe_u32 v7, v8, 27, 4
	v_lshlrev_b32_sdwa v8, v13, v8 dst_sel:DWORD dst_unused:UNUSED_PAD src0_sel:DWORD src1_sel:BYTE_3
	v_sub_u32_e32 v12, 29, v12
	v_and_b32_e32 v8, 7, v8
	v_cmp_eq_u16_e32 vcc, 0, v6
	v_cndmask_b32_e32 v2, v2, v8, vcc
	v_cndmask_b32_e32 v6, v7, v12, vcc
	v_mov_b32_e32 v7, 0x3b800000
	v_lshlrev_b32_e32 v2, 20, v2
	v_lshl_add_u32 v6, v6, 23, v7
	v_or3_b32 v2, v3, v6, v2
.LBB1_2908:
	s_or_b64 exec, exec, s[6:7]
	s_movk_i32 s4, 0x7f
	v_cmp_gt_i16_sdwa s[6:7], v4, s4 src0_sel:BYTE_3 src1_sel:DWORD
	s_mov_b64 s[4:5], 0
                                        ; implicit-def: $sgpr10
	s_and_saveexec_b64 s[8:9], s[6:7]
	s_xor_b64 s[6:7], exec, s[8:9]
	s_cbranch_execz .LBB1_2909
; %bb.38749:
	s_getpc_b64 s[14:15]
.Lpost_getpc5038:
	s_add_u32 s14, s14, (.LBB1_17245-.Lpost_getpc5038)&4294967295
	s_addc_u32 s15, s15, (.LBB1_17245-.Lpost_getpc5038)>>32
	s_setpc_b64 s[14:15]
.LBB1_2909:
	s_or_saveexec_b64 s[6:7], s[6:7]
	v_mov_b32_e32 v3, s10
	s_xor_b64 exec, exec, s[6:7]
	s_cbranch_execz .LBB1_2910
; %bb.38751:
	s_getpc_b64 s[14:15]
.Lpost_getpc5039:
	s_add_u32 s14, s14, (.LBB1_17248-.Lpost_getpc5039)&4294967295
	s_addc_u32 s15, s15, (.LBB1_17248-.Lpost_getpc5039)>>32
	s_setpc_b64 s[14:15]
.LBB1_2910:
	s_or_b64 exec, exec, s[6:7]
	s_and_saveexec_b64 s[6:7], s[4:5]
	s_cbranch_execz .LBB1_2912
.LBB1_2911:
	v_bfe_u32 v3, v4, 24, 3
	v_ffbh_u32_e32 v12, v3
	v_min_u32_e32 v12, 32, v12
	v_lshrrev_b32_e32 v7, 27, v4
	v_subrev_u32_e32 v13, 28, v12
	v_and_b32_e32 v6, 0x80000000, v4
	v_and_b32_e32 v7, 15, v7
	v_bfe_u32 v8, v4, 27, 4
	v_lshlrev_b32_sdwa v4, v13, v4 dst_sel:DWORD dst_unused:UNUSED_PAD src0_sel:DWORD src1_sel:BYTE_3
	v_sub_u32_e32 v12, 29, v12
	v_and_b32_e32 v4, 7, v4
	v_cmp_eq_u16_e32 vcc, 0, v7
	v_cndmask_b32_e32 v3, v3, v4, vcc
	v_cndmask_b32_e32 v4, v8, v12, vcc
	v_mov_b32_e32 v7, 0x3b800000
	v_lshlrev_b32_e32 v3, 20, v3
	v_lshl_add_u32 v4, v4, 23, v7
	v_or3_b32 v3, v6, v4, v3
.LBB1_2912:
	s_or_b64 exec, exec, s[6:7]
	s_nop 0
	v_mfma_f32_16x16x4f32 a[0:3], v2, v3, a[0:3]
	s_movk_i32 s4, 0x7f
	v_cmp_gt_i16_sdwa s[6:7], v9, s4 src0_sel:BYTE_0 src1_sel:DWORD
	s_mov_b64 s[4:5], 0
                                        ; implicit-def: $sgpr10
	s_and_saveexec_b64 s[8:9], s[6:7]
	s_xor_b64 s[6:7], exec, s[8:9]
	s_cbranch_execz .LBB1_2913
; %bb.38753:
	s_getpc_b64 s[14:15]
.Lpost_getpc5040:
	s_add_u32 s14, s14, (.LBB1_17249-.Lpost_getpc5040)&4294967295
	s_addc_u32 s15, s15, (.LBB1_17249-.Lpost_getpc5040)>>32
	s_setpc_b64 s[14:15]
.LBB1_2913:
	s_or_saveexec_b64 s[6:7], s[6:7]
	v_mov_b32_e32 v2, s10
	s_xor_b64 exec, exec, s[6:7]
	s_cbranch_execz .LBB1_2914
; %bb.38755:
	s_getpc_b64 s[14:15]
.Lpost_getpc5041:
	s_add_u32 s14, s14, (.LBB1_17252-.Lpost_getpc5041)&4294967295
	s_addc_u32 s15, s15, (.LBB1_17252-.Lpost_getpc5041)>>32
	s_setpc_b64 s[14:15]
.LBB1_2914:
	s_or_b64 exec, exec, s[6:7]
	s_and_saveexec_b64 s[6:7], s[4:5]
	s_cbranch_execz .LBB1_2916
.LBB1_2915:
	v_mov_b32_e32 v2, 8
	v_and_b32_e32 v3, 7, v9
	v_lshrrev_b32_sdwa v2, v2, v9 dst_sel:BYTE_1 dst_unused:UNUSED_PAD src0_sel:DWORD src1_sel:DWORD
	v_ffbh_u32_e32 v4, v3
	v_or_b32_sdwa v2, v9, v2 dst_sel:DWORD dst_unused:UNUSED_PAD src0_sel:BYTE_0 src1_sel:DWORD
	v_min_u32_e32 v4, 32, v4
	v_lshrrev_b16_e32 v2, 3, v2
	v_subrev_u32_e32 v6, 28, v4
	v_and_b32_e32 v2, 15, v2
	v_lshlrev_b32_e32 v6, v6, v9
	v_sub_u32_e32 v4, 29, v4
	v_and_b32_e32 v6, 7, v6
	v_cmp_eq_u16_e32 vcc, 0, v2
	v_cndmask_b32_e32 v3, v3, v6, vcc
	v_cndmask_b32_e32 v2, v2, v4, vcc
	v_lshlrev_b32_e32 v4, 24, v9
	v_mov_b32_e32 v6, 0x3b800000
	v_lshlrev_b32_e32 v3, 20, v3
	v_and_b32_e32 v4, 0x80000000, v4
	v_lshl_add_u32 v2, v2, 23, v6
	v_or3_b32 v2, v4, v2, v3
.LBB1_2916:
	s_or_b64 exec, exec, s[6:7]
	s_movk_i32 s4, 0x7f
	v_cmp_gt_i16_sdwa s[6:7], v5, s4 src0_sel:BYTE_0 src1_sel:DWORD
	s_mov_b64 s[4:5], 0
                                        ; implicit-def: $sgpr10
	s_and_saveexec_b64 s[8:9], s[6:7]
	s_xor_b64 s[6:7], exec, s[8:9]
	s_cbranch_execz .LBB1_2917
; %bb.38757:
	s_getpc_b64 s[14:15]
.Lpost_getpc5042:
	s_add_u32 s14, s14, (.LBB1_17253-.Lpost_getpc5042)&4294967295
	s_addc_u32 s15, s15, (.LBB1_17253-.Lpost_getpc5042)>>32
	s_setpc_b64 s[14:15]
.LBB1_2917:
	s_or_saveexec_b64 s[6:7], s[6:7]
	v_mov_b32_e32 v3, s10
	s_xor_b64 exec, exec, s[6:7]
	s_cbranch_execz .LBB1_2918
; %bb.38759:
	s_getpc_b64 s[14:15]
.Lpost_getpc5043:
	s_add_u32 s14, s14, (.LBB1_17256-.Lpost_getpc5043)&4294967295
	s_addc_u32 s15, s15, (.LBB1_17256-.Lpost_getpc5043)>>32
	s_setpc_b64 s[14:15]
.LBB1_2918:
	s_or_b64 exec, exec, s[6:7]
	s_and_saveexec_b64 s[6:7], s[4:5]
	s_cbranch_execz .LBB1_2920
.LBB1_2919:
	v_mov_b32_e32 v3, 8
	v_and_b32_e32 v4, 7, v5
	v_lshrrev_b32_sdwa v3, v3, v5 dst_sel:BYTE_1 dst_unused:UNUSED_PAD src0_sel:DWORD src1_sel:DWORD
	v_ffbh_u32_e32 v6, v4
	v_or_b32_sdwa v3, v5, v3 dst_sel:DWORD dst_unused:UNUSED_PAD src0_sel:BYTE_0 src1_sel:DWORD
	v_min_u32_e32 v6, 32, v6
	v_lshrrev_b16_e32 v3, 3, v3
	v_subrev_u32_e32 v7, 28, v6
	v_and_b32_e32 v3, 15, v3
	v_lshlrev_b32_e32 v7, v7, v5
	v_sub_u32_e32 v6, 29, v6
	v_and_b32_e32 v7, 7, v7
	v_cmp_eq_u16_e32 vcc, 0, v3
	v_cndmask_b32_e32 v4, v4, v7, vcc
	v_cndmask_b32_e32 v3, v3, v6, vcc
	v_lshlrev_b32_e32 v6, 24, v5
	v_mov_b32_e32 v7, 0x3b800000
	v_lshlrev_b32_e32 v4, 20, v4
	v_and_b32_e32 v6, 0x80000000, v6
	v_lshl_add_u32 v3, v3, 23, v7
	v_or3_b32 v3, v6, v3, v4
.LBB1_2920:
	s_or_b64 exec, exec, s[6:7]
	s_nop 0
	v_mfma_f32_16x16x4f32 a[0:3], v2, v3, a[0:3]
	v_lshrrev_b32_e32 v3, 8, v9
	s_movk_i32 s4, 0x7f
	v_cmp_gt_i16_sdwa s[6:7], v3, s4 src0_sel:BYTE_0 src1_sel:DWORD
	s_mov_b64 s[4:5], 0
                                        ; implicit-def: $sgpr10
	s_and_saveexec_b64 s[8:9], s[6:7]
	s_xor_b64 s[6:7], exec, s[8:9]
	s_cbranch_execz .LBB1_2921
; %bb.38761:
	s_getpc_b64 s[14:15]
.Lpost_getpc5044:
	s_add_u32 s14, s14, (.LBB1_17257-.Lpost_getpc5044)&4294967295
	s_addc_u32 s15, s15, (.LBB1_17257-.Lpost_getpc5044)>>32
	s_setpc_b64 s[14:15]
.LBB1_2921:
	s_or_saveexec_b64 s[6:7], s[6:7]
	v_mov_b32_e32 v2, s10
	s_xor_b64 exec, exec, s[6:7]
	s_cbranch_execz .LBB1_2922
; %bb.38763:
	s_getpc_b64 s[14:15]
.Lpost_getpc5045:
	s_add_u32 s14, s14, (.LBB1_17260-.Lpost_getpc5045)&4294967295
	s_addc_u32 s15, s15, (.LBB1_17260-.Lpost_getpc5045)>>32
	s_setpc_b64 s[14:15]
.LBB1_2922:
	s_or_b64 exec, exec, s[6:7]
	s_and_saveexec_b64 s[6:7], s[4:5]
	s_cbranch_execz .LBB1_2924
.LBB1_2923:
	v_bfe_u32 v2, v9, 8, 3
	v_ffbh_u32_e32 v6, v2
	v_min_u32_e32 v6, 32, v6
	v_lshrrev_b16_e32 v4, 3, v3
	v_subrev_u32_e32 v7, 28, v6
	v_and_b32_e32 v4, 15, v4
	v_lshlrev_b32_e32 v3, v7, v3
	v_sub_u32_e32 v6, 29, v6
	v_and_b32_e32 v3, 7, v3
	v_cmp_eq_u16_e32 vcc, 0, v4
	v_cndmask_b32_e32 v2, v2, v3, vcc
	v_cndmask_b32_e32 v3, v4, v6, vcc
	v_lshlrev_b32_e32 v4, 16, v9
	v_mov_b32_e32 v6, 0x3b800000
	v_lshlrev_b32_e32 v2, 20, v2
	v_and_b32_e32 v4, 0x80000000, v4
	v_lshl_add_u32 v3, v3, 23, v6
	v_or3_b32 v2, v4, v3, v2
.LBB1_2924:
	s_or_b64 exec, exec, s[6:7]
	v_lshrrev_b32_e32 v3, 8, v5
	s_movk_i32 s4, 0x7f
	v_cmp_gt_i16_sdwa s[6:7], v3, s4 src0_sel:BYTE_0 src1_sel:DWORD
	s_mov_b64 s[4:5], 0
                                        ; implicit-def: $sgpr10
	s_and_saveexec_b64 s[8:9], s[6:7]
	s_xor_b64 s[6:7], exec, s[8:9]
	s_cbranch_execz .LBB1_2925
; %bb.38765:
	s_getpc_b64 s[14:15]
.Lpost_getpc5046:
	s_add_u32 s14, s14, (.LBB1_17261-.Lpost_getpc5046)&4294967295
	s_addc_u32 s15, s15, (.LBB1_17261-.Lpost_getpc5046)>>32
	s_setpc_b64 s[14:15]
.LBB1_2925:
	s_or_saveexec_b64 s[6:7], s[6:7]
	v_mov_b32_e32 v4, s10
	s_xor_b64 exec, exec, s[6:7]
	s_cbranch_execz .LBB1_2926
; %bb.38767:
	s_getpc_b64 s[14:15]
.Lpost_getpc5047:
	s_add_u32 s14, s14, (.LBB1_17264-.Lpost_getpc5047)&4294967295
	s_addc_u32 s15, s15, (.LBB1_17264-.Lpost_getpc5047)>>32
	s_setpc_b64 s[14:15]
.LBB1_2926:
	s_or_b64 exec, exec, s[6:7]
	s_and_saveexec_b64 s[6:7], s[4:5]
	s_cbranch_execz .LBB1_2928
.LBB1_2927:
	v_bfe_u32 v4, v5, 8, 3
	v_ffbh_u32_e32 v7, v4
	v_min_u32_e32 v7, 32, v7
	v_lshrrev_b16_e32 v6, 3, v3
	v_subrev_u32_e32 v8, 28, v7
	v_and_b32_e32 v6, 15, v6
	v_lshlrev_b32_e32 v3, v8, v3
	v_sub_u32_e32 v7, 29, v7
	v_and_b32_e32 v3, 7, v3
	v_cmp_eq_u16_e32 vcc, 0, v6
	v_cndmask_b32_e32 v3, v4, v3, vcc
	v_cndmask_b32_e32 v4, v6, v7, vcc
	v_lshlrev_b32_e32 v6, 16, v5
	v_mov_b32_e32 v7, 0x3b800000
	v_lshlrev_b32_e32 v3, 20, v3
	v_and_b32_e32 v6, 0x80000000, v6
	v_lshl_add_u32 v4, v4, 23, v7
	v_or3_b32 v4, v6, v4, v3
.LBB1_2928:
	s_or_b64 exec, exec, s[6:7]
	s_nop 0
	v_mfma_f32_16x16x4f32 a[0:3], v2, v4, a[0:3]
	s_movk_i32 s4, 0xff
	v_and_b32_sdwa v3, v9, s4 dst_sel:DWORD dst_unused:UNUSED_PAD src0_sel:WORD_1 src1_sel:DWORD
	s_movk_i32 s4, 0x7f
	v_cmp_lt_i16_e32 vcc, s4, v3
	s_mov_b64 s[4:5], 0
                                        ; implicit-def: $sgpr10
	s_and_saveexec_b64 s[6:7], vcc
	s_xor_b64 s[6:7], exec, s[6:7]
	s_cbranch_execz .LBB1_2929
; %bb.38769:
	s_getpc_b64 s[14:15]
.Lpost_getpc5048:
	s_add_u32 s14, s14, (.LBB1_17265-.Lpost_getpc5048)&4294967295
	s_addc_u32 s15, s15, (.LBB1_17265-.Lpost_getpc5048)>>32
	s_setpc_b64 s[14:15]
.LBB1_2929:
	s_or_saveexec_b64 s[6:7], s[6:7]
	v_mov_b32_e32 v2, s10
	s_xor_b64 exec, exec, s[6:7]
	s_cbranch_execz .LBB1_2930
; %bb.38771:
	s_getpc_b64 s[14:15]
.Lpost_getpc5049:
	s_add_u32 s14, s14, (.LBB1_17268-.Lpost_getpc5049)&4294967295
	s_addc_u32 s15, s15, (.LBB1_17268-.Lpost_getpc5049)>>32
	s_setpc_b64 s[14:15]
.LBB1_2930:
	s_or_b64 exec, exec, s[6:7]
	s_and_saveexec_b64 s[6:7], s[4:5]
	s_cbranch_execz .LBB1_2932
.LBB1_2931:
	v_bfe_u32 v2, v9, 16, 3
	v_ffbh_u32_e32 v6, v2
	v_min_u32_e32 v6, 32, v6
	v_lshrrev_b32_e32 v3, 19, v9
	v_subrev_u32_e32 v7, 28, v6
	v_and_b32_e32 v3, 15, v3
	v_lshlrev_b32_sdwa v7, v7, v9 dst_sel:DWORD dst_unused:UNUSED_PAD src0_sel:DWORD src1_sel:WORD_1
	v_bfe_u32 v4, v9, 19, 4
	v_sub_u32_e32 v6, 29, v6
	v_and_b32_e32 v7, 7, v7
	v_cmp_eq_u16_e32 vcc, 0, v3
	v_cndmask_b32_e32 v2, v2, v7, vcc
	v_cndmask_b32_e32 v3, v4, v6, vcc
	v_lshlrev_b32_e32 v4, 8, v9
	v_mov_b32_e32 v6, 0x3b800000
	v_lshlrev_b32_e32 v2, 20, v2
	v_and_b32_e32 v4, 0x80000000, v4
	v_lshl_add_u32 v3, v3, 23, v6
	v_or3_b32 v2, v4, v3, v2
.LBB1_2932:
	s_or_b64 exec, exec, s[6:7]
	s_movk_i32 s4, 0xff
	v_and_b32_sdwa v3, v5, s4 dst_sel:DWORD dst_unused:UNUSED_PAD src0_sel:WORD_1 src1_sel:DWORD
	s_movk_i32 s4, 0x7f
	v_cmp_lt_i16_e32 vcc, s4, v3
	s_mov_b64 s[4:5], 0
                                        ; implicit-def: $sgpr10
	s_and_saveexec_b64 s[6:7], vcc
	s_xor_b64 s[6:7], exec, s[6:7]
	s_cbranch_execz .LBB1_2933
; %bb.38773:
	s_getpc_b64 s[14:15]
.Lpost_getpc5050:
	s_add_u32 s14, s14, (.LBB1_17269-.Lpost_getpc5050)&4294967295
	s_addc_u32 s15, s15, (.LBB1_17269-.Lpost_getpc5050)>>32
	s_setpc_b64 s[14:15]
.LBB1_2933:
	s_or_saveexec_b64 s[6:7], s[6:7]
	v_mov_b32_e32 v4, s10
	s_xor_b64 exec, exec, s[6:7]
	s_cbranch_execz .LBB1_2934
; %bb.38775:
	s_getpc_b64 s[14:15]
.Lpost_getpc5051:
	s_add_u32 s14, s14, (.LBB1_17272-.Lpost_getpc5051)&4294967295
	s_addc_u32 s15, s15, (.LBB1_17272-.Lpost_getpc5051)>>32
	s_setpc_b64 s[14:15]
.LBB1_2934:
	s_or_b64 exec, exec, s[6:7]
	s_and_saveexec_b64 s[6:7], s[4:5]
	s_cbranch_execz .LBB1_2936
.LBB1_2935:
	v_bfe_u32 v3, v5, 16, 3
	v_ffbh_u32_e32 v7, v3
	v_min_u32_e32 v7, 32, v7
	v_lshrrev_b32_e32 v4, 19, v5
	v_subrev_u32_e32 v8, 28, v7
	v_and_b32_e32 v4, 15, v4
	v_lshlrev_b32_sdwa v8, v8, v5 dst_sel:DWORD dst_unused:UNUSED_PAD src0_sel:DWORD src1_sel:WORD_1
	v_bfe_u32 v6, v5, 19, 4
	v_sub_u32_e32 v7, 29, v7
	v_and_b32_e32 v8, 7, v8
	v_cmp_eq_u16_e32 vcc, 0, v4
	v_cndmask_b32_e32 v3, v3, v8, vcc
	v_cndmask_b32_e32 v4, v6, v7, vcc
	v_lshlrev_b32_e32 v6, 8, v5
	v_mov_b32_e32 v7, 0x3b800000
	v_lshlrev_b32_e32 v3, 20, v3
	v_and_b32_e32 v6, 0x80000000, v6
	v_lshl_add_u32 v4, v4, 23, v7
	v_or3_b32 v4, v6, v4, v3
.LBB1_2936:
	s_or_b64 exec, exec, s[6:7]
	s_nop 0
	v_mfma_f32_16x16x4f32 a[0:3], v2, v4, a[0:3]
	s_movk_i32 s4, 0x7f
	v_cmp_gt_i16_sdwa s[6:7], v9, s4 src0_sel:BYTE_3 src1_sel:DWORD
	s_mov_b64 s[4:5], 0
                                        ; implicit-def: $sgpr10
	s_and_saveexec_b64 s[8:9], s[6:7]
	s_xor_b64 s[6:7], exec, s[8:9]
	s_cbranch_execz .LBB1_2937
; %bb.38777:
	s_getpc_b64 s[14:15]
.Lpost_getpc5052:
	s_add_u32 s14, s14, (.LBB1_17273-.Lpost_getpc5052)&4294967295
	s_addc_u32 s15, s15, (.LBB1_17273-.Lpost_getpc5052)>>32
	s_setpc_b64 s[14:15]
.LBB1_2937:
	s_or_saveexec_b64 s[6:7], s[6:7]
	v_mov_b32_e32 v2, s10
	s_xor_b64 exec, exec, s[6:7]
	s_cbranch_execz .LBB1_2938
; %bb.38779:
	s_getpc_b64 s[14:15]
.Lpost_getpc5053:
	s_add_u32 s14, s14, (.LBB1_17276-.Lpost_getpc5053)&4294967295
	s_addc_u32 s15, s15, (.LBB1_17276-.Lpost_getpc5053)>>32
	s_setpc_b64 s[14:15]
.LBB1_2938:
	s_or_b64 exec, exec, s[6:7]
	s_and_saveexec_b64 s[6:7], s[4:5]
	s_cbranch_execz .LBB1_2940
.LBB1_2939:
	v_bfe_u32 v2, v9, 24, 3
	v_ffbh_u32_e32 v7, v2
	v_min_u32_e32 v7, 32, v7
	v_lshrrev_b32_e32 v4, 27, v9
	v_subrev_u32_e32 v8, 28, v7
	v_and_b32_e32 v4, 15, v4
	v_lshlrev_b32_sdwa v8, v8, v9 dst_sel:DWORD dst_unused:UNUSED_PAD src0_sel:DWORD src1_sel:BYTE_3
	v_bfe_u32 v6, v9, 27, 4
	v_sub_u32_e32 v7, 29, v7
	v_and_b32_e32 v8, 7, v8
	v_cmp_eq_u16_e32 vcc, 0, v4
	v_cndmask_b32_e32 v2, v2, v8, vcc
	v_cndmask_b32_e32 v4, v6, v7, vcc
	v_mov_b32_e32 v6, 0x3b800000
	v_and_b32_e32 v3, 0x80000000, v9
	v_lshlrev_b32_e32 v2, 20, v2
	v_lshl_add_u32 v4, v4, 23, v6
	v_or3_b32 v2, v3, v4, v2
.LBB1_2940:
	s_or_b64 exec, exec, s[6:7]
	s_movk_i32 s4, 0x7f
	v_cmp_gt_i16_sdwa s[6:7], v5, s4 src0_sel:BYTE_3 src1_sel:DWORD
	s_mov_b64 s[4:5], 0
                                        ; implicit-def: $sgpr10
	s_and_saveexec_b64 s[8:9], s[6:7]
	s_xor_b64 s[6:7], exec, s[8:9]
	s_cbranch_execz .LBB1_2941
; %bb.38781:
	s_getpc_b64 s[14:15]
.Lpost_getpc5054:
	s_add_u32 s14, s14, (.LBB1_17277-.Lpost_getpc5054)&4294967295
	s_addc_u32 s15, s15, (.LBB1_17277-.Lpost_getpc5054)>>32
	s_setpc_b64 s[14:15]
.LBB1_2941:
	s_or_saveexec_b64 s[6:7], s[6:7]
	v_mov_b32_e32 v3, s10
	s_xor_b64 exec, exec, s[6:7]
	s_cbranch_execz .LBB1_2942
; %bb.38783:
	s_getpc_b64 s[14:15]
.Lpost_getpc5055:
	s_add_u32 s14, s14, (.LBB1_17280-.Lpost_getpc5055)&4294967295
	s_addc_u32 s15, s15, (.LBB1_17280-.Lpost_getpc5055)>>32
	s_setpc_b64 s[14:15]
.LBB1_2942:
	s_or_b64 exec, exec, s[6:7]
	s_and_saveexec_b64 s[6:7], s[4:5]
	s_cbranch_execz .LBB1_2944
.LBB1_2943:
	v_bfe_u32 v3, v5, 24, 3
	v_ffbh_u32_e32 v8, v3
	v_min_u32_e32 v8, 32, v8
	v_lshrrev_b32_e32 v6, 27, v5
	v_subrev_u32_e32 v9, 28, v8
	v_and_b32_e32 v4, 0x80000000, v5
	v_and_b32_e32 v6, 15, v6
	v_bfe_u32 v7, v5, 27, 4
	v_lshlrev_b32_sdwa v5, v9, v5 dst_sel:DWORD dst_unused:UNUSED_PAD src0_sel:DWORD src1_sel:BYTE_3
	v_sub_u32_e32 v8, 29, v8
	v_and_b32_e32 v5, 7, v5
	v_cmp_eq_u16_e32 vcc, 0, v6
	v_cndmask_b32_e32 v3, v3, v5, vcc
	v_cndmask_b32_e32 v5, v7, v8, vcc
	v_mov_b32_e32 v6, 0x3b800000
	v_lshlrev_b32_e32 v3, 20, v3
	v_lshl_add_u32 v5, v5, 23, v6
	v_or3_b32 v3, v4, v5, v3
.LBB1_2944:
	s_or_b64 exec, exec, s[6:7]
	s_nop 0
	v_mfma_f32_16x16x4f32 a[0:3], v2, v3, a[0:3]
	s_movk_i32 s4, 0x7f
                                        ; implicit-def: $sgpr10
	s_nop 7
	s_nop 1
	flat_store_dwordx4 v[10:11], a[0:3] offset:352
	flat_load_dwordx4 v[12:15], v[0:1]
	s_nop 0
	flat_load_dwordx2 v[10:11], v[0:1] offset:16
	s_waitcnt vmcnt(0) lgkmcnt(0)
	flat_load_dwordx4 v[6:9], v[12:13] offset:32
	flat_load_dwordx4 v[2:5], v[14:15] offset:112
	s_waitcnt vmcnt(0) lgkmcnt(0)
	v_cmp_gt_i16_sdwa s[6:7], v6, s4 src0_sel:BYTE_0 src1_sel:DWORD
	s_mov_b64 s[4:5], 0
	s_and_saveexec_b64 s[8:9], s[6:7]
	s_xor_b64 s[6:7], exec, s[8:9]
	s_cbranch_execz .LBB1_2945
; %bb.38785:
	s_getpc_b64 s[14:15]
.Lpost_getpc5056:
	s_add_u32 s14, s14, (.LBB1_17281-.Lpost_getpc5056)&4294967295
	s_addc_u32 s15, s15, (.LBB1_17281-.Lpost_getpc5056)>>32
	s_setpc_b64 s[14:15]
.LBB1_2945:
	s_or_saveexec_b64 s[6:7], s[6:7]
	v_mov_b32_e32 v12, s10
	s_xor_b64 exec, exec, s[6:7]
	s_cbranch_execz .LBB1_2946
; %bb.38787:
	s_getpc_b64 s[14:15]
.Lpost_getpc5057:
	s_add_u32 s14, s14, (.LBB1_17284-.Lpost_getpc5057)&4294967295
	s_addc_u32 s15, s15, (.LBB1_17284-.Lpost_getpc5057)>>32
	s_setpc_b64 s[14:15]
.LBB1_2946:
	s_or_b64 exec, exec, s[6:7]
	s_and_saveexec_b64 s[6:7], s[4:5]
	s_cbranch_execz .LBB1_2948
.LBB1_2947:
	v_and_b32_e32 v12, 7, v6
	v_ffbh_u32_e32 v14, v12
	v_min_u32_e32 v14, 32, v14
	v_lshrrev_b16_e32 v13, 3, v6
	v_subrev_u32_e32 v15, 28, v14
	v_and_b32_e32 v13, 15, v13
	v_lshlrev_b32_e32 v15, v15, v6
	v_sub_u32_e32 v14, 29, v14
	v_and_b32_e32 v15, 7, v15
	v_cmp_eq_u16_e32 vcc, 0, v13
	v_cndmask_b32_e32 v12, v12, v15, vcc
	v_cndmask_b32_e32 v13, v13, v14, vcc
	v_lshlrev_b32_e32 v14, 24, v6
	v_mov_b32_e32 v15, 0x3b800000
	v_lshlrev_b32_e32 v12, 20, v12
	v_and_b32_e32 v14, 0x80000000, v14
	v_lshl_add_u32 v13, v13, 23, v15
	v_or3_b32 v12, v14, v13, v12
.LBB1_2948:
	s_or_b64 exec, exec, s[6:7]
	s_movk_i32 s4, 0x7f
	v_cmp_gt_i16_sdwa s[6:7], v2, s4 src0_sel:BYTE_0 src1_sel:DWORD
	s_mov_b64 s[4:5], 0
                                        ; implicit-def: $sgpr10
	s_and_saveexec_b64 s[8:9], s[6:7]
	s_xor_b64 s[6:7], exec, s[8:9]
	s_cbranch_execz .LBB1_2949
; %bb.38789:
	s_getpc_b64 s[14:15]
.Lpost_getpc5058:
	s_add_u32 s14, s14, (.LBB1_17285-.Lpost_getpc5058)&4294967295
	s_addc_u32 s15, s15, (.LBB1_17285-.Lpost_getpc5058)>>32
	s_setpc_b64 s[14:15]
.LBB1_2949:
	s_or_saveexec_b64 s[6:7], s[6:7]
	v_mov_b32_e32 v13, s10
	s_xor_b64 exec, exec, s[6:7]
	s_cbranch_execz .LBB1_2950
; %bb.38791:
	s_getpc_b64 s[14:15]
.Lpost_getpc5059:
	s_add_u32 s14, s14, (.LBB1_17288-.Lpost_getpc5059)&4294967295
	s_addc_u32 s15, s15, (.LBB1_17288-.Lpost_getpc5059)>>32
	s_setpc_b64 s[14:15]
.LBB1_2950:
	s_or_b64 exec, exec, s[6:7]
	s_and_saveexec_b64 s[6:7], s[4:5]
	s_cbranch_execz .LBB1_2952
.LBB1_2951:
	v_and_b32_e32 v13, 7, v2
	v_ffbh_u32_e32 v15, v13
	v_min_u32_e32 v15, 32, v15
	v_lshrrev_b16_e32 v14, 3, v2
	v_subrev_u32_e32 v16, 28, v15
	v_and_b32_e32 v14, 15, v14
	v_lshlrev_b32_e32 v16, v16, v2
	v_sub_u32_e32 v15, 29, v15
	v_and_b32_e32 v16, 7, v16
	v_cmp_eq_u16_e32 vcc, 0, v14
	v_cndmask_b32_e32 v13, v13, v16, vcc
	v_cndmask_b32_e32 v14, v14, v15, vcc
	v_lshlrev_b32_e32 v15, 24, v2
	v_mov_b32_e32 v16, 0x3b800000
	v_lshlrev_b32_e32 v13, 20, v13
	v_and_b32_e32 v15, 0x80000000, v15
	v_lshl_add_u32 v14, v14, 23, v16
	v_or3_b32 v13, v15, v14, v13
.LBB1_2952:
	s_or_b64 exec, exec, s[6:7]
	flat_load_dwordx4 a[0:3], v[10:11] offset:368
	s_movk_i32 s4, 0x7f
                                        ; implicit-def: $sgpr10
	s_waitcnt vmcnt(0) lgkmcnt(0)
	v_mfma_f32_16x16x4f32 a[0:3], v12, v13, a[0:3]
	v_lshrrev_b32_e32 v13, 8, v6
	v_cmp_gt_i16_sdwa s[6:7], v13, s4 src0_sel:BYTE_0 src1_sel:DWORD
	s_mov_b64 s[4:5], 0
	s_and_saveexec_b64 s[8:9], s[6:7]
	s_xor_b64 s[6:7], exec, s[8:9]
	s_cbranch_execz .LBB1_2953
; %bb.38793:
	s_getpc_b64 s[14:15]
.Lpost_getpc5060:
	s_add_u32 s14, s14, (.LBB1_17289-.Lpost_getpc5060)&4294967295
	s_addc_u32 s15, s15, (.LBB1_17289-.Lpost_getpc5060)>>32
	s_setpc_b64 s[14:15]
.LBB1_2953:
	s_or_saveexec_b64 s[6:7], s[6:7]
	v_mov_b32_e32 v12, s10
	s_xor_b64 exec, exec, s[6:7]
	s_cbranch_execz .LBB1_2954
; %bb.38795:
	s_getpc_b64 s[14:15]
.Lpost_getpc5061:
	s_add_u32 s14, s14, (.LBB1_17292-.Lpost_getpc5061)&4294967295
	s_addc_u32 s15, s15, (.LBB1_17292-.Lpost_getpc5061)>>32
	s_setpc_b64 s[14:15]
.LBB1_2954:
	s_or_b64 exec, exec, s[6:7]
	s_and_saveexec_b64 s[6:7], s[4:5]
	s_cbranch_execz .LBB1_2956
.LBB1_2955:
	v_bfe_u32 v12, v6, 8, 3
	v_ffbh_u32_e32 v15, v12
	v_min_u32_e32 v15, 32, v15
	v_lshrrev_b16_e32 v14, 3, v13
	v_subrev_u32_e32 v16, 28, v15
	v_and_b32_e32 v14, 15, v14
	v_lshlrev_b32_e32 v13, v16, v13
	v_sub_u32_e32 v15, 29, v15
	v_and_b32_e32 v13, 7, v13
	v_cmp_eq_u16_e32 vcc, 0, v14
	v_cndmask_b32_e32 v12, v12, v13, vcc
	v_cndmask_b32_e32 v13, v14, v15, vcc
	v_lshlrev_b32_e32 v14, 16, v6
	v_mov_b32_e32 v15, 0x3b800000
	v_lshlrev_b32_e32 v12, 20, v12
	v_and_b32_e32 v14, 0x80000000, v14
	v_lshl_add_u32 v13, v13, 23, v15
	v_or3_b32 v12, v14, v13, v12
.LBB1_2956:
	s_or_b64 exec, exec, s[6:7]
	v_lshrrev_b32_e32 v13, 8, v2
	s_movk_i32 s4, 0x7f
	v_cmp_gt_i16_sdwa s[6:7], v13, s4 src0_sel:BYTE_0 src1_sel:DWORD
	s_mov_b64 s[4:5], 0
                                        ; implicit-def: $sgpr10
	s_and_saveexec_b64 s[8:9], s[6:7]
	s_xor_b64 s[6:7], exec, s[8:9]
	s_cbranch_execz .LBB1_2957
; %bb.38797:
	s_getpc_b64 s[14:15]
.Lpost_getpc5062:
	s_add_u32 s14, s14, (.LBB1_17293-.Lpost_getpc5062)&4294967295
	s_addc_u32 s15, s15, (.LBB1_17293-.Lpost_getpc5062)>>32
	s_setpc_b64 s[14:15]
.LBB1_2957:
	s_or_saveexec_b64 s[6:7], s[6:7]
	v_mov_b32_e32 v14, s10
	s_xor_b64 exec, exec, s[6:7]
	s_cbranch_execz .LBB1_2958
; %bb.38799:
	s_getpc_b64 s[14:15]
.Lpost_getpc5063:
	s_add_u32 s14, s14, (.LBB1_17296-.Lpost_getpc5063)&4294967295
	s_addc_u32 s15, s15, (.LBB1_17296-.Lpost_getpc5063)>>32
	s_setpc_b64 s[14:15]
.LBB1_2958:
	s_or_b64 exec, exec, s[6:7]
	s_and_saveexec_b64 s[6:7], s[4:5]
	s_cbranch_execz .LBB1_2960
.LBB1_2959:
	v_bfe_u32 v14, v2, 8, 3
	v_ffbh_u32_e32 v16, v14
	v_min_u32_e32 v16, 32, v16
	v_lshrrev_b16_e32 v15, 3, v13
	v_subrev_u32_e32 v17, 28, v16
	v_and_b32_e32 v15, 15, v15
	v_lshlrev_b32_e32 v13, v17, v13
	v_sub_u32_e32 v16, 29, v16
	v_and_b32_e32 v13, 7, v13
	v_cmp_eq_u16_e32 vcc, 0, v15
	v_cndmask_b32_e32 v13, v14, v13, vcc
	v_cndmask_b32_e32 v14, v15, v16, vcc
	v_lshlrev_b32_e32 v15, 16, v2
	v_mov_b32_e32 v16, 0x3b800000
	v_lshlrev_b32_e32 v13, 20, v13
	v_and_b32_e32 v15, 0x80000000, v15
	v_lshl_add_u32 v14, v14, 23, v16
	v_or3_b32 v14, v15, v14, v13
.LBB1_2960:
	s_or_b64 exec, exec, s[6:7]
	s_nop 0
	v_mfma_f32_16x16x4f32 a[0:3], v12, v14, a[0:3]
	s_movk_i32 s4, 0xff
	v_and_b32_sdwa v13, v6, s4 dst_sel:DWORD dst_unused:UNUSED_PAD src0_sel:WORD_1 src1_sel:DWORD
	s_movk_i32 s4, 0x7f
	v_cmp_lt_i16_e32 vcc, s4, v13
	s_mov_b64 s[4:5], 0
                                        ; implicit-def: $sgpr10
	s_and_saveexec_b64 s[6:7], vcc
	s_xor_b64 s[6:7], exec, s[6:7]
	s_cbranch_execz .LBB1_2961
; %bb.38801:
	s_getpc_b64 s[14:15]
.Lpost_getpc5064:
	s_add_u32 s14, s14, (.LBB1_17297-.Lpost_getpc5064)&4294967295
	s_addc_u32 s15, s15, (.LBB1_17297-.Lpost_getpc5064)>>32
	s_setpc_b64 s[14:15]
.LBB1_2961:
	s_or_saveexec_b64 s[6:7], s[6:7]
	v_mov_b32_e32 v12, s10
	s_xor_b64 exec, exec, s[6:7]
	s_cbranch_execz .LBB1_2962
; %bb.38803:
	s_getpc_b64 s[14:15]
.Lpost_getpc5065:
	s_add_u32 s14, s14, (.LBB1_17300-.Lpost_getpc5065)&4294967295
	s_addc_u32 s15, s15, (.LBB1_17300-.Lpost_getpc5065)>>32
	s_setpc_b64 s[14:15]
.LBB1_2962:
	s_or_b64 exec, exec, s[6:7]
	s_and_saveexec_b64 s[6:7], s[4:5]
	s_cbranch_execz .LBB1_2964
.LBB1_2963:
	v_bfe_u32 v12, v6, 16, 3
	v_ffbh_u32_e32 v15, v12
	v_min_u32_e32 v15, 32, v15
	v_lshrrev_b32_e32 v13, 19, v6
	v_subrev_u32_e32 v16, 28, v15
	v_and_b32_e32 v13, 15, v13
	v_lshlrev_b32_sdwa v16, v16, v6 dst_sel:DWORD dst_unused:UNUSED_PAD src0_sel:DWORD src1_sel:WORD_1
	v_bfe_u32 v14, v6, 19, 4
	v_sub_u32_e32 v15, 29, v15
	v_and_b32_e32 v16, 7, v16
	v_cmp_eq_u16_e32 vcc, 0, v13
	v_cndmask_b32_e32 v12, v12, v16, vcc
	v_cndmask_b32_e32 v13, v14, v15, vcc
	v_lshlrev_b32_e32 v14, 8, v6
	v_mov_b32_e32 v15, 0x3b800000
	v_lshlrev_b32_e32 v12, 20, v12
	v_and_b32_e32 v14, 0x80000000, v14
	v_lshl_add_u32 v13, v13, 23, v15
	v_or3_b32 v12, v14, v13, v12
.LBB1_2964:
	s_or_b64 exec, exec, s[6:7]
	s_movk_i32 s4, 0xff
	v_and_b32_sdwa v13, v2, s4 dst_sel:DWORD dst_unused:UNUSED_PAD src0_sel:WORD_1 src1_sel:DWORD
	s_movk_i32 s4, 0x7f
	v_cmp_lt_i16_e32 vcc, s4, v13
	s_mov_b64 s[4:5], 0
                                        ; implicit-def: $sgpr10
	s_and_saveexec_b64 s[6:7], vcc
	s_xor_b64 s[6:7], exec, s[6:7]
	s_cbranch_execz .LBB1_2965
; %bb.38805:
	s_getpc_b64 s[14:15]
.Lpost_getpc5066:
	s_add_u32 s14, s14, (.LBB1_17301-.Lpost_getpc5066)&4294967295
	s_addc_u32 s15, s15, (.LBB1_17301-.Lpost_getpc5066)>>32
	s_setpc_b64 s[14:15]
.LBB1_2965:
	s_or_saveexec_b64 s[6:7], s[6:7]
	v_mov_b32_e32 v14, s10
	s_xor_b64 exec, exec, s[6:7]
	s_cbranch_execz .LBB1_2966
; %bb.38807:
	s_getpc_b64 s[14:15]
.Lpost_getpc5067:
	s_add_u32 s14, s14, (.LBB1_17304-.Lpost_getpc5067)&4294967295
	s_addc_u32 s15, s15, (.LBB1_17304-.Lpost_getpc5067)>>32
	s_setpc_b64 s[14:15]
.LBB1_2966:
	s_or_b64 exec, exec, s[6:7]
	s_and_saveexec_b64 s[6:7], s[4:5]
	s_cbranch_execz .LBB1_2968
.LBB1_2967:
	v_bfe_u32 v13, v2, 16, 3
	v_ffbh_u32_e32 v16, v13
	v_min_u32_e32 v16, 32, v16
	v_lshrrev_b32_e32 v14, 19, v2
	v_subrev_u32_e32 v17, 28, v16
	v_and_b32_e32 v14, 15, v14
	v_lshlrev_b32_sdwa v17, v17, v2 dst_sel:DWORD dst_unused:UNUSED_PAD src0_sel:DWORD src1_sel:WORD_1
	v_bfe_u32 v15, v2, 19, 4
	v_sub_u32_e32 v16, 29, v16
	v_and_b32_e32 v17, 7, v17
	v_cmp_eq_u16_e32 vcc, 0, v14
	v_cndmask_b32_e32 v13, v13, v17, vcc
	v_cndmask_b32_e32 v14, v15, v16, vcc
	v_lshlrev_b32_e32 v15, 8, v2
	v_mov_b32_e32 v16, 0x3b800000
	v_lshlrev_b32_e32 v13, 20, v13
	v_and_b32_e32 v15, 0x80000000, v15
	v_lshl_add_u32 v14, v14, 23, v16
	v_or3_b32 v14, v15, v14, v13
.LBB1_2968:
	s_or_b64 exec, exec, s[6:7]
	s_nop 0
	v_mfma_f32_16x16x4f32 a[0:3], v12, v14, a[0:3]
	s_movk_i32 s4, 0x7f
	v_cmp_gt_i16_sdwa s[6:7], v6, s4 src0_sel:BYTE_3 src1_sel:DWORD
	s_mov_b64 s[4:5], 0
                                        ; implicit-def: $sgpr10
	s_and_saveexec_b64 s[8:9], s[6:7]
	s_xor_b64 s[6:7], exec, s[8:9]
	s_cbranch_execz .LBB1_2969
; %bb.38809:
	s_getpc_b64 s[14:15]
.Lpost_getpc5068:
	s_add_u32 s14, s14, (.LBB1_17305-.Lpost_getpc5068)&4294967295
	s_addc_u32 s15, s15, (.LBB1_17305-.Lpost_getpc5068)>>32
	s_setpc_b64 s[14:15]
.LBB1_2969:
	s_or_saveexec_b64 s[6:7], s[6:7]
	v_mov_b32_e32 v12, s10
	s_xor_b64 exec, exec, s[6:7]
	s_cbranch_execz .LBB1_2970
; %bb.38811:
	s_getpc_b64 s[14:15]
.Lpost_getpc5069:
	s_add_u32 s14, s14, (.LBB1_17308-.Lpost_getpc5069)&4294967295
	s_addc_u32 s15, s15, (.LBB1_17308-.Lpost_getpc5069)>>32
	s_setpc_b64 s[14:15]
.LBB1_2970:
	s_or_b64 exec, exec, s[6:7]
	s_and_saveexec_b64 s[6:7], s[4:5]
	s_cbranch_execz .LBB1_2972
.LBB1_2971:
	v_bfe_u32 v12, v6, 24, 3
	v_ffbh_u32_e32 v16, v12
	v_min_u32_e32 v16, 32, v16
	v_lshrrev_b32_e32 v14, 27, v6
	v_subrev_u32_e32 v17, 28, v16
	v_and_b32_e32 v13, 0x80000000, v6
	v_and_b32_e32 v14, 15, v14
	v_bfe_u32 v15, v6, 27, 4
	v_lshlrev_b32_sdwa v6, v17, v6 dst_sel:DWORD dst_unused:UNUSED_PAD src0_sel:DWORD src1_sel:BYTE_3
	v_sub_u32_e32 v16, 29, v16
	v_and_b32_e32 v6, 7, v6
	v_cmp_eq_u16_e32 vcc, 0, v14
	v_cndmask_b32_e32 v6, v12, v6, vcc
	v_cndmask_b32_e32 v12, v15, v16, vcc
	v_mov_b32_e32 v14, 0x3b800000
	v_lshlrev_b32_e32 v6, 20, v6
	v_lshl_add_u32 v12, v12, 23, v14
	v_or3_b32 v12, v13, v12, v6
.LBB1_2972:
	s_or_b64 exec, exec, s[6:7]
	s_movk_i32 s4, 0x7f
	v_cmp_gt_i16_sdwa s[6:7], v2, s4 src0_sel:BYTE_3 src1_sel:DWORD
	s_mov_b64 s[4:5], 0
                                        ; implicit-def: $sgpr10
	s_and_saveexec_b64 s[8:9], s[6:7]
	s_xor_b64 s[6:7], exec, s[8:9]
	s_cbranch_execz .LBB1_2973
; %bb.38813:
	s_getpc_b64 s[14:15]
.Lpost_getpc5070:
	s_add_u32 s14, s14, (.LBB1_17309-.Lpost_getpc5070)&4294967295
	s_addc_u32 s15, s15, (.LBB1_17309-.Lpost_getpc5070)>>32
	s_setpc_b64 s[14:15]
.LBB1_2973:
	s_or_saveexec_b64 s[6:7], s[6:7]
	v_mov_b32_e32 v6, s10
	s_xor_b64 exec, exec, s[6:7]
	s_cbranch_execz .LBB1_2974
; %bb.38815:
	s_getpc_b64 s[14:15]
.Lpost_getpc5071:
	s_add_u32 s14, s14, (.LBB1_17312-.Lpost_getpc5071)&4294967295
	s_addc_u32 s15, s15, (.LBB1_17312-.Lpost_getpc5071)>>32
	s_setpc_b64 s[14:15]
.LBB1_2974:
	s_or_b64 exec, exec, s[6:7]
	s_and_saveexec_b64 s[6:7], s[4:5]
	s_cbranch_execz .LBB1_2976
.LBB1_2975:
	v_bfe_u32 v6, v2, 24, 3
	v_ffbh_u32_e32 v16, v6
	v_min_u32_e32 v16, 32, v16
	v_lshrrev_b32_e32 v14, 27, v2
	v_subrev_u32_e32 v17, 28, v16
	v_and_b32_e32 v13, 0x80000000, v2
	v_and_b32_e32 v14, 15, v14
	v_bfe_u32 v15, v2, 27, 4
	v_lshlrev_b32_sdwa v2, v17, v2 dst_sel:DWORD dst_unused:UNUSED_PAD src0_sel:DWORD src1_sel:BYTE_3
	v_sub_u32_e32 v16, 29, v16
	v_and_b32_e32 v2, 7, v2
	v_cmp_eq_u16_e32 vcc, 0, v14
	v_cndmask_b32_e32 v2, v6, v2, vcc
	v_cndmask_b32_e32 v6, v15, v16, vcc
	v_mov_b32_e32 v14, 0x3b800000
	v_lshlrev_b32_e32 v2, 20, v2
	v_lshl_add_u32 v6, v6, 23, v14
	v_or3_b32 v6, v13, v6, v2
.LBB1_2976:
	s_or_b64 exec, exec, s[6:7]
	s_nop 0
	v_mfma_f32_16x16x4f32 a[0:3], v12, v6, a[0:3]
	s_movk_i32 s4, 0x7f
	v_cmp_gt_i16_sdwa s[6:7], v7, s4 src0_sel:BYTE_0 src1_sel:DWORD
	s_mov_b64 s[4:5], 0
                                        ; implicit-def: $sgpr10
	s_and_saveexec_b64 s[8:9], s[6:7]
	s_xor_b64 s[6:7], exec, s[8:9]
	s_cbranch_execz .LBB1_2977
; %bb.38817:
	s_getpc_b64 s[14:15]
.Lpost_getpc5072:
	s_add_u32 s14, s14, (.LBB1_17313-.Lpost_getpc5072)&4294967295
	s_addc_u32 s15, s15, (.LBB1_17313-.Lpost_getpc5072)>>32
	s_setpc_b64 s[14:15]
.LBB1_2977:
	s_or_saveexec_b64 s[6:7], s[6:7]
	v_mov_b32_e32 v2, s10
	s_xor_b64 exec, exec, s[6:7]
	s_cbranch_execz .LBB1_2978
; %bb.38819:
	s_getpc_b64 s[14:15]
.Lpost_getpc5073:
	s_add_u32 s14, s14, (.LBB1_17316-.Lpost_getpc5073)&4294967295
	s_addc_u32 s15, s15, (.LBB1_17316-.Lpost_getpc5073)>>32
	s_setpc_b64 s[14:15]
.LBB1_2978:
	s_or_b64 exec, exec, s[6:7]
	s_and_saveexec_b64 s[6:7], s[4:5]
	s_cbranch_execz .LBB1_2980
.LBB1_2979:
	v_and_b32_e32 v2, 7, v7
	v_ffbh_u32_e32 v12, v2
	v_min_u32_e32 v12, 32, v12
	v_lshrrev_b16_e32 v6, 3, v7
	v_subrev_u32_e32 v13, 28, v12
	v_and_b32_e32 v6, 15, v6
	v_lshlrev_b32_e32 v13, v13, v7
	v_sub_u32_e32 v12, 29, v12
	v_and_b32_e32 v13, 7, v13
	v_cmp_eq_u16_e32 vcc, 0, v6
	v_cndmask_b32_e32 v2, v2, v13, vcc
	v_cndmask_b32_e32 v6, v6, v12, vcc
	v_lshlrev_b32_e32 v12, 24, v7
	v_mov_b32_e32 v13, 0x3b800000
	v_lshlrev_b32_e32 v2, 20, v2
	v_and_b32_e32 v12, 0x80000000, v12
	v_lshl_add_u32 v6, v6, 23, v13
	v_or3_b32 v2, v12, v6, v2
.LBB1_2980:
	s_or_b64 exec, exec, s[6:7]
	s_movk_i32 s4, 0x7f
	v_cmp_gt_i16_sdwa s[6:7], v3, s4 src0_sel:BYTE_0 src1_sel:DWORD
	s_mov_b64 s[4:5], 0
                                        ; implicit-def: $sgpr10
	s_and_saveexec_b64 s[8:9], s[6:7]
	s_xor_b64 s[6:7], exec, s[8:9]
	s_cbranch_execz .LBB1_2981
; %bb.38821:
	s_getpc_b64 s[14:15]
.Lpost_getpc5074:
	s_add_u32 s14, s14, (.LBB1_17317-.Lpost_getpc5074)&4294967295
	s_addc_u32 s15, s15, (.LBB1_17317-.Lpost_getpc5074)>>32
	s_setpc_b64 s[14:15]
.LBB1_2981:
	s_or_saveexec_b64 s[6:7], s[6:7]
	v_mov_b32_e32 v6, s10
	s_xor_b64 exec, exec, s[6:7]
	s_cbranch_execz .LBB1_2982
; %bb.38823:
	s_getpc_b64 s[14:15]
.Lpost_getpc5075:
	s_add_u32 s14, s14, (.LBB1_17320-.Lpost_getpc5075)&4294967295
	s_addc_u32 s15, s15, (.LBB1_17320-.Lpost_getpc5075)>>32
	s_setpc_b64 s[14:15]
.LBB1_2982:
	s_or_b64 exec, exec, s[6:7]
	s_and_saveexec_b64 s[6:7], s[4:5]
	s_cbranch_execz .LBB1_2984
.LBB1_2983:
	v_and_b32_e32 v6, 7, v3
	v_ffbh_u32_e32 v13, v6
	v_min_u32_e32 v13, 32, v13
	v_lshrrev_b16_e32 v12, 3, v3
	v_subrev_u32_e32 v14, 28, v13
	v_and_b32_e32 v12, 15, v12
	v_lshlrev_b32_e32 v14, v14, v3
	v_sub_u32_e32 v13, 29, v13
	v_and_b32_e32 v14, 7, v14
	v_cmp_eq_u16_e32 vcc, 0, v12
	v_cndmask_b32_e32 v6, v6, v14, vcc
	v_cndmask_b32_e32 v12, v12, v13, vcc
	v_lshlrev_b32_e32 v13, 24, v3
	v_mov_b32_e32 v14, 0x3b800000
	v_lshlrev_b32_e32 v6, 20, v6
	v_and_b32_e32 v13, 0x80000000, v13
	v_lshl_add_u32 v12, v12, 23, v14
	v_or3_b32 v6, v13, v12, v6
.LBB1_2984:
	s_or_b64 exec, exec, s[6:7]
	s_nop 0
	v_mfma_f32_16x16x4f32 a[0:3], v2, v6, a[0:3]
	v_lshrrev_b32_e32 v6, 8, v7
	s_movk_i32 s4, 0x7f
	v_cmp_gt_i16_sdwa s[6:7], v6, s4 src0_sel:BYTE_0 src1_sel:DWORD
	s_mov_b64 s[4:5], 0
                                        ; implicit-def: $sgpr10
	s_and_saveexec_b64 s[8:9], s[6:7]
	s_xor_b64 s[6:7], exec, s[8:9]
	s_cbranch_execz .LBB1_2985
; %bb.38825:
	s_getpc_b64 s[14:15]
.Lpost_getpc5076:
	s_add_u32 s14, s14, (.LBB1_17321-.Lpost_getpc5076)&4294967295
	s_addc_u32 s15, s15, (.LBB1_17321-.Lpost_getpc5076)>>32
	s_setpc_b64 s[14:15]
.LBB1_2985:
	s_or_saveexec_b64 s[6:7], s[6:7]
	v_mov_b32_e32 v2, s10
	s_xor_b64 exec, exec, s[6:7]
	s_cbranch_execz .LBB1_2986
; %bb.38827:
	s_getpc_b64 s[14:15]
.Lpost_getpc5077:
	s_add_u32 s14, s14, (.LBB1_17324-.Lpost_getpc5077)&4294967295
	s_addc_u32 s15, s15, (.LBB1_17324-.Lpost_getpc5077)>>32
	s_setpc_b64 s[14:15]
.LBB1_2986:
	s_or_b64 exec, exec, s[6:7]
	s_and_saveexec_b64 s[6:7], s[4:5]
	s_cbranch_execz .LBB1_2988
.LBB1_2987:
	v_bfe_u32 v2, v7, 8, 3
	v_ffbh_u32_e32 v13, v2
	v_min_u32_e32 v13, 32, v13
	v_lshrrev_b16_e32 v12, 3, v6
	v_subrev_u32_e32 v14, 28, v13
	v_and_b32_e32 v12, 15, v12
	v_lshlrev_b32_e32 v6, v14, v6
	v_sub_u32_e32 v13, 29, v13
	v_and_b32_e32 v6, 7, v6
	v_cmp_eq_u16_e32 vcc, 0, v12
	v_cndmask_b32_e32 v2, v2, v6, vcc
	v_cndmask_b32_e32 v6, v12, v13, vcc
	v_lshlrev_b32_e32 v12, 16, v7
	v_mov_b32_e32 v13, 0x3b800000
	v_lshlrev_b32_e32 v2, 20, v2
	v_and_b32_e32 v12, 0x80000000, v12
	v_lshl_add_u32 v6, v6, 23, v13
	v_or3_b32 v2, v12, v6, v2
.LBB1_2988:
	s_or_b64 exec, exec, s[6:7]
	v_lshrrev_b32_e32 v6, 8, v3
	s_movk_i32 s4, 0x7f
	v_cmp_gt_i16_sdwa s[6:7], v6, s4 src0_sel:BYTE_0 src1_sel:DWORD
	s_mov_b64 s[4:5], 0
                                        ; implicit-def: $sgpr10
	s_and_saveexec_b64 s[8:9], s[6:7]
	s_xor_b64 s[6:7], exec, s[8:9]
	s_cbranch_execz .LBB1_2989
; %bb.38829:
	s_getpc_b64 s[14:15]
.Lpost_getpc5078:
	s_add_u32 s14, s14, (.LBB1_17325-.Lpost_getpc5078)&4294967295
	s_addc_u32 s15, s15, (.LBB1_17325-.Lpost_getpc5078)>>32
	s_setpc_b64 s[14:15]
.LBB1_2989:
	s_or_saveexec_b64 s[6:7], s[6:7]
	v_mov_b32_e32 v12, s10
	s_xor_b64 exec, exec, s[6:7]
	s_cbranch_execz .LBB1_2990
; %bb.38831:
	s_getpc_b64 s[14:15]
.Lpost_getpc5079:
	s_add_u32 s14, s14, (.LBB1_17328-.Lpost_getpc5079)&4294967295
	s_addc_u32 s15, s15, (.LBB1_17328-.Lpost_getpc5079)>>32
	s_setpc_b64 s[14:15]
.LBB1_2990:
	s_or_b64 exec, exec, s[6:7]
	s_and_saveexec_b64 s[6:7], s[4:5]
	s_cbranch_execz .LBB1_2992
.LBB1_2991:
	v_bfe_u32 v12, v3, 8, 3
	v_ffbh_u32_e32 v14, v12
	v_min_u32_e32 v14, 32, v14
	v_lshrrev_b16_e32 v13, 3, v6
	v_subrev_u32_e32 v15, 28, v14
	v_and_b32_e32 v13, 15, v13
	v_lshlrev_b32_e32 v6, v15, v6
	v_sub_u32_e32 v14, 29, v14
	v_and_b32_e32 v6, 7, v6
	v_cmp_eq_u16_e32 vcc, 0, v13
	v_cndmask_b32_e32 v6, v12, v6, vcc
	v_cndmask_b32_e32 v12, v13, v14, vcc
	v_lshlrev_b32_e32 v13, 16, v3
	v_mov_b32_e32 v14, 0x3b800000
	v_lshlrev_b32_e32 v6, 20, v6
	v_and_b32_e32 v13, 0x80000000, v13
	v_lshl_add_u32 v12, v12, 23, v14
	v_or3_b32 v12, v13, v12, v6
.LBB1_2992:
	s_or_b64 exec, exec, s[6:7]
	s_nop 0
	v_mfma_f32_16x16x4f32 a[0:3], v2, v12, a[0:3]
	s_movk_i32 s4, 0xff
	v_and_b32_sdwa v6, v7, s4 dst_sel:DWORD dst_unused:UNUSED_PAD src0_sel:WORD_1 src1_sel:DWORD
	s_movk_i32 s4, 0x7f
	v_cmp_lt_i16_e32 vcc, s4, v6
	s_mov_b64 s[4:5], 0
                                        ; implicit-def: $sgpr10
	s_and_saveexec_b64 s[6:7], vcc
	s_xor_b64 s[6:7], exec, s[6:7]
	s_cbranch_execz .LBB1_2993
; %bb.38833:
	s_getpc_b64 s[14:15]
.Lpost_getpc5080:
	s_add_u32 s14, s14, (.LBB1_17329-.Lpost_getpc5080)&4294967295
	s_addc_u32 s15, s15, (.LBB1_17329-.Lpost_getpc5080)>>32
	s_setpc_b64 s[14:15]
.LBB1_2993:
	s_or_saveexec_b64 s[6:7], s[6:7]
	v_mov_b32_e32 v2, s10
	s_xor_b64 exec, exec, s[6:7]
	s_cbranch_execz .LBB1_2994
; %bb.38835:
	s_getpc_b64 s[14:15]
.Lpost_getpc5081:
	s_add_u32 s14, s14, (.LBB1_17332-.Lpost_getpc5081)&4294967295
	s_addc_u32 s15, s15, (.LBB1_17332-.Lpost_getpc5081)>>32
	s_setpc_b64 s[14:15]
.LBB1_2994:
	s_or_b64 exec, exec, s[6:7]
	s_and_saveexec_b64 s[6:7], s[4:5]
	s_cbranch_execz .LBB1_2996
.LBB1_2995:
	v_bfe_u32 v2, v7, 16, 3
	v_ffbh_u32_e32 v13, v2
	v_min_u32_e32 v13, 32, v13
	v_lshrrev_b32_e32 v6, 19, v7
	v_subrev_u32_e32 v14, 28, v13
	v_and_b32_e32 v6, 15, v6
	v_lshlrev_b32_sdwa v14, v14, v7 dst_sel:DWORD dst_unused:UNUSED_PAD src0_sel:DWORD src1_sel:WORD_1
	v_bfe_u32 v12, v7, 19, 4
	v_sub_u32_e32 v13, 29, v13
	v_and_b32_e32 v14, 7, v14
	v_cmp_eq_u16_e32 vcc, 0, v6
	v_cndmask_b32_e32 v2, v2, v14, vcc
	v_cndmask_b32_e32 v6, v12, v13, vcc
	v_lshlrev_b32_e32 v12, 8, v7
	v_mov_b32_e32 v13, 0x3b800000
	v_lshlrev_b32_e32 v2, 20, v2
	v_and_b32_e32 v12, 0x80000000, v12
	v_lshl_add_u32 v6, v6, 23, v13
	v_or3_b32 v2, v12, v6, v2
.LBB1_2996:
	s_or_b64 exec, exec, s[6:7]
	s_movk_i32 s4, 0xff
	v_and_b32_sdwa v6, v3, s4 dst_sel:DWORD dst_unused:UNUSED_PAD src0_sel:WORD_1 src1_sel:DWORD
	s_movk_i32 s4, 0x7f
	v_cmp_lt_i16_e32 vcc, s4, v6
	s_mov_b64 s[4:5], 0
                                        ; implicit-def: $sgpr10
	s_and_saveexec_b64 s[6:7], vcc
	s_xor_b64 s[6:7], exec, s[6:7]
	s_cbranch_execz .LBB1_2997
; %bb.38837:
	s_getpc_b64 s[14:15]
.Lpost_getpc5082:
	s_add_u32 s14, s14, (.LBB1_17333-.Lpost_getpc5082)&4294967295
	s_addc_u32 s15, s15, (.LBB1_17333-.Lpost_getpc5082)>>32
	s_setpc_b64 s[14:15]
.LBB1_2997:
	s_or_saveexec_b64 s[6:7], s[6:7]
	v_mov_b32_e32 v12, s10
	s_xor_b64 exec, exec, s[6:7]
	s_cbranch_execz .LBB1_2998
; %bb.38839:
	s_getpc_b64 s[14:15]
.Lpost_getpc5083:
	s_add_u32 s14, s14, (.LBB1_17336-.Lpost_getpc5083)&4294967295
	s_addc_u32 s15, s15, (.LBB1_17336-.Lpost_getpc5083)>>32
	s_setpc_b64 s[14:15]
.LBB1_2998:
	s_or_b64 exec, exec, s[6:7]
	s_and_saveexec_b64 s[6:7], s[4:5]
	s_cbranch_execz .LBB1_3000
.LBB1_2999:
	v_bfe_u32 v6, v3, 16, 3
	v_ffbh_u32_e32 v14, v6
	v_min_u32_e32 v14, 32, v14
	v_lshrrev_b32_e32 v12, 19, v3
	v_subrev_u32_e32 v15, 28, v14
	v_and_b32_e32 v12, 15, v12
	v_lshlrev_b32_sdwa v15, v15, v3 dst_sel:DWORD dst_unused:UNUSED_PAD src0_sel:DWORD src1_sel:WORD_1
	v_bfe_u32 v13, v3, 19, 4
	v_sub_u32_e32 v14, 29, v14
	v_and_b32_e32 v15, 7, v15
	v_cmp_eq_u16_e32 vcc, 0, v12
	v_cndmask_b32_e32 v6, v6, v15, vcc
	v_cndmask_b32_e32 v12, v13, v14, vcc
	v_lshlrev_b32_e32 v13, 8, v3
	v_mov_b32_e32 v14, 0x3b800000
	v_lshlrev_b32_e32 v6, 20, v6
	v_and_b32_e32 v13, 0x80000000, v13
	v_lshl_add_u32 v12, v12, 23, v14
	v_or3_b32 v12, v13, v12, v6
.LBB1_3000:
	s_or_b64 exec, exec, s[6:7]
	s_nop 0
	v_mfma_f32_16x16x4f32 a[0:3], v2, v12, a[0:3]
	s_movk_i32 s4, 0x7f
	v_cmp_gt_i16_sdwa s[6:7], v7, s4 src0_sel:BYTE_3 src1_sel:DWORD
	s_mov_b64 s[4:5], 0
                                        ; implicit-def: $sgpr10
	s_and_saveexec_b64 s[8:9], s[6:7]
	s_xor_b64 s[6:7], exec, s[8:9]
	s_cbranch_execz .LBB1_3001
; %bb.38841:
	s_getpc_b64 s[14:15]
.Lpost_getpc5084:
	s_add_u32 s14, s14, (.LBB1_17337-.Lpost_getpc5084)&4294967295
	s_addc_u32 s15, s15, (.LBB1_17337-.Lpost_getpc5084)>>32
	s_setpc_b64 s[14:15]
.LBB1_3001:
	s_or_saveexec_b64 s[6:7], s[6:7]
	v_mov_b32_e32 v2, s10
	s_xor_b64 exec, exec, s[6:7]
	s_cbranch_execz .LBB1_3002
; %bb.38843:
	s_getpc_b64 s[14:15]
.Lpost_getpc5085:
	s_add_u32 s14, s14, (.LBB1_17340-.Lpost_getpc5085)&4294967295
	s_addc_u32 s15, s15, (.LBB1_17340-.Lpost_getpc5085)>>32
	s_setpc_b64 s[14:15]
.LBB1_3002:
	s_or_b64 exec, exec, s[6:7]
	s_and_saveexec_b64 s[6:7], s[4:5]
	s_cbranch_execz .LBB1_3004
.LBB1_3003:
	v_bfe_u32 v2, v7, 24, 3
	v_ffbh_u32_e32 v14, v2
	v_min_u32_e32 v14, 32, v14
	v_lshrrev_b32_e32 v12, 27, v7
	v_subrev_u32_e32 v15, 28, v14
	v_and_b32_e32 v6, 0x80000000, v7
	v_and_b32_e32 v12, 15, v12
	v_bfe_u32 v13, v7, 27, 4
	v_lshlrev_b32_sdwa v7, v15, v7 dst_sel:DWORD dst_unused:UNUSED_PAD src0_sel:DWORD src1_sel:BYTE_3
	v_sub_u32_e32 v14, 29, v14
	v_and_b32_e32 v7, 7, v7
	v_cmp_eq_u16_e32 vcc, 0, v12
	v_cndmask_b32_e32 v2, v2, v7, vcc
	v_cndmask_b32_e32 v7, v13, v14, vcc
	v_mov_b32_e32 v12, 0x3b800000
	v_lshlrev_b32_e32 v2, 20, v2
	v_lshl_add_u32 v7, v7, 23, v12
	v_or3_b32 v2, v6, v7, v2
.LBB1_3004:
	s_or_b64 exec, exec, s[6:7]
	s_movk_i32 s4, 0x7f
	v_cmp_gt_i16_sdwa s[6:7], v3, s4 src0_sel:BYTE_3 src1_sel:DWORD
	s_mov_b64 s[4:5], 0
                                        ; implicit-def: $sgpr10
	s_and_saveexec_b64 s[8:9], s[6:7]
	s_xor_b64 s[6:7], exec, s[8:9]
	s_cbranch_execz .LBB1_3005
; %bb.38845:
	s_getpc_b64 s[14:15]
.Lpost_getpc5086:
	s_add_u32 s14, s14, (.LBB1_17341-.Lpost_getpc5086)&4294967295
	s_addc_u32 s15, s15, (.LBB1_17341-.Lpost_getpc5086)>>32
	s_setpc_b64 s[14:15]
.LBB1_3005:
	s_or_saveexec_b64 s[6:7], s[6:7]
	v_mov_b32_e32 v6, s10
	s_xor_b64 exec, exec, s[6:7]
	s_cbranch_execz .LBB1_3006
; %bb.38847:
	s_getpc_b64 s[14:15]
.Lpost_getpc5087:
	s_add_u32 s14, s14, (.LBB1_17344-.Lpost_getpc5087)&4294967295
	s_addc_u32 s15, s15, (.LBB1_17344-.Lpost_getpc5087)>>32
	s_setpc_b64 s[14:15]
.LBB1_3006:
	s_or_b64 exec, exec, s[6:7]
	s_and_saveexec_b64 s[6:7], s[4:5]
	s_cbranch_execz .LBB1_3008
.LBB1_3007:
	v_bfe_u32 v6, v3, 24, 3
	v_ffbh_u32_e32 v14, v6
	v_min_u32_e32 v14, 32, v14
	v_lshrrev_b32_e32 v12, 27, v3
	v_subrev_u32_e32 v15, 28, v14
	v_and_b32_e32 v7, 0x80000000, v3
	v_and_b32_e32 v12, 15, v12
	v_bfe_u32 v13, v3, 27, 4
	v_lshlrev_b32_sdwa v3, v15, v3 dst_sel:DWORD dst_unused:UNUSED_PAD src0_sel:DWORD src1_sel:BYTE_3
	v_sub_u32_e32 v14, 29, v14
	v_and_b32_e32 v3, 7, v3
	v_cmp_eq_u16_e32 vcc, 0, v12
	v_cndmask_b32_e32 v3, v6, v3, vcc
	v_cndmask_b32_e32 v6, v13, v14, vcc
	v_mov_b32_e32 v12, 0x3b800000
	v_lshlrev_b32_e32 v3, 20, v3
	v_lshl_add_u32 v6, v6, 23, v12
	v_or3_b32 v6, v7, v6, v3
.LBB1_3008:
	s_or_b64 exec, exec, s[6:7]
	s_nop 0
	v_mfma_f32_16x16x4f32 a[0:3], v2, v6, a[0:3]
	s_movk_i32 s4, 0x7f
	v_cmp_gt_i16_sdwa s[6:7], v8, s4 src0_sel:BYTE_0 src1_sel:DWORD
	s_mov_b64 s[4:5], 0
                                        ; implicit-def: $sgpr10
	s_and_saveexec_b64 s[8:9], s[6:7]
	s_xor_b64 s[6:7], exec, s[8:9]
	s_cbranch_execz .LBB1_3009
; %bb.38849:
	s_getpc_b64 s[14:15]
.Lpost_getpc5088:
	s_add_u32 s14, s14, (.LBB1_17345-.Lpost_getpc5088)&4294967295
	s_addc_u32 s15, s15, (.LBB1_17345-.Lpost_getpc5088)>>32
	s_setpc_b64 s[14:15]
.LBB1_3009:
	s_or_saveexec_b64 s[6:7], s[6:7]
	v_mov_b32_e32 v2, s10
	s_xor_b64 exec, exec, s[6:7]
	s_cbranch_execz .LBB1_3010
; %bb.38851:
	s_getpc_b64 s[14:15]
.Lpost_getpc5089:
	s_add_u32 s14, s14, (.LBB1_17348-.Lpost_getpc5089)&4294967295
	s_addc_u32 s15, s15, (.LBB1_17348-.Lpost_getpc5089)>>32
	s_setpc_b64 s[14:15]
.LBB1_3010:
	s_or_b64 exec, exec, s[6:7]
	s_and_saveexec_b64 s[6:7], s[4:5]
	s_cbranch_execz .LBB1_3012
.LBB1_3011:
	v_and_b32_e32 v2, 7, v8
	v_ffbh_u32_e32 v6, v2
	v_min_u32_e32 v6, 32, v6
	v_lshrrev_b16_e32 v3, 3, v8
	v_subrev_u32_e32 v7, 28, v6
	v_and_b32_e32 v3, 15, v3
	v_lshlrev_b32_e32 v7, v7, v8
	v_sub_u32_e32 v6, 29, v6
	v_and_b32_e32 v7, 7, v7
	v_cmp_eq_u16_e32 vcc, 0, v3
	v_cndmask_b32_e32 v2, v2, v7, vcc
	v_cndmask_b32_e32 v3, v3, v6, vcc
	v_lshlrev_b32_e32 v6, 24, v8
	v_mov_b32_e32 v7, 0x3b800000
	v_lshlrev_b32_e32 v2, 20, v2
	v_and_b32_e32 v6, 0x80000000, v6
	v_lshl_add_u32 v3, v3, 23, v7
	v_or3_b32 v2, v6, v3, v2
.LBB1_3012:
	s_or_b64 exec, exec, s[6:7]
	s_movk_i32 s4, 0x7f
	v_cmp_gt_i16_sdwa s[6:7], v4, s4 src0_sel:BYTE_0 src1_sel:DWORD
	s_mov_b64 s[4:5], 0
                                        ; implicit-def: $sgpr10
	s_and_saveexec_b64 s[8:9], s[6:7]
	s_xor_b64 s[6:7], exec, s[8:9]
	s_cbranch_execz .LBB1_3013
; %bb.38853:
	s_getpc_b64 s[14:15]
.Lpost_getpc5090:
	s_add_u32 s14, s14, (.LBB1_17349-.Lpost_getpc5090)&4294967295
	s_addc_u32 s15, s15, (.LBB1_17349-.Lpost_getpc5090)>>32
	s_setpc_b64 s[14:15]
.LBB1_3013:
	s_or_saveexec_b64 s[6:7], s[6:7]
	v_mov_b32_e32 v3, s10
	s_xor_b64 exec, exec, s[6:7]
	s_cbranch_execz .LBB1_3014
; %bb.38855:
	s_getpc_b64 s[14:15]
.Lpost_getpc5091:
	s_add_u32 s14, s14, (.LBB1_17352-.Lpost_getpc5091)&4294967295
	s_addc_u32 s15, s15, (.LBB1_17352-.Lpost_getpc5091)>>32
	s_setpc_b64 s[14:15]
.LBB1_3014:
	s_or_b64 exec, exec, s[6:7]
	s_and_saveexec_b64 s[6:7], s[4:5]
	s_cbranch_execz .LBB1_3016
.LBB1_3015:
	v_and_b32_e32 v3, 7, v4
	v_ffbh_u32_e32 v7, v3
	v_min_u32_e32 v7, 32, v7
	v_lshrrev_b16_e32 v6, 3, v4
	v_subrev_u32_e32 v12, 28, v7
	v_and_b32_e32 v6, 15, v6
	v_lshlrev_b32_e32 v12, v12, v4
	v_sub_u32_e32 v7, 29, v7
	v_and_b32_e32 v12, 7, v12
	v_cmp_eq_u16_e32 vcc, 0, v6
	v_cndmask_b32_e32 v3, v3, v12, vcc
	v_cndmask_b32_e32 v6, v6, v7, vcc
	v_lshlrev_b32_e32 v7, 24, v4
	v_mov_b32_e32 v12, 0x3b800000
	v_lshlrev_b32_e32 v3, 20, v3
	v_and_b32_e32 v7, 0x80000000, v7
	v_lshl_add_u32 v6, v6, 23, v12
	v_or3_b32 v3, v7, v6, v3
.LBB1_3016:
	s_or_b64 exec, exec, s[6:7]
	s_nop 0
	v_mfma_f32_16x16x4f32 a[0:3], v2, v3, a[0:3]
	v_lshrrev_b32_e32 v3, 8, v8
	s_movk_i32 s4, 0x7f
	v_cmp_gt_i16_sdwa s[6:7], v3, s4 src0_sel:BYTE_0 src1_sel:DWORD
	s_mov_b64 s[4:5], 0
                                        ; implicit-def: $sgpr10
	s_and_saveexec_b64 s[8:9], s[6:7]
	s_xor_b64 s[6:7], exec, s[8:9]
	s_cbranch_execz .LBB1_3017
; %bb.38857:
	s_getpc_b64 s[14:15]
.Lpost_getpc5092:
	s_add_u32 s14, s14, (.LBB1_17353-.Lpost_getpc5092)&4294967295
	s_addc_u32 s15, s15, (.LBB1_17353-.Lpost_getpc5092)>>32
	s_setpc_b64 s[14:15]
.LBB1_3017:
	s_or_saveexec_b64 s[6:7], s[6:7]
	v_mov_b32_e32 v2, s10
	s_xor_b64 exec, exec, s[6:7]
	s_cbranch_execz .LBB1_3018
; %bb.38859:
	s_getpc_b64 s[14:15]
.Lpost_getpc5093:
	s_add_u32 s14, s14, (.LBB1_17356-.Lpost_getpc5093)&4294967295
	s_addc_u32 s15, s15, (.LBB1_17356-.Lpost_getpc5093)>>32
	s_setpc_b64 s[14:15]
.LBB1_3018:
	s_or_b64 exec, exec, s[6:7]
	s_and_saveexec_b64 s[6:7], s[4:5]
	s_cbranch_execz .LBB1_3020
.LBB1_3019:
	v_bfe_u32 v2, v8, 8, 3
	v_ffbh_u32_e32 v7, v2
	v_min_u32_e32 v7, 32, v7
	v_lshrrev_b16_e32 v6, 3, v3
	v_subrev_u32_e32 v12, 28, v7
	v_and_b32_e32 v6, 15, v6
	v_lshlrev_b32_e32 v3, v12, v3
	v_sub_u32_e32 v7, 29, v7
	v_and_b32_e32 v3, 7, v3
	v_cmp_eq_u16_e32 vcc, 0, v6
	v_cndmask_b32_e32 v2, v2, v3, vcc
	v_cndmask_b32_e32 v3, v6, v7, vcc
	v_lshlrev_b32_e32 v6, 16, v8
	v_mov_b32_e32 v7, 0x3b800000
	v_lshlrev_b32_e32 v2, 20, v2
	v_and_b32_e32 v6, 0x80000000, v6
	v_lshl_add_u32 v3, v3, 23, v7
	v_or3_b32 v2, v6, v3, v2
.LBB1_3020:
	s_or_b64 exec, exec, s[6:7]
	v_lshrrev_b32_e32 v3, 8, v4
	s_movk_i32 s4, 0x7f
	v_cmp_gt_i16_sdwa s[6:7], v3, s4 src0_sel:BYTE_0 src1_sel:DWORD
	s_mov_b64 s[4:5], 0
                                        ; implicit-def: $sgpr10
	s_and_saveexec_b64 s[8:9], s[6:7]
	s_xor_b64 s[6:7], exec, s[8:9]
	s_cbranch_execz .LBB1_3021
; %bb.38861:
	s_getpc_b64 s[14:15]
.Lpost_getpc5094:
	s_add_u32 s14, s14, (.LBB1_17357-.Lpost_getpc5094)&4294967295
	s_addc_u32 s15, s15, (.LBB1_17357-.Lpost_getpc5094)>>32
	s_setpc_b64 s[14:15]
.LBB1_3021:
	s_or_saveexec_b64 s[6:7], s[6:7]
	v_mov_b32_e32 v6, s10
	s_xor_b64 exec, exec, s[6:7]
	s_cbranch_execz .LBB1_3022
; %bb.38863:
	s_getpc_b64 s[14:15]
.Lpost_getpc5095:
	s_add_u32 s14, s14, (.LBB1_17360-.Lpost_getpc5095)&4294967295
	s_addc_u32 s15, s15, (.LBB1_17360-.Lpost_getpc5095)>>32
	s_setpc_b64 s[14:15]
.LBB1_3022:
	s_or_b64 exec, exec, s[6:7]
	s_and_saveexec_b64 s[6:7], s[4:5]
	s_cbranch_execz .LBB1_3024
.LBB1_3023:
	v_bfe_u32 v6, v4, 8, 3
	v_ffbh_u32_e32 v12, v6
	v_min_u32_e32 v12, 32, v12
	v_lshrrev_b16_e32 v7, 3, v3
	v_subrev_u32_e32 v13, 28, v12
	v_and_b32_e32 v7, 15, v7
	v_lshlrev_b32_e32 v3, v13, v3
	v_sub_u32_e32 v12, 29, v12
	v_and_b32_e32 v3, 7, v3
	v_cmp_eq_u16_e32 vcc, 0, v7
	v_cndmask_b32_e32 v3, v6, v3, vcc
	v_cndmask_b32_e32 v6, v7, v12, vcc
	v_lshlrev_b32_e32 v7, 16, v4
	v_mov_b32_e32 v12, 0x3b800000
	v_lshlrev_b32_e32 v3, 20, v3
	v_and_b32_e32 v7, 0x80000000, v7
	v_lshl_add_u32 v6, v6, 23, v12
	v_or3_b32 v6, v7, v6, v3
.LBB1_3024:
	s_or_b64 exec, exec, s[6:7]
	s_nop 0
	v_mfma_f32_16x16x4f32 a[0:3], v2, v6, a[0:3]
	s_movk_i32 s4, 0xff
	v_and_b32_sdwa v3, v8, s4 dst_sel:DWORD dst_unused:UNUSED_PAD src0_sel:WORD_1 src1_sel:DWORD
	s_movk_i32 s4, 0x7f
	v_cmp_lt_i16_e32 vcc, s4, v3
	s_mov_b64 s[4:5], 0
                                        ; implicit-def: $sgpr10
	s_and_saveexec_b64 s[6:7], vcc
	s_xor_b64 s[6:7], exec, s[6:7]
	s_cbranch_execz .LBB1_3025
; %bb.38865:
	s_getpc_b64 s[14:15]
.Lpost_getpc5096:
	s_add_u32 s14, s14, (.LBB1_17361-.Lpost_getpc5096)&4294967295
	s_addc_u32 s15, s15, (.LBB1_17361-.Lpost_getpc5096)>>32
	s_setpc_b64 s[14:15]
.LBB1_3025:
	s_or_saveexec_b64 s[6:7], s[6:7]
	v_mov_b32_e32 v2, s10
	s_xor_b64 exec, exec, s[6:7]
	s_cbranch_execz .LBB1_3026
; %bb.38867:
	s_getpc_b64 s[14:15]
.Lpost_getpc5097:
	s_add_u32 s14, s14, (.LBB1_17364-.Lpost_getpc5097)&4294967295
	s_addc_u32 s15, s15, (.LBB1_17364-.Lpost_getpc5097)>>32
	s_setpc_b64 s[14:15]
.LBB1_3026:
	s_or_b64 exec, exec, s[6:7]
	s_and_saveexec_b64 s[6:7], s[4:5]
	s_cbranch_execz .LBB1_3028
.LBB1_3027:
	v_bfe_u32 v2, v8, 16, 3
	v_ffbh_u32_e32 v7, v2
	v_min_u32_e32 v7, 32, v7
	v_lshrrev_b32_e32 v3, 19, v8
	v_subrev_u32_e32 v12, 28, v7
	v_and_b32_e32 v3, 15, v3
	v_lshlrev_b32_sdwa v12, v12, v8 dst_sel:DWORD dst_unused:UNUSED_PAD src0_sel:DWORD src1_sel:WORD_1
	v_bfe_u32 v6, v8, 19, 4
	v_sub_u32_e32 v7, 29, v7
	v_and_b32_e32 v12, 7, v12
	v_cmp_eq_u16_e32 vcc, 0, v3
	v_cndmask_b32_e32 v2, v2, v12, vcc
	v_cndmask_b32_e32 v3, v6, v7, vcc
	v_lshlrev_b32_e32 v6, 8, v8
	v_mov_b32_e32 v7, 0x3b800000
	v_lshlrev_b32_e32 v2, 20, v2
	v_and_b32_e32 v6, 0x80000000, v6
	v_lshl_add_u32 v3, v3, 23, v7
	v_or3_b32 v2, v6, v3, v2
.LBB1_3028:
	s_or_b64 exec, exec, s[6:7]
	s_movk_i32 s4, 0xff
	v_and_b32_sdwa v3, v4, s4 dst_sel:DWORD dst_unused:UNUSED_PAD src0_sel:WORD_1 src1_sel:DWORD
	s_movk_i32 s4, 0x7f
	v_cmp_lt_i16_e32 vcc, s4, v3
	s_mov_b64 s[4:5], 0
                                        ; implicit-def: $sgpr10
	s_and_saveexec_b64 s[6:7], vcc
	s_xor_b64 s[6:7], exec, s[6:7]
	s_cbranch_execz .LBB1_3029
; %bb.38869:
	s_getpc_b64 s[14:15]
.Lpost_getpc5098:
	s_add_u32 s14, s14, (.LBB1_17365-.Lpost_getpc5098)&4294967295
	s_addc_u32 s15, s15, (.LBB1_17365-.Lpost_getpc5098)>>32
	s_setpc_b64 s[14:15]
.LBB1_3029:
	s_or_saveexec_b64 s[6:7], s[6:7]
	v_mov_b32_e32 v6, s10
	s_xor_b64 exec, exec, s[6:7]
	s_cbranch_execz .LBB1_3030
; %bb.38871:
	s_getpc_b64 s[14:15]
.Lpost_getpc5099:
	s_add_u32 s14, s14, (.LBB1_17368-.Lpost_getpc5099)&4294967295
	s_addc_u32 s15, s15, (.LBB1_17368-.Lpost_getpc5099)>>32
	s_setpc_b64 s[14:15]
.LBB1_3030:
	s_or_b64 exec, exec, s[6:7]
	s_and_saveexec_b64 s[6:7], s[4:5]
	s_cbranch_execz .LBB1_3032
.LBB1_3031:
	v_bfe_u32 v3, v4, 16, 3
	v_ffbh_u32_e32 v12, v3
	v_min_u32_e32 v12, 32, v12
	v_lshrrev_b32_e32 v6, 19, v4
	v_subrev_u32_e32 v13, 28, v12
	v_and_b32_e32 v6, 15, v6
	v_lshlrev_b32_sdwa v13, v13, v4 dst_sel:DWORD dst_unused:UNUSED_PAD src0_sel:DWORD src1_sel:WORD_1
	v_bfe_u32 v7, v4, 19, 4
	v_sub_u32_e32 v12, 29, v12
	v_and_b32_e32 v13, 7, v13
	v_cmp_eq_u16_e32 vcc, 0, v6
	v_cndmask_b32_e32 v3, v3, v13, vcc
	v_cndmask_b32_e32 v6, v7, v12, vcc
	v_lshlrev_b32_e32 v7, 8, v4
	v_mov_b32_e32 v12, 0x3b800000
	v_lshlrev_b32_e32 v3, 20, v3
	v_and_b32_e32 v7, 0x80000000, v7
	v_lshl_add_u32 v6, v6, 23, v12
	v_or3_b32 v6, v7, v6, v3
.LBB1_3032:
	s_or_b64 exec, exec, s[6:7]
	s_nop 0
	v_mfma_f32_16x16x4f32 a[0:3], v2, v6, a[0:3]
	s_movk_i32 s4, 0x7f
	v_cmp_gt_i16_sdwa s[6:7], v8, s4 src0_sel:BYTE_3 src1_sel:DWORD
	s_mov_b64 s[4:5], 0
                                        ; implicit-def: $sgpr10
	s_and_saveexec_b64 s[8:9], s[6:7]
	s_xor_b64 s[6:7], exec, s[8:9]
	s_cbranch_execz .LBB1_3033
; %bb.38873:
	s_getpc_b64 s[14:15]
.Lpost_getpc5100:
	s_add_u32 s14, s14, (.LBB1_17369-.Lpost_getpc5100)&4294967295
	s_addc_u32 s15, s15, (.LBB1_17369-.Lpost_getpc5100)>>32
	s_setpc_b64 s[14:15]
.LBB1_3033:
	s_or_saveexec_b64 s[6:7], s[6:7]
	v_mov_b32_e32 v2, s10
	s_xor_b64 exec, exec, s[6:7]
	s_cbranch_execz .LBB1_3034
; %bb.38875:
	s_getpc_b64 s[14:15]
.Lpost_getpc5101:
	s_add_u32 s14, s14, (.LBB1_17372-.Lpost_getpc5101)&4294967295
	s_addc_u32 s15, s15, (.LBB1_17372-.Lpost_getpc5101)>>32
	s_setpc_b64 s[14:15]
.LBB1_3034:
	s_or_b64 exec, exec, s[6:7]
	s_and_saveexec_b64 s[6:7], s[4:5]
	s_cbranch_execz .LBB1_3036
.LBB1_3035:
	v_bfe_u32 v2, v8, 24, 3
	v_ffbh_u32_e32 v12, v2
	v_min_u32_e32 v12, 32, v12
	v_lshrrev_b32_e32 v6, 27, v8
	v_subrev_u32_e32 v13, 28, v12
	v_and_b32_e32 v3, 0x80000000, v8
	v_and_b32_e32 v6, 15, v6
	v_bfe_u32 v7, v8, 27, 4
	v_lshlrev_b32_sdwa v8, v13, v8 dst_sel:DWORD dst_unused:UNUSED_PAD src0_sel:DWORD src1_sel:BYTE_3
	v_sub_u32_e32 v12, 29, v12
	v_and_b32_e32 v8, 7, v8
	v_cmp_eq_u16_e32 vcc, 0, v6
	v_cndmask_b32_e32 v2, v2, v8, vcc
	v_cndmask_b32_e32 v6, v7, v12, vcc
	v_mov_b32_e32 v7, 0x3b800000
	v_lshlrev_b32_e32 v2, 20, v2
	v_lshl_add_u32 v6, v6, 23, v7
	v_or3_b32 v2, v3, v6, v2
.LBB1_3036:
	s_or_b64 exec, exec, s[6:7]
	s_movk_i32 s4, 0x7f
	v_cmp_gt_i16_sdwa s[6:7], v4, s4 src0_sel:BYTE_3 src1_sel:DWORD
	s_mov_b64 s[4:5], 0
                                        ; implicit-def: $sgpr10
	s_and_saveexec_b64 s[8:9], s[6:7]
	s_xor_b64 s[6:7], exec, s[8:9]
	s_cbranch_execz .LBB1_3037
; %bb.38877:
	s_getpc_b64 s[14:15]
.Lpost_getpc5102:
	s_add_u32 s14, s14, (.LBB1_17373-.Lpost_getpc5102)&4294967295
	s_addc_u32 s15, s15, (.LBB1_17373-.Lpost_getpc5102)>>32
	s_setpc_b64 s[14:15]
.LBB1_3037:
	s_or_saveexec_b64 s[6:7], s[6:7]
	v_mov_b32_e32 v3, s10
	s_xor_b64 exec, exec, s[6:7]
	s_cbranch_execz .LBB1_3038
; %bb.38879:
	s_getpc_b64 s[14:15]
.Lpost_getpc5103:
	s_add_u32 s14, s14, (.LBB1_17376-.Lpost_getpc5103)&4294967295
	s_addc_u32 s15, s15, (.LBB1_17376-.Lpost_getpc5103)>>32
	s_setpc_b64 s[14:15]
.LBB1_3038:
	s_or_b64 exec, exec, s[6:7]
	s_and_saveexec_b64 s[6:7], s[4:5]
	s_cbranch_execz .LBB1_3040
.LBB1_3039:
	v_bfe_u32 v3, v4, 24, 3
	v_ffbh_u32_e32 v12, v3
	v_min_u32_e32 v12, 32, v12
	v_lshrrev_b32_e32 v7, 27, v4
	v_subrev_u32_e32 v13, 28, v12
	v_and_b32_e32 v6, 0x80000000, v4
	v_and_b32_e32 v7, 15, v7
	v_bfe_u32 v8, v4, 27, 4
	v_lshlrev_b32_sdwa v4, v13, v4 dst_sel:DWORD dst_unused:UNUSED_PAD src0_sel:DWORD src1_sel:BYTE_3
	v_sub_u32_e32 v12, 29, v12
	v_and_b32_e32 v4, 7, v4
	v_cmp_eq_u16_e32 vcc, 0, v7
	v_cndmask_b32_e32 v3, v3, v4, vcc
	v_cndmask_b32_e32 v4, v8, v12, vcc
	v_mov_b32_e32 v7, 0x3b800000
	v_lshlrev_b32_e32 v3, 20, v3
	v_lshl_add_u32 v4, v4, 23, v7
	v_or3_b32 v3, v6, v4, v3
.LBB1_3040:
	s_or_b64 exec, exec, s[6:7]
	s_nop 0
	v_mfma_f32_16x16x4f32 a[0:3], v2, v3, a[0:3]
	s_movk_i32 s4, 0x7f
	v_cmp_gt_i16_sdwa s[6:7], v9, s4 src0_sel:BYTE_0 src1_sel:DWORD
	s_mov_b64 s[4:5], 0
                                        ; implicit-def: $sgpr10
	s_and_saveexec_b64 s[8:9], s[6:7]
	s_xor_b64 s[6:7], exec, s[8:9]
	s_cbranch_execz .LBB1_3041
; %bb.38881:
	s_getpc_b64 s[14:15]
.Lpost_getpc5104:
	s_add_u32 s14, s14, (.LBB1_17377-.Lpost_getpc5104)&4294967295
	s_addc_u32 s15, s15, (.LBB1_17377-.Lpost_getpc5104)>>32
	s_setpc_b64 s[14:15]
.LBB1_3041:
	s_or_saveexec_b64 s[6:7], s[6:7]
	v_mov_b32_e32 v2, s10
	s_xor_b64 exec, exec, s[6:7]
	s_cbranch_execz .LBB1_3042
; %bb.38883:
	s_getpc_b64 s[14:15]
.Lpost_getpc5105:
	s_add_u32 s14, s14, (.LBB1_17380-.Lpost_getpc5105)&4294967295
	s_addc_u32 s15, s15, (.LBB1_17380-.Lpost_getpc5105)>>32
	s_setpc_b64 s[14:15]
.LBB1_3042:
	s_or_b64 exec, exec, s[6:7]
	s_and_saveexec_b64 s[6:7], s[4:5]
	s_cbranch_execz .LBB1_3044
.LBB1_3043:
	v_mov_b32_e32 v2, 8
	v_and_b32_e32 v3, 7, v9
	v_lshrrev_b32_sdwa v2, v2, v9 dst_sel:BYTE_1 dst_unused:UNUSED_PAD src0_sel:DWORD src1_sel:DWORD
	v_ffbh_u32_e32 v4, v3
	v_or_b32_sdwa v2, v9, v2 dst_sel:DWORD dst_unused:UNUSED_PAD src0_sel:BYTE_0 src1_sel:DWORD
	v_min_u32_e32 v4, 32, v4
	v_lshrrev_b16_e32 v2, 3, v2
	v_subrev_u32_e32 v6, 28, v4
	v_and_b32_e32 v2, 15, v2
	v_lshlrev_b32_e32 v6, v6, v9
	v_sub_u32_e32 v4, 29, v4
	v_and_b32_e32 v6, 7, v6
	v_cmp_eq_u16_e32 vcc, 0, v2
	v_cndmask_b32_e32 v3, v3, v6, vcc
	v_cndmask_b32_e32 v2, v2, v4, vcc
	v_lshlrev_b32_e32 v4, 24, v9
	v_mov_b32_e32 v6, 0x3b800000
	v_lshlrev_b32_e32 v3, 20, v3
	v_and_b32_e32 v4, 0x80000000, v4
	v_lshl_add_u32 v2, v2, 23, v6
	v_or3_b32 v2, v4, v2, v3
.LBB1_3044:
	s_or_b64 exec, exec, s[6:7]
	s_movk_i32 s4, 0x7f
	v_cmp_gt_i16_sdwa s[6:7], v5, s4 src0_sel:BYTE_0 src1_sel:DWORD
	s_mov_b64 s[4:5], 0
                                        ; implicit-def: $sgpr10
	s_and_saveexec_b64 s[8:9], s[6:7]
	s_xor_b64 s[6:7], exec, s[8:9]
	s_cbranch_execz .LBB1_3045
; %bb.38885:
	s_getpc_b64 s[14:15]
.Lpost_getpc5106:
	s_add_u32 s14, s14, (.LBB1_17381-.Lpost_getpc5106)&4294967295
	s_addc_u32 s15, s15, (.LBB1_17381-.Lpost_getpc5106)>>32
	s_setpc_b64 s[14:15]
.LBB1_3045:
	s_or_saveexec_b64 s[6:7], s[6:7]
	v_mov_b32_e32 v3, s10
	s_xor_b64 exec, exec, s[6:7]
	s_cbranch_execz .LBB1_3046
; %bb.38887:
	s_getpc_b64 s[14:15]
.Lpost_getpc5107:
	s_add_u32 s14, s14, (.LBB1_17384-.Lpost_getpc5107)&4294967295
	s_addc_u32 s15, s15, (.LBB1_17384-.Lpost_getpc5107)>>32
	s_setpc_b64 s[14:15]
.LBB1_3046:
	s_or_b64 exec, exec, s[6:7]
	s_and_saveexec_b64 s[6:7], s[4:5]
	s_cbranch_execz .LBB1_3048
.LBB1_3047:
	v_mov_b32_e32 v3, 8
	v_and_b32_e32 v4, 7, v5
	v_lshrrev_b32_sdwa v3, v3, v5 dst_sel:BYTE_1 dst_unused:UNUSED_PAD src0_sel:DWORD src1_sel:DWORD
	v_ffbh_u32_e32 v6, v4
	v_or_b32_sdwa v3, v5, v3 dst_sel:DWORD dst_unused:UNUSED_PAD src0_sel:BYTE_0 src1_sel:DWORD
	v_min_u32_e32 v6, 32, v6
	v_lshrrev_b16_e32 v3, 3, v3
	v_subrev_u32_e32 v7, 28, v6
	v_and_b32_e32 v3, 15, v3
	v_lshlrev_b32_e32 v7, v7, v5
	v_sub_u32_e32 v6, 29, v6
	v_and_b32_e32 v7, 7, v7
	v_cmp_eq_u16_e32 vcc, 0, v3
	v_cndmask_b32_e32 v4, v4, v7, vcc
	v_cndmask_b32_e32 v3, v3, v6, vcc
	v_lshlrev_b32_e32 v6, 24, v5
	v_mov_b32_e32 v7, 0x3b800000
	v_lshlrev_b32_e32 v4, 20, v4
	v_and_b32_e32 v6, 0x80000000, v6
	v_lshl_add_u32 v3, v3, 23, v7
	v_or3_b32 v3, v6, v3, v4
.LBB1_3048:
	s_or_b64 exec, exec, s[6:7]
	s_nop 0
	v_mfma_f32_16x16x4f32 a[0:3], v2, v3, a[0:3]
	v_lshrrev_b32_e32 v3, 8, v9
	s_movk_i32 s4, 0x7f
	v_cmp_gt_i16_sdwa s[6:7], v3, s4 src0_sel:BYTE_0 src1_sel:DWORD
	s_mov_b64 s[4:5], 0
                                        ; implicit-def: $sgpr10
	s_and_saveexec_b64 s[8:9], s[6:7]
	s_xor_b64 s[6:7], exec, s[8:9]
	s_cbranch_execz .LBB1_3049
; %bb.38889:
	s_getpc_b64 s[14:15]
.Lpost_getpc5108:
	s_add_u32 s14, s14, (.LBB1_17385-.Lpost_getpc5108)&4294967295
	s_addc_u32 s15, s15, (.LBB1_17385-.Lpost_getpc5108)>>32
	s_setpc_b64 s[14:15]
.LBB1_3049:
	s_or_saveexec_b64 s[6:7], s[6:7]
	v_mov_b32_e32 v2, s10
	s_xor_b64 exec, exec, s[6:7]
	s_cbranch_execz .LBB1_3050
; %bb.38891:
	s_getpc_b64 s[14:15]
.Lpost_getpc5109:
	s_add_u32 s14, s14, (.LBB1_17388-.Lpost_getpc5109)&4294967295
	s_addc_u32 s15, s15, (.LBB1_17388-.Lpost_getpc5109)>>32
	s_setpc_b64 s[14:15]
.LBB1_3050:
	s_or_b64 exec, exec, s[6:7]
	s_and_saveexec_b64 s[6:7], s[4:5]
	s_cbranch_execz .LBB1_3052
.LBB1_3051:
	v_bfe_u32 v2, v9, 8, 3
	v_ffbh_u32_e32 v6, v2
	v_min_u32_e32 v6, 32, v6
	v_lshrrev_b16_e32 v4, 3, v3
	v_subrev_u32_e32 v7, 28, v6
	v_and_b32_e32 v4, 15, v4
	v_lshlrev_b32_e32 v3, v7, v3
	v_sub_u32_e32 v6, 29, v6
	v_and_b32_e32 v3, 7, v3
	v_cmp_eq_u16_e32 vcc, 0, v4
	v_cndmask_b32_e32 v2, v2, v3, vcc
	v_cndmask_b32_e32 v3, v4, v6, vcc
	v_lshlrev_b32_e32 v4, 16, v9
	v_mov_b32_e32 v6, 0x3b800000
	v_lshlrev_b32_e32 v2, 20, v2
	v_and_b32_e32 v4, 0x80000000, v4
	v_lshl_add_u32 v3, v3, 23, v6
	v_or3_b32 v2, v4, v3, v2
.LBB1_3052:
	s_or_b64 exec, exec, s[6:7]
	v_lshrrev_b32_e32 v3, 8, v5
	s_movk_i32 s4, 0x7f
	v_cmp_gt_i16_sdwa s[6:7], v3, s4 src0_sel:BYTE_0 src1_sel:DWORD
	s_mov_b64 s[4:5], 0
                                        ; implicit-def: $sgpr10
	s_and_saveexec_b64 s[8:9], s[6:7]
	s_xor_b64 s[6:7], exec, s[8:9]
	s_cbranch_execz .LBB1_3053
; %bb.38893:
	s_getpc_b64 s[14:15]
.Lpost_getpc5110:
	s_add_u32 s14, s14, (.LBB1_17389-.Lpost_getpc5110)&4294967295
	s_addc_u32 s15, s15, (.LBB1_17389-.Lpost_getpc5110)>>32
	s_setpc_b64 s[14:15]
.LBB1_3053:
	s_or_saveexec_b64 s[6:7], s[6:7]
	v_mov_b32_e32 v4, s10
	s_xor_b64 exec, exec, s[6:7]
	s_cbranch_execz .LBB1_3054
; %bb.38895:
	s_getpc_b64 s[14:15]
.Lpost_getpc5111:
	s_add_u32 s14, s14, (.LBB1_17392-.Lpost_getpc5111)&4294967295
	s_addc_u32 s15, s15, (.LBB1_17392-.Lpost_getpc5111)>>32
	s_setpc_b64 s[14:15]
.LBB1_3054:
	s_or_b64 exec, exec, s[6:7]
	s_and_saveexec_b64 s[6:7], s[4:5]
	s_cbranch_execz .LBB1_3056
.LBB1_3055:
	v_bfe_u32 v4, v5, 8, 3
	v_ffbh_u32_e32 v7, v4
	v_min_u32_e32 v7, 32, v7
	v_lshrrev_b16_e32 v6, 3, v3
	v_subrev_u32_e32 v8, 28, v7
	v_and_b32_e32 v6, 15, v6
	v_lshlrev_b32_e32 v3, v8, v3
	v_sub_u32_e32 v7, 29, v7
	v_and_b32_e32 v3, 7, v3
	v_cmp_eq_u16_e32 vcc, 0, v6
	v_cndmask_b32_e32 v3, v4, v3, vcc
	v_cndmask_b32_e32 v4, v6, v7, vcc
	v_lshlrev_b32_e32 v6, 16, v5
	v_mov_b32_e32 v7, 0x3b800000
	v_lshlrev_b32_e32 v3, 20, v3
	v_and_b32_e32 v6, 0x80000000, v6
	v_lshl_add_u32 v4, v4, 23, v7
	v_or3_b32 v4, v6, v4, v3
.LBB1_3056:
	s_or_b64 exec, exec, s[6:7]
	s_nop 0
	v_mfma_f32_16x16x4f32 a[0:3], v2, v4, a[0:3]
	s_movk_i32 s4, 0xff
	v_and_b32_sdwa v3, v9, s4 dst_sel:DWORD dst_unused:UNUSED_PAD src0_sel:WORD_1 src1_sel:DWORD
	s_movk_i32 s4, 0x7f
	v_cmp_lt_i16_e32 vcc, s4, v3
	s_mov_b64 s[4:5], 0
                                        ; implicit-def: $sgpr10
	s_and_saveexec_b64 s[6:7], vcc
	s_xor_b64 s[6:7], exec, s[6:7]
	s_cbranch_execz .LBB1_3057
; %bb.38897:
	s_getpc_b64 s[14:15]
.Lpost_getpc5112:
	s_add_u32 s14, s14, (.LBB1_17393-.Lpost_getpc5112)&4294967295
	s_addc_u32 s15, s15, (.LBB1_17393-.Lpost_getpc5112)>>32
	s_setpc_b64 s[14:15]
.LBB1_3057:
	s_or_saveexec_b64 s[6:7], s[6:7]
	v_mov_b32_e32 v2, s10
	s_xor_b64 exec, exec, s[6:7]
	s_cbranch_execz .LBB1_3058
; %bb.38899:
	s_getpc_b64 s[14:15]
.Lpost_getpc5113:
	s_add_u32 s14, s14, (.LBB1_17396-.Lpost_getpc5113)&4294967295
	s_addc_u32 s15, s15, (.LBB1_17396-.Lpost_getpc5113)>>32
	s_setpc_b64 s[14:15]
.LBB1_3058:
	s_or_b64 exec, exec, s[6:7]
	s_and_saveexec_b64 s[6:7], s[4:5]
	s_cbranch_execz .LBB1_3060
.LBB1_3059:
	v_bfe_u32 v2, v9, 16, 3
	v_ffbh_u32_e32 v6, v2
	v_min_u32_e32 v6, 32, v6
	v_lshrrev_b32_e32 v3, 19, v9
	v_subrev_u32_e32 v7, 28, v6
	v_and_b32_e32 v3, 15, v3
	v_lshlrev_b32_sdwa v7, v7, v9 dst_sel:DWORD dst_unused:UNUSED_PAD src0_sel:DWORD src1_sel:WORD_1
	v_bfe_u32 v4, v9, 19, 4
	v_sub_u32_e32 v6, 29, v6
	v_and_b32_e32 v7, 7, v7
	v_cmp_eq_u16_e32 vcc, 0, v3
	v_cndmask_b32_e32 v2, v2, v7, vcc
	v_cndmask_b32_e32 v3, v4, v6, vcc
	v_lshlrev_b32_e32 v4, 8, v9
	v_mov_b32_e32 v6, 0x3b800000
	v_lshlrev_b32_e32 v2, 20, v2
	v_and_b32_e32 v4, 0x80000000, v4
	v_lshl_add_u32 v3, v3, 23, v6
	v_or3_b32 v2, v4, v3, v2
.LBB1_3060:
	s_or_b64 exec, exec, s[6:7]
	s_movk_i32 s4, 0xff
	v_and_b32_sdwa v3, v5, s4 dst_sel:DWORD dst_unused:UNUSED_PAD src0_sel:WORD_1 src1_sel:DWORD
	s_movk_i32 s4, 0x7f
	v_cmp_lt_i16_e32 vcc, s4, v3
	s_mov_b64 s[4:5], 0
                                        ; implicit-def: $sgpr10
	s_and_saveexec_b64 s[6:7], vcc
	s_xor_b64 s[6:7], exec, s[6:7]
	s_cbranch_execz .LBB1_3061
; %bb.38901:
	s_getpc_b64 s[14:15]
.Lpost_getpc5114:
	s_add_u32 s14, s14, (.LBB1_17397-.Lpost_getpc5114)&4294967295
	s_addc_u32 s15, s15, (.LBB1_17397-.Lpost_getpc5114)>>32
	s_setpc_b64 s[14:15]
.LBB1_3061:
	s_or_saveexec_b64 s[6:7], s[6:7]
	v_mov_b32_e32 v4, s10
	s_xor_b64 exec, exec, s[6:7]
	s_cbranch_execz .LBB1_3062
; %bb.38903:
	s_getpc_b64 s[14:15]
.Lpost_getpc5115:
	s_add_u32 s14, s14, (.LBB1_17400-.Lpost_getpc5115)&4294967295
	s_addc_u32 s15, s15, (.LBB1_17400-.Lpost_getpc5115)>>32
	s_setpc_b64 s[14:15]
.LBB1_3062:
	s_or_b64 exec, exec, s[6:7]
	s_and_saveexec_b64 s[6:7], s[4:5]
	s_cbranch_execz .LBB1_3064
.LBB1_3063:
	v_bfe_u32 v3, v5, 16, 3
	v_ffbh_u32_e32 v7, v3
	v_min_u32_e32 v7, 32, v7
	v_lshrrev_b32_e32 v4, 19, v5
	v_subrev_u32_e32 v8, 28, v7
	v_and_b32_e32 v4, 15, v4
	v_lshlrev_b32_sdwa v8, v8, v5 dst_sel:DWORD dst_unused:UNUSED_PAD src0_sel:DWORD src1_sel:WORD_1
	v_bfe_u32 v6, v5, 19, 4
	v_sub_u32_e32 v7, 29, v7
	v_and_b32_e32 v8, 7, v8
	v_cmp_eq_u16_e32 vcc, 0, v4
	v_cndmask_b32_e32 v3, v3, v8, vcc
	v_cndmask_b32_e32 v4, v6, v7, vcc
	v_lshlrev_b32_e32 v6, 8, v5
	v_mov_b32_e32 v7, 0x3b800000
	v_lshlrev_b32_e32 v3, 20, v3
	v_and_b32_e32 v6, 0x80000000, v6
	v_lshl_add_u32 v4, v4, 23, v7
	v_or3_b32 v4, v6, v4, v3
.LBB1_3064:
	s_or_b64 exec, exec, s[6:7]
	s_nop 0
	v_mfma_f32_16x16x4f32 a[0:3], v2, v4, a[0:3]
	s_movk_i32 s4, 0x7f
	v_cmp_gt_i16_sdwa s[6:7], v9, s4 src0_sel:BYTE_3 src1_sel:DWORD
	s_mov_b64 s[4:5], 0
                                        ; implicit-def: $sgpr10
	s_and_saveexec_b64 s[8:9], s[6:7]
	s_xor_b64 s[6:7], exec, s[8:9]
	s_cbranch_execz .LBB1_3065
; %bb.38905:
	s_getpc_b64 s[14:15]
.Lpost_getpc5116:
	s_add_u32 s14, s14, (.LBB1_17401-.Lpost_getpc5116)&4294967295
	s_addc_u32 s15, s15, (.LBB1_17401-.Lpost_getpc5116)>>32
	s_setpc_b64 s[14:15]
.LBB1_3065:
	s_or_saveexec_b64 s[6:7], s[6:7]
	v_mov_b32_e32 v2, s10
	s_xor_b64 exec, exec, s[6:7]
	s_cbranch_execz .LBB1_3066
; %bb.38907:
	s_getpc_b64 s[14:15]
.Lpost_getpc5117:
	s_add_u32 s14, s14, (.LBB1_17404-.Lpost_getpc5117)&4294967295
	s_addc_u32 s15, s15, (.LBB1_17404-.Lpost_getpc5117)>>32
	s_setpc_b64 s[14:15]
.LBB1_3066:
	s_or_b64 exec, exec, s[6:7]
	s_and_saveexec_b64 s[6:7], s[4:5]
	s_cbranch_execz .LBB1_3068
.LBB1_3067:
	v_bfe_u32 v2, v9, 24, 3
	v_ffbh_u32_e32 v7, v2
	v_min_u32_e32 v7, 32, v7
	v_lshrrev_b32_e32 v4, 27, v9
	v_subrev_u32_e32 v8, 28, v7
	v_and_b32_e32 v4, 15, v4
	v_lshlrev_b32_sdwa v8, v8, v9 dst_sel:DWORD dst_unused:UNUSED_PAD src0_sel:DWORD src1_sel:BYTE_3
	v_bfe_u32 v6, v9, 27, 4
	v_sub_u32_e32 v7, 29, v7
	v_and_b32_e32 v8, 7, v8
	v_cmp_eq_u16_e32 vcc, 0, v4
	v_cndmask_b32_e32 v2, v2, v8, vcc
	v_cndmask_b32_e32 v4, v6, v7, vcc
	v_mov_b32_e32 v6, 0x3b800000
	v_and_b32_e32 v3, 0x80000000, v9
	v_lshlrev_b32_e32 v2, 20, v2
	v_lshl_add_u32 v4, v4, 23, v6
	v_or3_b32 v2, v3, v4, v2
.LBB1_3068:
	s_or_b64 exec, exec, s[6:7]
	s_movk_i32 s4, 0x7f
	v_cmp_gt_i16_sdwa s[6:7], v5, s4 src0_sel:BYTE_3 src1_sel:DWORD
	s_mov_b64 s[4:5], 0
                                        ; implicit-def: $sgpr10
	s_and_saveexec_b64 s[8:9], s[6:7]
	s_xor_b64 s[6:7], exec, s[8:9]
	s_cbranch_execz .LBB1_3069
; %bb.38909:
	s_getpc_b64 s[14:15]
.Lpost_getpc5118:
	s_add_u32 s14, s14, (.LBB1_17405-.Lpost_getpc5118)&4294967295
	s_addc_u32 s15, s15, (.LBB1_17405-.Lpost_getpc5118)>>32
	s_setpc_b64 s[14:15]
.LBB1_3069:
	s_or_saveexec_b64 s[6:7], s[6:7]
	v_mov_b32_e32 v3, s10
	s_xor_b64 exec, exec, s[6:7]
	s_cbranch_execz .LBB1_3070
; %bb.38911:
	s_getpc_b64 s[14:15]
.Lpost_getpc5119:
	s_add_u32 s14, s14, (.LBB1_17408-.Lpost_getpc5119)&4294967295
	s_addc_u32 s15, s15, (.LBB1_17408-.Lpost_getpc5119)>>32
	s_setpc_b64 s[14:15]
.LBB1_3070:
	s_or_b64 exec, exec, s[6:7]
	s_and_saveexec_b64 s[6:7], s[4:5]
	s_cbranch_execz .LBB1_3072
.LBB1_3071:
	v_bfe_u32 v3, v5, 24, 3
	v_ffbh_u32_e32 v8, v3
	v_min_u32_e32 v8, 32, v8
	v_lshrrev_b32_e32 v6, 27, v5
	v_subrev_u32_e32 v9, 28, v8
	v_and_b32_e32 v4, 0x80000000, v5
	v_and_b32_e32 v6, 15, v6
	v_bfe_u32 v7, v5, 27, 4
	v_lshlrev_b32_sdwa v5, v9, v5 dst_sel:DWORD dst_unused:UNUSED_PAD src0_sel:DWORD src1_sel:BYTE_3
	v_sub_u32_e32 v8, 29, v8
	v_and_b32_e32 v5, 7, v5
	v_cmp_eq_u16_e32 vcc, 0, v6
	v_cndmask_b32_e32 v3, v3, v5, vcc
	v_cndmask_b32_e32 v5, v7, v8, vcc
	v_mov_b32_e32 v6, 0x3b800000
	v_lshlrev_b32_e32 v3, 20, v3
	v_lshl_add_u32 v5, v5, 23, v6
	v_or3_b32 v3, v4, v5, v3
.LBB1_3072:
	s_or_b64 exec, exec, s[6:7]
	s_nop 0
	v_mfma_f32_16x16x4f32 a[0:3], v2, v3, a[0:3]
	s_movk_i32 s4, 0x7f
                                        ; implicit-def: $sgpr10
	s_nop 7
	s_nop 1
	flat_store_dwordx4 v[10:11], a[0:3] offset:368
	flat_load_dwordx4 v[12:15], v[0:1]
	s_nop 0
	flat_load_dwordx2 v[10:11], v[0:1] offset:16
	s_waitcnt vmcnt(0) lgkmcnt(0)
	flat_load_dwordx4 v[6:9], v[12:13] offset:48
	flat_load_dwordx4 v[2:5], v[14:15]
	s_waitcnt vmcnt(0) lgkmcnt(0)
	v_cmp_gt_i16_sdwa s[6:7], v6, s4 src0_sel:BYTE_0 src1_sel:DWORD
	s_mov_b64 s[4:5], 0
	s_and_saveexec_b64 s[8:9], s[6:7]
	s_xor_b64 s[6:7], exec, s[8:9]
	s_cbranch_execz .LBB1_3073
; %bb.38913:
	s_getpc_b64 s[14:15]
.Lpost_getpc5120:
	s_add_u32 s14, s14, (.LBB1_17409-.Lpost_getpc5120)&4294967295
	s_addc_u32 s15, s15, (.LBB1_17409-.Lpost_getpc5120)>>32
	s_setpc_b64 s[14:15]
.LBB1_3073:
	s_or_saveexec_b64 s[6:7], s[6:7]
	v_mov_b32_e32 v12, s10
	s_xor_b64 exec, exec, s[6:7]
	s_cbranch_execz .LBB1_3074
; %bb.38915:
	s_getpc_b64 s[14:15]
.Lpost_getpc5121:
	s_add_u32 s14, s14, (.LBB1_17412-.Lpost_getpc5121)&4294967295
	s_addc_u32 s15, s15, (.LBB1_17412-.Lpost_getpc5121)>>32
	s_setpc_b64 s[14:15]
.LBB1_3074:
	s_or_b64 exec, exec, s[6:7]
	s_and_saveexec_b64 s[6:7], s[4:5]
	s_cbranch_execz .LBB1_3076
.LBB1_3075:
	v_and_b32_e32 v12, 7, v6
	v_ffbh_u32_e32 v14, v12
	v_min_u32_e32 v14, 32, v14
	v_lshrrev_b16_e32 v13, 3, v6
	v_subrev_u32_e32 v15, 28, v14
	v_and_b32_e32 v13, 15, v13
	v_lshlrev_b32_e32 v15, v15, v6
	v_sub_u32_e32 v14, 29, v14
	v_and_b32_e32 v15, 7, v15
	v_cmp_eq_u16_e32 vcc, 0, v13
	v_cndmask_b32_e32 v12, v12, v15, vcc
	v_cndmask_b32_e32 v13, v13, v14, vcc
	v_lshlrev_b32_e32 v14, 24, v6
	v_mov_b32_e32 v15, 0x3b800000
	v_lshlrev_b32_e32 v12, 20, v12
	v_and_b32_e32 v14, 0x80000000, v14
	v_lshl_add_u32 v13, v13, 23, v15
	v_or3_b32 v12, v14, v13, v12
.LBB1_3076:
	s_or_b64 exec, exec, s[6:7]
	s_movk_i32 s4, 0x7f
	v_cmp_gt_i16_sdwa s[6:7], v2, s4 src0_sel:BYTE_0 src1_sel:DWORD
	s_mov_b64 s[4:5], 0
                                        ; implicit-def: $sgpr10
	s_and_saveexec_b64 s[8:9], s[6:7]
	s_xor_b64 s[6:7], exec, s[8:9]
	s_cbranch_execz .LBB1_3077
; %bb.38917:
	s_getpc_b64 s[14:15]
.Lpost_getpc5122:
	s_add_u32 s14, s14, (.LBB1_17413-.Lpost_getpc5122)&4294967295
	s_addc_u32 s15, s15, (.LBB1_17413-.Lpost_getpc5122)>>32
	s_setpc_b64 s[14:15]
.LBB1_3077:
	s_or_saveexec_b64 s[6:7], s[6:7]
	v_mov_b32_e32 v13, s10
	s_xor_b64 exec, exec, s[6:7]
	s_cbranch_execz .LBB1_3078
; %bb.38919:
	s_getpc_b64 s[14:15]
.Lpost_getpc5123:
	s_add_u32 s14, s14, (.LBB1_17416-.Lpost_getpc5123)&4294967295
	s_addc_u32 s15, s15, (.LBB1_17416-.Lpost_getpc5123)>>32
	s_setpc_b64 s[14:15]
.LBB1_3078:
	s_or_b64 exec, exec, s[6:7]
	s_and_saveexec_b64 s[6:7], s[4:5]
	s_cbranch_execz .LBB1_3080
.LBB1_3079:
	v_and_b32_e32 v13, 7, v2
	v_ffbh_u32_e32 v15, v13
	v_min_u32_e32 v15, 32, v15
	v_lshrrev_b16_e32 v14, 3, v2
	v_subrev_u32_e32 v16, 28, v15
	v_and_b32_e32 v14, 15, v14
	v_lshlrev_b32_e32 v16, v16, v2
	v_sub_u32_e32 v15, 29, v15
	v_and_b32_e32 v16, 7, v16
	v_cmp_eq_u16_e32 vcc, 0, v14
	v_cndmask_b32_e32 v13, v13, v16, vcc
	v_cndmask_b32_e32 v14, v14, v15, vcc
	v_lshlrev_b32_e32 v15, 24, v2
	v_mov_b32_e32 v16, 0x3b800000
	v_lshlrev_b32_e32 v13, 20, v13
	v_and_b32_e32 v15, 0x80000000, v15
	v_lshl_add_u32 v14, v14, 23, v16
	v_or3_b32 v13, v15, v14, v13
.LBB1_3080:
	s_or_b64 exec, exec, s[6:7]
	flat_load_dwordx4 a[0:3], v[10:11] offset:384
	s_movk_i32 s4, 0x7f
                                        ; implicit-def: $sgpr10
	s_waitcnt vmcnt(0) lgkmcnt(0)
	v_mfma_f32_16x16x4f32 a[0:3], v12, v13, a[0:3]
	v_lshrrev_b32_e32 v13, 8, v6
	v_cmp_gt_i16_sdwa s[6:7], v13, s4 src0_sel:BYTE_0 src1_sel:DWORD
	s_mov_b64 s[4:5], 0
	s_and_saveexec_b64 s[8:9], s[6:7]
	s_xor_b64 s[6:7], exec, s[8:9]
	s_cbranch_execz .LBB1_3081
; %bb.38921:
	s_getpc_b64 s[14:15]
.Lpost_getpc5124:
	s_add_u32 s14, s14, (.LBB1_17417-.Lpost_getpc5124)&4294967295
	s_addc_u32 s15, s15, (.LBB1_17417-.Lpost_getpc5124)>>32
	s_setpc_b64 s[14:15]
.LBB1_3081:
	s_or_saveexec_b64 s[6:7], s[6:7]
	v_mov_b32_e32 v12, s10
	s_xor_b64 exec, exec, s[6:7]
	s_cbranch_execz .LBB1_3082
; %bb.38923:
	s_getpc_b64 s[14:15]
.Lpost_getpc5125:
	s_add_u32 s14, s14, (.LBB1_17420-.Lpost_getpc5125)&4294967295
	s_addc_u32 s15, s15, (.LBB1_17420-.Lpost_getpc5125)>>32
	s_setpc_b64 s[14:15]
.LBB1_3082:
	s_or_b64 exec, exec, s[6:7]
	s_and_saveexec_b64 s[6:7], s[4:5]
	s_cbranch_execz .LBB1_3084
.LBB1_3083:
	v_bfe_u32 v12, v6, 8, 3
	v_ffbh_u32_e32 v15, v12
	v_min_u32_e32 v15, 32, v15
	v_lshrrev_b16_e32 v14, 3, v13
	v_subrev_u32_e32 v16, 28, v15
	v_and_b32_e32 v14, 15, v14
	v_lshlrev_b32_e32 v13, v16, v13
	v_sub_u32_e32 v15, 29, v15
	v_and_b32_e32 v13, 7, v13
	v_cmp_eq_u16_e32 vcc, 0, v14
	v_cndmask_b32_e32 v12, v12, v13, vcc
	v_cndmask_b32_e32 v13, v14, v15, vcc
	v_lshlrev_b32_e32 v14, 16, v6
	v_mov_b32_e32 v15, 0x3b800000
	v_lshlrev_b32_e32 v12, 20, v12
	v_and_b32_e32 v14, 0x80000000, v14
	v_lshl_add_u32 v13, v13, 23, v15
	v_or3_b32 v12, v14, v13, v12
.LBB1_3084:
	s_or_b64 exec, exec, s[6:7]
	v_lshrrev_b32_e32 v13, 8, v2
	s_movk_i32 s4, 0x7f
	v_cmp_gt_i16_sdwa s[6:7], v13, s4 src0_sel:BYTE_0 src1_sel:DWORD
	s_mov_b64 s[4:5], 0
                                        ; implicit-def: $sgpr10
	s_and_saveexec_b64 s[8:9], s[6:7]
	s_xor_b64 s[6:7], exec, s[8:9]
	s_cbranch_execz .LBB1_3085
; %bb.38925:
	s_getpc_b64 s[14:15]
.Lpost_getpc5126:
	s_add_u32 s14, s14, (.LBB1_17421-.Lpost_getpc5126)&4294967295
	s_addc_u32 s15, s15, (.LBB1_17421-.Lpost_getpc5126)>>32
	s_setpc_b64 s[14:15]
.LBB1_3085:
	s_or_saveexec_b64 s[6:7], s[6:7]
	v_mov_b32_e32 v14, s10
	s_xor_b64 exec, exec, s[6:7]
	s_cbranch_execz .LBB1_3086
; %bb.38927:
	s_getpc_b64 s[14:15]
.Lpost_getpc5127:
	s_add_u32 s14, s14, (.LBB1_17424-.Lpost_getpc5127)&4294967295
	s_addc_u32 s15, s15, (.LBB1_17424-.Lpost_getpc5127)>>32
	s_setpc_b64 s[14:15]
.LBB1_3086:
	s_or_b64 exec, exec, s[6:7]
	s_and_saveexec_b64 s[6:7], s[4:5]
	s_cbranch_execz .LBB1_3088
.LBB1_3087:
	v_bfe_u32 v14, v2, 8, 3
	v_ffbh_u32_e32 v16, v14
	v_min_u32_e32 v16, 32, v16
	v_lshrrev_b16_e32 v15, 3, v13
	v_subrev_u32_e32 v17, 28, v16
	v_and_b32_e32 v15, 15, v15
	v_lshlrev_b32_e32 v13, v17, v13
	v_sub_u32_e32 v16, 29, v16
	v_and_b32_e32 v13, 7, v13
	v_cmp_eq_u16_e32 vcc, 0, v15
	v_cndmask_b32_e32 v13, v14, v13, vcc
	v_cndmask_b32_e32 v14, v15, v16, vcc
	v_lshlrev_b32_e32 v15, 16, v2
	v_mov_b32_e32 v16, 0x3b800000
	v_lshlrev_b32_e32 v13, 20, v13
	v_and_b32_e32 v15, 0x80000000, v15
	v_lshl_add_u32 v14, v14, 23, v16
	v_or3_b32 v14, v15, v14, v13
.LBB1_3088:
	s_or_b64 exec, exec, s[6:7]
	s_nop 0
	v_mfma_f32_16x16x4f32 a[0:3], v12, v14, a[0:3]
	s_movk_i32 s4, 0xff
	v_and_b32_sdwa v13, v6, s4 dst_sel:DWORD dst_unused:UNUSED_PAD src0_sel:WORD_1 src1_sel:DWORD
	s_movk_i32 s4, 0x7f
	v_cmp_lt_i16_e32 vcc, s4, v13
	s_mov_b64 s[4:5], 0
                                        ; implicit-def: $sgpr10
	s_and_saveexec_b64 s[6:7], vcc
	s_xor_b64 s[6:7], exec, s[6:7]
	s_cbranch_execz .LBB1_3089
; %bb.38929:
	s_getpc_b64 s[14:15]
.Lpost_getpc5128:
	s_add_u32 s14, s14, (.LBB1_17425-.Lpost_getpc5128)&4294967295
	s_addc_u32 s15, s15, (.LBB1_17425-.Lpost_getpc5128)>>32
	s_setpc_b64 s[14:15]
.LBB1_3089:
	s_or_saveexec_b64 s[6:7], s[6:7]
	v_mov_b32_e32 v12, s10
	s_xor_b64 exec, exec, s[6:7]
	s_cbranch_execz .LBB1_3090
; %bb.38931:
	s_getpc_b64 s[14:15]
.Lpost_getpc5129:
	s_add_u32 s14, s14, (.LBB1_17428-.Lpost_getpc5129)&4294967295
	s_addc_u32 s15, s15, (.LBB1_17428-.Lpost_getpc5129)>>32
	s_setpc_b64 s[14:15]
.LBB1_3090:
	s_or_b64 exec, exec, s[6:7]
	s_and_saveexec_b64 s[6:7], s[4:5]
	s_cbranch_execz .LBB1_3092
.LBB1_3091:
	v_bfe_u32 v12, v6, 16, 3
	v_ffbh_u32_e32 v15, v12
	v_min_u32_e32 v15, 32, v15
	v_lshrrev_b32_e32 v13, 19, v6
	v_subrev_u32_e32 v16, 28, v15
	v_and_b32_e32 v13, 15, v13
	v_lshlrev_b32_sdwa v16, v16, v6 dst_sel:DWORD dst_unused:UNUSED_PAD src0_sel:DWORD src1_sel:WORD_1
	v_bfe_u32 v14, v6, 19, 4
	v_sub_u32_e32 v15, 29, v15
	v_and_b32_e32 v16, 7, v16
	v_cmp_eq_u16_e32 vcc, 0, v13
	v_cndmask_b32_e32 v12, v12, v16, vcc
	v_cndmask_b32_e32 v13, v14, v15, vcc
	v_lshlrev_b32_e32 v14, 8, v6
	v_mov_b32_e32 v15, 0x3b800000
	v_lshlrev_b32_e32 v12, 20, v12
	v_and_b32_e32 v14, 0x80000000, v14
	v_lshl_add_u32 v13, v13, 23, v15
	v_or3_b32 v12, v14, v13, v12
.LBB1_3092:
	s_or_b64 exec, exec, s[6:7]
	s_movk_i32 s4, 0xff
	v_and_b32_sdwa v13, v2, s4 dst_sel:DWORD dst_unused:UNUSED_PAD src0_sel:WORD_1 src1_sel:DWORD
	s_movk_i32 s4, 0x7f
	v_cmp_lt_i16_e32 vcc, s4, v13
	s_mov_b64 s[4:5], 0
                                        ; implicit-def: $sgpr10
	s_and_saveexec_b64 s[6:7], vcc
	s_xor_b64 s[6:7], exec, s[6:7]
	s_cbranch_execz .LBB1_3093
; %bb.38933:
	s_getpc_b64 s[14:15]
.Lpost_getpc5130:
	s_add_u32 s14, s14, (.LBB1_17429-.Lpost_getpc5130)&4294967295
	s_addc_u32 s15, s15, (.LBB1_17429-.Lpost_getpc5130)>>32
	s_setpc_b64 s[14:15]
.LBB1_3093:
	s_or_saveexec_b64 s[6:7], s[6:7]
	v_mov_b32_e32 v14, s10
	s_xor_b64 exec, exec, s[6:7]
	s_cbranch_execz .LBB1_3094
; %bb.38935:
	s_getpc_b64 s[14:15]
.Lpost_getpc5131:
	s_add_u32 s14, s14, (.LBB1_17432-.Lpost_getpc5131)&4294967295
	s_addc_u32 s15, s15, (.LBB1_17432-.Lpost_getpc5131)>>32
	s_setpc_b64 s[14:15]
.LBB1_3094:
	s_or_b64 exec, exec, s[6:7]
	s_and_saveexec_b64 s[6:7], s[4:5]
	s_cbranch_execz .LBB1_3096
.LBB1_3095:
	v_bfe_u32 v13, v2, 16, 3
	v_ffbh_u32_e32 v16, v13
	v_min_u32_e32 v16, 32, v16
	v_lshrrev_b32_e32 v14, 19, v2
	v_subrev_u32_e32 v17, 28, v16
	v_and_b32_e32 v14, 15, v14
	v_lshlrev_b32_sdwa v17, v17, v2 dst_sel:DWORD dst_unused:UNUSED_PAD src0_sel:DWORD src1_sel:WORD_1
	v_bfe_u32 v15, v2, 19, 4
	v_sub_u32_e32 v16, 29, v16
	v_and_b32_e32 v17, 7, v17
	v_cmp_eq_u16_e32 vcc, 0, v14
	v_cndmask_b32_e32 v13, v13, v17, vcc
	v_cndmask_b32_e32 v14, v15, v16, vcc
	v_lshlrev_b32_e32 v15, 8, v2
	v_mov_b32_e32 v16, 0x3b800000
	v_lshlrev_b32_e32 v13, 20, v13
	v_and_b32_e32 v15, 0x80000000, v15
	v_lshl_add_u32 v14, v14, 23, v16
	v_or3_b32 v14, v15, v14, v13
.LBB1_3096:
	s_or_b64 exec, exec, s[6:7]
	s_nop 0
	v_mfma_f32_16x16x4f32 a[0:3], v12, v14, a[0:3]
	s_movk_i32 s4, 0x7f
	v_cmp_gt_i16_sdwa s[6:7], v6, s4 src0_sel:BYTE_3 src1_sel:DWORD
	s_mov_b64 s[4:5], 0
                                        ; implicit-def: $sgpr10
	s_and_saveexec_b64 s[8:9], s[6:7]
	s_xor_b64 s[6:7], exec, s[8:9]
	s_cbranch_execz .LBB1_3097
; %bb.38937:
	s_getpc_b64 s[14:15]
.Lpost_getpc5132:
	s_add_u32 s14, s14, (.LBB1_17433-.Lpost_getpc5132)&4294967295
	s_addc_u32 s15, s15, (.LBB1_17433-.Lpost_getpc5132)>>32
	s_setpc_b64 s[14:15]
.LBB1_3097:
	s_or_saveexec_b64 s[6:7], s[6:7]
	v_mov_b32_e32 v12, s10
	s_xor_b64 exec, exec, s[6:7]
	s_cbranch_execz .LBB1_3098
; %bb.38939:
	s_getpc_b64 s[14:15]
.Lpost_getpc5133:
	s_add_u32 s14, s14, (.LBB1_17436-.Lpost_getpc5133)&4294967295
	s_addc_u32 s15, s15, (.LBB1_17436-.Lpost_getpc5133)>>32
	s_setpc_b64 s[14:15]
.LBB1_3098:
	s_or_b64 exec, exec, s[6:7]
	s_and_saveexec_b64 s[6:7], s[4:5]
	s_cbranch_execz .LBB1_3100
.LBB1_3099:
	v_bfe_u32 v12, v6, 24, 3
	v_ffbh_u32_e32 v16, v12
	v_min_u32_e32 v16, 32, v16
	v_lshrrev_b32_e32 v14, 27, v6
	v_subrev_u32_e32 v17, 28, v16
	v_and_b32_e32 v13, 0x80000000, v6
	v_and_b32_e32 v14, 15, v14
	v_bfe_u32 v15, v6, 27, 4
	v_lshlrev_b32_sdwa v6, v17, v6 dst_sel:DWORD dst_unused:UNUSED_PAD src0_sel:DWORD src1_sel:BYTE_3
	v_sub_u32_e32 v16, 29, v16
	v_and_b32_e32 v6, 7, v6
	v_cmp_eq_u16_e32 vcc, 0, v14
	v_cndmask_b32_e32 v6, v12, v6, vcc
	v_cndmask_b32_e32 v12, v15, v16, vcc
	v_mov_b32_e32 v14, 0x3b800000
	v_lshlrev_b32_e32 v6, 20, v6
	v_lshl_add_u32 v12, v12, 23, v14
	v_or3_b32 v12, v13, v12, v6
.LBB1_3100:
	s_or_b64 exec, exec, s[6:7]
	s_movk_i32 s4, 0x7f
	v_cmp_gt_i16_sdwa s[6:7], v2, s4 src0_sel:BYTE_3 src1_sel:DWORD
	s_mov_b64 s[4:5], 0
                                        ; implicit-def: $sgpr10
	s_and_saveexec_b64 s[8:9], s[6:7]
	s_xor_b64 s[6:7], exec, s[8:9]
	s_cbranch_execz .LBB1_3101
; %bb.38941:
	s_getpc_b64 s[14:15]
.Lpost_getpc5134:
	s_add_u32 s14, s14, (.LBB1_17437-.Lpost_getpc5134)&4294967295
	s_addc_u32 s15, s15, (.LBB1_17437-.Lpost_getpc5134)>>32
	s_setpc_b64 s[14:15]
.LBB1_3101:
	s_or_saveexec_b64 s[6:7], s[6:7]
	v_mov_b32_e32 v6, s10
	s_xor_b64 exec, exec, s[6:7]
	s_cbranch_execz .LBB1_3102
; %bb.38943:
	s_getpc_b64 s[14:15]
.Lpost_getpc5135:
	s_add_u32 s14, s14, (.LBB1_17440-.Lpost_getpc5135)&4294967295
	s_addc_u32 s15, s15, (.LBB1_17440-.Lpost_getpc5135)>>32
	s_setpc_b64 s[14:15]
.LBB1_3102:
	s_or_b64 exec, exec, s[6:7]
	s_and_saveexec_b64 s[6:7], s[4:5]
	s_cbranch_execz .LBB1_3104
.LBB1_3103:
	v_bfe_u32 v6, v2, 24, 3
	v_ffbh_u32_e32 v16, v6
	v_min_u32_e32 v16, 32, v16
	v_lshrrev_b32_e32 v14, 27, v2
	v_subrev_u32_e32 v17, 28, v16
	v_and_b32_e32 v13, 0x80000000, v2
	v_and_b32_e32 v14, 15, v14
	v_bfe_u32 v15, v2, 27, 4
	v_lshlrev_b32_sdwa v2, v17, v2 dst_sel:DWORD dst_unused:UNUSED_PAD src0_sel:DWORD src1_sel:BYTE_3
	v_sub_u32_e32 v16, 29, v16
	v_and_b32_e32 v2, 7, v2
	v_cmp_eq_u16_e32 vcc, 0, v14
	v_cndmask_b32_e32 v2, v6, v2, vcc
	v_cndmask_b32_e32 v6, v15, v16, vcc
	v_mov_b32_e32 v14, 0x3b800000
	v_lshlrev_b32_e32 v2, 20, v2
	v_lshl_add_u32 v6, v6, 23, v14
	v_or3_b32 v6, v13, v6, v2
.LBB1_3104:
	s_or_b64 exec, exec, s[6:7]
	s_nop 0
	v_mfma_f32_16x16x4f32 a[0:3], v12, v6, a[0:3]
	s_movk_i32 s4, 0x7f
	v_cmp_gt_i16_sdwa s[6:7], v7, s4 src0_sel:BYTE_0 src1_sel:DWORD
	s_mov_b64 s[4:5], 0
                                        ; implicit-def: $sgpr10
	s_and_saveexec_b64 s[8:9], s[6:7]
	s_xor_b64 s[6:7], exec, s[8:9]
	s_cbranch_execz .LBB1_3105
; %bb.38945:
	s_getpc_b64 s[14:15]
.Lpost_getpc5136:
	s_add_u32 s14, s14, (.LBB1_17441-.Lpost_getpc5136)&4294967295
	s_addc_u32 s15, s15, (.LBB1_17441-.Lpost_getpc5136)>>32
	s_setpc_b64 s[14:15]
.LBB1_3105:
	s_or_saveexec_b64 s[6:7], s[6:7]
	v_mov_b32_e32 v2, s10
	s_xor_b64 exec, exec, s[6:7]
	s_cbranch_execz .LBB1_3106
; %bb.38947:
	s_getpc_b64 s[14:15]
.Lpost_getpc5137:
	s_add_u32 s14, s14, (.LBB1_17444-.Lpost_getpc5137)&4294967295
	s_addc_u32 s15, s15, (.LBB1_17444-.Lpost_getpc5137)>>32
	s_setpc_b64 s[14:15]
.LBB1_3106:
	s_or_b64 exec, exec, s[6:7]
	s_and_saveexec_b64 s[6:7], s[4:5]
	s_cbranch_execz .LBB1_3108
.LBB1_3107:
	v_and_b32_e32 v2, 7, v7
	v_ffbh_u32_e32 v12, v2
	v_min_u32_e32 v12, 32, v12
	v_lshrrev_b16_e32 v6, 3, v7
	v_subrev_u32_e32 v13, 28, v12
	v_and_b32_e32 v6, 15, v6
	v_lshlrev_b32_e32 v13, v13, v7
	v_sub_u32_e32 v12, 29, v12
	v_and_b32_e32 v13, 7, v13
	v_cmp_eq_u16_e32 vcc, 0, v6
	v_cndmask_b32_e32 v2, v2, v13, vcc
	v_cndmask_b32_e32 v6, v6, v12, vcc
	v_lshlrev_b32_e32 v12, 24, v7
	v_mov_b32_e32 v13, 0x3b800000
	v_lshlrev_b32_e32 v2, 20, v2
	v_and_b32_e32 v12, 0x80000000, v12
	v_lshl_add_u32 v6, v6, 23, v13
	v_or3_b32 v2, v12, v6, v2
.LBB1_3108:
	s_or_b64 exec, exec, s[6:7]
	s_movk_i32 s4, 0x7f
	v_cmp_gt_i16_sdwa s[6:7], v3, s4 src0_sel:BYTE_0 src1_sel:DWORD
	s_mov_b64 s[4:5], 0
                                        ; implicit-def: $sgpr10
	s_and_saveexec_b64 s[8:9], s[6:7]
	s_xor_b64 s[6:7], exec, s[8:9]
	s_cbranch_execz .LBB1_3109
; %bb.38949:
	s_getpc_b64 s[14:15]
.Lpost_getpc5138:
	s_add_u32 s14, s14, (.LBB1_17445-.Lpost_getpc5138)&4294967295
	s_addc_u32 s15, s15, (.LBB1_17445-.Lpost_getpc5138)>>32
	s_setpc_b64 s[14:15]
.LBB1_3109:
	s_or_saveexec_b64 s[6:7], s[6:7]
	v_mov_b32_e32 v6, s10
	s_xor_b64 exec, exec, s[6:7]
	s_cbranch_execz .LBB1_3110
; %bb.38951:
	s_getpc_b64 s[14:15]
.Lpost_getpc5139:
	s_add_u32 s14, s14, (.LBB1_17448-.Lpost_getpc5139)&4294967295
	s_addc_u32 s15, s15, (.LBB1_17448-.Lpost_getpc5139)>>32
	s_setpc_b64 s[14:15]
.LBB1_3110:
	s_or_b64 exec, exec, s[6:7]
	s_and_saveexec_b64 s[6:7], s[4:5]
	s_cbranch_execz .LBB1_3112
.LBB1_3111:
	v_and_b32_e32 v6, 7, v3
	v_ffbh_u32_e32 v13, v6
	v_min_u32_e32 v13, 32, v13
	v_lshrrev_b16_e32 v12, 3, v3
	v_subrev_u32_e32 v14, 28, v13
	v_and_b32_e32 v12, 15, v12
	v_lshlrev_b32_e32 v14, v14, v3
	v_sub_u32_e32 v13, 29, v13
	v_and_b32_e32 v14, 7, v14
	v_cmp_eq_u16_e32 vcc, 0, v12
	v_cndmask_b32_e32 v6, v6, v14, vcc
	v_cndmask_b32_e32 v12, v12, v13, vcc
	v_lshlrev_b32_e32 v13, 24, v3
	v_mov_b32_e32 v14, 0x3b800000
	v_lshlrev_b32_e32 v6, 20, v6
	v_and_b32_e32 v13, 0x80000000, v13
	v_lshl_add_u32 v12, v12, 23, v14
	v_or3_b32 v6, v13, v12, v6
.LBB1_3112:
	s_or_b64 exec, exec, s[6:7]
	s_nop 0
	v_mfma_f32_16x16x4f32 a[0:3], v2, v6, a[0:3]
	v_lshrrev_b32_e32 v6, 8, v7
	s_movk_i32 s4, 0x7f
	v_cmp_gt_i16_sdwa s[6:7], v6, s4 src0_sel:BYTE_0 src1_sel:DWORD
	s_mov_b64 s[4:5], 0
                                        ; implicit-def: $sgpr10
	s_and_saveexec_b64 s[8:9], s[6:7]
	s_xor_b64 s[6:7], exec, s[8:9]
	s_cbranch_execz .LBB1_3113
; %bb.38953:
	s_getpc_b64 s[14:15]
.Lpost_getpc5140:
	s_add_u32 s14, s14, (.LBB1_17449-.Lpost_getpc5140)&4294967295
	s_addc_u32 s15, s15, (.LBB1_17449-.Lpost_getpc5140)>>32
	s_setpc_b64 s[14:15]
.LBB1_3113:
	s_or_saveexec_b64 s[6:7], s[6:7]
	v_mov_b32_e32 v2, s10
	s_xor_b64 exec, exec, s[6:7]
	s_cbranch_execz .LBB1_3114
; %bb.38955:
	s_getpc_b64 s[14:15]
.Lpost_getpc5141:
	s_add_u32 s14, s14, (.LBB1_17452-.Lpost_getpc5141)&4294967295
	s_addc_u32 s15, s15, (.LBB1_17452-.Lpost_getpc5141)>>32
	s_setpc_b64 s[14:15]
.LBB1_3114:
	s_or_b64 exec, exec, s[6:7]
	s_and_saveexec_b64 s[6:7], s[4:5]
	s_cbranch_execz .LBB1_3116
.LBB1_3115:
	v_bfe_u32 v2, v7, 8, 3
	v_ffbh_u32_e32 v13, v2
	v_min_u32_e32 v13, 32, v13
	v_lshrrev_b16_e32 v12, 3, v6
	v_subrev_u32_e32 v14, 28, v13
	v_and_b32_e32 v12, 15, v12
	v_lshlrev_b32_e32 v6, v14, v6
	v_sub_u32_e32 v13, 29, v13
	v_and_b32_e32 v6, 7, v6
	v_cmp_eq_u16_e32 vcc, 0, v12
	v_cndmask_b32_e32 v2, v2, v6, vcc
	v_cndmask_b32_e32 v6, v12, v13, vcc
	v_lshlrev_b32_e32 v12, 16, v7
	v_mov_b32_e32 v13, 0x3b800000
	v_lshlrev_b32_e32 v2, 20, v2
	v_and_b32_e32 v12, 0x80000000, v12
	v_lshl_add_u32 v6, v6, 23, v13
	v_or3_b32 v2, v12, v6, v2
.LBB1_3116:
	s_or_b64 exec, exec, s[6:7]
	v_lshrrev_b32_e32 v6, 8, v3
	s_movk_i32 s4, 0x7f
	v_cmp_gt_i16_sdwa s[6:7], v6, s4 src0_sel:BYTE_0 src1_sel:DWORD
	s_mov_b64 s[4:5], 0
                                        ; implicit-def: $sgpr10
	s_and_saveexec_b64 s[8:9], s[6:7]
	s_xor_b64 s[6:7], exec, s[8:9]
	s_cbranch_execz .LBB1_3117
; %bb.38957:
	s_getpc_b64 s[14:15]
.Lpost_getpc5142:
	s_add_u32 s14, s14, (.LBB1_17453-.Lpost_getpc5142)&4294967295
	s_addc_u32 s15, s15, (.LBB1_17453-.Lpost_getpc5142)>>32
	s_setpc_b64 s[14:15]
.LBB1_3117:
	s_or_saveexec_b64 s[6:7], s[6:7]
	v_mov_b32_e32 v12, s10
	s_xor_b64 exec, exec, s[6:7]
	s_cbranch_execz .LBB1_3118
; %bb.38959:
	s_getpc_b64 s[14:15]
.Lpost_getpc5143:
	s_add_u32 s14, s14, (.LBB1_17456-.Lpost_getpc5143)&4294967295
	s_addc_u32 s15, s15, (.LBB1_17456-.Lpost_getpc5143)>>32
	s_setpc_b64 s[14:15]
.LBB1_3118:
	s_or_b64 exec, exec, s[6:7]
	s_and_saveexec_b64 s[6:7], s[4:5]
	s_cbranch_execz .LBB1_3120
.LBB1_3119:
	v_bfe_u32 v12, v3, 8, 3
	v_ffbh_u32_e32 v14, v12
	v_min_u32_e32 v14, 32, v14
	v_lshrrev_b16_e32 v13, 3, v6
	v_subrev_u32_e32 v15, 28, v14
	v_and_b32_e32 v13, 15, v13
	v_lshlrev_b32_e32 v6, v15, v6
	v_sub_u32_e32 v14, 29, v14
	v_and_b32_e32 v6, 7, v6
	v_cmp_eq_u16_e32 vcc, 0, v13
	v_cndmask_b32_e32 v6, v12, v6, vcc
	v_cndmask_b32_e32 v12, v13, v14, vcc
	v_lshlrev_b32_e32 v13, 16, v3
	v_mov_b32_e32 v14, 0x3b800000
	v_lshlrev_b32_e32 v6, 20, v6
	v_and_b32_e32 v13, 0x80000000, v13
	v_lshl_add_u32 v12, v12, 23, v14
	v_or3_b32 v12, v13, v12, v6
.LBB1_3120:
	s_or_b64 exec, exec, s[6:7]
	s_nop 0
	v_mfma_f32_16x16x4f32 a[0:3], v2, v12, a[0:3]
	s_movk_i32 s4, 0xff
	v_and_b32_sdwa v6, v7, s4 dst_sel:DWORD dst_unused:UNUSED_PAD src0_sel:WORD_1 src1_sel:DWORD
	s_movk_i32 s4, 0x7f
	v_cmp_lt_i16_e32 vcc, s4, v6
	s_mov_b64 s[4:5], 0
                                        ; implicit-def: $sgpr10
	s_and_saveexec_b64 s[6:7], vcc
	s_xor_b64 s[6:7], exec, s[6:7]
	s_cbranch_execz .LBB1_3121
; %bb.38961:
	s_getpc_b64 s[14:15]
.Lpost_getpc5144:
	s_add_u32 s14, s14, (.LBB1_17457-.Lpost_getpc5144)&4294967295
	s_addc_u32 s15, s15, (.LBB1_17457-.Lpost_getpc5144)>>32
	s_setpc_b64 s[14:15]
.LBB1_3121:
	s_or_saveexec_b64 s[6:7], s[6:7]
	v_mov_b32_e32 v2, s10
	s_xor_b64 exec, exec, s[6:7]
	s_cbranch_execz .LBB1_3122
; %bb.38963:
	s_getpc_b64 s[14:15]
.Lpost_getpc5145:
	s_add_u32 s14, s14, (.LBB1_17460-.Lpost_getpc5145)&4294967295
	s_addc_u32 s15, s15, (.LBB1_17460-.Lpost_getpc5145)>>32
	s_setpc_b64 s[14:15]
.LBB1_3122:
	s_or_b64 exec, exec, s[6:7]
	s_and_saveexec_b64 s[6:7], s[4:5]
	s_cbranch_execz .LBB1_3124
.LBB1_3123:
	v_bfe_u32 v2, v7, 16, 3
	v_ffbh_u32_e32 v13, v2
	v_min_u32_e32 v13, 32, v13
	v_lshrrev_b32_e32 v6, 19, v7
	v_subrev_u32_e32 v14, 28, v13
	v_and_b32_e32 v6, 15, v6
	v_lshlrev_b32_sdwa v14, v14, v7 dst_sel:DWORD dst_unused:UNUSED_PAD src0_sel:DWORD src1_sel:WORD_1
	v_bfe_u32 v12, v7, 19, 4
	v_sub_u32_e32 v13, 29, v13
	v_and_b32_e32 v14, 7, v14
	v_cmp_eq_u16_e32 vcc, 0, v6
	v_cndmask_b32_e32 v2, v2, v14, vcc
	v_cndmask_b32_e32 v6, v12, v13, vcc
	v_lshlrev_b32_e32 v12, 8, v7
	v_mov_b32_e32 v13, 0x3b800000
	v_lshlrev_b32_e32 v2, 20, v2
	v_and_b32_e32 v12, 0x80000000, v12
	v_lshl_add_u32 v6, v6, 23, v13
	v_or3_b32 v2, v12, v6, v2
.LBB1_3124:
	s_or_b64 exec, exec, s[6:7]
	s_movk_i32 s4, 0xff
	v_and_b32_sdwa v6, v3, s4 dst_sel:DWORD dst_unused:UNUSED_PAD src0_sel:WORD_1 src1_sel:DWORD
	s_movk_i32 s4, 0x7f
	v_cmp_lt_i16_e32 vcc, s4, v6
	s_mov_b64 s[4:5], 0
                                        ; implicit-def: $sgpr10
	s_and_saveexec_b64 s[6:7], vcc
	s_xor_b64 s[6:7], exec, s[6:7]
	s_cbranch_execz .LBB1_3125
; %bb.38965:
	s_getpc_b64 s[14:15]
.Lpost_getpc5146:
	s_add_u32 s14, s14, (.LBB1_17461-.Lpost_getpc5146)&4294967295
	s_addc_u32 s15, s15, (.LBB1_17461-.Lpost_getpc5146)>>32
	s_setpc_b64 s[14:15]
.LBB1_3125:
	s_or_saveexec_b64 s[6:7], s[6:7]
	v_mov_b32_e32 v12, s10
	s_xor_b64 exec, exec, s[6:7]
	s_cbranch_execz .LBB1_3126
; %bb.38967:
	s_getpc_b64 s[14:15]
.Lpost_getpc5147:
	s_add_u32 s14, s14, (.LBB1_17464-.Lpost_getpc5147)&4294967295
	s_addc_u32 s15, s15, (.LBB1_17464-.Lpost_getpc5147)>>32
	s_setpc_b64 s[14:15]
.LBB1_3126:
	s_or_b64 exec, exec, s[6:7]
	s_and_saveexec_b64 s[6:7], s[4:5]
	s_cbranch_execz .LBB1_3128
.LBB1_3127:
	v_bfe_u32 v6, v3, 16, 3
	v_ffbh_u32_e32 v14, v6
	v_min_u32_e32 v14, 32, v14
	v_lshrrev_b32_e32 v12, 19, v3
	v_subrev_u32_e32 v15, 28, v14
	v_and_b32_e32 v12, 15, v12
	v_lshlrev_b32_sdwa v15, v15, v3 dst_sel:DWORD dst_unused:UNUSED_PAD src0_sel:DWORD src1_sel:WORD_1
	v_bfe_u32 v13, v3, 19, 4
	v_sub_u32_e32 v14, 29, v14
	v_and_b32_e32 v15, 7, v15
	v_cmp_eq_u16_e32 vcc, 0, v12
	v_cndmask_b32_e32 v6, v6, v15, vcc
	v_cndmask_b32_e32 v12, v13, v14, vcc
	v_lshlrev_b32_e32 v13, 8, v3
	v_mov_b32_e32 v14, 0x3b800000
	v_lshlrev_b32_e32 v6, 20, v6
	v_and_b32_e32 v13, 0x80000000, v13
	v_lshl_add_u32 v12, v12, 23, v14
	v_or3_b32 v12, v13, v12, v6
.LBB1_3128:
	s_or_b64 exec, exec, s[6:7]
	s_nop 0
	v_mfma_f32_16x16x4f32 a[0:3], v2, v12, a[0:3]
	s_movk_i32 s4, 0x7f
	v_cmp_gt_i16_sdwa s[6:7], v7, s4 src0_sel:BYTE_3 src1_sel:DWORD
	s_mov_b64 s[4:5], 0
                                        ; implicit-def: $sgpr10
	s_and_saveexec_b64 s[8:9], s[6:7]
	s_xor_b64 s[6:7], exec, s[8:9]
	s_cbranch_execz .LBB1_3129
; %bb.38969:
	s_getpc_b64 s[14:15]
.Lpost_getpc5148:
	s_add_u32 s14, s14, (.LBB1_17465-.Lpost_getpc5148)&4294967295
	s_addc_u32 s15, s15, (.LBB1_17465-.Lpost_getpc5148)>>32
	s_setpc_b64 s[14:15]
.LBB1_3129:
	s_or_saveexec_b64 s[6:7], s[6:7]
	v_mov_b32_e32 v2, s10
	s_xor_b64 exec, exec, s[6:7]
	s_cbranch_execz .LBB1_3130
; %bb.38971:
	s_getpc_b64 s[14:15]
.Lpost_getpc5149:
	s_add_u32 s14, s14, (.LBB1_17468-.Lpost_getpc5149)&4294967295
	s_addc_u32 s15, s15, (.LBB1_17468-.Lpost_getpc5149)>>32
	s_setpc_b64 s[14:15]
.LBB1_3130:
	s_or_b64 exec, exec, s[6:7]
	s_and_saveexec_b64 s[6:7], s[4:5]
	s_cbranch_execz .LBB1_3132
.LBB1_3131:
	v_bfe_u32 v2, v7, 24, 3
	v_ffbh_u32_e32 v14, v2
	v_min_u32_e32 v14, 32, v14
	v_lshrrev_b32_e32 v12, 27, v7
	v_subrev_u32_e32 v15, 28, v14
	v_and_b32_e32 v6, 0x80000000, v7
	v_and_b32_e32 v12, 15, v12
	v_bfe_u32 v13, v7, 27, 4
	v_lshlrev_b32_sdwa v7, v15, v7 dst_sel:DWORD dst_unused:UNUSED_PAD src0_sel:DWORD src1_sel:BYTE_3
	v_sub_u32_e32 v14, 29, v14
	v_and_b32_e32 v7, 7, v7
	v_cmp_eq_u16_e32 vcc, 0, v12
	v_cndmask_b32_e32 v2, v2, v7, vcc
	v_cndmask_b32_e32 v7, v13, v14, vcc
	v_mov_b32_e32 v12, 0x3b800000
	v_lshlrev_b32_e32 v2, 20, v2
	v_lshl_add_u32 v7, v7, 23, v12
	v_or3_b32 v2, v6, v7, v2
.LBB1_3132:
	s_or_b64 exec, exec, s[6:7]
	s_movk_i32 s4, 0x7f
	v_cmp_gt_i16_sdwa s[6:7], v3, s4 src0_sel:BYTE_3 src1_sel:DWORD
	s_mov_b64 s[4:5], 0
                                        ; implicit-def: $sgpr10
	s_and_saveexec_b64 s[8:9], s[6:7]
	s_xor_b64 s[6:7], exec, s[8:9]
	s_cbranch_execz .LBB1_3133
; %bb.38973:
	s_getpc_b64 s[14:15]
.Lpost_getpc5150:
	s_add_u32 s14, s14, (.LBB1_17469-.Lpost_getpc5150)&4294967295
	s_addc_u32 s15, s15, (.LBB1_17469-.Lpost_getpc5150)>>32
	s_setpc_b64 s[14:15]
.LBB1_3133:
	s_or_saveexec_b64 s[6:7], s[6:7]
	v_mov_b32_e32 v6, s10
	s_xor_b64 exec, exec, s[6:7]
	s_cbranch_execz .LBB1_3134
; %bb.38975:
	s_getpc_b64 s[14:15]
.Lpost_getpc5151:
	s_add_u32 s14, s14, (.LBB1_17472-.Lpost_getpc5151)&4294967295
	s_addc_u32 s15, s15, (.LBB1_17472-.Lpost_getpc5151)>>32
	s_setpc_b64 s[14:15]
.LBB1_3134:
	s_or_b64 exec, exec, s[6:7]
	s_and_saveexec_b64 s[6:7], s[4:5]
	s_cbranch_execz .LBB1_3136
.LBB1_3135:
	v_bfe_u32 v6, v3, 24, 3
	v_ffbh_u32_e32 v14, v6
	v_min_u32_e32 v14, 32, v14
	v_lshrrev_b32_e32 v12, 27, v3
	v_subrev_u32_e32 v15, 28, v14
	v_and_b32_e32 v7, 0x80000000, v3
	v_and_b32_e32 v12, 15, v12
	v_bfe_u32 v13, v3, 27, 4
	v_lshlrev_b32_sdwa v3, v15, v3 dst_sel:DWORD dst_unused:UNUSED_PAD src0_sel:DWORD src1_sel:BYTE_3
	v_sub_u32_e32 v14, 29, v14
	v_and_b32_e32 v3, 7, v3
	v_cmp_eq_u16_e32 vcc, 0, v12
	v_cndmask_b32_e32 v3, v6, v3, vcc
	v_cndmask_b32_e32 v6, v13, v14, vcc
	v_mov_b32_e32 v12, 0x3b800000
	v_lshlrev_b32_e32 v3, 20, v3
	v_lshl_add_u32 v6, v6, 23, v12
	v_or3_b32 v6, v7, v6, v3
.LBB1_3136:
	s_or_b64 exec, exec, s[6:7]
	s_nop 0
	v_mfma_f32_16x16x4f32 a[0:3], v2, v6, a[0:3]
	s_movk_i32 s4, 0x7f
	v_cmp_gt_i16_sdwa s[6:7], v8, s4 src0_sel:BYTE_0 src1_sel:DWORD
	s_mov_b64 s[4:5], 0
                                        ; implicit-def: $sgpr10
	s_and_saveexec_b64 s[8:9], s[6:7]
	s_xor_b64 s[6:7], exec, s[8:9]
	s_cbranch_execz .LBB1_3137
; %bb.38977:
	s_getpc_b64 s[14:15]
.Lpost_getpc5152:
	s_add_u32 s14, s14, (.LBB1_17473-.Lpost_getpc5152)&4294967295
	s_addc_u32 s15, s15, (.LBB1_17473-.Lpost_getpc5152)>>32
	s_setpc_b64 s[14:15]
.LBB1_3137:
	s_or_saveexec_b64 s[6:7], s[6:7]
	v_mov_b32_e32 v2, s10
	s_xor_b64 exec, exec, s[6:7]
	s_cbranch_execz .LBB1_3138
; %bb.38979:
	s_getpc_b64 s[14:15]
.Lpost_getpc5153:
	s_add_u32 s14, s14, (.LBB1_17476-.Lpost_getpc5153)&4294967295
	s_addc_u32 s15, s15, (.LBB1_17476-.Lpost_getpc5153)>>32
	s_setpc_b64 s[14:15]
.LBB1_3138:
	s_or_b64 exec, exec, s[6:7]
	s_and_saveexec_b64 s[6:7], s[4:5]
	s_cbranch_execz .LBB1_3140
.LBB1_3139:
	v_and_b32_e32 v2, 7, v8
	v_ffbh_u32_e32 v6, v2
	v_min_u32_e32 v6, 32, v6
	v_lshrrev_b16_e32 v3, 3, v8
	v_subrev_u32_e32 v7, 28, v6
	v_and_b32_e32 v3, 15, v3
	v_lshlrev_b32_e32 v7, v7, v8
	v_sub_u32_e32 v6, 29, v6
	v_and_b32_e32 v7, 7, v7
	v_cmp_eq_u16_e32 vcc, 0, v3
	v_cndmask_b32_e32 v2, v2, v7, vcc
	v_cndmask_b32_e32 v3, v3, v6, vcc
	v_lshlrev_b32_e32 v6, 24, v8
	v_mov_b32_e32 v7, 0x3b800000
	v_lshlrev_b32_e32 v2, 20, v2
	v_and_b32_e32 v6, 0x80000000, v6
	v_lshl_add_u32 v3, v3, 23, v7
	v_or3_b32 v2, v6, v3, v2
.LBB1_3140:
	s_or_b64 exec, exec, s[6:7]
	s_movk_i32 s4, 0x7f
	v_cmp_gt_i16_sdwa s[6:7], v4, s4 src0_sel:BYTE_0 src1_sel:DWORD
	s_mov_b64 s[4:5], 0
                                        ; implicit-def: $sgpr10
	s_and_saveexec_b64 s[8:9], s[6:7]
	s_xor_b64 s[6:7], exec, s[8:9]
	s_cbranch_execz .LBB1_3141
; %bb.38981:
	s_getpc_b64 s[14:15]
.Lpost_getpc5154:
	s_add_u32 s14, s14, (.LBB1_17477-.Lpost_getpc5154)&4294967295
	s_addc_u32 s15, s15, (.LBB1_17477-.Lpost_getpc5154)>>32
	s_setpc_b64 s[14:15]
.LBB1_3141:
	s_or_saveexec_b64 s[6:7], s[6:7]
	v_mov_b32_e32 v3, s10
	s_xor_b64 exec, exec, s[6:7]
	s_cbranch_execz .LBB1_3142
; %bb.38983:
	s_getpc_b64 s[14:15]
.Lpost_getpc5155:
	s_add_u32 s14, s14, (.LBB1_17480-.Lpost_getpc5155)&4294967295
	s_addc_u32 s15, s15, (.LBB1_17480-.Lpost_getpc5155)>>32
	s_setpc_b64 s[14:15]
.LBB1_3142:
	s_or_b64 exec, exec, s[6:7]
	s_and_saveexec_b64 s[6:7], s[4:5]
	s_cbranch_execz .LBB1_3144
.LBB1_3143:
	v_and_b32_e32 v3, 7, v4
	v_ffbh_u32_e32 v7, v3
	v_min_u32_e32 v7, 32, v7
	v_lshrrev_b16_e32 v6, 3, v4
	v_subrev_u32_e32 v12, 28, v7
	v_and_b32_e32 v6, 15, v6
	v_lshlrev_b32_e32 v12, v12, v4
	v_sub_u32_e32 v7, 29, v7
	v_and_b32_e32 v12, 7, v12
	v_cmp_eq_u16_e32 vcc, 0, v6
	v_cndmask_b32_e32 v3, v3, v12, vcc
	v_cndmask_b32_e32 v6, v6, v7, vcc
	v_lshlrev_b32_e32 v7, 24, v4
	v_mov_b32_e32 v12, 0x3b800000
	v_lshlrev_b32_e32 v3, 20, v3
	v_and_b32_e32 v7, 0x80000000, v7
	v_lshl_add_u32 v6, v6, 23, v12
	v_or3_b32 v3, v7, v6, v3
.LBB1_3144:
	s_or_b64 exec, exec, s[6:7]
	s_nop 0
	v_mfma_f32_16x16x4f32 a[0:3], v2, v3, a[0:3]
	v_lshrrev_b32_e32 v3, 8, v8
	s_movk_i32 s4, 0x7f
	v_cmp_gt_i16_sdwa s[6:7], v3, s4 src0_sel:BYTE_0 src1_sel:DWORD
	s_mov_b64 s[4:5], 0
                                        ; implicit-def: $sgpr10
	s_and_saveexec_b64 s[8:9], s[6:7]
	s_xor_b64 s[6:7], exec, s[8:9]
	s_cbranch_execz .LBB1_3145
; %bb.38985:
	s_getpc_b64 s[14:15]
.Lpost_getpc5156:
	s_add_u32 s14, s14, (.LBB1_17481-.Lpost_getpc5156)&4294967295
	s_addc_u32 s15, s15, (.LBB1_17481-.Lpost_getpc5156)>>32
	s_setpc_b64 s[14:15]
.LBB1_3145:
	s_or_saveexec_b64 s[6:7], s[6:7]
	v_mov_b32_e32 v2, s10
	s_xor_b64 exec, exec, s[6:7]
	s_cbranch_execz .LBB1_3146
; %bb.38987:
	s_getpc_b64 s[14:15]
.Lpost_getpc5157:
	s_add_u32 s14, s14, (.LBB1_17484-.Lpost_getpc5157)&4294967295
	s_addc_u32 s15, s15, (.LBB1_17484-.Lpost_getpc5157)>>32
	s_setpc_b64 s[14:15]
.LBB1_3146:
	s_or_b64 exec, exec, s[6:7]
	s_and_saveexec_b64 s[6:7], s[4:5]
	s_cbranch_execz .LBB1_3148
.LBB1_3147:
	v_bfe_u32 v2, v8, 8, 3
	v_ffbh_u32_e32 v7, v2
	v_min_u32_e32 v7, 32, v7
	v_lshrrev_b16_e32 v6, 3, v3
	v_subrev_u32_e32 v12, 28, v7
	v_and_b32_e32 v6, 15, v6
	v_lshlrev_b32_e32 v3, v12, v3
	v_sub_u32_e32 v7, 29, v7
	v_and_b32_e32 v3, 7, v3
	v_cmp_eq_u16_e32 vcc, 0, v6
	v_cndmask_b32_e32 v2, v2, v3, vcc
	v_cndmask_b32_e32 v3, v6, v7, vcc
	v_lshlrev_b32_e32 v6, 16, v8
	v_mov_b32_e32 v7, 0x3b800000
	v_lshlrev_b32_e32 v2, 20, v2
	v_and_b32_e32 v6, 0x80000000, v6
	v_lshl_add_u32 v3, v3, 23, v7
	v_or3_b32 v2, v6, v3, v2
.LBB1_3148:
	s_or_b64 exec, exec, s[6:7]
	v_lshrrev_b32_e32 v3, 8, v4
	s_movk_i32 s4, 0x7f
	v_cmp_gt_i16_sdwa s[6:7], v3, s4 src0_sel:BYTE_0 src1_sel:DWORD
	s_mov_b64 s[4:5], 0
                                        ; implicit-def: $sgpr10
	s_and_saveexec_b64 s[8:9], s[6:7]
	s_xor_b64 s[6:7], exec, s[8:9]
	s_cbranch_execz .LBB1_3149
; %bb.38989:
	s_getpc_b64 s[14:15]
.Lpost_getpc5158:
	s_add_u32 s14, s14, (.LBB1_17485-.Lpost_getpc5158)&4294967295
	s_addc_u32 s15, s15, (.LBB1_17485-.Lpost_getpc5158)>>32
	s_setpc_b64 s[14:15]
.LBB1_3149:
	s_or_saveexec_b64 s[6:7], s[6:7]
	v_mov_b32_e32 v6, s10
	s_xor_b64 exec, exec, s[6:7]
	s_cbranch_execz .LBB1_3150
; %bb.38991:
	s_getpc_b64 s[14:15]
.Lpost_getpc5159:
	s_add_u32 s14, s14, (.LBB1_17488-.Lpost_getpc5159)&4294967295
	s_addc_u32 s15, s15, (.LBB1_17488-.Lpost_getpc5159)>>32
	s_setpc_b64 s[14:15]
.LBB1_3150:
	s_or_b64 exec, exec, s[6:7]
	s_and_saveexec_b64 s[6:7], s[4:5]
	s_cbranch_execz .LBB1_3152
.LBB1_3151:
	v_bfe_u32 v6, v4, 8, 3
	v_ffbh_u32_e32 v12, v6
	v_min_u32_e32 v12, 32, v12
	v_lshrrev_b16_e32 v7, 3, v3
	v_subrev_u32_e32 v13, 28, v12
	v_and_b32_e32 v7, 15, v7
	v_lshlrev_b32_e32 v3, v13, v3
	v_sub_u32_e32 v12, 29, v12
	v_and_b32_e32 v3, 7, v3
	v_cmp_eq_u16_e32 vcc, 0, v7
	v_cndmask_b32_e32 v3, v6, v3, vcc
	v_cndmask_b32_e32 v6, v7, v12, vcc
	v_lshlrev_b32_e32 v7, 16, v4
	v_mov_b32_e32 v12, 0x3b800000
	v_lshlrev_b32_e32 v3, 20, v3
	v_and_b32_e32 v7, 0x80000000, v7
	v_lshl_add_u32 v6, v6, 23, v12
	v_or3_b32 v6, v7, v6, v3
.LBB1_3152:
	s_or_b64 exec, exec, s[6:7]
	s_nop 0
	v_mfma_f32_16x16x4f32 a[0:3], v2, v6, a[0:3]
	s_movk_i32 s4, 0xff
	v_and_b32_sdwa v3, v8, s4 dst_sel:DWORD dst_unused:UNUSED_PAD src0_sel:WORD_1 src1_sel:DWORD
	s_movk_i32 s4, 0x7f
	v_cmp_lt_i16_e32 vcc, s4, v3
	s_mov_b64 s[4:5], 0
                                        ; implicit-def: $sgpr10
	s_and_saveexec_b64 s[6:7], vcc
	s_xor_b64 s[6:7], exec, s[6:7]
	s_cbranch_execz .LBB1_3153
; %bb.38993:
	s_getpc_b64 s[14:15]
.Lpost_getpc5160:
	s_add_u32 s14, s14, (.LBB1_17489-.Lpost_getpc5160)&4294967295
	s_addc_u32 s15, s15, (.LBB1_17489-.Lpost_getpc5160)>>32
	s_setpc_b64 s[14:15]
.LBB1_3153:
	s_or_saveexec_b64 s[6:7], s[6:7]
	v_mov_b32_e32 v2, s10
	s_xor_b64 exec, exec, s[6:7]
	s_cbranch_execz .LBB1_3154
; %bb.38995:
	s_getpc_b64 s[14:15]
.Lpost_getpc5161:
	s_add_u32 s14, s14, (.LBB1_17492-.Lpost_getpc5161)&4294967295
	s_addc_u32 s15, s15, (.LBB1_17492-.Lpost_getpc5161)>>32
	s_setpc_b64 s[14:15]
.LBB1_3154:
	s_or_b64 exec, exec, s[6:7]
	s_and_saveexec_b64 s[6:7], s[4:5]
	s_cbranch_execz .LBB1_3156
.LBB1_3155:
	v_bfe_u32 v2, v8, 16, 3
	v_ffbh_u32_e32 v7, v2
	v_min_u32_e32 v7, 32, v7
	v_lshrrev_b32_e32 v3, 19, v8
	v_subrev_u32_e32 v12, 28, v7
	v_and_b32_e32 v3, 15, v3
	v_lshlrev_b32_sdwa v12, v12, v8 dst_sel:DWORD dst_unused:UNUSED_PAD src0_sel:DWORD src1_sel:WORD_1
	v_bfe_u32 v6, v8, 19, 4
	v_sub_u32_e32 v7, 29, v7
	v_and_b32_e32 v12, 7, v12
	v_cmp_eq_u16_e32 vcc, 0, v3
	v_cndmask_b32_e32 v2, v2, v12, vcc
	v_cndmask_b32_e32 v3, v6, v7, vcc
	v_lshlrev_b32_e32 v6, 8, v8
	v_mov_b32_e32 v7, 0x3b800000
	v_lshlrev_b32_e32 v2, 20, v2
	v_and_b32_e32 v6, 0x80000000, v6
	v_lshl_add_u32 v3, v3, 23, v7
	v_or3_b32 v2, v6, v3, v2
.LBB1_3156:
	s_or_b64 exec, exec, s[6:7]
	s_movk_i32 s4, 0xff
	v_and_b32_sdwa v3, v4, s4 dst_sel:DWORD dst_unused:UNUSED_PAD src0_sel:WORD_1 src1_sel:DWORD
	s_movk_i32 s4, 0x7f
	v_cmp_lt_i16_e32 vcc, s4, v3
	s_mov_b64 s[4:5], 0
                                        ; implicit-def: $sgpr10
	s_and_saveexec_b64 s[6:7], vcc
	s_xor_b64 s[6:7], exec, s[6:7]
	s_cbranch_execz .LBB1_3157
; %bb.38997:
	s_getpc_b64 s[14:15]
.Lpost_getpc5162:
	s_add_u32 s14, s14, (.LBB1_17493-.Lpost_getpc5162)&4294967295
	s_addc_u32 s15, s15, (.LBB1_17493-.Lpost_getpc5162)>>32
	s_setpc_b64 s[14:15]
.LBB1_3157:
	s_or_saveexec_b64 s[6:7], s[6:7]
	v_mov_b32_e32 v6, s10
	s_xor_b64 exec, exec, s[6:7]
	s_cbranch_execz .LBB1_3158
; %bb.38999:
	s_getpc_b64 s[14:15]
.Lpost_getpc5163:
	s_add_u32 s14, s14, (.LBB1_17496-.Lpost_getpc5163)&4294967295
	s_addc_u32 s15, s15, (.LBB1_17496-.Lpost_getpc5163)>>32
	s_setpc_b64 s[14:15]
.LBB1_3158:
	s_or_b64 exec, exec, s[6:7]
	s_and_saveexec_b64 s[6:7], s[4:5]
	s_cbranch_execz .LBB1_3160
.LBB1_3159:
	v_bfe_u32 v3, v4, 16, 3
	v_ffbh_u32_e32 v12, v3
	v_min_u32_e32 v12, 32, v12
	v_lshrrev_b32_e32 v6, 19, v4
	v_subrev_u32_e32 v13, 28, v12
	v_and_b32_e32 v6, 15, v6
	v_lshlrev_b32_sdwa v13, v13, v4 dst_sel:DWORD dst_unused:UNUSED_PAD src0_sel:DWORD src1_sel:WORD_1
	v_bfe_u32 v7, v4, 19, 4
	v_sub_u32_e32 v12, 29, v12
	v_and_b32_e32 v13, 7, v13
	v_cmp_eq_u16_e32 vcc, 0, v6
	v_cndmask_b32_e32 v3, v3, v13, vcc
	v_cndmask_b32_e32 v6, v7, v12, vcc
	v_lshlrev_b32_e32 v7, 8, v4
	v_mov_b32_e32 v12, 0x3b800000
	v_lshlrev_b32_e32 v3, 20, v3
	v_and_b32_e32 v7, 0x80000000, v7
	v_lshl_add_u32 v6, v6, 23, v12
	v_or3_b32 v6, v7, v6, v3
.LBB1_3160:
	s_or_b64 exec, exec, s[6:7]
	s_nop 0
	v_mfma_f32_16x16x4f32 a[0:3], v2, v6, a[0:3]
	s_movk_i32 s4, 0x7f
	v_cmp_gt_i16_sdwa s[6:7], v8, s4 src0_sel:BYTE_3 src1_sel:DWORD
	s_mov_b64 s[4:5], 0
                                        ; implicit-def: $sgpr10
	s_and_saveexec_b64 s[8:9], s[6:7]
	s_xor_b64 s[6:7], exec, s[8:9]
	s_cbranch_execz .LBB1_3161
; %bb.39001:
	s_getpc_b64 s[14:15]
.Lpost_getpc5164:
	s_add_u32 s14, s14, (.LBB1_17497-.Lpost_getpc5164)&4294967295
	s_addc_u32 s15, s15, (.LBB1_17497-.Lpost_getpc5164)>>32
	s_setpc_b64 s[14:15]
.LBB1_3161:
	s_or_saveexec_b64 s[6:7], s[6:7]
	v_mov_b32_e32 v2, s10
	s_xor_b64 exec, exec, s[6:7]
	s_cbranch_execz .LBB1_3162
; %bb.39003:
	s_getpc_b64 s[14:15]
.Lpost_getpc5165:
	s_add_u32 s14, s14, (.LBB1_17500-.Lpost_getpc5165)&4294967295
	s_addc_u32 s15, s15, (.LBB1_17500-.Lpost_getpc5165)>>32
	s_setpc_b64 s[14:15]
.LBB1_3162:
	s_or_b64 exec, exec, s[6:7]
	s_and_saveexec_b64 s[6:7], s[4:5]
	s_cbranch_execz .LBB1_3164
.LBB1_3163:
	v_bfe_u32 v2, v8, 24, 3
	v_ffbh_u32_e32 v12, v2
	v_min_u32_e32 v12, 32, v12
	v_lshrrev_b32_e32 v6, 27, v8
	v_subrev_u32_e32 v13, 28, v12
	v_and_b32_e32 v3, 0x80000000, v8
	v_and_b32_e32 v6, 15, v6
	v_bfe_u32 v7, v8, 27, 4
	v_lshlrev_b32_sdwa v8, v13, v8 dst_sel:DWORD dst_unused:UNUSED_PAD src0_sel:DWORD src1_sel:BYTE_3
	v_sub_u32_e32 v12, 29, v12
	v_and_b32_e32 v8, 7, v8
	v_cmp_eq_u16_e32 vcc, 0, v6
	v_cndmask_b32_e32 v2, v2, v8, vcc
	v_cndmask_b32_e32 v6, v7, v12, vcc
	v_mov_b32_e32 v7, 0x3b800000
	v_lshlrev_b32_e32 v2, 20, v2
	v_lshl_add_u32 v6, v6, 23, v7
	v_or3_b32 v2, v3, v6, v2
.LBB1_3164:
	s_or_b64 exec, exec, s[6:7]
	s_movk_i32 s4, 0x7f
	v_cmp_gt_i16_sdwa s[6:7], v4, s4 src0_sel:BYTE_3 src1_sel:DWORD
	s_mov_b64 s[4:5], 0
                                        ; implicit-def: $sgpr10
	s_and_saveexec_b64 s[8:9], s[6:7]
	s_xor_b64 s[6:7], exec, s[8:9]
	s_cbranch_execz .LBB1_3165
; %bb.39005:
	s_getpc_b64 s[14:15]
.Lpost_getpc5166:
	s_add_u32 s14, s14, (.LBB1_17501-.Lpost_getpc5166)&4294967295
	s_addc_u32 s15, s15, (.LBB1_17501-.Lpost_getpc5166)>>32
	s_setpc_b64 s[14:15]
.LBB1_3165:
	s_or_saveexec_b64 s[6:7], s[6:7]
	v_mov_b32_e32 v3, s10
	s_xor_b64 exec, exec, s[6:7]
	s_cbranch_execz .LBB1_3166
; %bb.39007:
	s_getpc_b64 s[14:15]
.Lpost_getpc5167:
	s_add_u32 s14, s14, (.LBB1_17504-.Lpost_getpc5167)&4294967295
	s_addc_u32 s15, s15, (.LBB1_17504-.Lpost_getpc5167)>>32
	s_setpc_b64 s[14:15]
.LBB1_3166:
	s_or_b64 exec, exec, s[6:7]
	s_and_saveexec_b64 s[6:7], s[4:5]
	s_cbranch_execz .LBB1_3168
.LBB1_3167:
	v_bfe_u32 v3, v4, 24, 3
	v_ffbh_u32_e32 v12, v3
	v_min_u32_e32 v12, 32, v12
	v_lshrrev_b32_e32 v7, 27, v4
	v_subrev_u32_e32 v13, 28, v12
	v_and_b32_e32 v6, 0x80000000, v4
	v_and_b32_e32 v7, 15, v7
	v_bfe_u32 v8, v4, 27, 4
	v_lshlrev_b32_sdwa v4, v13, v4 dst_sel:DWORD dst_unused:UNUSED_PAD src0_sel:DWORD src1_sel:BYTE_3
	v_sub_u32_e32 v12, 29, v12
	v_and_b32_e32 v4, 7, v4
	v_cmp_eq_u16_e32 vcc, 0, v7
	v_cndmask_b32_e32 v3, v3, v4, vcc
	v_cndmask_b32_e32 v4, v8, v12, vcc
	v_mov_b32_e32 v7, 0x3b800000
	v_lshlrev_b32_e32 v3, 20, v3
	v_lshl_add_u32 v4, v4, 23, v7
	v_or3_b32 v3, v6, v4, v3
.LBB1_3168:
	s_or_b64 exec, exec, s[6:7]
	s_nop 0
	v_mfma_f32_16x16x4f32 a[0:3], v2, v3, a[0:3]
	s_movk_i32 s4, 0x7f
	v_cmp_gt_i16_sdwa s[6:7], v9, s4 src0_sel:BYTE_0 src1_sel:DWORD
	s_mov_b64 s[4:5], 0
                                        ; implicit-def: $sgpr10
	s_and_saveexec_b64 s[8:9], s[6:7]
	s_xor_b64 s[6:7], exec, s[8:9]
	s_cbranch_execz .LBB1_3169
; %bb.39009:
	s_getpc_b64 s[14:15]
.Lpost_getpc5168:
	s_add_u32 s14, s14, (.LBB1_17505-.Lpost_getpc5168)&4294967295
	s_addc_u32 s15, s15, (.LBB1_17505-.Lpost_getpc5168)>>32
	s_setpc_b64 s[14:15]
.LBB1_3169:
	s_or_saveexec_b64 s[6:7], s[6:7]
	v_mov_b32_e32 v2, s10
	s_xor_b64 exec, exec, s[6:7]
	s_cbranch_execz .LBB1_3170
; %bb.39011:
	s_getpc_b64 s[14:15]
.Lpost_getpc5169:
	s_add_u32 s14, s14, (.LBB1_17508-.Lpost_getpc5169)&4294967295
	s_addc_u32 s15, s15, (.LBB1_17508-.Lpost_getpc5169)>>32
	s_setpc_b64 s[14:15]
.LBB1_3170:
	s_or_b64 exec, exec, s[6:7]
	s_and_saveexec_b64 s[6:7], s[4:5]
	s_cbranch_execz .LBB1_3172
.LBB1_3171:
	v_mov_b32_e32 v2, 8
	v_and_b32_e32 v3, 7, v9
	v_lshrrev_b32_sdwa v2, v2, v9 dst_sel:BYTE_1 dst_unused:UNUSED_PAD src0_sel:DWORD src1_sel:DWORD
	v_ffbh_u32_e32 v4, v3
	v_or_b32_sdwa v2, v9, v2 dst_sel:DWORD dst_unused:UNUSED_PAD src0_sel:BYTE_0 src1_sel:DWORD
	v_min_u32_e32 v4, 32, v4
	v_lshrrev_b16_e32 v2, 3, v2
	v_subrev_u32_e32 v6, 28, v4
	v_and_b32_e32 v2, 15, v2
	v_lshlrev_b32_e32 v6, v6, v9
	v_sub_u32_e32 v4, 29, v4
	v_and_b32_e32 v6, 7, v6
	v_cmp_eq_u16_e32 vcc, 0, v2
	v_cndmask_b32_e32 v3, v3, v6, vcc
	v_cndmask_b32_e32 v2, v2, v4, vcc
	v_lshlrev_b32_e32 v4, 24, v9
	v_mov_b32_e32 v6, 0x3b800000
	v_lshlrev_b32_e32 v3, 20, v3
	v_and_b32_e32 v4, 0x80000000, v4
	v_lshl_add_u32 v2, v2, 23, v6
	v_or3_b32 v2, v4, v2, v3
.LBB1_3172:
	s_or_b64 exec, exec, s[6:7]
	s_movk_i32 s4, 0x7f
	v_cmp_gt_i16_sdwa s[6:7], v5, s4 src0_sel:BYTE_0 src1_sel:DWORD
	s_mov_b64 s[4:5], 0
                                        ; implicit-def: $sgpr10
	s_and_saveexec_b64 s[8:9], s[6:7]
	s_xor_b64 s[6:7], exec, s[8:9]
	s_cbranch_execz .LBB1_3173
; %bb.39013:
	s_getpc_b64 s[14:15]
.Lpost_getpc5170:
	s_add_u32 s14, s14, (.LBB1_17509-.Lpost_getpc5170)&4294967295
	s_addc_u32 s15, s15, (.LBB1_17509-.Lpost_getpc5170)>>32
	s_setpc_b64 s[14:15]
.LBB1_3173:
	s_or_saveexec_b64 s[6:7], s[6:7]
	v_mov_b32_e32 v3, s10
	s_xor_b64 exec, exec, s[6:7]
	s_cbranch_execz .LBB1_3174
; %bb.39015:
	s_getpc_b64 s[14:15]
.Lpost_getpc5171:
	s_add_u32 s14, s14, (.LBB1_17512-.Lpost_getpc5171)&4294967295
	s_addc_u32 s15, s15, (.LBB1_17512-.Lpost_getpc5171)>>32
	s_setpc_b64 s[14:15]
.LBB1_3174:
	s_or_b64 exec, exec, s[6:7]
	s_and_saveexec_b64 s[6:7], s[4:5]
	s_cbranch_execz .LBB1_3176
.LBB1_3175:
	v_mov_b32_e32 v3, 8
	v_and_b32_e32 v4, 7, v5
	v_lshrrev_b32_sdwa v3, v3, v5 dst_sel:BYTE_1 dst_unused:UNUSED_PAD src0_sel:DWORD src1_sel:DWORD
	v_ffbh_u32_e32 v6, v4
	v_or_b32_sdwa v3, v5, v3 dst_sel:DWORD dst_unused:UNUSED_PAD src0_sel:BYTE_0 src1_sel:DWORD
	v_min_u32_e32 v6, 32, v6
	v_lshrrev_b16_e32 v3, 3, v3
	v_subrev_u32_e32 v7, 28, v6
	v_and_b32_e32 v3, 15, v3
	v_lshlrev_b32_e32 v7, v7, v5
	v_sub_u32_e32 v6, 29, v6
	v_and_b32_e32 v7, 7, v7
	v_cmp_eq_u16_e32 vcc, 0, v3
	v_cndmask_b32_e32 v4, v4, v7, vcc
	v_cndmask_b32_e32 v3, v3, v6, vcc
	v_lshlrev_b32_e32 v6, 24, v5
	v_mov_b32_e32 v7, 0x3b800000
	v_lshlrev_b32_e32 v4, 20, v4
	v_and_b32_e32 v6, 0x80000000, v6
	v_lshl_add_u32 v3, v3, 23, v7
	v_or3_b32 v3, v6, v3, v4
.LBB1_3176:
	s_or_b64 exec, exec, s[6:7]
	s_nop 0
	v_mfma_f32_16x16x4f32 a[0:3], v2, v3, a[0:3]
	v_lshrrev_b32_e32 v3, 8, v9
	s_movk_i32 s4, 0x7f
	v_cmp_gt_i16_sdwa s[6:7], v3, s4 src0_sel:BYTE_0 src1_sel:DWORD
	s_mov_b64 s[4:5], 0
                                        ; implicit-def: $sgpr10
	s_and_saveexec_b64 s[8:9], s[6:7]
	s_xor_b64 s[6:7], exec, s[8:9]
	s_cbranch_execz .LBB1_3177
; %bb.39017:
	s_getpc_b64 s[14:15]
.Lpost_getpc5172:
	s_add_u32 s14, s14, (.LBB1_17513-.Lpost_getpc5172)&4294967295
	s_addc_u32 s15, s15, (.LBB1_17513-.Lpost_getpc5172)>>32
	s_setpc_b64 s[14:15]
.LBB1_3177:
	s_or_saveexec_b64 s[6:7], s[6:7]
	v_mov_b32_e32 v2, s10
	s_xor_b64 exec, exec, s[6:7]
	s_cbranch_execz .LBB1_3178
; %bb.39019:
	s_getpc_b64 s[14:15]
.Lpost_getpc5173:
	s_add_u32 s14, s14, (.LBB1_17516-.Lpost_getpc5173)&4294967295
	s_addc_u32 s15, s15, (.LBB1_17516-.Lpost_getpc5173)>>32
	s_setpc_b64 s[14:15]
.LBB1_3178:
	s_or_b64 exec, exec, s[6:7]
	s_and_saveexec_b64 s[6:7], s[4:5]
	s_cbranch_execz .LBB1_3180
.LBB1_3179:
	v_bfe_u32 v2, v9, 8, 3
	v_ffbh_u32_e32 v6, v2
	v_min_u32_e32 v6, 32, v6
	v_lshrrev_b16_e32 v4, 3, v3
	v_subrev_u32_e32 v7, 28, v6
	v_and_b32_e32 v4, 15, v4
	v_lshlrev_b32_e32 v3, v7, v3
	v_sub_u32_e32 v6, 29, v6
	v_and_b32_e32 v3, 7, v3
	v_cmp_eq_u16_e32 vcc, 0, v4
	v_cndmask_b32_e32 v2, v2, v3, vcc
	v_cndmask_b32_e32 v3, v4, v6, vcc
	v_lshlrev_b32_e32 v4, 16, v9
	v_mov_b32_e32 v6, 0x3b800000
	v_lshlrev_b32_e32 v2, 20, v2
	v_and_b32_e32 v4, 0x80000000, v4
	v_lshl_add_u32 v3, v3, 23, v6
	v_or3_b32 v2, v4, v3, v2
.LBB1_3180:
	s_or_b64 exec, exec, s[6:7]
	v_lshrrev_b32_e32 v3, 8, v5
	s_movk_i32 s4, 0x7f
	v_cmp_gt_i16_sdwa s[6:7], v3, s4 src0_sel:BYTE_0 src1_sel:DWORD
	s_mov_b64 s[4:5], 0
                                        ; implicit-def: $sgpr10
	s_and_saveexec_b64 s[8:9], s[6:7]
	s_xor_b64 s[6:7], exec, s[8:9]
	s_cbranch_execz .LBB1_3181
; %bb.39021:
	s_getpc_b64 s[14:15]
.Lpost_getpc5174:
	s_add_u32 s14, s14, (.LBB1_17517-.Lpost_getpc5174)&4294967295
	s_addc_u32 s15, s15, (.LBB1_17517-.Lpost_getpc5174)>>32
	s_setpc_b64 s[14:15]
.LBB1_3181:
	s_or_saveexec_b64 s[6:7], s[6:7]
	v_mov_b32_e32 v4, s10
	s_xor_b64 exec, exec, s[6:7]
	s_cbranch_execz .LBB1_3182
; %bb.39023:
	s_getpc_b64 s[14:15]
.Lpost_getpc5175:
	s_add_u32 s14, s14, (.LBB1_17520-.Lpost_getpc5175)&4294967295
	s_addc_u32 s15, s15, (.LBB1_17520-.Lpost_getpc5175)>>32
	s_setpc_b64 s[14:15]
.LBB1_3182:
	s_or_b64 exec, exec, s[6:7]
	s_and_saveexec_b64 s[6:7], s[4:5]
	s_cbranch_execz .LBB1_3184
.LBB1_3183:
	v_bfe_u32 v4, v5, 8, 3
	v_ffbh_u32_e32 v7, v4
	v_min_u32_e32 v7, 32, v7
	v_lshrrev_b16_e32 v6, 3, v3
	v_subrev_u32_e32 v8, 28, v7
	v_and_b32_e32 v6, 15, v6
	v_lshlrev_b32_e32 v3, v8, v3
	v_sub_u32_e32 v7, 29, v7
	v_and_b32_e32 v3, 7, v3
	v_cmp_eq_u16_e32 vcc, 0, v6
	v_cndmask_b32_e32 v3, v4, v3, vcc
	v_cndmask_b32_e32 v4, v6, v7, vcc
	v_lshlrev_b32_e32 v6, 16, v5
	v_mov_b32_e32 v7, 0x3b800000
	v_lshlrev_b32_e32 v3, 20, v3
	v_and_b32_e32 v6, 0x80000000, v6
	v_lshl_add_u32 v4, v4, 23, v7
	v_or3_b32 v4, v6, v4, v3
.LBB1_3184:
	s_or_b64 exec, exec, s[6:7]
	s_nop 0
	v_mfma_f32_16x16x4f32 a[0:3], v2, v4, a[0:3]
	s_movk_i32 s4, 0xff
	v_and_b32_sdwa v3, v9, s4 dst_sel:DWORD dst_unused:UNUSED_PAD src0_sel:WORD_1 src1_sel:DWORD
	s_movk_i32 s4, 0x7f
	v_cmp_lt_i16_e32 vcc, s4, v3
	s_mov_b64 s[4:5], 0
                                        ; implicit-def: $sgpr10
	s_and_saveexec_b64 s[6:7], vcc
	s_xor_b64 s[6:7], exec, s[6:7]
	s_cbranch_execz .LBB1_3185
; %bb.39025:
	s_getpc_b64 s[14:15]
.Lpost_getpc5176:
	s_add_u32 s14, s14, (.LBB1_17521-.Lpost_getpc5176)&4294967295
	s_addc_u32 s15, s15, (.LBB1_17521-.Lpost_getpc5176)>>32
	s_setpc_b64 s[14:15]
.LBB1_3185:
	s_or_saveexec_b64 s[6:7], s[6:7]
	v_mov_b32_e32 v2, s10
	s_xor_b64 exec, exec, s[6:7]
	s_cbranch_execz .LBB1_3186
; %bb.39027:
	s_getpc_b64 s[14:15]
.Lpost_getpc5177:
	s_add_u32 s14, s14, (.LBB1_17524-.Lpost_getpc5177)&4294967295
	s_addc_u32 s15, s15, (.LBB1_17524-.Lpost_getpc5177)>>32
	s_setpc_b64 s[14:15]
.LBB1_3186:
	s_or_b64 exec, exec, s[6:7]
	s_and_saveexec_b64 s[6:7], s[4:5]
	s_cbranch_execz .LBB1_3188
.LBB1_3187:
	v_bfe_u32 v2, v9, 16, 3
	v_ffbh_u32_e32 v6, v2
	v_min_u32_e32 v6, 32, v6
	v_lshrrev_b32_e32 v3, 19, v9
	v_subrev_u32_e32 v7, 28, v6
	v_and_b32_e32 v3, 15, v3
	v_lshlrev_b32_sdwa v7, v7, v9 dst_sel:DWORD dst_unused:UNUSED_PAD src0_sel:DWORD src1_sel:WORD_1
	v_bfe_u32 v4, v9, 19, 4
	v_sub_u32_e32 v6, 29, v6
	v_and_b32_e32 v7, 7, v7
	v_cmp_eq_u16_e32 vcc, 0, v3
	v_cndmask_b32_e32 v2, v2, v7, vcc
	v_cndmask_b32_e32 v3, v4, v6, vcc
	v_lshlrev_b32_e32 v4, 8, v9
	v_mov_b32_e32 v6, 0x3b800000
	v_lshlrev_b32_e32 v2, 20, v2
	v_and_b32_e32 v4, 0x80000000, v4
	v_lshl_add_u32 v3, v3, 23, v6
	v_or3_b32 v2, v4, v3, v2
.LBB1_3188:
	s_or_b64 exec, exec, s[6:7]
	s_movk_i32 s4, 0xff
	v_and_b32_sdwa v3, v5, s4 dst_sel:DWORD dst_unused:UNUSED_PAD src0_sel:WORD_1 src1_sel:DWORD
	s_movk_i32 s4, 0x7f
	v_cmp_lt_i16_e32 vcc, s4, v3
	s_mov_b64 s[4:5], 0
                                        ; implicit-def: $sgpr10
	s_and_saveexec_b64 s[6:7], vcc
	s_xor_b64 s[6:7], exec, s[6:7]
	s_cbranch_execz .LBB1_3189
; %bb.39029:
	s_getpc_b64 s[14:15]
.Lpost_getpc5178:
	s_add_u32 s14, s14, (.LBB1_17525-.Lpost_getpc5178)&4294967295
	s_addc_u32 s15, s15, (.LBB1_17525-.Lpost_getpc5178)>>32
	s_setpc_b64 s[14:15]
.LBB1_3189:
	s_or_saveexec_b64 s[6:7], s[6:7]
	v_mov_b32_e32 v4, s10
	s_xor_b64 exec, exec, s[6:7]
	s_cbranch_execz .LBB1_3190
; %bb.39031:
	s_getpc_b64 s[14:15]
.Lpost_getpc5179:
	s_add_u32 s14, s14, (.LBB1_17528-.Lpost_getpc5179)&4294967295
	s_addc_u32 s15, s15, (.LBB1_17528-.Lpost_getpc5179)>>32
	s_setpc_b64 s[14:15]
.LBB1_3190:
	s_or_b64 exec, exec, s[6:7]
	s_and_saveexec_b64 s[6:7], s[4:5]
	s_cbranch_execz .LBB1_3192
.LBB1_3191:
	v_bfe_u32 v3, v5, 16, 3
	v_ffbh_u32_e32 v7, v3
	v_min_u32_e32 v7, 32, v7
	v_lshrrev_b32_e32 v4, 19, v5
	v_subrev_u32_e32 v8, 28, v7
	v_and_b32_e32 v4, 15, v4
	v_lshlrev_b32_sdwa v8, v8, v5 dst_sel:DWORD dst_unused:UNUSED_PAD src0_sel:DWORD src1_sel:WORD_1
	v_bfe_u32 v6, v5, 19, 4
	v_sub_u32_e32 v7, 29, v7
	v_and_b32_e32 v8, 7, v8
	v_cmp_eq_u16_e32 vcc, 0, v4
	v_cndmask_b32_e32 v3, v3, v8, vcc
	v_cndmask_b32_e32 v4, v6, v7, vcc
	v_lshlrev_b32_e32 v6, 8, v5
	v_mov_b32_e32 v7, 0x3b800000
	v_lshlrev_b32_e32 v3, 20, v3
	v_and_b32_e32 v6, 0x80000000, v6
	v_lshl_add_u32 v4, v4, 23, v7
	v_or3_b32 v4, v6, v4, v3
.LBB1_3192:
	s_or_b64 exec, exec, s[6:7]
	s_nop 0
	v_mfma_f32_16x16x4f32 a[0:3], v2, v4, a[0:3]
	s_movk_i32 s4, 0x7f
	v_cmp_gt_i16_sdwa s[6:7], v9, s4 src0_sel:BYTE_3 src1_sel:DWORD
	s_mov_b64 s[4:5], 0
                                        ; implicit-def: $sgpr10
	s_and_saveexec_b64 s[8:9], s[6:7]
	s_xor_b64 s[6:7], exec, s[8:9]
	s_cbranch_execz .LBB1_3193
; %bb.39033:
	s_getpc_b64 s[14:15]
.Lpost_getpc5180:
	s_add_u32 s14, s14, (.LBB1_17529-.Lpost_getpc5180)&4294967295
	s_addc_u32 s15, s15, (.LBB1_17529-.Lpost_getpc5180)>>32
	s_setpc_b64 s[14:15]
.LBB1_3193:
	s_or_saveexec_b64 s[6:7], s[6:7]
	v_mov_b32_e32 v2, s10
	s_xor_b64 exec, exec, s[6:7]
	s_cbranch_execz .LBB1_3194
; %bb.39035:
	s_getpc_b64 s[14:15]
.Lpost_getpc5181:
	s_add_u32 s14, s14, (.LBB1_17532-.Lpost_getpc5181)&4294967295
	s_addc_u32 s15, s15, (.LBB1_17532-.Lpost_getpc5181)>>32
	s_setpc_b64 s[14:15]
.LBB1_3194:
	s_or_b64 exec, exec, s[6:7]
	s_and_saveexec_b64 s[6:7], s[4:5]
	s_cbranch_execz .LBB1_3196
.LBB1_3195:
	v_bfe_u32 v2, v9, 24, 3
	v_ffbh_u32_e32 v7, v2
	v_min_u32_e32 v7, 32, v7
	v_lshrrev_b32_e32 v4, 27, v9
	v_subrev_u32_e32 v8, 28, v7
	v_and_b32_e32 v4, 15, v4
	v_lshlrev_b32_sdwa v8, v8, v9 dst_sel:DWORD dst_unused:UNUSED_PAD src0_sel:DWORD src1_sel:BYTE_3
	v_bfe_u32 v6, v9, 27, 4
	v_sub_u32_e32 v7, 29, v7
	v_and_b32_e32 v8, 7, v8
	v_cmp_eq_u16_e32 vcc, 0, v4
	v_cndmask_b32_e32 v2, v2, v8, vcc
	v_cndmask_b32_e32 v4, v6, v7, vcc
	v_mov_b32_e32 v6, 0x3b800000
	v_and_b32_e32 v3, 0x80000000, v9
	v_lshlrev_b32_e32 v2, 20, v2
	v_lshl_add_u32 v4, v4, 23, v6
	v_or3_b32 v2, v3, v4, v2
.LBB1_3196:
	s_or_b64 exec, exec, s[6:7]
	s_movk_i32 s4, 0x7f
	v_cmp_gt_i16_sdwa s[6:7], v5, s4 src0_sel:BYTE_3 src1_sel:DWORD
	s_mov_b64 s[4:5], 0
                                        ; implicit-def: $sgpr10
	s_and_saveexec_b64 s[8:9], s[6:7]
	s_xor_b64 s[6:7], exec, s[8:9]
	s_cbranch_execz .LBB1_3197
; %bb.39037:
	s_getpc_b64 s[14:15]
.Lpost_getpc5182:
	s_add_u32 s14, s14, (.LBB1_17533-.Lpost_getpc5182)&4294967295
	s_addc_u32 s15, s15, (.LBB1_17533-.Lpost_getpc5182)>>32
	s_setpc_b64 s[14:15]
.LBB1_3197:
	s_or_saveexec_b64 s[6:7], s[6:7]
	v_mov_b32_e32 v3, s10
	s_xor_b64 exec, exec, s[6:7]
	s_cbranch_execz .LBB1_3198
; %bb.39039:
	s_getpc_b64 s[14:15]
.Lpost_getpc5183:
	s_add_u32 s14, s14, (.LBB1_17536-.Lpost_getpc5183)&4294967295
	s_addc_u32 s15, s15, (.LBB1_17536-.Lpost_getpc5183)>>32
	s_setpc_b64 s[14:15]
.LBB1_3198:
	s_or_b64 exec, exec, s[6:7]
	s_and_saveexec_b64 s[6:7], s[4:5]
	s_cbranch_execz .LBB1_3200
.LBB1_3199:
	v_bfe_u32 v3, v5, 24, 3
	v_ffbh_u32_e32 v8, v3
	v_min_u32_e32 v8, 32, v8
	v_lshrrev_b32_e32 v6, 27, v5
	v_subrev_u32_e32 v9, 28, v8
	v_and_b32_e32 v4, 0x80000000, v5
	v_and_b32_e32 v6, 15, v6
	v_bfe_u32 v7, v5, 27, 4
	v_lshlrev_b32_sdwa v5, v9, v5 dst_sel:DWORD dst_unused:UNUSED_PAD src0_sel:DWORD src1_sel:BYTE_3
	v_sub_u32_e32 v8, 29, v8
	v_and_b32_e32 v5, 7, v5
	v_cmp_eq_u16_e32 vcc, 0, v6
	v_cndmask_b32_e32 v3, v3, v5, vcc
	v_cndmask_b32_e32 v5, v7, v8, vcc
	v_mov_b32_e32 v6, 0x3b800000
	v_lshlrev_b32_e32 v3, 20, v3
	v_lshl_add_u32 v5, v5, 23, v6
	v_or3_b32 v3, v4, v5, v3
.LBB1_3200:
	s_or_b64 exec, exec, s[6:7]
	s_nop 0
	v_mfma_f32_16x16x4f32 a[0:3], v2, v3, a[0:3]
	s_movk_i32 s4, 0x7f
                                        ; implicit-def: $sgpr10
	s_nop 7
	s_nop 1
	flat_store_dwordx4 v[10:11], a[0:3] offset:384
	flat_load_dwordx4 v[12:15], v[0:1]
	s_nop 0
	flat_load_dwordx2 v[10:11], v[0:1] offset:16
	s_waitcnt vmcnt(0) lgkmcnt(0)
	flat_load_dwordx4 v[6:9], v[12:13] offset:48
	flat_load_dwordx4 v[2:5], v[14:15] offset:16
	s_waitcnt vmcnt(0) lgkmcnt(0)
	v_cmp_gt_i16_sdwa s[6:7], v6, s4 src0_sel:BYTE_0 src1_sel:DWORD
	s_mov_b64 s[4:5], 0
	s_and_saveexec_b64 s[8:9], s[6:7]
	s_xor_b64 s[6:7], exec, s[8:9]
	s_cbranch_execz .LBB1_3201
; %bb.39041:
	s_getpc_b64 s[14:15]
.Lpost_getpc5184:
	s_add_u32 s14, s14, (.LBB1_17537-.Lpost_getpc5184)&4294967295
	s_addc_u32 s15, s15, (.LBB1_17537-.Lpost_getpc5184)>>32
	s_setpc_b64 s[14:15]
.LBB1_3201:
	s_or_saveexec_b64 s[6:7], s[6:7]
	v_mov_b32_e32 v12, s10
	s_xor_b64 exec, exec, s[6:7]
	s_cbranch_execz .LBB1_3202
; %bb.39043:
	s_getpc_b64 s[14:15]
.Lpost_getpc5185:
	s_add_u32 s14, s14, (.LBB1_17540-.Lpost_getpc5185)&4294967295
	s_addc_u32 s15, s15, (.LBB1_17540-.Lpost_getpc5185)>>32
	s_setpc_b64 s[14:15]
.LBB1_3202:
	s_or_b64 exec, exec, s[6:7]
	s_and_saveexec_b64 s[6:7], s[4:5]
	s_cbranch_execz .LBB1_3204
.LBB1_3203:
	v_and_b32_e32 v12, 7, v6
	v_ffbh_u32_e32 v14, v12
	v_min_u32_e32 v14, 32, v14
	v_lshrrev_b16_e32 v13, 3, v6
	v_subrev_u32_e32 v15, 28, v14
	v_and_b32_e32 v13, 15, v13
	v_lshlrev_b32_e32 v15, v15, v6
	v_sub_u32_e32 v14, 29, v14
	v_and_b32_e32 v15, 7, v15
	v_cmp_eq_u16_e32 vcc, 0, v13
	v_cndmask_b32_e32 v12, v12, v15, vcc
	v_cndmask_b32_e32 v13, v13, v14, vcc
	v_lshlrev_b32_e32 v14, 24, v6
	v_mov_b32_e32 v15, 0x3b800000
	v_lshlrev_b32_e32 v12, 20, v12
	v_and_b32_e32 v14, 0x80000000, v14
	v_lshl_add_u32 v13, v13, 23, v15
	v_or3_b32 v12, v14, v13, v12
.LBB1_3204:
	s_or_b64 exec, exec, s[6:7]
	s_movk_i32 s4, 0x7f
	v_cmp_gt_i16_sdwa s[6:7], v2, s4 src0_sel:BYTE_0 src1_sel:DWORD
	s_mov_b64 s[4:5], 0
                                        ; implicit-def: $sgpr10
	s_and_saveexec_b64 s[8:9], s[6:7]
	s_xor_b64 s[6:7], exec, s[8:9]
	s_cbranch_execz .LBB1_3205
; %bb.39045:
	s_getpc_b64 s[14:15]
.Lpost_getpc5186:
	s_add_u32 s14, s14, (.LBB1_17541-.Lpost_getpc5186)&4294967295
	s_addc_u32 s15, s15, (.LBB1_17541-.Lpost_getpc5186)>>32
	s_setpc_b64 s[14:15]
.LBB1_3205:
	s_or_saveexec_b64 s[6:7], s[6:7]
	v_mov_b32_e32 v13, s10
	s_xor_b64 exec, exec, s[6:7]
	s_cbranch_execz .LBB1_3206
; %bb.39047:
	s_getpc_b64 s[14:15]
.Lpost_getpc5187:
	s_add_u32 s14, s14, (.LBB1_17544-.Lpost_getpc5187)&4294967295
	s_addc_u32 s15, s15, (.LBB1_17544-.Lpost_getpc5187)>>32
	s_setpc_b64 s[14:15]
.LBB1_3206:
	s_or_b64 exec, exec, s[6:7]
	s_and_saveexec_b64 s[6:7], s[4:5]
	s_cbranch_execz .LBB1_3208
.LBB1_3207:
	v_and_b32_e32 v13, 7, v2
	v_ffbh_u32_e32 v15, v13
	v_min_u32_e32 v15, 32, v15
	v_lshrrev_b16_e32 v14, 3, v2
	v_subrev_u32_e32 v16, 28, v15
	v_and_b32_e32 v14, 15, v14
	v_lshlrev_b32_e32 v16, v16, v2
	v_sub_u32_e32 v15, 29, v15
	v_and_b32_e32 v16, 7, v16
	v_cmp_eq_u16_e32 vcc, 0, v14
	v_cndmask_b32_e32 v13, v13, v16, vcc
	v_cndmask_b32_e32 v14, v14, v15, vcc
	v_lshlrev_b32_e32 v15, 24, v2
	v_mov_b32_e32 v16, 0x3b800000
	v_lshlrev_b32_e32 v13, 20, v13
	v_and_b32_e32 v15, 0x80000000, v15
	v_lshl_add_u32 v14, v14, 23, v16
	v_or3_b32 v13, v15, v14, v13
.LBB1_3208:
	s_or_b64 exec, exec, s[6:7]
	flat_load_dwordx4 a[0:3], v[10:11] offset:400
	s_movk_i32 s4, 0x7f
                                        ; implicit-def: $sgpr10
	s_waitcnt vmcnt(0) lgkmcnt(0)
	v_mfma_f32_16x16x4f32 a[0:3], v12, v13, a[0:3]
	v_lshrrev_b32_e32 v13, 8, v6
	v_cmp_gt_i16_sdwa s[6:7], v13, s4 src0_sel:BYTE_0 src1_sel:DWORD
	s_mov_b64 s[4:5], 0
	s_and_saveexec_b64 s[8:9], s[6:7]
	s_xor_b64 s[6:7], exec, s[8:9]
	s_cbranch_execz .LBB1_3209
; %bb.39049:
	s_getpc_b64 s[14:15]
.Lpost_getpc5188:
	s_add_u32 s14, s14, (.LBB1_17545-.Lpost_getpc5188)&4294967295
	s_addc_u32 s15, s15, (.LBB1_17545-.Lpost_getpc5188)>>32
	s_setpc_b64 s[14:15]
.LBB1_3209:
	s_or_saveexec_b64 s[6:7], s[6:7]
	v_mov_b32_e32 v12, s10
	s_xor_b64 exec, exec, s[6:7]
	s_cbranch_execz .LBB1_3210
; %bb.39051:
	s_getpc_b64 s[14:15]
.Lpost_getpc5189:
	s_add_u32 s14, s14, (.LBB1_17548-.Lpost_getpc5189)&4294967295
	s_addc_u32 s15, s15, (.LBB1_17548-.Lpost_getpc5189)>>32
	s_setpc_b64 s[14:15]
.LBB1_3210:
	s_or_b64 exec, exec, s[6:7]
	s_and_saveexec_b64 s[6:7], s[4:5]
	s_cbranch_execz .LBB1_3212
.LBB1_3211:
	v_bfe_u32 v12, v6, 8, 3
	v_ffbh_u32_e32 v15, v12
	v_min_u32_e32 v15, 32, v15
	v_lshrrev_b16_e32 v14, 3, v13
	v_subrev_u32_e32 v16, 28, v15
	v_and_b32_e32 v14, 15, v14
	v_lshlrev_b32_e32 v13, v16, v13
	v_sub_u32_e32 v15, 29, v15
	v_and_b32_e32 v13, 7, v13
	v_cmp_eq_u16_e32 vcc, 0, v14
	v_cndmask_b32_e32 v12, v12, v13, vcc
	v_cndmask_b32_e32 v13, v14, v15, vcc
	v_lshlrev_b32_e32 v14, 16, v6
	v_mov_b32_e32 v15, 0x3b800000
	v_lshlrev_b32_e32 v12, 20, v12
	v_and_b32_e32 v14, 0x80000000, v14
	v_lshl_add_u32 v13, v13, 23, v15
	v_or3_b32 v12, v14, v13, v12
.LBB1_3212:
	s_or_b64 exec, exec, s[6:7]
	v_lshrrev_b32_e32 v13, 8, v2
	s_movk_i32 s4, 0x7f
	v_cmp_gt_i16_sdwa s[6:7], v13, s4 src0_sel:BYTE_0 src1_sel:DWORD
	s_mov_b64 s[4:5], 0
                                        ; implicit-def: $sgpr10
	s_and_saveexec_b64 s[8:9], s[6:7]
	s_xor_b64 s[6:7], exec, s[8:9]
	s_cbranch_execz .LBB1_3213
; %bb.39053:
	s_getpc_b64 s[14:15]
.Lpost_getpc5190:
	s_add_u32 s14, s14, (.LBB1_17549-.Lpost_getpc5190)&4294967295
	s_addc_u32 s15, s15, (.LBB1_17549-.Lpost_getpc5190)>>32
	s_setpc_b64 s[14:15]
.LBB1_3213:
	s_or_saveexec_b64 s[6:7], s[6:7]
	v_mov_b32_e32 v14, s10
	s_xor_b64 exec, exec, s[6:7]
	s_cbranch_execz .LBB1_3214
; %bb.39055:
	s_getpc_b64 s[14:15]
.Lpost_getpc5191:
	s_add_u32 s14, s14, (.LBB1_17552-.Lpost_getpc5191)&4294967295
	s_addc_u32 s15, s15, (.LBB1_17552-.Lpost_getpc5191)>>32
	s_setpc_b64 s[14:15]
.LBB1_3214:
	s_or_b64 exec, exec, s[6:7]
	s_and_saveexec_b64 s[6:7], s[4:5]
	s_cbranch_execz .LBB1_3216
.LBB1_3215:
	v_bfe_u32 v14, v2, 8, 3
	v_ffbh_u32_e32 v16, v14
	v_min_u32_e32 v16, 32, v16
	v_lshrrev_b16_e32 v15, 3, v13
	v_subrev_u32_e32 v17, 28, v16
	v_and_b32_e32 v15, 15, v15
	v_lshlrev_b32_e32 v13, v17, v13
	v_sub_u32_e32 v16, 29, v16
	v_and_b32_e32 v13, 7, v13
	v_cmp_eq_u16_e32 vcc, 0, v15
	v_cndmask_b32_e32 v13, v14, v13, vcc
	v_cndmask_b32_e32 v14, v15, v16, vcc
	v_lshlrev_b32_e32 v15, 16, v2
	v_mov_b32_e32 v16, 0x3b800000
	v_lshlrev_b32_e32 v13, 20, v13
	v_and_b32_e32 v15, 0x80000000, v15
	v_lshl_add_u32 v14, v14, 23, v16
	v_or3_b32 v14, v15, v14, v13
.LBB1_3216:
	s_or_b64 exec, exec, s[6:7]
	s_nop 0
	v_mfma_f32_16x16x4f32 a[0:3], v12, v14, a[0:3]
	s_movk_i32 s4, 0xff
	v_and_b32_sdwa v13, v6, s4 dst_sel:DWORD dst_unused:UNUSED_PAD src0_sel:WORD_1 src1_sel:DWORD
	s_movk_i32 s4, 0x7f
	v_cmp_lt_i16_e32 vcc, s4, v13
	s_mov_b64 s[4:5], 0
                                        ; implicit-def: $sgpr10
	s_and_saveexec_b64 s[6:7], vcc
	s_xor_b64 s[6:7], exec, s[6:7]
	s_cbranch_execz .LBB1_3217
; %bb.39057:
	s_getpc_b64 s[14:15]
.Lpost_getpc5192:
	s_add_u32 s14, s14, (.LBB1_17553-.Lpost_getpc5192)&4294967295
	s_addc_u32 s15, s15, (.LBB1_17553-.Lpost_getpc5192)>>32
	s_setpc_b64 s[14:15]
.LBB1_3217:
	s_or_saveexec_b64 s[6:7], s[6:7]
	v_mov_b32_e32 v12, s10
	s_xor_b64 exec, exec, s[6:7]
	s_cbranch_execz .LBB1_3218
; %bb.39059:
	s_getpc_b64 s[14:15]
.Lpost_getpc5193:
	s_add_u32 s14, s14, (.LBB1_17556-.Lpost_getpc5193)&4294967295
	s_addc_u32 s15, s15, (.LBB1_17556-.Lpost_getpc5193)>>32
	s_setpc_b64 s[14:15]
.LBB1_3218:
	s_or_b64 exec, exec, s[6:7]
	s_and_saveexec_b64 s[6:7], s[4:5]
	s_cbranch_execz .LBB1_3220
.LBB1_3219:
	v_bfe_u32 v12, v6, 16, 3
	v_ffbh_u32_e32 v15, v12
	v_min_u32_e32 v15, 32, v15
	v_lshrrev_b32_e32 v13, 19, v6
	v_subrev_u32_e32 v16, 28, v15
	v_and_b32_e32 v13, 15, v13
	v_lshlrev_b32_sdwa v16, v16, v6 dst_sel:DWORD dst_unused:UNUSED_PAD src0_sel:DWORD src1_sel:WORD_1
	v_bfe_u32 v14, v6, 19, 4
	v_sub_u32_e32 v15, 29, v15
	v_and_b32_e32 v16, 7, v16
	v_cmp_eq_u16_e32 vcc, 0, v13
	v_cndmask_b32_e32 v12, v12, v16, vcc
	v_cndmask_b32_e32 v13, v14, v15, vcc
	v_lshlrev_b32_e32 v14, 8, v6
	v_mov_b32_e32 v15, 0x3b800000
	v_lshlrev_b32_e32 v12, 20, v12
	v_and_b32_e32 v14, 0x80000000, v14
	v_lshl_add_u32 v13, v13, 23, v15
	v_or3_b32 v12, v14, v13, v12
.LBB1_3220:
	s_or_b64 exec, exec, s[6:7]
	s_movk_i32 s4, 0xff
	v_and_b32_sdwa v13, v2, s4 dst_sel:DWORD dst_unused:UNUSED_PAD src0_sel:WORD_1 src1_sel:DWORD
	s_movk_i32 s4, 0x7f
	v_cmp_lt_i16_e32 vcc, s4, v13
	s_mov_b64 s[4:5], 0
                                        ; implicit-def: $sgpr10
	s_and_saveexec_b64 s[6:7], vcc
	s_xor_b64 s[6:7], exec, s[6:7]
	s_cbranch_execz .LBB1_3221
; %bb.39061:
	s_getpc_b64 s[14:15]
.Lpost_getpc5194:
	s_add_u32 s14, s14, (.LBB1_17557-.Lpost_getpc5194)&4294967295
	s_addc_u32 s15, s15, (.LBB1_17557-.Lpost_getpc5194)>>32
	s_setpc_b64 s[14:15]
.LBB1_3221:
	s_or_saveexec_b64 s[6:7], s[6:7]
	v_mov_b32_e32 v14, s10
	s_xor_b64 exec, exec, s[6:7]
	s_cbranch_execz .LBB1_3222
; %bb.39063:
	s_getpc_b64 s[14:15]
.Lpost_getpc5195:
	s_add_u32 s14, s14, (.LBB1_17560-.Lpost_getpc5195)&4294967295
	s_addc_u32 s15, s15, (.LBB1_17560-.Lpost_getpc5195)>>32
	s_setpc_b64 s[14:15]
.LBB1_3222:
	s_or_b64 exec, exec, s[6:7]
	s_and_saveexec_b64 s[6:7], s[4:5]
	s_cbranch_execz .LBB1_3224
.LBB1_3223:
	v_bfe_u32 v13, v2, 16, 3
	v_ffbh_u32_e32 v16, v13
	v_min_u32_e32 v16, 32, v16
	v_lshrrev_b32_e32 v14, 19, v2
	v_subrev_u32_e32 v17, 28, v16
	v_and_b32_e32 v14, 15, v14
	v_lshlrev_b32_sdwa v17, v17, v2 dst_sel:DWORD dst_unused:UNUSED_PAD src0_sel:DWORD src1_sel:WORD_1
	v_bfe_u32 v15, v2, 19, 4
	v_sub_u32_e32 v16, 29, v16
	v_and_b32_e32 v17, 7, v17
	v_cmp_eq_u16_e32 vcc, 0, v14
	v_cndmask_b32_e32 v13, v13, v17, vcc
	v_cndmask_b32_e32 v14, v15, v16, vcc
	v_lshlrev_b32_e32 v15, 8, v2
	v_mov_b32_e32 v16, 0x3b800000
	v_lshlrev_b32_e32 v13, 20, v13
	v_and_b32_e32 v15, 0x80000000, v15
	v_lshl_add_u32 v14, v14, 23, v16
	v_or3_b32 v14, v15, v14, v13
.LBB1_3224:
	s_or_b64 exec, exec, s[6:7]
	s_nop 0
	v_mfma_f32_16x16x4f32 a[0:3], v12, v14, a[0:3]
	s_movk_i32 s4, 0x7f
	v_cmp_gt_i16_sdwa s[6:7], v6, s4 src0_sel:BYTE_3 src1_sel:DWORD
	s_mov_b64 s[4:5], 0
                                        ; implicit-def: $sgpr10
	s_and_saveexec_b64 s[8:9], s[6:7]
	s_xor_b64 s[6:7], exec, s[8:9]
	s_cbranch_execz .LBB1_3225
; %bb.39065:
	s_getpc_b64 s[14:15]
.Lpost_getpc5196:
	s_add_u32 s14, s14, (.LBB1_17561-.Lpost_getpc5196)&4294967295
	s_addc_u32 s15, s15, (.LBB1_17561-.Lpost_getpc5196)>>32
	s_setpc_b64 s[14:15]
.LBB1_3225:
	s_or_saveexec_b64 s[6:7], s[6:7]
	v_mov_b32_e32 v12, s10
	s_xor_b64 exec, exec, s[6:7]
	s_cbranch_execz .LBB1_3226
; %bb.39067:
	s_getpc_b64 s[14:15]
.Lpost_getpc5197:
	s_add_u32 s14, s14, (.LBB1_17564-.Lpost_getpc5197)&4294967295
	s_addc_u32 s15, s15, (.LBB1_17564-.Lpost_getpc5197)>>32
	s_setpc_b64 s[14:15]
.LBB1_3226:
	s_or_b64 exec, exec, s[6:7]
	s_and_saveexec_b64 s[6:7], s[4:5]
	s_cbranch_execz .LBB1_3228
.LBB1_3227:
	v_bfe_u32 v12, v6, 24, 3
	v_ffbh_u32_e32 v16, v12
	v_min_u32_e32 v16, 32, v16
	v_lshrrev_b32_e32 v14, 27, v6
	v_subrev_u32_e32 v17, 28, v16
	v_and_b32_e32 v13, 0x80000000, v6
	v_and_b32_e32 v14, 15, v14
	v_bfe_u32 v15, v6, 27, 4
	v_lshlrev_b32_sdwa v6, v17, v6 dst_sel:DWORD dst_unused:UNUSED_PAD src0_sel:DWORD src1_sel:BYTE_3
	v_sub_u32_e32 v16, 29, v16
	v_and_b32_e32 v6, 7, v6
	v_cmp_eq_u16_e32 vcc, 0, v14
	v_cndmask_b32_e32 v6, v12, v6, vcc
	v_cndmask_b32_e32 v12, v15, v16, vcc
	v_mov_b32_e32 v14, 0x3b800000
	v_lshlrev_b32_e32 v6, 20, v6
	v_lshl_add_u32 v12, v12, 23, v14
	v_or3_b32 v12, v13, v12, v6
.LBB1_3228:
	s_or_b64 exec, exec, s[6:7]
	s_movk_i32 s4, 0x7f
	v_cmp_gt_i16_sdwa s[6:7], v2, s4 src0_sel:BYTE_3 src1_sel:DWORD
	s_mov_b64 s[4:5], 0
                                        ; implicit-def: $sgpr10
	s_and_saveexec_b64 s[8:9], s[6:7]
	s_xor_b64 s[6:7], exec, s[8:9]
	s_cbranch_execz .LBB1_3229
; %bb.39069:
	s_getpc_b64 s[14:15]
.Lpost_getpc5198:
	s_add_u32 s14, s14, (.LBB1_17565-.Lpost_getpc5198)&4294967295
	s_addc_u32 s15, s15, (.LBB1_17565-.Lpost_getpc5198)>>32
	s_setpc_b64 s[14:15]
.LBB1_3229:
	s_or_saveexec_b64 s[6:7], s[6:7]
	v_mov_b32_e32 v6, s10
	s_xor_b64 exec, exec, s[6:7]
	s_cbranch_execz .LBB1_3230
; %bb.39071:
	s_getpc_b64 s[14:15]
.Lpost_getpc5199:
	s_add_u32 s14, s14, (.LBB1_17568-.Lpost_getpc5199)&4294967295
	s_addc_u32 s15, s15, (.LBB1_17568-.Lpost_getpc5199)>>32
	s_setpc_b64 s[14:15]
.LBB1_3230:
	s_or_b64 exec, exec, s[6:7]
	s_and_saveexec_b64 s[6:7], s[4:5]
	s_cbranch_execz .LBB1_3232
.LBB1_3231:
	v_bfe_u32 v6, v2, 24, 3
	v_ffbh_u32_e32 v16, v6
	v_min_u32_e32 v16, 32, v16
	v_lshrrev_b32_e32 v14, 27, v2
	v_subrev_u32_e32 v17, 28, v16
	v_and_b32_e32 v13, 0x80000000, v2
	v_and_b32_e32 v14, 15, v14
	v_bfe_u32 v15, v2, 27, 4
	v_lshlrev_b32_sdwa v2, v17, v2 dst_sel:DWORD dst_unused:UNUSED_PAD src0_sel:DWORD src1_sel:BYTE_3
	v_sub_u32_e32 v16, 29, v16
	v_and_b32_e32 v2, 7, v2
	v_cmp_eq_u16_e32 vcc, 0, v14
	v_cndmask_b32_e32 v2, v6, v2, vcc
	v_cndmask_b32_e32 v6, v15, v16, vcc
	v_mov_b32_e32 v14, 0x3b800000
	v_lshlrev_b32_e32 v2, 20, v2
	v_lshl_add_u32 v6, v6, 23, v14
	v_or3_b32 v6, v13, v6, v2
.LBB1_3232:
	s_or_b64 exec, exec, s[6:7]
	s_nop 0
	v_mfma_f32_16x16x4f32 a[0:3], v12, v6, a[0:3]
	s_movk_i32 s4, 0x7f
	v_cmp_gt_i16_sdwa s[6:7], v7, s4 src0_sel:BYTE_0 src1_sel:DWORD
	s_mov_b64 s[4:5], 0
                                        ; implicit-def: $sgpr10
	s_and_saveexec_b64 s[8:9], s[6:7]
	s_xor_b64 s[6:7], exec, s[8:9]
	s_cbranch_execz .LBB1_3233
; %bb.39073:
	s_getpc_b64 s[14:15]
.Lpost_getpc5200:
	s_add_u32 s14, s14, (.LBB1_17569-.Lpost_getpc5200)&4294967295
	s_addc_u32 s15, s15, (.LBB1_17569-.Lpost_getpc5200)>>32
	s_setpc_b64 s[14:15]
.LBB1_3233:
	s_or_saveexec_b64 s[6:7], s[6:7]
	v_mov_b32_e32 v2, s10
	s_xor_b64 exec, exec, s[6:7]
	s_cbranch_execz .LBB1_3234
; %bb.39075:
	s_getpc_b64 s[14:15]
.Lpost_getpc5201:
	s_add_u32 s14, s14, (.LBB1_17572-.Lpost_getpc5201)&4294967295
	s_addc_u32 s15, s15, (.LBB1_17572-.Lpost_getpc5201)>>32
	s_setpc_b64 s[14:15]
.LBB1_3234:
	s_or_b64 exec, exec, s[6:7]
	s_and_saveexec_b64 s[6:7], s[4:5]
	s_cbranch_execz .LBB1_3236
.LBB1_3235:
	v_and_b32_e32 v2, 7, v7
	v_ffbh_u32_e32 v12, v2
	v_min_u32_e32 v12, 32, v12
	v_lshrrev_b16_e32 v6, 3, v7
	v_subrev_u32_e32 v13, 28, v12
	v_and_b32_e32 v6, 15, v6
	v_lshlrev_b32_e32 v13, v13, v7
	v_sub_u32_e32 v12, 29, v12
	v_and_b32_e32 v13, 7, v13
	v_cmp_eq_u16_e32 vcc, 0, v6
	v_cndmask_b32_e32 v2, v2, v13, vcc
	v_cndmask_b32_e32 v6, v6, v12, vcc
	v_lshlrev_b32_e32 v12, 24, v7
	v_mov_b32_e32 v13, 0x3b800000
	v_lshlrev_b32_e32 v2, 20, v2
	v_and_b32_e32 v12, 0x80000000, v12
	v_lshl_add_u32 v6, v6, 23, v13
	v_or3_b32 v2, v12, v6, v2
.LBB1_3236:
	s_or_b64 exec, exec, s[6:7]
	s_movk_i32 s4, 0x7f
	v_cmp_gt_i16_sdwa s[6:7], v3, s4 src0_sel:BYTE_0 src1_sel:DWORD
	s_mov_b64 s[4:5], 0
                                        ; implicit-def: $sgpr10
	s_and_saveexec_b64 s[8:9], s[6:7]
	s_xor_b64 s[6:7], exec, s[8:9]
	s_cbranch_execz .LBB1_3237
; %bb.39077:
	s_getpc_b64 s[14:15]
.Lpost_getpc5202:
	s_add_u32 s14, s14, (.LBB1_17573-.Lpost_getpc5202)&4294967295
	s_addc_u32 s15, s15, (.LBB1_17573-.Lpost_getpc5202)>>32
	s_setpc_b64 s[14:15]
.LBB1_3237:
	s_or_saveexec_b64 s[6:7], s[6:7]
	v_mov_b32_e32 v6, s10
	s_xor_b64 exec, exec, s[6:7]
	s_cbranch_execz .LBB1_3238
; %bb.39079:
	s_getpc_b64 s[14:15]
.Lpost_getpc5203:
	s_add_u32 s14, s14, (.LBB1_17576-.Lpost_getpc5203)&4294967295
	s_addc_u32 s15, s15, (.LBB1_17576-.Lpost_getpc5203)>>32
	s_setpc_b64 s[14:15]
.LBB1_3238:
	s_or_b64 exec, exec, s[6:7]
	s_and_saveexec_b64 s[6:7], s[4:5]
	s_cbranch_execz .LBB1_3240
.LBB1_3239:
	v_and_b32_e32 v6, 7, v3
	v_ffbh_u32_e32 v13, v6
	v_min_u32_e32 v13, 32, v13
	v_lshrrev_b16_e32 v12, 3, v3
	v_subrev_u32_e32 v14, 28, v13
	v_and_b32_e32 v12, 15, v12
	v_lshlrev_b32_e32 v14, v14, v3
	v_sub_u32_e32 v13, 29, v13
	v_and_b32_e32 v14, 7, v14
	v_cmp_eq_u16_e32 vcc, 0, v12
	v_cndmask_b32_e32 v6, v6, v14, vcc
	v_cndmask_b32_e32 v12, v12, v13, vcc
	v_lshlrev_b32_e32 v13, 24, v3
	v_mov_b32_e32 v14, 0x3b800000
	v_lshlrev_b32_e32 v6, 20, v6
	v_and_b32_e32 v13, 0x80000000, v13
	v_lshl_add_u32 v12, v12, 23, v14
	v_or3_b32 v6, v13, v12, v6
.LBB1_3240:
	s_or_b64 exec, exec, s[6:7]
	s_nop 0
	v_mfma_f32_16x16x4f32 a[0:3], v2, v6, a[0:3]
	v_lshrrev_b32_e32 v6, 8, v7
	s_movk_i32 s4, 0x7f
	v_cmp_gt_i16_sdwa s[6:7], v6, s4 src0_sel:BYTE_0 src1_sel:DWORD
	s_mov_b64 s[4:5], 0
                                        ; implicit-def: $sgpr10
	s_and_saveexec_b64 s[8:9], s[6:7]
	s_xor_b64 s[6:7], exec, s[8:9]
	s_cbranch_execz .LBB1_3241
; %bb.39081:
	s_getpc_b64 s[14:15]
.Lpost_getpc5204:
	s_add_u32 s14, s14, (.LBB1_17577-.Lpost_getpc5204)&4294967295
	s_addc_u32 s15, s15, (.LBB1_17577-.Lpost_getpc5204)>>32
	s_setpc_b64 s[14:15]
.LBB1_3241:
	s_or_saveexec_b64 s[6:7], s[6:7]
	v_mov_b32_e32 v2, s10
	s_xor_b64 exec, exec, s[6:7]
	s_cbranch_execz .LBB1_3242
; %bb.39083:
	s_getpc_b64 s[14:15]
.Lpost_getpc5205:
	s_add_u32 s14, s14, (.LBB1_17580-.Lpost_getpc5205)&4294967295
	s_addc_u32 s15, s15, (.LBB1_17580-.Lpost_getpc5205)>>32
	s_setpc_b64 s[14:15]
.LBB1_3242:
	s_or_b64 exec, exec, s[6:7]
	s_and_saveexec_b64 s[6:7], s[4:5]
	s_cbranch_execz .LBB1_3244
.LBB1_3243:
	v_bfe_u32 v2, v7, 8, 3
	v_ffbh_u32_e32 v13, v2
	v_min_u32_e32 v13, 32, v13
	v_lshrrev_b16_e32 v12, 3, v6
	v_subrev_u32_e32 v14, 28, v13
	v_and_b32_e32 v12, 15, v12
	v_lshlrev_b32_e32 v6, v14, v6
	v_sub_u32_e32 v13, 29, v13
	v_and_b32_e32 v6, 7, v6
	v_cmp_eq_u16_e32 vcc, 0, v12
	v_cndmask_b32_e32 v2, v2, v6, vcc
	v_cndmask_b32_e32 v6, v12, v13, vcc
	v_lshlrev_b32_e32 v12, 16, v7
	v_mov_b32_e32 v13, 0x3b800000
	v_lshlrev_b32_e32 v2, 20, v2
	v_and_b32_e32 v12, 0x80000000, v12
	v_lshl_add_u32 v6, v6, 23, v13
	v_or3_b32 v2, v12, v6, v2
.LBB1_3244:
	s_or_b64 exec, exec, s[6:7]
	v_lshrrev_b32_e32 v6, 8, v3
	s_movk_i32 s4, 0x7f
	v_cmp_gt_i16_sdwa s[6:7], v6, s4 src0_sel:BYTE_0 src1_sel:DWORD
	s_mov_b64 s[4:5], 0
                                        ; implicit-def: $sgpr10
	s_and_saveexec_b64 s[8:9], s[6:7]
	s_xor_b64 s[6:7], exec, s[8:9]
	s_cbranch_execz .LBB1_3245
; %bb.39085:
	s_getpc_b64 s[14:15]
.Lpost_getpc5206:
	s_add_u32 s14, s14, (.LBB1_17581-.Lpost_getpc5206)&4294967295
	s_addc_u32 s15, s15, (.LBB1_17581-.Lpost_getpc5206)>>32
	s_setpc_b64 s[14:15]
.LBB1_3245:
	s_or_saveexec_b64 s[6:7], s[6:7]
	v_mov_b32_e32 v12, s10
	s_xor_b64 exec, exec, s[6:7]
	s_cbranch_execz .LBB1_3246
; %bb.39087:
	s_getpc_b64 s[14:15]
.Lpost_getpc5207:
	s_add_u32 s14, s14, (.LBB1_17584-.Lpost_getpc5207)&4294967295
	s_addc_u32 s15, s15, (.LBB1_17584-.Lpost_getpc5207)>>32
	s_setpc_b64 s[14:15]
.LBB1_3246:
	s_or_b64 exec, exec, s[6:7]
	s_and_saveexec_b64 s[6:7], s[4:5]
	s_cbranch_execz .LBB1_3248
.LBB1_3247:
	v_bfe_u32 v12, v3, 8, 3
	v_ffbh_u32_e32 v14, v12
	v_min_u32_e32 v14, 32, v14
	v_lshrrev_b16_e32 v13, 3, v6
	v_subrev_u32_e32 v15, 28, v14
	v_and_b32_e32 v13, 15, v13
	v_lshlrev_b32_e32 v6, v15, v6
	v_sub_u32_e32 v14, 29, v14
	v_and_b32_e32 v6, 7, v6
	v_cmp_eq_u16_e32 vcc, 0, v13
	v_cndmask_b32_e32 v6, v12, v6, vcc
	v_cndmask_b32_e32 v12, v13, v14, vcc
	v_lshlrev_b32_e32 v13, 16, v3
	v_mov_b32_e32 v14, 0x3b800000
	v_lshlrev_b32_e32 v6, 20, v6
	v_and_b32_e32 v13, 0x80000000, v13
	v_lshl_add_u32 v12, v12, 23, v14
	v_or3_b32 v12, v13, v12, v6
.LBB1_3248:
	s_or_b64 exec, exec, s[6:7]
	s_nop 0
	v_mfma_f32_16x16x4f32 a[0:3], v2, v12, a[0:3]
	s_movk_i32 s4, 0xff
	v_and_b32_sdwa v6, v7, s4 dst_sel:DWORD dst_unused:UNUSED_PAD src0_sel:WORD_1 src1_sel:DWORD
	s_movk_i32 s4, 0x7f
	v_cmp_lt_i16_e32 vcc, s4, v6
	s_mov_b64 s[4:5], 0
                                        ; implicit-def: $sgpr10
	s_and_saveexec_b64 s[6:7], vcc
	s_xor_b64 s[6:7], exec, s[6:7]
	s_cbranch_execz .LBB1_3249
; %bb.39089:
	s_getpc_b64 s[14:15]
.Lpost_getpc5208:
	s_add_u32 s14, s14, (.LBB1_17585-.Lpost_getpc5208)&4294967295
	s_addc_u32 s15, s15, (.LBB1_17585-.Lpost_getpc5208)>>32
	s_setpc_b64 s[14:15]
.LBB1_3249:
	s_or_saveexec_b64 s[6:7], s[6:7]
	v_mov_b32_e32 v2, s10
	s_xor_b64 exec, exec, s[6:7]
	s_cbranch_execz .LBB1_3250
; %bb.39091:
	s_getpc_b64 s[14:15]
.Lpost_getpc5209:
	s_add_u32 s14, s14, (.LBB1_17588-.Lpost_getpc5209)&4294967295
	s_addc_u32 s15, s15, (.LBB1_17588-.Lpost_getpc5209)>>32
	s_setpc_b64 s[14:15]
.LBB1_3250:
	s_or_b64 exec, exec, s[6:7]
	s_and_saveexec_b64 s[6:7], s[4:5]
	s_cbranch_execz .LBB1_3252
.LBB1_3251:
	v_bfe_u32 v2, v7, 16, 3
	v_ffbh_u32_e32 v13, v2
	v_min_u32_e32 v13, 32, v13
	v_lshrrev_b32_e32 v6, 19, v7
	v_subrev_u32_e32 v14, 28, v13
	v_and_b32_e32 v6, 15, v6
	v_lshlrev_b32_sdwa v14, v14, v7 dst_sel:DWORD dst_unused:UNUSED_PAD src0_sel:DWORD src1_sel:WORD_1
	v_bfe_u32 v12, v7, 19, 4
	v_sub_u32_e32 v13, 29, v13
	v_and_b32_e32 v14, 7, v14
	v_cmp_eq_u16_e32 vcc, 0, v6
	v_cndmask_b32_e32 v2, v2, v14, vcc
	v_cndmask_b32_e32 v6, v12, v13, vcc
	v_lshlrev_b32_e32 v12, 8, v7
	v_mov_b32_e32 v13, 0x3b800000
	v_lshlrev_b32_e32 v2, 20, v2
	v_and_b32_e32 v12, 0x80000000, v12
	v_lshl_add_u32 v6, v6, 23, v13
	v_or3_b32 v2, v12, v6, v2
.LBB1_3252:
	s_or_b64 exec, exec, s[6:7]
	s_movk_i32 s4, 0xff
	v_and_b32_sdwa v6, v3, s4 dst_sel:DWORD dst_unused:UNUSED_PAD src0_sel:WORD_1 src1_sel:DWORD
	s_movk_i32 s4, 0x7f
	v_cmp_lt_i16_e32 vcc, s4, v6
	s_mov_b64 s[4:5], 0
                                        ; implicit-def: $sgpr10
	s_and_saveexec_b64 s[6:7], vcc
	s_xor_b64 s[6:7], exec, s[6:7]
	s_cbranch_execz .LBB1_3253
; %bb.39093:
	s_getpc_b64 s[14:15]
.Lpost_getpc5210:
	s_add_u32 s14, s14, (.LBB1_17589-.Lpost_getpc5210)&4294967295
	s_addc_u32 s15, s15, (.LBB1_17589-.Lpost_getpc5210)>>32
	s_setpc_b64 s[14:15]
.LBB1_3253:
	s_or_saveexec_b64 s[6:7], s[6:7]
	v_mov_b32_e32 v12, s10
	s_xor_b64 exec, exec, s[6:7]
	s_cbranch_execz .LBB1_3254
; %bb.39095:
	s_getpc_b64 s[14:15]
.Lpost_getpc5211:
	s_add_u32 s14, s14, (.LBB1_17592-.Lpost_getpc5211)&4294967295
	s_addc_u32 s15, s15, (.LBB1_17592-.Lpost_getpc5211)>>32
	s_setpc_b64 s[14:15]
.LBB1_3254:
	s_or_b64 exec, exec, s[6:7]
	s_and_saveexec_b64 s[6:7], s[4:5]
	s_cbranch_execz .LBB1_3256
.LBB1_3255:
	v_bfe_u32 v6, v3, 16, 3
	v_ffbh_u32_e32 v14, v6
	v_min_u32_e32 v14, 32, v14
	v_lshrrev_b32_e32 v12, 19, v3
	v_subrev_u32_e32 v15, 28, v14
	v_and_b32_e32 v12, 15, v12
	v_lshlrev_b32_sdwa v15, v15, v3 dst_sel:DWORD dst_unused:UNUSED_PAD src0_sel:DWORD src1_sel:WORD_1
	v_bfe_u32 v13, v3, 19, 4
	v_sub_u32_e32 v14, 29, v14
	v_and_b32_e32 v15, 7, v15
	v_cmp_eq_u16_e32 vcc, 0, v12
	v_cndmask_b32_e32 v6, v6, v15, vcc
	v_cndmask_b32_e32 v12, v13, v14, vcc
	v_lshlrev_b32_e32 v13, 8, v3
	v_mov_b32_e32 v14, 0x3b800000
	v_lshlrev_b32_e32 v6, 20, v6
	v_and_b32_e32 v13, 0x80000000, v13
	v_lshl_add_u32 v12, v12, 23, v14
	v_or3_b32 v12, v13, v12, v6
.LBB1_3256:
	s_or_b64 exec, exec, s[6:7]
	s_nop 0
	v_mfma_f32_16x16x4f32 a[0:3], v2, v12, a[0:3]
	s_movk_i32 s4, 0x7f
	v_cmp_gt_i16_sdwa s[6:7], v7, s4 src0_sel:BYTE_3 src1_sel:DWORD
	s_mov_b64 s[4:5], 0
                                        ; implicit-def: $sgpr10
	s_and_saveexec_b64 s[8:9], s[6:7]
	s_xor_b64 s[6:7], exec, s[8:9]
	s_cbranch_execz .LBB1_3257
; %bb.39097:
	s_getpc_b64 s[14:15]
.Lpost_getpc5212:
	s_add_u32 s14, s14, (.LBB1_17593-.Lpost_getpc5212)&4294967295
	s_addc_u32 s15, s15, (.LBB1_17593-.Lpost_getpc5212)>>32
	s_setpc_b64 s[14:15]
.LBB1_3257:
	s_or_saveexec_b64 s[6:7], s[6:7]
	v_mov_b32_e32 v2, s10
	s_xor_b64 exec, exec, s[6:7]
	s_cbranch_execz .LBB1_3258
; %bb.39099:
	s_getpc_b64 s[14:15]
.Lpost_getpc5213:
	s_add_u32 s14, s14, (.LBB1_17596-.Lpost_getpc5213)&4294967295
	s_addc_u32 s15, s15, (.LBB1_17596-.Lpost_getpc5213)>>32
	s_setpc_b64 s[14:15]
.LBB1_3258:
	s_or_b64 exec, exec, s[6:7]
	s_and_saveexec_b64 s[6:7], s[4:5]
	s_cbranch_execz .LBB1_3260
.LBB1_3259:
	v_bfe_u32 v2, v7, 24, 3
	v_ffbh_u32_e32 v14, v2
	v_min_u32_e32 v14, 32, v14
	v_lshrrev_b32_e32 v12, 27, v7
	v_subrev_u32_e32 v15, 28, v14
	v_and_b32_e32 v6, 0x80000000, v7
	v_and_b32_e32 v12, 15, v12
	v_bfe_u32 v13, v7, 27, 4
	v_lshlrev_b32_sdwa v7, v15, v7 dst_sel:DWORD dst_unused:UNUSED_PAD src0_sel:DWORD src1_sel:BYTE_3
	v_sub_u32_e32 v14, 29, v14
	v_and_b32_e32 v7, 7, v7
	v_cmp_eq_u16_e32 vcc, 0, v12
	v_cndmask_b32_e32 v2, v2, v7, vcc
	v_cndmask_b32_e32 v7, v13, v14, vcc
	v_mov_b32_e32 v12, 0x3b800000
	v_lshlrev_b32_e32 v2, 20, v2
	v_lshl_add_u32 v7, v7, 23, v12
	v_or3_b32 v2, v6, v7, v2
.LBB1_3260:
	s_or_b64 exec, exec, s[6:7]
	s_movk_i32 s4, 0x7f
	v_cmp_gt_i16_sdwa s[6:7], v3, s4 src0_sel:BYTE_3 src1_sel:DWORD
	s_mov_b64 s[4:5], 0
                                        ; implicit-def: $sgpr10
	s_and_saveexec_b64 s[8:9], s[6:7]
	s_xor_b64 s[6:7], exec, s[8:9]
	s_cbranch_execz .LBB1_3261
; %bb.39101:
	s_getpc_b64 s[14:15]
.Lpost_getpc5214:
	s_add_u32 s14, s14, (.LBB1_17597-.Lpost_getpc5214)&4294967295
	s_addc_u32 s15, s15, (.LBB1_17597-.Lpost_getpc5214)>>32
	s_setpc_b64 s[14:15]
.LBB1_3261:
	s_or_saveexec_b64 s[6:7], s[6:7]
	v_mov_b32_e32 v6, s10
	s_xor_b64 exec, exec, s[6:7]
	s_cbranch_execz .LBB1_3262
; %bb.39103:
	s_getpc_b64 s[14:15]
.Lpost_getpc5215:
	s_add_u32 s14, s14, (.LBB1_17600-.Lpost_getpc5215)&4294967295
	s_addc_u32 s15, s15, (.LBB1_17600-.Lpost_getpc5215)>>32
	s_setpc_b64 s[14:15]
.LBB1_3262:
	s_or_b64 exec, exec, s[6:7]
	s_and_saveexec_b64 s[6:7], s[4:5]
	s_cbranch_execz .LBB1_3264
.LBB1_3263:
	v_bfe_u32 v6, v3, 24, 3
	v_ffbh_u32_e32 v14, v6
	v_min_u32_e32 v14, 32, v14
	v_lshrrev_b32_e32 v12, 27, v3
	v_subrev_u32_e32 v15, 28, v14
	v_and_b32_e32 v7, 0x80000000, v3
	v_and_b32_e32 v12, 15, v12
	v_bfe_u32 v13, v3, 27, 4
	v_lshlrev_b32_sdwa v3, v15, v3 dst_sel:DWORD dst_unused:UNUSED_PAD src0_sel:DWORD src1_sel:BYTE_3
	v_sub_u32_e32 v14, 29, v14
	v_and_b32_e32 v3, 7, v3
	v_cmp_eq_u16_e32 vcc, 0, v12
	v_cndmask_b32_e32 v3, v6, v3, vcc
	v_cndmask_b32_e32 v6, v13, v14, vcc
	v_mov_b32_e32 v12, 0x3b800000
	v_lshlrev_b32_e32 v3, 20, v3
	v_lshl_add_u32 v6, v6, 23, v12
	v_or3_b32 v6, v7, v6, v3
.LBB1_3264:
	s_or_b64 exec, exec, s[6:7]
	s_nop 0
	v_mfma_f32_16x16x4f32 a[0:3], v2, v6, a[0:3]
	s_movk_i32 s4, 0x7f
	v_cmp_gt_i16_sdwa s[6:7], v8, s4 src0_sel:BYTE_0 src1_sel:DWORD
	s_mov_b64 s[4:5], 0
                                        ; implicit-def: $sgpr10
	s_and_saveexec_b64 s[8:9], s[6:7]
	s_xor_b64 s[6:7], exec, s[8:9]
	s_cbranch_execz .LBB1_3265
; %bb.39105:
	s_getpc_b64 s[14:15]
.Lpost_getpc5216:
	s_add_u32 s14, s14, (.LBB1_17601-.Lpost_getpc5216)&4294967295
	s_addc_u32 s15, s15, (.LBB1_17601-.Lpost_getpc5216)>>32
	s_setpc_b64 s[14:15]
.LBB1_3265:
	s_or_saveexec_b64 s[6:7], s[6:7]
	v_mov_b32_e32 v2, s10
	s_xor_b64 exec, exec, s[6:7]
	s_cbranch_execz .LBB1_3266
; %bb.39107:
	s_getpc_b64 s[14:15]
.Lpost_getpc5217:
	s_add_u32 s14, s14, (.LBB1_17604-.Lpost_getpc5217)&4294967295
	s_addc_u32 s15, s15, (.LBB1_17604-.Lpost_getpc5217)>>32
	s_setpc_b64 s[14:15]
.LBB1_3266:
	s_or_b64 exec, exec, s[6:7]
	s_and_saveexec_b64 s[6:7], s[4:5]
	s_cbranch_execz .LBB1_3268
.LBB1_3267:
	v_and_b32_e32 v2, 7, v8
	v_ffbh_u32_e32 v6, v2
	v_min_u32_e32 v6, 32, v6
	v_lshrrev_b16_e32 v3, 3, v8
	v_subrev_u32_e32 v7, 28, v6
	v_and_b32_e32 v3, 15, v3
	v_lshlrev_b32_e32 v7, v7, v8
	v_sub_u32_e32 v6, 29, v6
	v_and_b32_e32 v7, 7, v7
	v_cmp_eq_u16_e32 vcc, 0, v3
	v_cndmask_b32_e32 v2, v2, v7, vcc
	v_cndmask_b32_e32 v3, v3, v6, vcc
	v_lshlrev_b32_e32 v6, 24, v8
	v_mov_b32_e32 v7, 0x3b800000
	v_lshlrev_b32_e32 v2, 20, v2
	v_and_b32_e32 v6, 0x80000000, v6
	v_lshl_add_u32 v3, v3, 23, v7
	v_or3_b32 v2, v6, v3, v2
.LBB1_3268:
	s_or_b64 exec, exec, s[6:7]
	s_movk_i32 s4, 0x7f
	v_cmp_gt_i16_sdwa s[6:7], v4, s4 src0_sel:BYTE_0 src1_sel:DWORD
	s_mov_b64 s[4:5], 0
                                        ; implicit-def: $sgpr10
	s_and_saveexec_b64 s[8:9], s[6:7]
	s_xor_b64 s[6:7], exec, s[8:9]
	s_cbranch_execz .LBB1_3269
; %bb.39109:
	s_getpc_b64 s[14:15]
.Lpost_getpc5218:
	s_add_u32 s14, s14, (.LBB1_17605-.Lpost_getpc5218)&4294967295
	s_addc_u32 s15, s15, (.LBB1_17605-.Lpost_getpc5218)>>32
	s_setpc_b64 s[14:15]
.LBB1_3269:
	s_or_saveexec_b64 s[6:7], s[6:7]
	v_mov_b32_e32 v3, s10
	s_xor_b64 exec, exec, s[6:7]
	s_cbranch_execz .LBB1_3270
; %bb.39111:
	s_getpc_b64 s[14:15]
.Lpost_getpc5219:
	s_add_u32 s14, s14, (.LBB1_17608-.Lpost_getpc5219)&4294967295
	s_addc_u32 s15, s15, (.LBB1_17608-.Lpost_getpc5219)>>32
	s_setpc_b64 s[14:15]
.LBB1_3270:
	s_or_b64 exec, exec, s[6:7]
	s_and_saveexec_b64 s[6:7], s[4:5]
	s_cbranch_execz .LBB1_3272
.LBB1_3271:
	v_and_b32_e32 v3, 7, v4
	v_ffbh_u32_e32 v7, v3
	v_min_u32_e32 v7, 32, v7
	v_lshrrev_b16_e32 v6, 3, v4
	v_subrev_u32_e32 v12, 28, v7
	v_and_b32_e32 v6, 15, v6
	v_lshlrev_b32_e32 v12, v12, v4
	v_sub_u32_e32 v7, 29, v7
	v_and_b32_e32 v12, 7, v12
	v_cmp_eq_u16_e32 vcc, 0, v6
	v_cndmask_b32_e32 v3, v3, v12, vcc
	v_cndmask_b32_e32 v6, v6, v7, vcc
	v_lshlrev_b32_e32 v7, 24, v4
	v_mov_b32_e32 v12, 0x3b800000
	v_lshlrev_b32_e32 v3, 20, v3
	v_and_b32_e32 v7, 0x80000000, v7
	v_lshl_add_u32 v6, v6, 23, v12
	v_or3_b32 v3, v7, v6, v3
.LBB1_3272:
	s_or_b64 exec, exec, s[6:7]
	s_nop 0
	v_mfma_f32_16x16x4f32 a[0:3], v2, v3, a[0:3]
	v_lshrrev_b32_e32 v3, 8, v8
	s_movk_i32 s4, 0x7f
	v_cmp_gt_i16_sdwa s[6:7], v3, s4 src0_sel:BYTE_0 src1_sel:DWORD
	s_mov_b64 s[4:5], 0
                                        ; implicit-def: $sgpr10
	s_and_saveexec_b64 s[8:9], s[6:7]
	s_xor_b64 s[6:7], exec, s[8:9]
	s_cbranch_execz .LBB1_3273
; %bb.39113:
	s_getpc_b64 s[14:15]
.Lpost_getpc5220:
	s_add_u32 s14, s14, (.LBB1_17609-.Lpost_getpc5220)&4294967295
	s_addc_u32 s15, s15, (.LBB1_17609-.Lpost_getpc5220)>>32
	s_setpc_b64 s[14:15]
.LBB1_3273:
	s_or_saveexec_b64 s[6:7], s[6:7]
	v_mov_b32_e32 v2, s10
	s_xor_b64 exec, exec, s[6:7]
	s_cbranch_execz .LBB1_3274
; %bb.39115:
	s_getpc_b64 s[14:15]
.Lpost_getpc5221:
	s_add_u32 s14, s14, (.LBB1_17612-.Lpost_getpc5221)&4294967295
	s_addc_u32 s15, s15, (.LBB1_17612-.Lpost_getpc5221)>>32
	s_setpc_b64 s[14:15]
.LBB1_3274:
	s_or_b64 exec, exec, s[6:7]
	s_and_saveexec_b64 s[6:7], s[4:5]
	s_cbranch_execz .LBB1_3276
.LBB1_3275:
	v_bfe_u32 v2, v8, 8, 3
	v_ffbh_u32_e32 v7, v2
	v_min_u32_e32 v7, 32, v7
	v_lshrrev_b16_e32 v6, 3, v3
	v_subrev_u32_e32 v12, 28, v7
	v_and_b32_e32 v6, 15, v6
	v_lshlrev_b32_e32 v3, v12, v3
	v_sub_u32_e32 v7, 29, v7
	v_and_b32_e32 v3, 7, v3
	v_cmp_eq_u16_e32 vcc, 0, v6
	v_cndmask_b32_e32 v2, v2, v3, vcc
	v_cndmask_b32_e32 v3, v6, v7, vcc
	v_lshlrev_b32_e32 v6, 16, v8
	v_mov_b32_e32 v7, 0x3b800000
	v_lshlrev_b32_e32 v2, 20, v2
	v_and_b32_e32 v6, 0x80000000, v6
	v_lshl_add_u32 v3, v3, 23, v7
	v_or3_b32 v2, v6, v3, v2
.LBB1_3276:
	s_or_b64 exec, exec, s[6:7]
	v_lshrrev_b32_e32 v3, 8, v4
	s_movk_i32 s4, 0x7f
	v_cmp_gt_i16_sdwa s[6:7], v3, s4 src0_sel:BYTE_0 src1_sel:DWORD
	s_mov_b64 s[4:5], 0
                                        ; implicit-def: $sgpr10
	s_and_saveexec_b64 s[8:9], s[6:7]
	s_xor_b64 s[6:7], exec, s[8:9]
	s_cbranch_execz .LBB1_3277
; %bb.39117:
	s_getpc_b64 s[14:15]
.Lpost_getpc5222:
	s_add_u32 s14, s14, (.LBB1_17613-.Lpost_getpc5222)&4294967295
	s_addc_u32 s15, s15, (.LBB1_17613-.Lpost_getpc5222)>>32
	s_setpc_b64 s[14:15]
.LBB1_3277:
	s_or_saveexec_b64 s[6:7], s[6:7]
	v_mov_b32_e32 v6, s10
	s_xor_b64 exec, exec, s[6:7]
	s_cbranch_execz .LBB1_3278
; %bb.39119:
	s_getpc_b64 s[14:15]
.Lpost_getpc5223:
	s_add_u32 s14, s14, (.LBB1_17616-.Lpost_getpc5223)&4294967295
	s_addc_u32 s15, s15, (.LBB1_17616-.Lpost_getpc5223)>>32
	s_setpc_b64 s[14:15]
.LBB1_3278:
	s_or_b64 exec, exec, s[6:7]
	s_and_saveexec_b64 s[6:7], s[4:5]
	s_cbranch_execz .LBB1_3280
.LBB1_3279:
	v_bfe_u32 v6, v4, 8, 3
	v_ffbh_u32_e32 v12, v6
	v_min_u32_e32 v12, 32, v12
	v_lshrrev_b16_e32 v7, 3, v3
	v_subrev_u32_e32 v13, 28, v12
	v_and_b32_e32 v7, 15, v7
	v_lshlrev_b32_e32 v3, v13, v3
	v_sub_u32_e32 v12, 29, v12
	v_and_b32_e32 v3, 7, v3
	v_cmp_eq_u16_e32 vcc, 0, v7
	v_cndmask_b32_e32 v3, v6, v3, vcc
	v_cndmask_b32_e32 v6, v7, v12, vcc
	v_lshlrev_b32_e32 v7, 16, v4
	v_mov_b32_e32 v12, 0x3b800000
	v_lshlrev_b32_e32 v3, 20, v3
	v_and_b32_e32 v7, 0x80000000, v7
	v_lshl_add_u32 v6, v6, 23, v12
	v_or3_b32 v6, v7, v6, v3
.LBB1_3280:
	s_or_b64 exec, exec, s[6:7]
	s_nop 0
	v_mfma_f32_16x16x4f32 a[0:3], v2, v6, a[0:3]
	s_movk_i32 s4, 0xff
	v_and_b32_sdwa v3, v8, s4 dst_sel:DWORD dst_unused:UNUSED_PAD src0_sel:WORD_1 src1_sel:DWORD
	s_movk_i32 s4, 0x7f
	v_cmp_lt_i16_e32 vcc, s4, v3
	s_mov_b64 s[4:5], 0
                                        ; implicit-def: $sgpr10
	s_and_saveexec_b64 s[6:7], vcc
	s_xor_b64 s[6:7], exec, s[6:7]
	s_cbranch_execz .LBB1_3281
; %bb.39121:
	s_getpc_b64 s[14:15]
.Lpost_getpc5224:
	s_add_u32 s14, s14, (.LBB1_17617-.Lpost_getpc5224)&4294967295
	s_addc_u32 s15, s15, (.LBB1_17617-.Lpost_getpc5224)>>32
	s_setpc_b64 s[14:15]
.LBB1_3281:
	s_or_saveexec_b64 s[6:7], s[6:7]
	v_mov_b32_e32 v2, s10
	s_xor_b64 exec, exec, s[6:7]
	s_cbranch_execz .LBB1_3282
; %bb.39123:
	s_getpc_b64 s[14:15]
.Lpost_getpc5225:
	s_add_u32 s14, s14, (.LBB1_17620-.Lpost_getpc5225)&4294967295
	s_addc_u32 s15, s15, (.LBB1_17620-.Lpost_getpc5225)>>32
	s_setpc_b64 s[14:15]
.LBB1_3282:
	s_or_b64 exec, exec, s[6:7]
	s_and_saveexec_b64 s[6:7], s[4:5]
	s_cbranch_execz .LBB1_3284
.LBB1_3283:
	v_bfe_u32 v2, v8, 16, 3
	v_ffbh_u32_e32 v7, v2
	v_min_u32_e32 v7, 32, v7
	v_lshrrev_b32_e32 v3, 19, v8
	v_subrev_u32_e32 v12, 28, v7
	v_and_b32_e32 v3, 15, v3
	v_lshlrev_b32_sdwa v12, v12, v8 dst_sel:DWORD dst_unused:UNUSED_PAD src0_sel:DWORD src1_sel:WORD_1
	v_bfe_u32 v6, v8, 19, 4
	v_sub_u32_e32 v7, 29, v7
	v_and_b32_e32 v12, 7, v12
	v_cmp_eq_u16_e32 vcc, 0, v3
	v_cndmask_b32_e32 v2, v2, v12, vcc
	v_cndmask_b32_e32 v3, v6, v7, vcc
	v_lshlrev_b32_e32 v6, 8, v8
	v_mov_b32_e32 v7, 0x3b800000
	v_lshlrev_b32_e32 v2, 20, v2
	v_and_b32_e32 v6, 0x80000000, v6
	v_lshl_add_u32 v3, v3, 23, v7
	v_or3_b32 v2, v6, v3, v2
.LBB1_3284:
	s_or_b64 exec, exec, s[6:7]
	s_movk_i32 s4, 0xff
	v_and_b32_sdwa v3, v4, s4 dst_sel:DWORD dst_unused:UNUSED_PAD src0_sel:WORD_1 src1_sel:DWORD
	s_movk_i32 s4, 0x7f
	v_cmp_lt_i16_e32 vcc, s4, v3
	s_mov_b64 s[4:5], 0
                                        ; implicit-def: $sgpr10
	s_and_saveexec_b64 s[6:7], vcc
	s_xor_b64 s[6:7], exec, s[6:7]
	s_cbranch_execz .LBB1_3285
; %bb.39125:
	s_getpc_b64 s[14:15]
.Lpost_getpc5226:
	s_add_u32 s14, s14, (.LBB1_17621-.Lpost_getpc5226)&4294967295
	s_addc_u32 s15, s15, (.LBB1_17621-.Lpost_getpc5226)>>32
	s_setpc_b64 s[14:15]
.LBB1_3285:
	s_or_saveexec_b64 s[6:7], s[6:7]
	v_mov_b32_e32 v6, s10
	s_xor_b64 exec, exec, s[6:7]
	s_cbranch_execz .LBB1_3286
; %bb.39127:
	s_getpc_b64 s[14:15]
.Lpost_getpc5227:
	s_add_u32 s14, s14, (.LBB1_17624-.Lpost_getpc5227)&4294967295
	s_addc_u32 s15, s15, (.LBB1_17624-.Lpost_getpc5227)>>32
	s_setpc_b64 s[14:15]
.LBB1_3286:
	s_or_b64 exec, exec, s[6:7]
	s_and_saveexec_b64 s[6:7], s[4:5]
	s_cbranch_execz .LBB1_3288
.LBB1_3287:
	v_bfe_u32 v3, v4, 16, 3
	v_ffbh_u32_e32 v12, v3
	v_min_u32_e32 v12, 32, v12
	v_lshrrev_b32_e32 v6, 19, v4
	v_subrev_u32_e32 v13, 28, v12
	v_and_b32_e32 v6, 15, v6
	v_lshlrev_b32_sdwa v13, v13, v4 dst_sel:DWORD dst_unused:UNUSED_PAD src0_sel:DWORD src1_sel:WORD_1
	v_bfe_u32 v7, v4, 19, 4
	v_sub_u32_e32 v12, 29, v12
	v_and_b32_e32 v13, 7, v13
	v_cmp_eq_u16_e32 vcc, 0, v6
	v_cndmask_b32_e32 v3, v3, v13, vcc
	v_cndmask_b32_e32 v6, v7, v12, vcc
	v_lshlrev_b32_e32 v7, 8, v4
	v_mov_b32_e32 v12, 0x3b800000
	v_lshlrev_b32_e32 v3, 20, v3
	v_and_b32_e32 v7, 0x80000000, v7
	v_lshl_add_u32 v6, v6, 23, v12
	v_or3_b32 v6, v7, v6, v3
.LBB1_3288:
	s_or_b64 exec, exec, s[6:7]
	s_nop 0
	v_mfma_f32_16x16x4f32 a[0:3], v2, v6, a[0:3]
	s_movk_i32 s4, 0x7f
	v_cmp_gt_i16_sdwa s[6:7], v8, s4 src0_sel:BYTE_3 src1_sel:DWORD
	s_mov_b64 s[4:5], 0
                                        ; implicit-def: $sgpr10
	s_and_saveexec_b64 s[8:9], s[6:7]
	s_xor_b64 s[6:7], exec, s[8:9]
	s_cbranch_execz .LBB1_3289
; %bb.39129:
	s_getpc_b64 s[14:15]
.Lpost_getpc5228:
	s_add_u32 s14, s14, (.LBB1_17625-.Lpost_getpc5228)&4294967295
	s_addc_u32 s15, s15, (.LBB1_17625-.Lpost_getpc5228)>>32
	s_setpc_b64 s[14:15]
.LBB1_3289:
	s_or_saveexec_b64 s[6:7], s[6:7]
	v_mov_b32_e32 v2, s10
	s_xor_b64 exec, exec, s[6:7]
	s_cbranch_execz .LBB1_3290
; %bb.39131:
	s_getpc_b64 s[14:15]
.Lpost_getpc5229:
	s_add_u32 s14, s14, (.LBB1_17628-.Lpost_getpc5229)&4294967295
	s_addc_u32 s15, s15, (.LBB1_17628-.Lpost_getpc5229)>>32
	s_setpc_b64 s[14:15]
.LBB1_3290:
	s_or_b64 exec, exec, s[6:7]
	s_and_saveexec_b64 s[6:7], s[4:5]
	s_cbranch_execz .LBB1_3292
.LBB1_3291:
	v_bfe_u32 v2, v8, 24, 3
	v_ffbh_u32_e32 v12, v2
	v_min_u32_e32 v12, 32, v12
	v_lshrrev_b32_e32 v6, 27, v8
	v_subrev_u32_e32 v13, 28, v12
	v_and_b32_e32 v3, 0x80000000, v8
	v_and_b32_e32 v6, 15, v6
	v_bfe_u32 v7, v8, 27, 4
	v_lshlrev_b32_sdwa v8, v13, v8 dst_sel:DWORD dst_unused:UNUSED_PAD src0_sel:DWORD src1_sel:BYTE_3
	v_sub_u32_e32 v12, 29, v12
	v_and_b32_e32 v8, 7, v8
	v_cmp_eq_u16_e32 vcc, 0, v6
	v_cndmask_b32_e32 v2, v2, v8, vcc
	v_cndmask_b32_e32 v6, v7, v12, vcc
	v_mov_b32_e32 v7, 0x3b800000
	v_lshlrev_b32_e32 v2, 20, v2
	v_lshl_add_u32 v6, v6, 23, v7
	v_or3_b32 v2, v3, v6, v2
.LBB1_3292:
	s_or_b64 exec, exec, s[6:7]
	s_movk_i32 s4, 0x7f
	v_cmp_gt_i16_sdwa s[6:7], v4, s4 src0_sel:BYTE_3 src1_sel:DWORD
	s_mov_b64 s[4:5], 0
                                        ; implicit-def: $sgpr10
	s_and_saveexec_b64 s[8:9], s[6:7]
	s_xor_b64 s[6:7], exec, s[8:9]
	s_cbranch_execz .LBB1_3293
; %bb.39133:
	s_getpc_b64 s[14:15]
.Lpost_getpc5230:
	s_add_u32 s14, s14, (.LBB1_17629-.Lpost_getpc5230)&4294967295
	s_addc_u32 s15, s15, (.LBB1_17629-.Lpost_getpc5230)>>32
	s_setpc_b64 s[14:15]
.LBB1_3293:
	s_or_saveexec_b64 s[6:7], s[6:7]
	v_mov_b32_e32 v3, s10
	s_xor_b64 exec, exec, s[6:7]
	s_cbranch_execz .LBB1_3294
; %bb.39135:
	s_getpc_b64 s[14:15]
.Lpost_getpc5231:
	s_add_u32 s14, s14, (.LBB1_17632-.Lpost_getpc5231)&4294967295
	s_addc_u32 s15, s15, (.LBB1_17632-.Lpost_getpc5231)>>32
	s_setpc_b64 s[14:15]
.LBB1_3294:
	s_or_b64 exec, exec, s[6:7]
	s_and_saveexec_b64 s[6:7], s[4:5]
	s_cbranch_execz .LBB1_3296
.LBB1_3295:
	v_bfe_u32 v3, v4, 24, 3
	v_ffbh_u32_e32 v12, v3
	v_min_u32_e32 v12, 32, v12
	v_lshrrev_b32_e32 v7, 27, v4
	v_subrev_u32_e32 v13, 28, v12
	v_and_b32_e32 v6, 0x80000000, v4
	v_and_b32_e32 v7, 15, v7
	v_bfe_u32 v8, v4, 27, 4
	v_lshlrev_b32_sdwa v4, v13, v4 dst_sel:DWORD dst_unused:UNUSED_PAD src0_sel:DWORD src1_sel:BYTE_3
	v_sub_u32_e32 v12, 29, v12
	v_and_b32_e32 v4, 7, v4
	v_cmp_eq_u16_e32 vcc, 0, v7
	v_cndmask_b32_e32 v3, v3, v4, vcc
	v_cndmask_b32_e32 v4, v8, v12, vcc
	v_mov_b32_e32 v7, 0x3b800000
	v_lshlrev_b32_e32 v3, 20, v3
	v_lshl_add_u32 v4, v4, 23, v7
	v_or3_b32 v3, v6, v4, v3
.LBB1_3296:
	s_or_b64 exec, exec, s[6:7]
	s_nop 0
	v_mfma_f32_16x16x4f32 a[0:3], v2, v3, a[0:3]
	s_movk_i32 s4, 0x7f
	v_cmp_gt_i16_sdwa s[6:7], v9, s4 src0_sel:BYTE_0 src1_sel:DWORD
	s_mov_b64 s[4:5], 0
                                        ; implicit-def: $sgpr10
	s_and_saveexec_b64 s[8:9], s[6:7]
	s_xor_b64 s[6:7], exec, s[8:9]
	s_cbranch_execz .LBB1_3297
; %bb.39137:
	s_getpc_b64 s[14:15]
.Lpost_getpc5232:
	s_add_u32 s14, s14, (.LBB1_17633-.Lpost_getpc5232)&4294967295
	s_addc_u32 s15, s15, (.LBB1_17633-.Lpost_getpc5232)>>32
	s_setpc_b64 s[14:15]
.LBB1_3297:
	s_or_saveexec_b64 s[6:7], s[6:7]
	v_mov_b32_e32 v2, s10
	s_xor_b64 exec, exec, s[6:7]
	s_cbranch_execz .LBB1_3298
; %bb.39139:
	s_getpc_b64 s[14:15]
.Lpost_getpc5233:
	s_add_u32 s14, s14, (.LBB1_17636-.Lpost_getpc5233)&4294967295
	s_addc_u32 s15, s15, (.LBB1_17636-.Lpost_getpc5233)>>32
	s_setpc_b64 s[14:15]
.LBB1_3298:
	s_or_b64 exec, exec, s[6:7]
	s_and_saveexec_b64 s[6:7], s[4:5]
	s_cbranch_execz .LBB1_3300
.LBB1_3299:
	v_mov_b32_e32 v2, 8
	v_and_b32_e32 v3, 7, v9
	v_lshrrev_b32_sdwa v2, v2, v9 dst_sel:BYTE_1 dst_unused:UNUSED_PAD src0_sel:DWORD src1_sel:DWORD
	v_ffbh_u32_e32 v4, v3
	v_or_b32_sdwa v2, v9, v2 dst_sel:DWORD dst_unused:UNUSED_PAD src0_sel:BYTE_0 src1_sel:DWORD
	v_min_u32_e32 v4, 32, v4
	v_lshrrev_b16_e32 v2, 3, v2
	v_subrev_u32_e32 v6, 28, v4
	v_and_b32_e32 v2, 15, v2
	v_lshlrev_b32_e32 v6, v6, v9
	v_sub_u32_e32 v4, 29, v4
	v_and_b32_e32 v6, 7, v6
	v_cmp_eq_u16_e32 vcc, 0, v2
	v_cndmask_b32_e32 v3, v3, v6, vcc
	v_cndmask_b32_e32 v2, v2, v4, vcc
	v_lshlrev_b32_e32 v4, 24, v9
	v_mov_b32_e32 v6, 0x3b800000
	v_lshlrev_b32_e32 v3, 20, v3
	v_and_b32_e32 v4, 0x80000000, v4
	v_lshl_add_u32 v2, v2, 23, v6
	v_or3_b32 v2, v4, v2, v3
.LBB1_3300:
	s_or_b64 exec, exec, s[6:7]
	s_movk_i32 s4, 0x7f
	v_cmp_gt_i16_sdwa s[6:7], v5, s4 src0_sel:BYTE_0 src1_sel:DWORD
	s_mov_b64 s[4:5], 0
                                        ; implicit-def: $sgpr10
	s_and_saveexec_b64 s[8:9], s[6:7]
	s_xor_b64 s[6:7], exec, s[8:9]
	s_cbranch_execz .LBB1_3301
; %bb.39141:
	s_getpc_b64 s[14:15]
.Lpost_getpc5234:
	s_add_u32 s14, s14, (.LBB1_17637-.Lpost_getpc5234)&4294967295
	s_addc_u32 s15, s15, (.LBB1_17637-.Lpost_getpc5234)>>32
	s_setpc_b64 s[14:15]
.LBB1_3301:
	s_or_saveexec_b64 s[6:7], s[6:7]
	v_mov_b32_e32 v3, s10
	s_xor_b64 exec, exec, s[6:7]
	s_cbranch_execz .LBB1_3302
; %bb.39143:
	s_getpc_b64 s[14:15]
.Lpost_getpc5235:
	s_add_u32 s14, s14, (.LBB1_17640-.Lpost_getpc5235)&4294967295
	s_addc_u32 s15, s15, (.LBB1_17640-.Lpost_getpc5235)>>32
	s_setpc_b64 s[14:15]
.LBB1_3302:
	s_or_b64 exec, exec, s[6:7]
	s_and_saveexec_b64 s[6:7], s[4:5]
	s_cbranch_execz .LBB1_3304
.LBB1_3303:
	v_mov_b32_e32 v3, 8
	v_and_b32_e32 v4, 7, v5
	v_lshrrev_b32_sdwa v3, v3, v5 dst_sel:BYTE_1 dst_unused:UNUSED_PAD src0_sel:DWORD src1_sel:DWORD
	v_ffbh_u32_e32 v6, v4
	v_or_b32_sdwa v3, v5, v3 dst_sel:DWORD dst_unused:UNUSED_PAD src0_sel:BYTE_0 src1_sel:DWORD
	v_min_u32_e32 v6, 32, v6
	v_lshrrev_b16_e32 v3, 3, v3
	v_subrev_u32_e32 v7, 28, v6
	v_and_b32_e32 v3, 15, v3
	v_lshlrev_b32_e32 v7, v7, v5
	v_sub_u32_e32 v6, 29, v6
	v_and_b32_e32 v7, 7, v7
	v_cmp_eq_u16_e32 vcc, 0, v3
	v_cndmask_b32_e32 v4, v4, v7, vcc
	v_cndmask_b32_e32 v3, v3, v6, vcc
	v_lshlrev_b32_e32 v6, 24, v5
	v_mov_b32_e32 v7, 0x3b800000
	v_lshlrev_b32_e32 v4, 20, v4
	v_and_b32_e32 v6, 0x80000000, v6
	v_lshl_add_u32 v3, v3, 23, v7
	v_or3_b32 v3, v6, v3, v4
.LBB1_3304:
	s_or_b64 exec, exec, s[6:7]
	s_nop 0
	v_mfma_f32_16x16x4f32 a[0:3], v2, v3, a[0:3]
	v_lshrrev_b32_e32 v3, 8, v9
	s_movk_i32 s4, 0x7f
	v_cmp_gt_i16_sdwa s[6:7], v3, s4 src0_sel:BYTE_0 src1_sel:DWORD
	s_mov_b64 s[4:5], 0
                                        ; implicit-def: $sgpr10
	s_and_saveexec_b64 s[8:9], s[6:7]
	s_xor_b64 s[6:7], exec, s[8:9]
	s_cbranch_execz .LBB1_3305
; %bb.39145:
	s_getpc_b64 s[14:15]
.Lpost_getpc5236:
	s_add_u32 s14, s14, (.LBB1_17641-.Lpost_getpc5236)&4294967295
	s_addc_u32 s15, s15, (.LBB1_17641-.Lpost_getpc5236)>>32
	s_setpc_b64 s[14:15]
.LBB1_3305:
	s_or_saveexec_b64 s[6:7], s[6:7]
	v_mov_b32_e32 v2, s10
	s_xor_b64 exec, exec, s[6:7]
	s_cbranch_execz .LBB1_3306
; %bb.39147:
	s_getpc_b64 s[14:15]
.Lpost_getpc5237:
	s_add_u32 s14, s14, (.LBB1_17644-.Lpost_getpc5237)&4294967295
	s_addc_u32 s15, s15, (.LBB1_17644-.Lpost_getpc5237)>>32
	s_setpc_b64 s[14:15]
.LBB1_3306:
	s_or_b64 exec, exec, s[6:7]
	s_and_saveexec_b64 s[6:7], s[4:5]
	s_cbranch_execz .LBB1_3308
.LBB1_3307:
	v_bfe_u32 v2, v9, 8, 3
	v_ffbh_u32_e32 v6, v2
	v_min_u32_e32 v6, 32, v6
	v_lshrrev_b16_e32 v4, 3, v3
	v_subrev_u32_e32 v7, 28, v6
	v_and_b32_e32 v4, 15, v4
	v_lshlrev_b32_e32 v3, v7, v3
	v_sub_u32_e32 v6, 29, v6
	v_and_b32_e32 v3, 7, v3
	v_cmp_eq_u16_e32 vcc, 0, v4
	v_cndmask_b32_e32 v2, v2, v3, vcc
	v_cndmask_b32_e32 v3, v4, v6, vcc
	v_lshlrev_b32_e32 v4, 16, v9
	v_mov_b32_e32 v6, 0x3b800000
	v_lshlrev_b32_e32 v2, 20, v2
	v_and_b32_e32 v4, 0x80000000, v4
	v_lshl_add_u32 v3, v3, 23, v6
	v_or3_b32 v2, v4, v3, v2
.LBB1_3308:
	s_or_b64 exec, exec, s[6:7]
	v_lshrrev_b32_e32 v3, 8, v5
	s_movk_i32 s4, 0x7f
	v_cmp_gt_i16_sdwa s[6:7], v3, s4 src0_sel:BYTE_0 src1_sel:DWORD
	s_mov_b64 s[4:5], 0
                                        ; implicit-def: $sgpr10
	s_and_saveexec_b64 s[8:9], s[6:7]
	s_xor_b64 s[6:7], exec, s[8:9]
	s_cbranch_execz .LBB1_3309
; %bb.39149:
	s_getpc_b64 s[14:15]
.Lpost_getpc5238:
	s_add_u32 s14, s14, (.LBB1_17645-.Lpost_getpc5238)&4294967295
	s_addc_u32 s15, s15, (.LBB1_17645-.Lpost_getpc5238)>>32
	s_setpc_b64 s[14:15]
.LBB1_3309:
	s_or_saveexec_b64 s[6:7], s[6:7]
	v_mov_b32_e32 v4, s10
	s_xor_b64 exec, exec, s[6:7]
	s_cbranch_execz .LBB1_3310
; %bb.39151:
	s_getpc_b64 s[14:15]
.Lpost_getpc5239:
	s_add_u32 s14, s14, (.LBB1_17648-.Lpost_getpc5239)&4294967295
	s_addc_u32 s15, s15, (.LBB1_17648-.Lpost_getpc5239)>>32
	s_setpc_b64 s[14:15]
.LBB1_3310:
	s_or_b64 exec, exec, s[6:7]
	s_and_saveexec_b64 s[6:7], s[4:5]
	s_cbranch_execz .LBB1_3312
.LBB1_3311:
	v_bfe_u32 v4, v5, 8, 3
	v_ffbh_u32_e32 v7, v4
	v_min_u32_e32 v7, 32, v7
	v_lshrrev_b16_e32 v6, 3, v3
	v_subrev_u32_e32 v8, 28, v7
	v_and_b32_e32 v6, 15, v6
	v_lshlrev_b32_e32 v3, v8, v3
	v_sub_u32_e32 v7, 29, v7
	v_and_b32_e32 v3, 7, v3
	v_cmp_eq_u16_e32 vcc, 0, v6
	v_cndmask_b32_e32 v3, v4, v3, vcc
	v_cndmask_b32_e32 v4, v6, v7, vcc
	v_lshlrev_b32_e32 v6, 16, v5
	v_mov_b32_e32 v7, 0x3b800000
	v_lshlrev_b32_e32 v3, 20, v3
	v_and_b32_e32 v6, 0x80000000, v6
	v_lshl_add_u32 v4, v4, 23, v7
	v_or3_b32 v4, v6, v4, v3
.LBB1_3312:
	s_or_b64 exec, exec, s[6:7]
	s_nop 0
	v_mfma_f32_16x16x4f32 a[0:3], v2, v4, a[0:3]
	s_movk_i32 s4, 0xff
	v_and_b32_sdwa v3, v9, s4 dst_sel:DWORD dst_unused:UNUSED_PAD src0_sel:WORD_1 src1_sel:DWORD
	s_movk_i32 s4, 0x7f
	v_cmp_lt_i16_e32 vcc, s4, v3
	s_mov_b64 s[4:5], 0
                                        ; implicit-def: $sgpr10
	s_and_saveexec_b64 s[6:7], vcc
	s_xor_b64 s[6:7], exec, s[6:7]
	s_cbranch_execz .LBB1_3313
; %bb.39153:
	s_getpc_b64 s[14:15]
.Lpost_getpc5240:
	s_add_u32 s14, s14, (.LBB1_17649-.Lpost_getpc5240)&4294967295
	s_addc_u32 s15, s15, (.LBB1_17649-.Lpost_getpc5240)>>32
	s_setpc_b64 s[14:15]
.LBB1_3313:
	s_or_saveexec_b64 s[6:7], s[6:7]
	v_mov_b32_e32 v2, s10
	s_xor_b64 exec, exec, s[6:7]
	s_cbranch_execz .LBB1_3314
; %bb.39155:
	s_getpc_b64 s[14:15]
.Lpost_getpc5241:
	s_add_u32 s14, s14, (.LBB1_17652-.Lpost_getpc5241)&4294967295
	s_addc_u32 s15, s15, (.LBB1_17652-.Lpost_getpc5241)>>32
	s_setpc_b64 s[14:15]
.LBB1_3314:
	s_or_b64 exec, exec, s[6:7]
	s_and_saveexec_b64 s[6:7], s[4:5]
	s_cbranch_execz .LBB1_3316
.LBB1_3315:
	v_bfe_u32 v2, v9, 16, 3
	v_ffbh_u32_e32 v6, v2
	v_min_u32_e32 v6, 32, v6
	v_lshrrev_b32_e32 v3, 19, v9
	v_subrev_u32_e32 v7, 28, v6
	v_and_b32_e32 v3, 15, v3
	v_lshlrev_b32_sdwa v7, v7, v9 dst_sel:DWORD dst_unused:UNUSED_PAD src0_sel:DWORD src1_sel:WORD_1
	v_bfe_u32 v4, v9, 19, 4
	v_sub_u32_e32 v6, 29, v6
	v_and_b32_e32 v7, 7, v7
	v_cmp_eq_u16_e32 vcc, 0, v3
	v_cndmask_b32_e32 v2, v2, v7, vcc
	v_cndmask_b32_e32 v3, v4, v6, vcc
	v_lshlrev_b32_e32 v4, 8, v9
	v_mov_b32_e32 v6, 0x3b800000
	v_lshlrev_b32_e32 v2, 20, v2
	v_and_b32_e32 v4, 0x80000000, v4
	v_lshl_add_u32 v3, v3, 23, v6
	v_or3_b32 v2, v4, v3, v2
.LBB1_3316:
	s_or_b64 exec, exec, s[6:7]
	s_movk_i32 s4, 0xff
	v_and_b32_sdwa v3, v5, s4 dst_sel:DWORD dst_unused:UNUSED_PAD src0_sel:WORD_1 src1_sel:DWORD
	s_movk_i32 s4, 0x7f
	v_cmp_lt_i16_e32 vcc, s4, v3
	s_mov_b64 s[4:5], 0
                                        ; implicit-def: $sgpr10
	s_and_saveexec_b64 s[6:7], vcc
	s_xor_b64 s[6:7], exec, s[6:7]
	s_cbranch_execz .LBB1_3317
; %bb.39157:
	s_getpc_b64 s[14:15]
.Lpost_getpc5242:
	s_add_u32 s14, s14, (.LBB1_17653-.Lpost_getpc5242)&4294967295
	s_addc_u32 s15, s15, (.LBB1_17653-.Lpost_getpc5242)>>32
	s_setpc_b64 s[14:15]
.LBB1_3317:
	s_or_saveexec_b64 s[6:7], s[6:7]
	v_mov_b32_e32 v4, s10
	s_xor_b64 exec, exec, s[6:7]
	s_cbranch_execz .LBB1_3318
; %bb.39159:
	s_getpc_b64 s[14:15]
.Lpost_getpc5243:
	s_add_u32 s14, s14, (.LBB1_17656-.Lpost_getpc5243)&4294967295
	s_addc_u32 s15, s15, (.LBB1_17656-.Lpost_getpc5243)>>32
	s_setpc_b64 s[14:15]
.LBB1_3318:
	s_or_b64 exec, exec, s[6:7]
	s_and_saveexec_b64 s[6:7], s[4:5]
	s_cbranch_execz .LBB1_3320
.LBB1_3319:
	v_bfe_u32 v3, v5, 16, 3
	v_ffbh_u32_e32 v7, v3
	v_min_u32_e32 v7, 32, v7
	v_lshrrev_b32_e32 v4, 19, v5
	v_subrev_u32_e32 v8, 28, v7
	v_and_b32_e32 v4, 15, v4
	v_lshlrev_b32_sdwa v8, v8, v5 dst_sel:DWORD dst_unused:UNUSED_PAD src0_sel:DWORD src1_sel:WORD_1
	v_bfe_u32 v6, v5, 19, 4
	v_sub_u32_e32 v7, 29, v7
	v_and_b32_e32 v8, 7, v8
	v_cmp_eq_u16_e32 vcc, 0, v4
	v_cndmask_b32_e32 v3, v3, v8, vcc
	v_cndmask_b32_e32 v4, v6, v7, vcc
	v_lshlrev_b32_e32 v6, 8, v5
	v_mov_b32_e32 v7, 0x3b800000
	v_lshlrev_b32_e32 v3, 20, v3
	v_and_b32_e32 v6, 0x80000000, v6
	v_lshl_add_u32 v4, v4, 23, v7
	v_or3_b32 v4, v6, v4, v3
.LBB1_3320:
	s_or_b64 exec, exec, s[6:7]
	s_nop 0
	v_mfma_f32_16x16x4f32 a[0:3], v2, v4, a[0:3]
	s_movk_i32 s4, 0x7f
	v_cmp_gt_i16_sdwa s[6:7], v9, s4 src0_sel:BYTE_3 src1_sel:DWORD
	s_mov_b64 s[4:5], 0
                                        ; implicit-def: $sgpr10
	s_and_saveexec_b64 s[8:9], s[6:7]
	s_xor_b64 s[6:7], exec, s[8:9]
	s_cbranch_execz .LBB1_3321
; %bb.39161:
	s_getpc_b64 s[14:15]
.Lpost_getpc5244:
	s_add_u32 s14, s14, (.LBB1_17657-.Lpost_getpc5244)&4294967295
	s_addc_u32 s15, s15, (.LBB1_17657-.Lpost_getpc5244)>>32
	s_setpc_b64 s[14:15]
.LBB1_3321:
	s_or_saveexec_b64 s[6:7], s[6:7]
	v_mov_b32_e32 v2, s10
	s_xor_b64 exec, exec, s[6:7]
	s_cbranch_execz .LBB1_3322
; %bb.39163:
	s_getpc_b64 s[14:15]
.Lpost_getpc5245:
	s_add_u32 s14, s14, (.LBB1_17660-.Lpost_getpc5245)&4294967295
	s_addc_u32 s15, s15, (.LBB1_17660-.Lpost_getpc5245)>>32
	s_setpc_b64 s[14:15]
.LBB1_3322:
	s_or_b64 exec, exec, s[6:7]
	s_and_saveexec_b64 s[6:7], s[4:5]
	s_cbranch_execz .LBB1_3324
.LBB1_3323:
	v_bfe_u32 v2, v9, 24, 3
	v_ffbh_u32_e32 v7, v2
	v_min_u32_e32 v7, 32, v7
	v_lshrrev_b32_e32 v4, 27, v9
	v_subrev_u32_e32 v8, 28, v7
	v_and_b32_e32 v4, 15, v4
	v_lshlrev_b32_sdwa v8, v8, v9 dst_sel:DWORD dst_unused:UNUSED_PAD src0_sel:DWORD src1_sel:BYTE_3
	v_bfe_u32 v6, v9, 27, 4
	v_sub_u32_e32 v7, 29, v7
	v_and_b32_e32 v8, 7, v8
	v_cmp_eq_u16_e32 vcc, 0, v4
	v_cndmask_b32_e32 v2, v2, v8, vcc
	v_cndmask_b32_e32 v4, v6, v7, vcc
	v_mov_b32_e32 v6, 0x3b800000
	v_and_b32_e32 v3, 0x80000000, v9
	v_lshlrev_b32_e32 v2, 20, v2
	v_lshl_add_u32 v4, v4, 23, v6
	v_or3_b32 v2, v3, v4, v2
.LBB1_3324:
	s_or_b64 exec, exec, s[6:7]
	s_movk_i32 s4, 0x7f
	v_cmp_gt_i16_sdwa s[6:7], v5, s4 src0_sel:BYTE_3 src1_sel:DWORD
	s_mov_b64 s[4:5], 0
                                        ; implicit-def: $sgpr10
	s_and_saveexec_b64 s[8:9], s[6:7]
	s_xor_b64 s[6:7], exec, s[8:9]
	s_cbranch_execz .LBB1_3325
; %bb.39165:
	s_getpc_b64 s[14:15]
.Lpost_getpc5246:
	s_add_u32 s14, s14, (.LBB1_17661-.Lpost_getpc5246)&4294967295
	s_addc_u32 s15, s15, (.LBB1_17661-.Lpost_getpc5246)>>32
	s_setpc_b64 s[14:15]
.LBB1_3325:
	s_or_saveexec_b64 s[6:7], s[6:7]
	v_mov_b32_e32 v3, s10
	s_xor_b64 exec, exec, s[6:7]
	s_cbranch_execz .LBB1_3326
; %bb.39167:
	s_getpc_b64 s[14:15]
.Lpost_getpc5247:
	s_add_u32 s14, s14, (.LBB1_17664-.Lpost_getpc5247)&4294967295
	s_addc_u32 s15, s15, (.LBB1_17664-.Lpost_getpc5247)>>32
	s_setpc_b64 s[14:15]
.LBB1_3326:
	s_or_b64 exec, exec, s[6:7]
	s_and_saveexec_b64 s[6:7], s[4:5]
	s_cbranch_execz .LBB1_3328
.LBB1_3327:
	v_bfe_u32 v3, v5, 24, 3
	v_ffbh_u32_e32 v8, v3
	v_min_u32_e32 v8, 32, v8
	v_lshrrev_b32_e32 v6, 27, v5
	v_subrev_u32_e32 v9, 28, v8
	v_and_b32_e32 v4, 0x80000000, v5
	v_and_b32_e32 v6, 15, v6
	v_bfe_u32 v7, v5, 27, 4
	v_lshlrev_b32_sdwa v5, v9, v5 dst_sel:DWORD dst_unused:UNUSED_PAD src0_sel:DWORD src1_sel:BYTE_3
	v_sub_u32_e32 v8, 29, v8
	v_and_b32_e32 v5, 7, v5
	v_cmp_eq_u16_e32 vcc, 0, v6
	v_cndmask_b32_e32 v3, v3, v5, vcc
	v_cndmask_b32_e32 v5, v7, v8, vcc
	v_mov_b32_e32 v6, 0x3b800000
	v_lshlrev_b32_e32 v3, 20, v3
	v_lshl_add_u32 v5, v5, 23, v6
	v_or3_b32 v3, v4, v5, v3
.LBB1_3328:
	s_or_b64 exec, exec, s[6:7]
	s_nop 0
	v_mfma_f32_16x16x4f32 a[0:3], v2, v3, a[0:3]
	s_movk_i32 s4, 0x7f
                                        ; implicit-def: $sgpr10
	s_nop 7
	s_nop 1
	flat_store_dwordx4 v[10:11], a[0:3] offset:400
	flat_load_dwordx4 v[12:15], v[0:1]
	s_nop 0
	flat_load_dwordx2 v[10:11], v[0:1] offset:16
	s_waitcnt vmcnt(0) lgkmcnt(0)
	flat_load_dwordx4 v[6:9], v[12:13] offset:48
	flat_load_dwordx4 v[2:5], v[14:15] offset:32
	s_waitcnt vmcnt(0) lgkmcnt(0)
	v_cmp_gt_i16_sdwa s[6:7], v6, s4 src0_sel:BYTE_0 src1_sel:DWORD
	s_mov_b64 s[4:5], 0
	s_and_saveexec_b64 s[8:9], s[6:7]
	s_xor_b64 s[6:7], exec, s[8:9]
	s_cbranch_execz .LBB1_3329
; %bb.39169:
	s_getpc_b64 s[14:15]
.Lpost_getpc5248:
	s_add_u32 s14, s14, (.LBB1_17665-.Lpost_getpc5248)&4294967295
	s_addc_u32 s15, s15, (.LBB1_17665-.Lpost_getpc5248)>>32
	s_setpc_b64 s[14:15]
.LBB1_3329:
	s_or_saveexec_b64 s[6:7], s[6:7]
	v_mov_b32_e32 v12, s10
	s_xor_b64 exec, exec, s[6:7]
	s_cbranch_execz .LBB1_3330
; %bb.39171:
	s_getpc_b64 s[14:15]
.Lpost_getpc5249:
	s_add_u32 s14, s14, (.LBB1_17668-.Lpost_getpc5249)&4294967295
	s_addc_u32 s15, s15, (.LBB1_17668-.Lpost_getpc5249)>>32
	s_setpc_b64 s[14:15]
.LBB1_3330:
	s_or_b64 exec, exec, s[6:7]
	s_and_saveexec_b64 s[6:7], s[4:5]
	s_cbranch_execz .LBB1_3332
.LBB1_3331:
	v_and_b32_e32 v12, 7, v6
	v_ffbh_u32_e32 v14, v12
	v_min_u32_e32 v14, 32, v14
	v_lshrrev_b16_e32 v13, 3, v6
	v_subrev_u32_e32 v15, 28, v14
	v_and_b32_e32 v13, 15, v13
	v_lshlrev_b32_e32 v15, v15, v6
	v_sub_u32_e32 v14, 29, v14
	v_and_b32_e32 v15, 7, v15
	v_cmp_eq_u16_e32 vcc, 0, v13
	v_cndmask_b32_e32 v12, v12, v15, vcc
	v_cndmask_b32_e32 v13, v13, v14, vcc
	v_lshlrev_b32_e32 v14, 24, v6
	v_mov_b32_e32 v15, 0x3b800000
	v_lshlrev_b32_e32 v12, 20, v12
	v_and_b32_e32 v14, 0x80000000, v14
	v_lshl_add_u32 v13, v13, 23, v15
	v_or3_b32 v12, v14, v13, v12
.LBB1_3332:
	s_or_b64 exec, exec, s[6:7]
	s_movk_i32 s4, 0x7f
	v_cmp_gt_i16_sdwa s[6:7], v2, s4 src0_sel:BYTE_0 src1_sel:DWORD
	s_mov_b64 s[4:5], 0
                                        ; implicit-def: $sgpr10
	s_and_saveexec_b64 s[8:9], s[6:7]
	s_xor_b64 s[6:7], exec, s[8:9]
	s_cbranch_execz .LBB1_3333
; %bb.39173:
	s_getpc_b64 s[14:15]
.Lpost_getpc5250:
	s_add_u32 s14, s14, (.LBB1_17669-.Lpost_getpc5250)&4294967295
	s_addc_u32 s15, s15, (.LBB1_17669-.Lpost_getpc5250)>>32
	s_setpc_b64 s[14:15]
.LBB1_3333:
	s_or_saveexec_b64 s[6:7], s[6:7]
	v_mov_b32_e32 v13, s10
	s_xor_b64 exec, exec, s[6:7]
	s_cbranch_execz .LBB1_3334
; %bb.39175:
	s_getpc_b64 s[14:15]
.Lpost_getpc5251:
	s_add_u32 s14, s14, (.LBB1_17672-.Lpost_getpc5251)&4294967295
	s_addc_u32 s15, s15, (.LBB1_17672-.Lpost_getpc5251)>>32
	s_setpc_b64 s[14:15]
.LBB1_3334:
	s_or_b64 exec, exec, s[6:7]
	s_and_saveexec_b64 s[6:7], s[4:5]
	s_cbranch_execz .LBB1_3336
.LBB1_3335:
	v_and_b32_e32 v13, 7, v2
	v_ffbh_u32_e32 v15, v13
	v_min_u32_e32 v15, 32, v15
	v_lshrrev_b16_e32 v14, 3, v2
	v_subrev_u32_e32 v16, 28, v15
	v_and_b32_e32 v14, 15, v14
	v_lshlrev_b32_e32 v16, v16, v2
	v_sub_u32_e32 v15, 29, v15
	v_and_b32_e32 v16, 7, v16
	v_cmp_eq_u16_e32 vcc, 0, v14
	v_cndmask_b32_e32 v13, v13, v16, vcc
	v_cndmask_b32_e32 v14, v14, v15, vcc
	v_lshlrev_b32_e32 v15, 24, v2
	v_mov_b32_e32 v16, 0x3b800000
	v_lshlrev_b32_e32 v13, 20, v13
	v_and_b32_e32 v15, 0x80000000, v15
	v_lshl_add_u32 v14, v14, 23, v16
	v_or3_b32 v13, v15, v14, v13
.LBB1_3336:
	s_or_b64 exec, exec, s[6:7]
	flat_load_dwordx4 a[0:3], v[10:11] offset:416
	s_movk_i32 s4, 0x7f
                                        ; implicit-def: $sgpr10
	s_waitcnt vmcnt(0) lgkmcnt(0)
	v_mfma_f32_16x16x4f32 a[0:3], v12, v13, a[0:3]
	v_lshrrev_b32_e32 v13, 8, v6
	v_cmp_gt_i16_sdwa s[6:7], v13, s4 src0_sel:BYTE_0 src1_sel:DWORD
	s_mov_b64 s[4:5], 0
	s_and_saveexec_b64 s[8:9], s[6:7]
	s_xor_b64 s[6:7], exec, s[8:9]
	s_cbranch_execz .LBB1_3337
; %bb.39177:
	s_getpc_b64 s[14:15]
.Lpost_getpc5252:
	s_add_u32 s14, s14, (.LBB1_17673-.Lpost_getpc5252)&4294967295
	s_addc_u32 s15, s15, (.LBB1_17673-.Lpost_getpc5252)>>32
	s_setpc_b64 s[14:15]
.LBB1_3337:
	s_or_saveexec_b64 s[6:7], s[6:7]
	v_mov_b32_e32 v12, s10
	s_xor_b64 exec, exec, s[6:7]
	s_cbranch_execz .LBB1_3338
; %bb.39179:
	s_getpc_b64 s[14:15]
.Lpost_getpc5253:
	s_add_u32 s14, s14, (.LBB1_17676-.Lpost_getpc5253)&4294967295
	s_addc_u32 s15, s15, (.LBB1_17676-.Lpost_getpc5253)>>32
	s_setpc_b64 s[14:15]
.LBB1_3338:
	s_or_b64 exec, exec, s[6:7]
	s_and_saveexec_b64 s[6:7], s[4:5]
	s_cbranch_execz .LBB1_3340
.LBB1_3339:
	v_bfe_u32 v12, v6, 8, 3
	v_ffbh_u32_e32 v15, v12
	v_min_u32_e32 v15, 32, v15
	v_lshrrev_b16_e32 v14, 3, v13
	v_subrev_u32_e32 v16, 28, v15
	v_and_b32_e32 v14, 15, v14
	v_lshlrev_b32_e32 v13, v16, v13
	v_sub_u32_e32 v15, 29, v15
	v_and_b32_e32 v13, 7, v13
	v_cmp_eq_u16_e32 vcc, 0, v14
	v_cndmask_b32_e32 v12, v12, v13, vcc
	v_cndmask_b32_e32 v13, v14, v15, vcc
	v_lshlrev_b32_e32 v14, 16, v6
	v_mov_b32_e32 v15, 0x3b800000
	v_lshlrev_b32_e32 v12, 20, v12
	v_and_b32_e32 v14, 0x80000000, v14
	v_lshl_add_u32 v13, v13, 23, v15
	v_or3_b32 v12, v14, v13, v12
.LBB1_3340:
	s_or_b64 exec, exec, s[6:7]
	v_lshrrev_b32_e32 v13, 8, v2
	s_movk_i32 s4, 0x7f
	v_cmp_gt_i16_sdwa s[6:7], v13, s4 src0_sel:BYTE_0 src1_sel:DWORD
	s_mov_b64 s[4:5], 0
                                        ; implicit-def: $sgpr10
	s_and_saveexec_b64 s[8:9], s[6:7]
	s_xor_b64 s[6:7], exec, s[8:9]
	s_cbranch_execz .LBB1_3341
; %bb.39181:
	s_getpc_b64 s[14:15]
.Lpost_getpc5254:
	s_add_u32 s14, s14, (.LBB1_17677-.Lpost_getpc5254)&4294967295
	s_addc_u32 s15, s15, (.LBB1_17677-.Lpost_getpc5254)>>32
	s_setpc_b64 s[14:15]
.LBB1_3341:
	s_or_saveexec_b64 s[6:7], s[6:7]
	v_mov_b32_e32 v14, s10
	s_xor_b64 exec, exec, s[6:7]
	s_cbranch_execz .LBB1_3342
; %bb.39183:
	s_getpc_b64 s[14:15]
.Lpost_getpc5255:
	s_add_u32 s14, s14, (.LBB1_17680-.Lpost_getpc5255)&4294967295
	s_addc_u32 s15, s15, (.LBB1_17680-.Lpost_getpc5255)>>32
	s_setpc_b64 s[14:15]
.LBB1_3342:
	s_or_b64 exec, exec, s[6:7]
	s_and_saveexec_b64 s[6:7], s[4:5]
	s_cbranch_execz .LBB1_3344
.LBB1_3343:
	v_bfe_u32 v14, v2, 8, 3
	v_ffbh_u32_e32 v16, v14
	v_min_u32_e32 v16, 32, v16
	v_lshrrev_b16_e32 v15, 3, v13
	v_subrev_u32_e32 v17, 28, v16
	v_and_b32_e32 v15, 15, v15
	v_lshlrev_b32_e32 v13, v17, v13
	v_sub_u32_e32 v16, 29, v16
	v_and_b32_e32 v13, 7, v13
	v_cmp_eq_u16_e32 vcc, 0, v15
	v_cndmask_b32_e32 v13, v14, v13, vcc
	v_cndmask_b32_e32 v14, v15, v16, vcc
	v_lshlrev_b32_e32 v15, 16, v2
	v_mov_b32_e32 v16, 0x3b800000
	v_lshlrev_b32_e32 v13, 20, v13
	v_and_b32_e32 v15, 0x80000000, v15
	v_lshl_add_u32 v14, v14, 23, v16
	v_or3_b32 v14, v15, v14, v13
.LBB1_3344:
	s_or_b64 exec, exec, s[6:7]
	s_nop 0
	v_mfma_f32_16x16x4f32 a[0:3], v12, v14, a[0:3]
	s_movk_i32 s4, 0xff
	v_and_b32_sdwa v13, v6, s4 dst_sel:DWORD dst_unused:UNUSED_PAD src0_sel:WORD_1 src1_sel:DWORD
	s_movk_i32 s4, 0x7f
	v_cmp_lt_i16_e32 vcc, s4, v13
	s_mov_b64 s[4:5], 0
                                        ; implicit-def: $sgpr10
	s_and_saveexec_b64 s[6:7], vcc
	s_xor_b64 s[6:7], exec, s[6:7]
	s_cbranch_execz .LBB1_3345
; %bb.39185:
	s_getpc_b64 s[14:15]
.Lpost_getpc5256:
	s_add_u32 s14, s14, (.LBB1_17681-.Lpost_getpc5256)&4294967295
	s_addc_u32 s15, s15, (.LBB1_17681-.Lpost_getpc5256)>>32
	s_setpc_b64 s[14:15]
.LBB1_3345:
	s_or_saveexec_b64 s[6:7], s[6:7]
	v_mov_b32_e32 v12, s10
	s_xor_b64 exec, exec, s[6:7]
	s_cbranch_execz .LBB1_3346
; %bb.39187:
	s_getpc_b64 s[14:15]
.Lpost_getpc5257:
	s_add_u32 s14, s14, (.LBB1_17684-.Lpost_getpc5257)&4294967295
	s_addc_u32 s15, s15, (.LBB1_17684-.Lpost_getpc5257)>>32
	s_setpc_b64 s[14:15]
.LBB1_3346:
	s_or_b64 exec, exec, s[6:7]
	s_and_saveexec_b64 s[6:7], s[4:5]
	s_cbranch_execz .LBB1_3348
.LBB1_3347:
	v_bfe_u32 v12, v6, 16, 3
	v_ffbh_u32_e32 v15, v12
	v_min_u32_e32 v15, 32, v15
	v_lshrrev_b32_e32 v13, 19, v6
	v_subrev_u32_e32 v16, 28, v15
	v_and_b32_e32 v13, 15, v13
	v_lshlrev_b32_sdwa v16, v16, v6 dst_sel:DWORD dst_unused:UNUSED_PAD src0_sel:DWORD src1_sel:WORD_1
	v_bfe_u32 v14, v6, 19, 4
	v_sub_u32_e32 v15, 29, v15
	v_and_b32_e32 v16, 7, v16
	v_cmp_eq_u16_e32 vcc, 0, v13
	v_cndmask_b32_e32 v12, v12, v16, vcc
	v_cndmask_b32_e32 v13, v14, v15, vcc
	v_lshlrev_b32_e32 v14, 8, v6
	v_mov_b32_e32 v15, 0x3b800000
	v_lshlrev_b32_e32 v12, 20, v12
	v_and_b32_e32 v14, 0x80000000, v14
	v_lshl_add_u32 v13, v13, 23, v15
	v_or3_b32 v12, v14, v13, v12
.LBB1_3348:
	s_or_b64 exec, exec, s[6:7]
	s_movk_i32 s4, 0xff
	v_and_b32_sdwa v13, v2, s4 dst_sel:DWORD dst_unused:UNUSED_PAD src0_sel:WORD_1 src1_sel:DWORD
	s_movk_i32 s4, 0x7f
	v_cmp_lt_i16_e32 vcc, s4, v13
	s_mov_b64 s[4:5], 0
                                        ; implicit-def: $sgpr10
	s_and_saveexec_b64 s[6:7], vcc
	s_xor_b64 s[6:7], exec, s[6:7]
	s_cbranch_execz .LBB1_3349
; %bb.39189:
	s_getpc_b64 s[14:15]
.Lpost_getpc5258:
	s_add_u32 s14, s14, (.LBB1_17685-.Lpost_getpc5258)&4294967295
	s_addc_u32 s15, s15, (.LBB1_17685-.Lpost_getpc5258)>>32
	s_setpc_b64 s[14:15]
.LBB1_3349:
	s_or_saveexec_b64 s[6:7], s[6:7]
	v_mov_b32_e32 v14, s10
	s_xor_b64 exec, exec, s[6:7]
	s_cbranch_execz .LBB1_3350
; %bb.39191:
	s_getpc_b64 s[14:15]
.Lpost_getpc5259:
	s_add_u32 s14, s14, (.LBB1_17688-.Lpost_getpc5259)&4294967295
	s_addc_u32 s15, s15, (.LBB1_17688-.Lpost_getpc5259)>>32
	s_setpc_b64 s[14:15]
.LBB1_3350:
	s_or_b64 exec, exec, s[6:7]
	s_and_saveexec_b64 s[6:7], s[4:5]
	s_cbranch_execz .LBB1_3352
.LBB1_3351:
	v_bfe_u32 v13, v2, 16, 3
	v_ffbh_u32_e32 v16, v13
	v_min_u32_e32 v16, 32, v16
	v_lshrrev_b32_e32 v14, 19, v2
	v_subrev_u32_e32 v17, 28, v16
	v_and_b32_e32 v14, 15, v14
	v_lshlrev_b32_sdwa v17, v17, v2 dst_sel:DWORD dst_unused:UNUSED_PAD src0_sel:DWORD src1_sel:WORD_1
	v_bfe_u32 v15, v2, 19, 4
	v_sub_u32_e32 v16, 29, v16
	v_and_b32_e32 v17, 7, v17
	v_cmp_eq_u16_e32 vcc, 0, v14
	v_cndmask_b32_e32 v13, v13, v17, vcc
	v_cndmask_b32_e32 v14, v15, v16, vcc
	v_lshlrev_b32_e32 v15, 8, v2
	v_mov_b32_e32 v16, 0x3b800000
	v_lshlrev_b32_e32 v13, 20, v13
	v_and_b32_e32 v15, 0x80000000, v15
	v_lshl_add_u32 v14, v14, 23, v16
	v_or3_b32 v14, v15, v14, v13
.LBB1_3352:
	s_or_b64 exec, exec, s[6:7]
	s_nop 0
	v_mfma_f32_16x16x4f32 a[0:3], v12, v14, a[0:3]
	s_movk_i32 s4, 0x7f
	v_cmp_gt_i16_sdwa s[6:7], v6, s4 src0_sel:BYTE_3 src1_sel:DWORD
	s_mov_b64 s[4:5], 0
                                        ; implicit-def: $sgpr10
	s_and_saveexec_b64 s[8:9], s[6:7]
	s_xor_b64 s[6:7], exec, s[8:9]
	s_cbranch_execz .LBB1_3353
; %bb.39193:
	s_getpc_b64 s[14:15]
.Lpost_getpc5260:
	s_add_u32 s14, s14, (.LBB1_17689-.Lpost_getpc5260)&4294967295
	s_addc_u32 s15, s15, (.LBB1_17689-.Lpost_getpc5260)>>32
	s_setpc_b64 s[14:15]
.LBB1_3353:
	s_or_saveexec_b64 s[6:7], s[6:7]
	v_mov_b32_e32 v12, s10
	s_xor_b64 exec, exec, s[6:7]
	s_cbranch_execz .LBB1_3354
; %bb.39195:
	s_getpc_b64 s[14:15]
.Lpost_getpc5261:
	s_add_u32 s14, s14, (.LBB1_17692-.Lpost_getpc5261)&4294967295
	s_addc_u32 s15, s15, (.LBB1_17692-.Lpost_getpc5261)>>32
	s_setpc_b64 s[14:15]
.LBB1_3354:
	s_or_b64 exec, exec, s[6:7]
	s_and_saveexec_b64 s[6:7], s[4:5]
	s_cbranch_execz .LBB1_3356
.LBB1_3355:
	v_bfe_u32 v12, v6, 24, 3
	v_ffbh_u32_e32 v16, v12
	v_min_u32_e32 v16, 32, v16
	v_lshrrev_b32_e32 v14, 27, v6
	v_subrev_u32_e32 v17, 28, v16
	v_and_b32_e32 v13, 0x80000000, v6
	v_and_b32_e32 v14, 15, v14
	v_bfe_u32 v15, v6, 27, 4
	v_lshlrev_b32_sdwa v6, v17, v6 dst_sel:DWORD dst_unused:UNUSED_PAD src0_sel:DWORD src1_sel:BYTE_3
	v_sub_u32_e32 v16, 29, v16
	v_and_b32_e32 v6, 7, v6
	v_cmp_eq_u16_e32 vcc, 0, v14
	v_cndmask_b32_e32 v6, v12, v6, vcc
	v_cndmask_b32_e32 v12, v15, v16, vcc
	v_mov_b32_e32 v14, 0x3b800000
	v_lshlrev_b32_e32 v6, 20, v6
	v_lshl_add_u32 v12, v12, 23, v14
	v_or3_b32 v12, v13, v12, v6
.LBB1_3356:
	s_or_b64 exec, exec, s[6:7]
	s_movk_i32 s4, 0x7f
	v_cmp_gt_i16_sdwa s[6:7], v2, s4 src0_sel:BYTE_3 src1_sel:DWORD
	s_mov_b64 s[4:5], 0
                                        ; implicit-def: $sgpr10
	s_and_saveexec_b64 s[8:9], s[6:7]
	s_xor_b64 s[6:7], exec, s[8:9]
	s_cbranch_execz .LBB1_3357
; %bb.39197:
	s_getpc_b64 s[14:15]
.Lpost_getpc5262:
	s_add_u32 s14, s14, (.LBB1_17693-.Lpost_getpc5262)&4294967295
	s_addc_u32 s15, s15, (.LBB1_17693-.Lpost_getpc5262)>>32
	s_setpc_b64 s[14:15]
.LBB1_3357:
	s_or_saveexec_b64 s[6:7], s[6:7]
	v_mov_b32_e32 v6, s10
	s_xor_b64 exec, exec, s[6:7]
	s_cbranch_execz .LBB1_3358
; %bb.39199:
	s_getpc_b64 s[14:15]
.Lpost_getpc5263:
	s_add_u32 s14, s14, (.LBB1_17696-.Lpost_getpc5263)&4294967295
	s_addc_u32 s15, s15, (.LBB1_17696-.Lpost_getpc5263)>>32
	s_setpc_b64 s[14:15]
.LBB1_3358:
	s_or_b64 exec, exec, s[6:7]
	s_and_saveexec_b64 s[6:7], s[4:5]
	s_cbranch_execz .LBB1_3360
.LBB1_3359:
	v_bfe_u32 v6, v2, 24, 3
	v_ffbh_u32_e32 v16, v6
	v_min_u32_e32 v16, 32, v16
	v_lshrrev_b32_e32 v14, 27, v2
	v_subrev_u32_e32 v17, 28, v16
	v_and_b32_e32 v13, 0x80000000, v2
	v_and_b32_e32 v14, 15, v14
	v_bfe_u32 v15, v2, 27, 4
	v_lshlrev_b32_sdwa v2, v17, v2 dst_sel:DWORD dst_unused:UNUSED_PAD src0_sel:DWORD src1_sel:BYTE_3
	v_sub_u32_e32 v16, 29, v16
	v_and_b32_e32 v2, 7, v2
	v_cmp_eq_u16_e32 vcc, 0, v14
	v_cndmask_b32_e32 v2, v6, v2, vcc
	v_cndmask_b32_e32 v6, v15, v16, vcc
	v_mov_b32_e32 v14, 0x3b800000
	v_lshlrev_b32_e32 v2, 20, v2
	v_lshl_add_u32 v6, v6, 23, v14
	v_or3_b32 v6, v13, v6, v2
.LBB1_3360:
	s_or_b64 exec, exec, s[6:7]
	s_nop 0
	v_mfma_f32_16x16x4f32 a[0:3], v12, v6, a[0:3]
	s_movk_i32 s4, 0x7f
	v_cmp_gt_i16_sdwa s[6:7], v7, s4 src0_sel:BYTE_0 src1_sel:DWORD
	s_mov_b64 s[4:5], 0
                                        ; implicit-def: $sgpr10
	s_and_saveexec_b64 s[8:9], s[6:7]
	s_xor_b64 s[6:7], exec, s[8:9]
	s_cbranch_execz .LBB1_3361
; %bb.39201:
	s_getpc_b64 s[14:15]
.Lpost_getpc5264:
	s_add_u32 s14, s14, (.LBB1_17697-.Lpost_getpc5264)&4294967295
	s_addc_u32 s15, s15, (.LBB1_17697-.Lpost_getpc5264)>>32
	s_setpc_b64 s[14:15]
.LBB1_3361:
	s_or_saveexec_b64 s[6:7], s[6:7]
	v_mov_b32_e32 v2, s10
	s_xor_b64 exec, exec, s[6:7]
	s_cbranch_execz .LBB1_3362
; %bb.39203:
	s_getpc_b64 s[14:15]
.Lpost_getpc5265:
	s_add_u32 s14, s14, (.LBB1_17700-.Lpost_getpc5265)&4294967295
	s_addc_u32 s15, s15, (.LBB1_17700-.Lpost_getpc5265)>>32
	s_setpc_b64 s[14:15]
.LBB1_3362:
	s_or_b64 exec, exec, s[6:7]
	s_and_saveexec_b64 s[6:7], s[4:5]
	s_cbranch_execz .LBB1_3364
.LBB1_3363:
	v_and_b32_e32 v2, 7, v7
	v_ffbh_u32_e32 v12, v2
	v_min_u32_e32 v12, 32, v12
	v_lshrrev_b16_e32 v6, 3, v7
	v_subrev_u32_e32 v13, 28, v12
	v_and_b32_e32 v6, 15, v6
	v_lshlrev_b32_e32 v13, v13, v7
	v_sub_u32_e32 v12, 29, v12
	v_and_b32_e32 v13, 7, v13
	v_cmp_eq_u16_e32 vcc, 0, v6
	v_cndmask_b32_e32 v2, v2, v13, vcc
	v_cndmask_b32_e32 v6, v6, v12, vcc
	v_lshlrev_b32_e32 v12, 24, v7
	v_mov_b32_e32 v13, 0x3b800000
	v_lshlrev_b32_e32 v2, 20, v2
	v_and_b32_e32 v12, 0x80000000, v12
	v_lshl_add_u32 v6, v6, 23, v13
	v_or3_b32 v2, v12, v6, v2
.LBB1_3364:
	s_or_b64 exec, exec, s[6:7]
	s_movk_i32 s4, 0x7f
	v_cmp_gt_i16_sdwa s[6:7], v3, s4 src0_sel:BYTE_0 src1_sel:DWORD
	s_mov_b64 s[4:5], 0
                                        ; implicit-def: $sgpr10
	s_and_saveexec_b64 s[8:9], s[6:7]
	s_xor_b64 s[6:7], exec, s[8:9]
	s_cbranch_execz .LBB1_3365
; %bb.39205:
	s_getpc_b64 s[14:15]
.Lpost_getpc5266:
	s_add_u32 s14, s14, (.LBB1_17701-.Lpost_getpc5266)&4294967295
	s_addc_u32 s15, s15, (.LBB1_17701-.Lpost_getpc5266)>>32
	s_setpc_b64 s[14:15]
.LBB1_3365:
	s_or_saveexec_b64 s[6:7], s[6:7]
	v_mov_b32_e32 v6, s10
	s_xor_b64 exec, exec, s[6:7]
	s_cbranch_execz .LBB1_3366
; %bb.39207:
	s_getpc_b64 s[14:15]
.Lpost_getpc5267:
	s_add_u32 s14, s14, (.LBB1_17704-.Lpost_getpc5267)&4294967295
	s_addc_u32 s15, s15, (.LBB1_17704-.Lpost_getpc5267)>>32
	s_setpc_b64 s[14:15]
.LBB1_3366:
	s_or_b64 exec, exec, s[6:7]
	s_and_saveexec_b64 s[6:7], s[4:5]
	s_cbranch_execz .LBB1_3368
.LBB1_3367:
	v_and_b32_e32 v6, 7, v3
	v_ffbh_u32_e32 v13, v6
	v_min_u32_e32 v13, 32, v13
	v_lshrrev_b16_e32 v12, 3, v3
	v_subrev_u32_e32 v14, 28, v13
	v_and_b32_e32 v12, 15, v12
	v_lshlrev_b32_e32 v14, v14, v3
	v_sub_u32_e32 v13, 29, v13
	v_and_b32_e32 v14, 7, v14
	v_cmp_eq_u16_e32 vcc, 0, v12
	v_cndmask_b32_e32 v6, v6, v14, vcc
	v_cndmask_b32_e32 v12, v12, v13, vcc
	v_lshlrev_b32_e32 v13, 24, v3
	v_mov_b32_e32 v14, 0x3b800000
	v_lshlrev_b32_e32 v6, 20, v6
	v_and_b32_e32 v13, 0x80000000, v13
	v_lshl_add_u32 v12, v12, 23, v14
	v_or3_b32 v6, v13, v12, v6
.LBB1_3368:
	s_or_b64 exec, exec, s[6:7]
	s_nop 0
	v_mfma_f32_16x16x4f32 a[0:3], v2, v6, a[0:3]
	v_lshrrev_b32_e32 v6, 8, v7
	s_movk_i32 s4, 0x7f
	v_cmp_gt_i16_sdwa s[6:7], v6, s4 src0_sel:BYTE_0 src1_sel:DWORD
	s_mov_b64 s[4:5], 0
                                        ; implicit-def: $sgpr10
	s_and_saveexec_b64 s[8:9], s[6:7]
	s_xor_b64 s[6:7], exec, s[8:9]
	s_cbranch_execz .LBB1_3369
; %bb.39209:
	s_getpc_b64 s[14:15]
.Lpost_getpc5268:
	s_add_u32 s14, s14, (.LBB1_17705-.Lpost_getpc5268)&4294967295
	s_addc_u32 s15, s15, (.LBB1_17705-.Lpost_getpc5268)>>32
	s_setpc_b64 s[14:15]
.LBB1_3369:
	s_or_saveexec_b64 s[6:7], s[6:7]
	v_mov_b32_e32 v2, s10
	s_xor_b64 exec, exec, s[6:7]
	s_cbranch_execz .LBB1_3370
; %bb.39211:
	s_getpc_b64 s[14:15]
.Lpost_getpc5269:
	s_add_u32 s14, s14, (.LBB1_17708-.Lpost_getpc5269)&4294967295
	s_addc_u32 s15, s15, (.LBB1_17708-.Lpost_getpc5269)>>32
	s_setpc_b64 s[14:15]
.LBB1_3370:
	s_or_b64 exec, exec, s[6:7]
	s_and_saveexec_b64 s[6:7], s[4:5]
	s_cbranch_execz .LBB1_3372
.LBB1_3371:
	v_bfe_u32 v2, v7, 8, 3
	v_ffbh_u32_e32 v13, v2
	v_min_u32_e32 v13, 32, v13
	v_lshrrev_b16_e32 v12, 3, v6
	v_subrev_u32_e32 v14, 28, v13
	v_and_b32_e32 v12, 15, v12
	v_lshlrev_b32_e32 v6, v14, v6
	v_sub_u32_e32 v13, 29, v13
	v_and_b32_e32 v6, 7, v6
	v_cmp_eq_u16_e32 vcc, 0, v12
	v_cndmask_b32_e32 v2, v2, v6, vcc
	v_cndmask_b32_e32 v6, v12, v13, vcc
	v_lshlrev_b32_e32 v12, 16, v7
	v_mov_b32_e32 v13, 0x3b800000
	v_lshlrev_b32_e32 v2, 20, v2
	v_and_b32_e32 v12, 0x80000000, v12
	v_lshl_add_u32 v6, v6, 23, v13
	v_or3_b32 v2, v12, v6, v2
.LBB1_3372:
	s_or_b64 exec, exec, s[6:7]
	v_lshrrev_b32_e32 v6, 8, v3
	s_movk_i32 s4, 0x7f
	v_cmp_gt_i16_sdwa s[6:7], v6, s4 src0_sel:BYTE_0 src1_sel:DWORD
	s_mov_b64 s[4:5], 0
                                        ; implicit-def: $sgpr10
	s_and_saveexec_b64 s[8:9], s[6:7]
	s_xor_b64 s[6:7], exec, s[8:9]
	s_cbranch_execz .LBB1_3373
; %bb.39213:
	s_getpc_b64 s[14:15]
.Lpost_getpc5270:
	s_add_u32 s14, s14, (.LBB1_17709-.Lpost_getpc5270)&4294967295
	s_addc_u32 s15, s15, (.LBB1_17709-.Lpost_getpc5270)>>32
	s_setpc_b64 s[14:15]
.LBB1_3373:
	s_or_saveexec_b64 s[6:7], s[6:7]
	v_mov_b32_e32 v12, s10
	s_xor_b64 exec, exec, s[6:7]
	s_cbranch_execz .LBB1_3374
; %bb.39215:
	s_getpc_b64 s[14:15]
.Lpost_getpc5271:
	s_add_u32 s14, s14, (.LBB1_17712-.Lpost_getpc5271)&4294967295
	s_addc_u32 s15, s15, (.LBB1_17712-.Lpost_getpc5271)>>32
	s_setpc_b64 s[14:15]
.LBB1_3374:
	s_or_b64 exec, exec, s[6:7]
	s_and_saveexec_b64 s[6:7], s[4:5]
	s_cbranch_execz .LBB1_3376
.LBB1_3375:
	v_bfe_u32 v12, v3, 8, 3
	v_ffbh_u32_e32 v14, v12
	v_min_u32_e32 v14, 32, v14
	v_lshrrev_b16_e32 v13, 3, v6
	v_subrev_u32_e32 v15, 28, v14
	v_and_b32_e32 v13, 15, v13
	v_lshlrev_b32_e32 v6, v15, v6
	v_sub_u32_e32 v14, 29, v14
	v_and_b32_e32 v6, 7, v6
	v_cmp_eq_u16_e32 vcc, 0, v13
	v_cndmask_b32_e32 v6, v12, v6, vcc
	v_cndmask_b32_e32 v12, v13, v14, vcc
	v_lshlrev_b32_e32 v13, 16, v3
	v_mov_b32_e32 v14, 0x3b800000
	v_lshlrev_b32_e32 v6, 20, v6
	v_and_b32_e32 v13, 0x80000000, v13
	v_lshl_add_u32 v12, v12, 23, v14
	v_or3_b32 v12, v13, v12, v6
.LBB1_3376:
	s_or_b64 exec, exec, s[6:7]
	s_nop 0
	v_mfma_f32_16x16x4f32 a[0:3], v2, v12, a[0:3]
	s_movk_i32 s4, 0xff
	v_and_b32_sdwa v6, v7, s4 dst_sel:DWORD dst_unused:UNUSED_PAD src0_sel:WORD_1 src1_sel:DWORD
	s_movk_i32 s4, 0x7f
	v_cmp_lt_i16_e32 vcc, s4, v6
	s_mov_b64 s[4:5], 0
                                        ; implicit-def: $sgpr10
	s_and_saveexec_b64 s[6:7], vcc
	s_xor_b64 s[6:7], exec, s[6:7]
	s_cbranch_execz .LBB1_3377
; %bb.39217:
	s_getpc_b64 s[14:15]
.Lpost_getpc5272:
	s_add_u32 s14, s14, (.LBB1_17713-.Lpost_getpc5272)&4294967295
	s_addc_u32 s15, s15, (.LBB1_17713-.Lpost_getpc5272)>>32
	s_setpc_b64 s[14:15]
.LBB1_3377:
	s_or_saveexec_b64 s[6:7], s[6:7]
	v_mov_b32_e32 v2, s10
	s_xor_b64 exec, exec, s[6:7]
	s_cbranch_execz .LBB1_3378
; %bb.39219:
	s_getpc_b64 s[14:15]
.Lpost_getpc5273:
	s_add_u32 s14, s14, (.LBB1_17716-.Lpost_getpc5273)&4294967295
	s_addc_u32 s15, s15, (.LBB1_17716-.Lpost_getpc5273)>>32
	s_setpc_b64 s[14:15]
.LBB1_3378:
	s_or_b64 exec, exec, s[6:7]
	s_and_saveexec_b64 s[6:7], s[4:5]
	s_cbranch_execz .LBB1_3380
.LBB1_3379:
	v_bfe_u32 v2, v7, 16, 3
	v_ffbh_u32_e32 v13, v2
	v_min_u32_e32 v13, 32, v13
	v_lshrrev_b32_e32 v6, 19, v7
	v_subrev_u32_e32 v14, 28, v13
	v_and_b32_e32 v6, 15, v6
	v_lshlrev_b32_sdwa v14, v14, v7 dst_sel:DWORD dst_unused:UNUSED_PAD src0_sel:DWORD src1_sel:WORD_1
	v_bfe_u32 v12, v7, 19, 4
	v_sub_u32_e32 v13, 29, v13
	v_and_b32_e32 v14, 7, v14
	v_cmp_eq_u16_e32 vcc, 0, v6
	v_cndmask_b32_e32 v2, v2, v14, vcc
	v_cndmask_b32_e32 v6, v12, v13, vcc
	v_lshlrev_b32_e32 v12, 8, v7
	v_mov_b32_e32 v13, 0x3b800000
	v_lshlrev_b32_e32 v2, 20, v2
	v_and_b32_e32 v12, 0x80000000, v12
	v_lshl_add_u32 v6, v6, 23, v13
	v_or3_b32 v2, v12, v6, v2
.LBB1_3380:
	s_or_b64 exec, exec, s[6:7]
	s_movk_i32 s4, 0xff
	v_and_b32_sdwa v6, v3, s4 dst_sel:DWORD dst_unused:UNUSED_PAD src0_sel:WORD_1 src1_sel:DWORD
	s_movk_i32 s4, 0x7f
	v_cmp_lt_i16_e32 vcc, s4, v6
	s_mov_b64 s[4:5], 0
                                        ; implicit-def: $sgpr10
	s_and_saveexec_b64 s[6:7], vcc
	s_xor_b64 s[6:7], exec, s[6:7]
	s_cbranch_execz .LBB1_3381
; %bb.39221:
	s_getpc_b64 s[14:15]
.Lpost_getpc5274:
	s_add_u32 s14, s14, (.LBB1_17717-.Lpost_getpc5274)&4294967295
	s_addc_u32 s15, s15, (.LBB1_17717-.Lpost_getpc5274)>>32
	s_setpc_b64 s[14:15]
.LBB1_3381:
	s_or_saveexec_b64 s[6:7], s[6:7]
	v_mov_b32_e32 v12, s10
	s_xor_b64 exec, exec, s[6:7]
	s_cbranch_execz .LBB1_3382
; %bb.39223:
	s_getpc_b64 s[14:15]
.Lpost_getpc5275:
	s_add_u32 s14, s14, (.LBB1_17720-.Lpost_getpc5275)&4294967295
	s_addc_u32 s15, s15, (.LBB1_17720-.Lpost_getpc5275)>>32
	s_setpc_b64 s[14:15]
.LBB1_3382:
	s_or_b64 exec, exec, s[6:7]
	s_and_saveexec_b64 s[6:7], s[4:5]
	s_cbranch_execz .LBB1_3384
.LBB1_3383:
	v_bfe_u32 v6, v3, 16, 3
	v_ffbh_u32_e32 v14, v6
	v_min_u32_e32 v14, 32, v14
	v_lshrrev_b32_e32 v12, 19, v3
	v_subrev_u32_e32 v15, 28, v14
	v_and_b32_e32 v12, 15, v12
	v_lshlrev_b32_sdwa v15, v15, v3 dst_sel:DWORD dst_unused:UNUSED_PAD src0_sel:DWORD src1_sel:WORD_1
	v_bfe_u32 v13, v3, 19, 4
	v_sub_u32_e32 v14, 29, v14
	v_and_b32_e32 v15, 7, v15
	v_cmp_eq_u16_e32 vcc, 0, v12
	v_cndmask_b32_e32 v6, v6, v15, vcc
	v_cndmask_b32_e32 v12, v13, v14, vcc
	v_lshlrev_b32_e32 v13, 8, v3
	v_mov_b32_e32 v14, 0x3b800000
	v_lshlrev_b32_e32 v6, 20, v6
	v_and_b32_e32 v13, 0x80000000, v13
	v_lshl_add_u32 v12, v12, 23, v14
	v_or3_b32 v12, v13, v12, v6
.LBB1_3384:
	s_or_b64 exec, exec, s[6:7]
	s_nop 0
	v_mfma_f32_16x16x4f32 a[0:3], v2, v12, a[0:3]
	s_movk_i32 s4, 0x7f
	v_cmp_gt_i16_sdwa s[6:7], v7, s4 src0_sel:BYTE_3 src1_sel:DWORD
	s_mov_b64 s[4:5], 0
                                        ; implicit-def: $sgpr10
	s_and_saveexec_b64 s[8:9], s[6:7]
	s_xor_b64 s[6:7], exec, s[8:9]
	s_cbranch_execz .LBB1_3385
; %bb.39225:
	s_getpc_b64 s[14:15]
.Lpost_getpc5276:
	s_add_u32 s14, s14, (.LBB1_17721-.Lpost_getpc5276)&4294967295
	s_addc_u32 s15, s15, (.LBB1_17721-.Lpost_getpc5276)>>32
	s_setpc_b64 s[14:15]
.LBB1_3385:
	s_or_saveexec_b64 s[6:7], s[6:7]
	v_mov_b32_e32 v2, s10
	s_xor_b64 exec, exec, s[6:7]
	s_cbranch_execz .LBB1_3386
; %bb.39227:
	s_getpc_b64 s[14:15]
.Lpost_getpc5277:
	s_add_u32 s14, s14, (.LBB1_17724-.Lpost_getpc5277)&4294967295
	s_addc_u32 s15, s15, (.LBB1_17724-.Lpost_getpc5277)>>32
	s_setpc_b64 s[14:15]
.LBB1_3386:
	s_or_b64 exec, exec, s[6:7]
	s_and_saveexec_b64 s[6:7], s[4:5]
	s_cbranch_execz .LBB1_3388
.LBB1_3387:
	v_bfe_u32 v2, v7, 24, 3
	v_ffbh_u32_e32 v14, v2
	v_min_u32_e32 v14, 32, v14
	v_lshrrev_b32_e32 v12, 27, v7
	v_subrev_u32_e32 v15, 28, v14
	v_and_b32_e32 v6, 0x80000000, v7
	v_and_b32_e32 v12, 15, v12
	v_bfe_u32 v13, v7, 27, 4
	v_lshlrev_b32_sdwa v7, v15, v7 dst_sel:DWORD dst_unused:UNUSED_PAD src0_sel:DWORD src1_sel:BYTE_3
	v_sub_u32_e32 v14, 29, v14
	v_and_b32_e32 v7, 7, v7
	v_cmp_eq_u16_e32 vcc, 0, v12
	v_cndmask_b32_e32 v2, v2, v7, vcc
	v_cndmask_b32_e32 v7, v13, v14, vcc
	v_mov_b32_e32 v12, 0x3b800000
	v_lshlrev_b32_e32 v2, 20, v2
	v_lshl_add_u32 v7, v7, 23, v12
	v_or3_b32 v2, v6, v7, v2
.LBB1_3388:
	s_or_b64 exec, exec, s[6:7]
	s_movk_i32 s4, 0x7f
	v_cmp_gt_i16_sdwa s[6:7], v3, s4 src0_sel:BYTE_3 src1_sel:DWORD
	s_mov_b64 s[4:5], 0
                                        ; implicit-def: $sgpr10
	s_and_saveexec_b64 s[8:9], s[6:7]
	s_xor_b64 s[6:7], exec, s[8:9]
	s_cbranch_execz .LBB1_3389
; %bb.39229:
	s_getpc_b64 s[14:15]
.Lpost_getpc5278:
	s_add_u32 s14, s14, (.LBB1_17725-.Lpost_getpc5278)&4294967295
	s_addc_u32 s15, s15, (.LBB1_17725-.Lpost_getpc5278)>>32
	s_setpc_b64 s[14:15]
.LBB1_3389:
	s_or_saveexec_b64 s[6:7], s[6:7]
	v_mov_b32_e32 v6, s10
	s_xor_b64 exec, exec, s[6:7]
	s_cbranch_execz .LBB1_3390
; %bb.39231:
	s_getpc_b64 s[14:15]
.Lpost_getpc5279:
	s_add_u32 s14, s14, (.LBB1_17728-.Lpost_getpc5279)&4294967295
	s_addc_u32 s15, s15, (.LBB1_17728-.Lpost_getpc5279)>>32
	s_setpc_b64 s[14:15]
.LBB1_3390:
	s_or_b64 exec, exec, s[6:7]
	s_and_saveexec_b64 s[6:7], s[4:5]
	s_cbranch_execz .LBB1_3392
.LBB1_3391:
	v_bfe_u32 v6, v3, 24, 3
	v_ffbh_u32_e32 v14, v6
	v_min_u32_e32 v14, 32, v14
	v_lshrrev_b32_e32 v12, 27, v3
	v_subrev_u32_e32 v15, 28, v14
	v_and_b32_e32 v7, 0x80000000, v3
	v_and_b32_e32 v12, 15, v12
	v_bfe_u32 v13, v3, 27, 4
	v_lshlrev_b32_sdwa v3, v15, v3 dst_sel:DWORD dst_unused:UNUSED_PAD src0_sel:DWORD src1_sel:BYTE_3
	v_sub_u32_e32 v14, 29, v14
	v_and_b32_e32 v3, 7, v3
	v_cmp_eq_u16_e32 vcc, 0, v12
	v_cndmask_b32_e32 v3, v6, v3, vcc
	v_cndmask_b32_e32 v6, v13, v14, vcc
	v_mov_b32_e32 v12, 0x3b800000
	v_lshlrev_b32_e32 v3, 20, v3
	v_lshl_add_u32 v6, v6, 23, v12
	v_or3_b32 v6, v7, v6, v3
.LBB1_3392:
	s_or_b64 exec, exec, s[6:7]
	s_nop 0
	v_mfma_f32_16x16x4f32 a[0:3], v2, v6, a[0:3]
	s_movk_i32 s4, 0x7f
	v_cmp_gt_i16_sdwa s[6:7], v8, s4 src0_sel:BYTE_0 src1_sel:DWORD
	s_mov_b64 s[4:5], 0
                                        ; implicit-def: $sgpr10
	s_and_saveexec_b64 s[8:9], s[6:7]
	s_xor_b64 s[6:7], exec, s[8:9]
	s_cbranch_execz .LBB1_3393
; %bb.39233:
	s_getpc_b64 s[14:15]
.Lpost_getpc5280:
	s_add_u32 s14, s14, (.LBB1_17729-.Lpost_getpc5280)&4294967295
	s_addc_u32 s15, s15, (.LBB1_17729-.Lpost_getpc5280)>>32
	s_setpc_b64 s[14:15]
.LBB1_3393:
	s_or_saveexec_b64 s[6:7], s[6:7]
	v_mov_b32_e32 v2, s10
	s_xor_b64 exec, exec, s[6:7]
	s_cbranch_execz .LBB1_3394
; %bb.39235:
	s_getpc_b64 s[14:15]
.Lpost_getpc5281:
	s_add_u32 s14, s14, (.LBB1_17732-.Lpost_getpc5281)&4294967295
	s_addc_u32 s15, s15, (.LBB1_17732-.Lpost_getpc5281)>>32
	s_setpc_b64 s[14:15]
.LBB1_3394:
	s_or_b64 exec, exec, s[6:7]
	s_and_saveexec_b64 s[6:7], s[4:5]
	s_cbranch_execz .LBB1_3396
.LBB1_3395:
	v_and_b32_e32 v2, 7, v8
	v_ffbh_u32_e32 v6, v2
	v_min_u32_e32 v6, 32, v6
	v_lshrrev_b16_e32 v3, 3, v8
	v_subrev_u32_e32 v7, 28, v6
	v_and_b32_e32 v3, 15, v3
	v_lshlrev_b32_e32 v7, v7, v8
	v_sub_u32_e32 v6, 29, v6
	v_and_b32_e32 v7, 7, v7
	v_cmp_eq_u16_e32 vcc, 0, v3
	v_cndmask_b32_e32 v2, v2, v7, vcc
	v_cndmask_b32_e32 v3, v3, v6, vcc
	v_lshlrev_b32_e32 v6, 24, v8
	v_mov_b32_e32 v7, 0x3b800000
	v_lshlrev_b32_e32 v2, 20, v2
	v_and_b32_e32 v6, 0x80000000, v6
	v_lshl_add_u32 v3, v3, 23, v7
	v_or3_b32 v2, v6, v3, v2
.LBB1_3396:
	s_or_b64 exec, exec, s[6:7]
	s_movk_i32 s4, 0x7f
	v_cmp_gt_i16_sdwa s[6:7], v4, s4 src0_sel:BYTE_0 src1_sel:DWORD
	s_mov_b64 s[4:5], 0
                                        ; implicit-def: $sgpr10
	s_and_saveexec_b64 s[8:9], s[6:7]
	s_xor_b64 s[6:7], exec, s[8:9]
	s_cbranch_execz .LBB1_3397
; %bb.39237:
	s_getpc_b64 s[14:15]
.Lpost_getpc5282:
	s_add_u32 s14, s14, (.LBB1_17733-.Lpost_getpc5282)&4294967295
	s_addc_u32 s15, s15, (.LBB1_17733-.Lpost_getpc5282)>>32
	s_setpc_b64 s[14:15]
.LBB1_3397:
	s_or_saveexec_b64 s[6:7], s[6:7]
	v_mov_b32_e32 v3, s10
	s_xor_b64 exec, exec, s[6:7]
	s_cbranch_execz .LBB1_3398
; %bb.39239:
	s_getpc_b64 s[14:15]
.Lpost_getpc5283:
	s_add_u32 s14, s14, (.LBB1_17736-.Lpost_getpc5283)&4294967295
	s_addc_u32 s15, s15, (.LBB1_17736-.Lpost_getpc5283)>>32
	s_setpc_b64 s[14:15]
.LBB1_3398:
	s_or_b64 exec, exec, s[6:7]
	s_and_saveexec_b64 s[6:7], s[4:5]
	s_cbranch_execz .LBB1_3400
.LBB1_3399:
	v_and_b32_e32 v3, 7, v4
	v_ffbh_u32_e32 v7, v3
	v_min_u32_e32 v7, 32, v7
	v_lshrrev_b16_e32 v6, 3, v4
	v_subrev_u32_e32 v12, 28, v7
	v_and_b32_e32 v6, 15, v6
	v_lshlrev_b32_e32 v12, v12, v4
	v_sub_u32_e32 v7, 29, v7
	v_and_b32_e32 v12, 7, v12
	v_cmp_eq_u16_e32 vcc, 0, v6
	v_cndmask_b32_e32 v3, v3, v12, vcc
	v_cndmask_b32_e32 v6, v6, v7, vcc
	v_lshlrev_b32_e32 v7, 24, v4
	v_mov_b32_e32 v12, 0x3b800000
	v_lshlrev_b32_e32 v3, 20, v3
	v_and_b32_e32 v7, 0x80000000, v7
	v_lshl_add_u32 v6, v6, 23, v12
	v_or3_b32 v3, v7, v6, v3
.LBB1_3400:
	s_or_b64 exec, exec, s[6:7]
	s_nop 0
	v_mfma_f32_16x16x4f32 a[0:3], v2, v3, a[0:3]
	v_lshrrev_b32_e32 v3, 8, v8
	s_movk_i32 s4, 0x7f
	v_cmp_gt_i16_sdwa s[6:7], v3, s4 src0_sel:BYTE_0 src1_sel:DWORD
	s_mov_b64 s[4:5], 0
                                        ; implicit-def: $sgpr10
	s_and_saveexec_b64 s[8:9], s[6:7]
	s_xor_b64 s[6:7], exec, s[8:9]
	s_cbranch_execz .LBB1_3401
; %bb.39241:
	s_getpc_b64 s[14:15]
.Lpost_getpc5284:
	s_add_u32 s14, s14, (.LBB1_17737-.Lpost_getpc5284)&4294967295
	s_addc_u32 s15, s15, (.LBB1_17737-.Lpost_getpc5284)>>32
	s_setpc_b64 s[14:15]
.LBB1_3401:
	s_or_saveexec_b64 s[6:7], s[6:7]
	v_mov_b32_e32 v2, s10
	s_xor_b64 exec, exec, s[6:7]
	s_cbranch_execz .LBB1_3402
; %bb.39243:
	s_getpc_b64 s[14:15]
.Lpost_getpc5285:
	s_add_u32 s14, s14, (.LBB1_17740-.Lpost_getpc5285)&4294967295
	s_addc_u32 s15, s15, (.LBB1_17740-.Lpost_getpc5285)>>32
	s_setpc_b64 s[14:15]
.LBB1_3402:
	s_or_b64 exec, exec, s[6:7]
	s_and_saveexec_b64 s[6:7], s[4:5]
	s_cbranch_execz .LBB1_3404
.LBB1_3403:
	v_bfe_u32 v2, v8, 8, 3
	v_ffbh_u32_e32 v7, v2
	v_min_u32_e32 v7, 32, v7
	v_lshrrev_b16_e32 v6, 3, v3
	v_subrev_u32_e32 v12, 28, v7
	v_and_b32_e32 v6, 15, v6
	v_lshlrev_b32_e32 v3, v12, v3
	v_sub_u32_e32 v7, 29, v7
	v_and_b32_e32 v3, 7, v3
	v_cmp_eq_u16_e32 vcc, 0, v6
	v_cndmask_b32_e32 v2, v2, v3, vcc
	v_cndmask_b32_e32 v3, v6, v7, vcc
	v_lshlrev_b32_e32 v6, 16, v8
	v_mov_b32_e32 v7, 0x3b800000
	v_lshlrev_b32_e32 v2, 20, v2
	v_and_b32_e32 v6, 0x80000000, v6
	v_lshl_add_u32 v3, v3, 23, v7
	v_or3_b32 v2, v6, v3, v2
.LBB1_3404:
	s_or_b64 exec, exec, s[6:7]
	v_lshrrev_b32_e32 v3, 8, v4
	s_movk_i32 s4, 0x7f
	v_cmp_gt_i16_sdwa s[6:7], v3, s4 src0_sel:BYTE_0 src1_sel:DWORD
	s_mov_b64 s[4:5], 0
                                        ; implicit-def: $sgpr10
	s_and_saveexec_b64 s[8:9], s[6:7]
	s_xor_b64 s[6:7], exec, s[8:9]
	s_cbranch_execz .LBB1_3405
; %bb.39245:
	s_getpc_b64 s[14:15]
.Lpost_getpc5286:
	s_add_u32 s14, s14, (.LBB1_17741-.Lpost_getpc5286)&4294967295
	s_addc_u32 s15, s15, (.LBB1_17741-.Lpost_getpc5286)>>32
	s_setpc_b64 s[14:15]
.LBB1_3405:
	s_or_saveexec_b64 s[6:7], s[6:7]
	v_mov_b32_e32 v6, s10
	s_xor_b64 exec, exec, s[6:7]
	s_cbranch_execz .LBB1_3406
; %bb.39247:
	s_getpc_b64 s[14:15]
.Lpost_getpc5287:
	s_add_u32 s14, s14, (.LBB1_17744-.Lpost_getpc5287)&4294967295
	s_addc_u32 s15, s15, (.LBB1_17744-.Lpost_getpc5287)>>32
	s_setpc_b64 s[14:15]
.LBB1_3406:
	s_or_b64 exec, exec, s[6:7]
	s_and_saveexec_b64 s[6:7], s[4:5]
	s_cbranch_execz .LBB1_3408
.LBB1_3407:
	v_bfe_u32 v6, v4, 8, 3
	v_ffbh_u32_e32 v12, v6
	v_min_u32_e32 v12, 32, v12
	v_lshrrev_b16_e32 v7, 3, v3
	v_subrev_u32_e32 v13, 28, v12
	v_and_b32_e32 v7, 15, v7
	v_lshlrev_b32_e32 v3, v13, v3
	v_sub_u32_e32 v12, 29, v12
	v_and_b32_e32 v3, 7, v3
	v_cmp_eq_u16_e32 vcc, 0, v7
	v_cndmask_b32_e32 v3, v6, v3, vcc
	v_cndmask_b32_e32 v6, v7, v12, vcc
	v_lshlrev_b32_e32 v7, 16, v4
	v_mov_b32_e32 v12, 0x3b800000
	v_lshlrev_b32_e32 v3, 20, v3
	v_and_b32_e32 v7, 0x80000000, v7
	v_lshl_add_u32 v6, v6, 23, v12
	v_or3_b32 v6, v7, v6, v3
.LBB1_3408:
	s_or_b64 exec, exec, s[6:7]
	s_nop 0
	v_mfma_f32_16x16x4f32 a[0:3], v2, v6, a[0:3]
	s_movk_i32 s4, 0xff
	v_and_b32_sdwa v3, v8, s4 dst_sel:DWORD dst_unused:UNUSED_PAD src0_sel:WORD_1 src1_sel:DWORD
	s_movk_i32 s4, 0x7f
	v_cmp_lt_i16_e32 vcc, s4, v3
	s_mov_b64 s[4:5], 0
                                        ; implicit-def: $sgpr10
	s_and_saveexec_b64 s[6:7], vcc
	s_xor_b64 s[6:7], exec, s[6:7]
	s_cbranch_execz .LBB1_3409
; %bb.39249:
	s_getpc_b64 s[14:15]
.Lpost_getpc5288:
	s_add_u32 s14, s14, (.LBB1_17745-.Lpost_getpc5288)&4294967295
	s_addc_u32 s15, s15, (.LBB1_17745-.Lpost_getpc5288)>>32
	s_setpc_b64 s[14:15]
.LBB1_3409:
	s_or_saveexec_b64 s[6:7], s[6:7]
	v_mov_b32_e32 v2, s10
	s_xor_b64 exec, exec, s[6:7]
	s_cbranch_execz .LBB1_3410
; %bb.39251:
	s_getpc_b64 s[14:15]
.Lpost_getpc5289:
	s_add_u32 s14, s14, (.LBB1_17748-.Lpost_getpc5289)&4294967295
	s_addc_u32 s15, s15, (.LBB1_17748-.Lpost_getpc5289)>>32
	s_setpc_b64 s[14:15]
.LBB1_3410:
	s_or_b64 exec, exec, s[6:7]
	s_and_saveexec_b64 s[6:7], s[4:5]
	s_cbranch_execz .LBB1_3412
.LBB1_3411:
	v_bfe_u32 v2, v8, 16, 3
	v_ffbh_u32_e32 v7, v2
	v_min_u32_e32 v7, 32, v7
	v_lshrrev_b32_e32 v3, 19, v8
	v_subrev_u32_e32 v12, 28, v7
	v_and_b32_e32 v3, 15, v3
	v_lshlrev_b32_sdwa v12, v12, v8 dst_sel:DWORD dst_unused:UNUSED_PAD src0_sel:DWORD src1_sel:WORD_1
	v_bfe_u32 v6, v8, 19, 4
	v_sub_u32_e32 v7, 29, v7
	v_and_b32_e32 v12, 7, v12
	v_cmp_eq_u16_e32 vcc, 0, v3
	v_cndmask_b32_e32 v2, v2, v12, vcc
	v_cndmask_b32_e32 v3, v6, v7, vcc
	v_lshlrev_b32_e32 v6, 8, v8
	v_mov_b32_e32 v7, 0x3b800000
	v_lshlrev_b32_e32 v2, 20, v2
	v_and_b32_e32 v6, 0x80000000, v6
	v_lshl_add_u32 v3, v3, 23, v7
	v_or3_b32 v2, v6, v3, v2
.LBB1_3412:
	s_or_b64 exec, exec, s[6:7]
	s_movk_i32 s4, 0xff
	v_and_b32_sdwa v3, v4, s4 dst_sel:DWORD dst_unused:UNUSED_PAD src0_sel:WORD_1 src1_sel:DWORD
	s_movk_i32 s4, 0x7f
	v_cmp_lt_i16_e32 vcc, s4, v3
	s_mov_b64 s[4:5], 0
                                        ; implicit-def: $sgpr10
	s_and_saveexec_b64 s[6:7], vcc
	s_xor_b64 s[6:7], exec, s[6:7]
	s_cbranch_execz .LBB1_3413
; %bb.39253:
	s_getpc_b64 s[14:15]
.Lpost_getpc5290:
	s_add_u32 s14, s14, (.LBB1_17749-.Lpost_getpc5290)&4294967295
	s_addc_u32 s15, s15, (.LBB1_17749-.Lpost_getpc5290)>>32
	s_setpc_b64 s[14:15]
.LBB1_3413:
	s_or_saveexec_b64 s[6:7], s[6:7]
	v_mov_b32_e32 v6, s10
	s_xor_b64 exec, exec, s[6:7]
	s_cbranch_execz .LBB1_3414
; %bb.39255:
	s_getpc_b64 s[14:15]
.Lpost_getpc5291:
	s_add_u32 s14, s14, (.LBB1_17752-.Lpost_getpc5291)&4294967295
	s_addc_u32 s15, s15, (.LBB1_17752-.Lpost_getpc5291)>>32
	s_setpc_b64 s[14:15]
.LBB1_3414:
	s_or_b64 exec, exec, s[6:7]
	s_and_saveexec_b64 s[6:7], s[4:5]
	s_cbranch_execz .LBB1_3416
.LBB1_3415:
	v_bfe_u32 v3, v4, 16, 3
	v_ffbh_u32_e32 v12, v3
	v_min_u32_e32 v12, 32, v12
	v_lshrrev_b32_e32 v6, 19, v4
	v_subrev_u32_e32 v13, 28, v12
	v_and_b32_e32 v6, 15, v6
	v_lshlrev_b32_sdwa v13, v13, v4 dst_sel:DWORD dst_unused:UNUSED_PAD src0_sel:DWORD src1_sel:WORD_1
	v_bfe_u32 v7, v4, 19, 4
	v_sub_u32_e32 v12, 29, v12
	v_and_b32_e32 v13, 7, v13
	v_cmp_eq_u16_e32 vcc, 0, v6
	v_cndmask_b32_e32 v3, v3, v13, vcc
	v_cndmask_b32_e32 v6, v7, v12, vcc
	v_lshlrev_b32_e32 v7, 8, v4
	v_mov_b32_e32 v12, 0x3b800000
	v_lshlrev_b32_e32 v3, 20, v3
	v_and_b32_e32 v7, 0x80000000, v7
	v_lshl_add_u32 v6, v6, 23, v12
	v_or3_b32 v6, v7, v6, v3
.LBB1_3416:
	s_or_b64 exec, exec, s[6:7]
	s_nop 0
	v_mfma_f32_16x16x4f32 a[0:3], v2, v6, a[0:3]
	s_movk_i32 s4, 0x7f
	v_cmp_gt_i16_sdwa s[6:7], v8, s4 src0_sel:BYTE_3 src1_sel:DWORD
	s_mov_b64 s[4:5], 0
                                        ; implicit-def: $sgpr10
	s_and_saveexec_b64 s[8:9], s[6:7]
	s_xor_b64 s[6:7], exec, s[8:9]
	s_cbranch_execz .LBB1_3417
; %bb.39257:
	s_getpc_b64 s[14:15]
.Lpost_getpc5292:
	s_add_u32 s14, s14, (.LBB1_17753-.Lpost_getpc5292)&4294967295
	s_addc_u32 s15, s15, (.LBB1_17753-.Lpost_getpc5292)>>32
	s_setpc_b64 s[14:15]
.LBB1_3417:
	s_or_saveexec_b64 s[6:7], s[6:7]
	v_mov_b32_e32 v2, s10
	s_xor_b64 exec, exec, s[6:7]
	s_cbranch_execz .LBB1_3418
; %bb.39259:
	s_getpc_b64 s[14:15]
.Lpost_getpc5293:
	s_add_u32 s14, s14, (.LBB1_17756-.Lpost_getpc5293)&4294967295
	s_addc_u32 s15, s15, (.LBB1_17756-.Lpost_getpc5293)>>32
	s_setpc_b64 s[14:15]
.LBB1_3418:
	s_or_b64 exec, exec, s[6:7]
	s_and_saveexec_b64 s[6:7], s[4:5]
	s_cbranch_execz .LBB1_3420
.LBB1_3419:
	v_bfe_u32 v2, v8, 24, 3
	v_ffbh_u32_e32 v12, v2
	v_min_u32_e32 v12, 32, v12
	v_lshrrev_b32_e32 v6, 27, v8
	v_subrev_u32_e32 v13, 28, v12
	v_and_b32_e32 v3, 0x80000000, v8
	v_and_b32_e32 v6, 15, v6
	v_bfe_u32 v7, v8, 27, 4
	v_lshlrev_b32_sdwa v8, v13, v8 dst_sel:DWORD dst_unused:UNUSED_PAD src0_sel:DWORD src1_sel:BYTE_3
	v_sub_u32_e32 v12, 29, v12
	v_and_b32_e32 v8, 7, v8
	v_cmp_eq_u16_e32 vcc, 0, v6
	v_cndmask_b32_e32 v2, v2, v8, vcc
	v_cndmask_b32_e32 v6, v7, v12, vcc
	v_mov_b32_e32 v7, 0x3b800000
	v_lshlrev_b32_e32 v2, 20, v2
	v_lshl_add_u32 v6, v6, 23, v7
	v_or3_b32 v2, v3, v6, v2
.LBB1_3420:
	s_or_b64 exec, exec, s[6:7]
	s_movk_i32 s4, 0x7f
	v_cmp_gt_i16_sdwa s[6:7], v4, s4 src0_sel:BYTE_3 src1_sel:DWORD
	s_mov_b64 s[4:5], 0
                                        ; implicit-def: $sgpr10
	s_and_saveexec_b64 s[8:9], s[6:7]
	s_xor_b64 s[6:7], exec, s[8:9]
	s_cbranch_execz .LBB1_3421
; %bb.39261:
	s_getpc_b64 s[14:15]
.Lpost_getpc5294:
	s_add_u32 s14, s14, (.LBB1_17757-.Lpost_getpc5294)&4294967295
	s_addc_u32 s15, s15, (.LBB1_17757-.Lpost_getpc5294)>>32
	s_setpc_b64 s[14:15]
.LBB1_3421:
	s_or_saveexec_b64 s[6:7], s[6:7]
	v_mov_b32_e32 v3, s10
	s_xor_b64 exec, exec, s[6:7]
	s_cbranch_execz .LBB1_3422
; %bb.39263:
	s_getpc_b64 s[14:15]
.Lpost_getpc5295:
	s_add_u32 s14, s14, (.LBB1_17760-.Lpost_getpc5295)&4294967295
	s_addc_u32 s15, s15, (.LBB1_17760-.Lpost_getpc5295)>>32
	s_setpc_b64 s[14:15]
.LBB1_3422:
	s_or_b64 exec, exec, s[6:7]
	s_and_saveexec_b64 s[6:7], s[4:5]
	s_cbranch_execz .LBB1_3424
.LBB1_3423:
	v_bfe_u32 v3, v4, 24, 3
	v_ffbh_u32_e32 v12, v3
	v_min_u32_e32 v12, 32, v12
	v_lshrrev_b32_e32 v7, 27, v4
	v_subrev_u32_e32 v13, 28, v12
	v_and_b32_e32 v6, 0x80000000, v4
	v_and_b32_e32 v7, 15, v7
	v_bfe_u32 v8, v4, 27, 4
	v_lshlrev_b32_sdwa v4, v13, v4 dst_sel:DWORD dst_unused:UNUSED_PAD src0_sel:DWORD src1_sel:BYTE_3
	v_sub_u32_e32 v12, 29, v12
	v_and_b32_e32 v4, 7, v4
	v_cmp_eq_u16_e32 vcc, 0, v7
	v_cndmask_b32_e32 v3, v3, v4, vcc
	v_cndmask_b32_e32 v4, v8, v12, vcc
	v_mov_b32_e32 v7, 0x3b800000
	v_lshlrev_b32_e32 v3, 20, v3
	v_lshl_add_u32 v4, v4, 23, v7
	v_or3_b32 v3, v6, v4, v3
.LBB1_3424:
	s_or_b64 exec, exec, s[6:7]
	s_nop 0
	v_mfma_f32_16x16x4f32 a[0:3], v2, v3, a[0:3]
	s_movk_i32 s4, 0x7f
	v_cmp_gt_i16_sdwa s[6:7], v9, s4 src0_sel:BYTE_0 src1_sel:DWORD
	s_mov_b64 s[4:5], 0
                                        ; implicit-def: $sgpr10
	s_and_saveexec_b64 s[8:9], s[6:7]
	s_xor_b64 s[6:7], exec, s[8:9]
	s_cbranch_execz .LBB1_3425
; %bb.39265:
	s_getpc_b64 s[14:15]
.Lpost_getpc5296:
	s_add_u32 s14, s14, (.LBB1_17761-.Lpost_getpc5296)&4294967295
	s_addc_u32 s15, s15, (.LBB1_17761-.Lpost_getpc5296)>>32
	s_setpc_b64 s[14:15]
.LBB1_3425:
	s_or_saveexec_b64 s[6:7], s[6:7]
	v_mov_b32_e32 v2, s10
	s_xor_b64 exec, exec, s[6:7]
	s_cbranch_execz .LBB1_3426
; %bb.39267:
	s_getpc_b64 s[14:15]
.Lpost_getpc5297:
	s_add_u32 s14, s14, (.LBB1_17764-.Lpost_getpc5297)&4294967295
	s_addc_u32 s15, s15, (.LBB1_17764-.Lpost_getpc5297)>>32
	s_setpc_b64 s[14:15]
.LBB1_3426:
	s_or_b64 exec, exec, s[6:7]
	s_and_saveexec_b64 s[6:7], s[4:5]
	s_cbranch_execz .LBB1_3428
.LBB1_3427:
	v_mov_b32_e32 v2, 8
	v_and_b32_e32 v3, 7, v9
	v_lshrrev_b32_sdwa v2, v2, v9 dst_sel:BYTE_1 dst_unused:UNUSED_PAD src0_sel:DWORD src1_sel:DWORD
	v_ffbh_u32_e32 v4, v3
	v_or_b32_sdwa v2, v9, v2 dst_sel:DWORD dst_unused:UNUSED_PAD src0_sel:BYTE_0 src1_sel:DWORD
	v_min_u32_e32 v4, 32, v4
	v_lshrrev_b16_e32 v2, 3, v2
	v_subrev_u32_e32 v6, 28, v4
	v_and_b32_e32 v2, 15, v2
	v_lshlrev_b32_e32 v6, v6, v9
	v_sub_u32_e32 v4, 29, v4
	v_and_b32_e32 v6, 7, v6
	v_cmp_eq_u16_e32 vcc, 0, v2
	v_cndmask_b32_e32 v3, v3, v6, vcc
	v_cndmask_b32_e32 v2, v2, v4, vcc
	v_lshlrev_b32_e32 v4, 24, v9
	v_mov_b32_e32 v6, 0x3b800000
	v_lshlrev_b32_e32 v3, 20, v3
	v_and_b32_e32 v4, 0x80000000, v4
	v_lshl_add_u32 v2, v2, 23, v6
	v_or3_b32 v2, v4, v2, v3
.LBB1_3428:
	s_or_b64 exec, exec, s[6:7]
	s_movk_i32 s4, 0x7f
	v_cmp_gt_i16_sdwa s[6:7], v5, s4 src0_sel:BYTE_0 src1_sel:DWORD
	s_mov_b64 s[4:5], 0
                                        ; implicit-def: $sgpr10
	s_and_saveexec_b64 s[8:9], s[6:7]
	s_xor_b64 s[6:7], exec, s[8:9]
	s_cbranch_execz .LBB1_3429
; %bb.39269:
	s_getpc_b64 s[14:15]
.Lpost_getpc5298:
	s_add_u32 s14, s14, (.LBB1_17765-.Lpost_getpc5298)&4294967295
	s_addc_u32 s15, s15, (.LBB1_17765-.Lpost_getpc5298)>>32
	s_setpc_b64 s[14:15]
.LBB1_3429:
	s_or_saveexec_b64 s[6:7], s[6:7]
	v_mov_b32_e32 v3, s10
	s_xor_b64 exec, exec, s[6:7]
	s_cbranch_execz .LBB1_3430
; %bb.39271:
	s_getpc_b64 s[14:15]
.Lpost_getpc5299:
	s_add_u32 s14, s14, (.LBB1_17768-.Lpost_getpc5299)&4294967295
	s_addc_u32 s15, s15, (.LBB1_17768-.Lpost_getpc5299)>>32
	s_setpc_b64 s[14:15]
.LBB1_3430:
	s_or_b64 exec, exec, s[6:7]
	s_and_saveexec_b64 s[6:7], s[4:5]
	s_cbranch_execz .LBB1_3432
.LBB1_3431:
	v_mov_b32_e32 v3, 8
	v_and_b32_e32 v4, 7, v5
	v_lshrrev_b32_sdwa v3, v3, v5 dst_sel:BYTE_1 dst_unused:UNUSED_PAD src0_sel:DWORD src1_sel:DWORD
	v_ffbh_u32_e32 v6, v4
	v_or_b32_sdwa v3, v5, v3 dst_sel:DWORD dst_unused:UNUSED_PAD src0_sel:BYTE_0 src1_sel:DWORD
	v_min_u32_e32 v6, 32, v6
	v_lshrrev_b16_e32 v3, 3, v3
	v_subrev_u32_e32 v7, 28, v6
	v_and_b32_e32 v3, 15, v3
	v_lshlrev_b32_e32 v7, v7, v5
	v_sub_u32_e32 v6, 29, v6
	v_and_b32_e32 v7, 7, v7
	v_cmp_eq_u16_e32 vcc, 0, v3
	v_cndmask_b32_e32 v4, v4, v7, vcc
	v_cndmask_b32_e32 v3, v3, v6, vcc
	v_lshlrev_b32_e32 v6, 24, v5
	v_mov_b32_e32 v7, 0x3b800000
	v_lshlrev_b32_e32 v4, 20, v4
	v_and_b32_e32 v6, 0x80000000, v6
	v_lshl_add_u32 v3, v3, 23, v7
	v_or3_b32 v3, v6, v3, v4
.LBB1_3432:
	s_or_b64 exec, exec, s[6:7]
	s_nop 0
	v_mfma_f32_16x16x4f32 a[0:3], v2, v3, a[0:3]
	v_lshrrev_b32_e32 v3, 8, v9
	s_movk_i32 s4, 0x7f
	v_cmp_gt_i16_sdwa s[6:7], v3, s4 src0_sel:BYTE_0 src1_sel:DWORD
	s_mov_b64 s[4:5], 0
                                        ; implicit-def: $sgpr10
	s_and_saveexec_b64 s[8:9], s[6:7]
	s_xor_b64 s[6:7], exec, s[8:9]
	s_cbranch_execz .LBB1_3433
; %bb.39273:
	s_getpc_b64 s[14:15]
.Lpost_getpc5300:
	s_add_u32 s14, s14, (.LBB1_17769-.Lpost_getpc5300)&4294967295
	s_addc_u32 s15, s15, (.LBB1_17769-.Lpost_getpc5300)>>32
	s_setpc_b64 s[14:15]
.LBB1_3433:
	s_or_saveexec_b64 s[6:7], s[6:7]
	v_mov_b32_e32 v2, s10
	s_xor_b64 exec, exec, s[6:7]
	s_cbranch_execz .LBB1_3434
; %bb.39275:
	s_getpc_b64 s[14:15]
.Lpost_getpc5301:
	s_add_u32 s14, s14, (.LBB1_17772-.Lpost_getpc5301)&4294967295
	s_addc_u32 s15, s15, (.LBB1_17772-.Lpost_getpc5301)>>32
	s_setpc_b64 s[14:15]
.LBB1_3434:
	s_or_b64 exec, exec, s[6:7]
	s_and_saveexec_b64 s[6:7], s[4:5]
	s_cbranch_execz .LBB1_3436
.LBB1_3435:
	v_bfe_u32 v2, v9, 8, 3
	v_ffbh_u32_e32 v6, v2
	v_min_u32_e32 v6, 32, v6
	v_lshrrev_b16_e32 v4, 3, v3
	v_subrev_u32_e32 v7, 28, v6
	v_and_b32_e32 v4, 15, v4
	v_lshlrev_b32_e32 v3, v7, v3
	v_sub_u32_e32 v6, 29, v6
	v_and_b32_e32 v3, 7, v3
	v_cmp_eq_u16_e32 vcc, 0, v4
	v_cndmask_b32_e32 v2, v2, v3, vcc
	v_cndmask_b32_e32 v3, v4, v6, vcc
	v_lshlrev_b32_e32 v4, 16, v9
	v_mov_b32_e32 v6, 0x3b800000
	v_lshlrev_b32_e32 v2, 20, v2
	v_and_b32_e32 v4, 0x80000000, v4
	v_lshl_add_u32 v3, v3, 23, v6
	v_or3_b32 v2, v4, v3, v2
.LBB1_3436:
	s_or_b64 exec, exec, s[6:7]
	v_lshrrev_b32_e32 v3, 8, v5
	s_movk_i32 s4, 0x7f
	v_cmp_gt_i16_sdwa s[6:7], v3, s4 src0_sel:BYTE_0 src1_sel:DWORD
	s_mov_b64 s[4:5], 0
                                        ; implicit-def: $sgpr10
	s_and_saveexec_b64 s[8:9], s[6:7]
	s_xor_b64 s[6:7], exec, s[8:9]
	s_cbranch_execz .LBB1_3437
; %bb.39277:
	s_getpc_b64 s[14:15]
.Lpost_getpc5302:
	s_add_u32 s14, s14, (.LBB1_17773-.Lpost_getpc5302)&4294967295
	s_addc_u32 s15, s15, (.LBB1_17773-.Lpost_getpc5302)>>32
	s_setpc_b64 s[14:15]
.LBB1_3437:
	s_or_saveexec_b64 s[6:7], s[6:7]
	v_mov_b32_e32 v4, s10
	s_xor_b64 exec, exec, s[6:7]
	s_cbranch_execz .LBB1_3438
; %bb.39279:
	s_getpc_b64 s[14:15]
.Lpost_getpc5303:
	s_add_u32 s14, s14, (.LBB1_17776-.Lpost_getpc5303)&4294967295
	s_addc_u32 s15, s15, (.LBB1_17776-.Lpost_getpc5303)>>32
	s_setpc_b64 s[14:15]
.LBB1_3438:
	s_or_b64 exec, exec, s[6:7]
	s_and_saveexec_b64 s[6:7], s[4:5]
	s_cbranch_execz .LBB1_3440
.LBB1_3439:
	v_bfe_u32 v4, v5, 8, 3
	v_ffbh_u32_e32 v7, v4
	v_min_u32_e32 v7, 32, v7
	v_lshrrev_b16_e32 v6, 3, v3
	v_subrev_u32_e32 v8, 28, v7
	v_and_b32_e32 v6, 15, v6
	v_lshlrev_b32_e32 v3, v8, v3
	v_sub_u32_e32 v7, 29, v7
	v_and_b32_e32 v3, 7, v3
	v_cmp_eq_u16_e32 vcc, 0, v6
	v_cndmask_b32_e32 v3, v4, v3, vcc
	v_cndmask_b32_e32 v4, v6, v7, vcc
	v_lshlrev_b32_e32 v6, 16, v5
	v_mov_b32_e32 v7, 0x3b800000
	v_lshlrev_b32_e32 v3, 20, v3
	v_and_b32_e32 v6, 0x80000000, v6
	v_lshl_add_u32 v4, v4, 23, v7
	v_or3_b32 v4, v6, v4, v3
.LBB1_3440:
	s_or_b64 exec, exec, s[6:7]
	s_nop 0
	v_mfma_f32_16x16x4f32 a[0:3], v2, v4, a[0:3]
	s_movk_i32 s4, 0xff
	v_and_b32_sdwa v3, v9, s4 dst_sel:DWORD dst_unused:UNUSED_PAD src0_sel:WORD_1 src1_sel:DWORD
	s_movk_i32 s4, 0x7f
	v_cmp_lt_i16_e32 vcc, s4, v3
	s_mov_b64 s[4:5], 0
                                        ; implicit-def: $sgpr10
	s_and_saveexec_b64 s[6:7], vcc
	s_xor_b64 s[6:7], exec, s[6:7]
	s_cbranch_execz .LBB1_3441
; %bb.39281:
	s_getpc_b64 s[14:15]
.Lpost_getpc5304:
	s_add_u32 s14, s14, (.LBB1_17777-.Lpost_getpc5304)&4294967295
	s_addc_u32 s15, s15, (.LBB1_17777-.Lpost_getpc5304)>>32
	s_setpc_b64 s[14:15]
.LBB1_3441:
	s_or_saveexec_b64 s[6:7], s[6:7]
	v_mov_b32_e32 v2, s10
	s_xor_b64 exec, exec, s[6:7]
	s_cbranch_execz .LBB1_3442
; %bb.39283:
	s_getpc_b64 s[14:15]
.Lpost_getpc5305:
	s_add_u32 s14, s14, (.LBB1_17780-.Lpost_getpc5305)&4294967295
	s_addc_u32 s15, s15, (.LBB1_17780-.Lpost_getpc5305)>>32
	s_setpc_b64 s[14:15]
.LBB1_3442:
	s_or_b64 exec, exec, s[6:7]
	s_and_saveexec_b64 s[6:7], s[4:5]
	s_cbranch_execz .LBB1_3444
.LBB1_3443:
	v_bfe_u32 v2, v9, 16, 3
	v_ffbh_u32_e32 v6, v2
	v_min_u32_e32 v6, 32, v6
	v_lshrrev_b32_e32 v3, 19, v9
	v_subrev_u32_e32 v7, 28, v6
	v_and_b32_e32 v3, 15, v3
	v_lshlrev_b32_sdwa v7, v7, v9 dst_sel:DWORD dst_unused:UNUSED_PAD src0_sel:DWORD src1_sel:WORD_1
	v_bfe_u32 v4, v9, 19, 4
	v_sub_u32_e32 v6, 29, v6
	v_and_b32_e32 v7, 7, v7
	v_cmp_eq_u16_e32 vcc, 0, v3
	v_cndmask_b32_e32 v2, v2, v7, vcc
	v_cndmask_b32_e32 v3, v4, v6, vcc
	v_lshlrev_b32_e32 v4, 8, v9
	v_mov_b32_e32 v6, 0x3b800000
	v_lshlrev_b32_e32 v2, 20, v2
	v_and_b32_e32 v4, 0x80000000, v4
	v_lshl_add_u32 v3, v3, 23, v6
	v_or3_b32 v2, v4, v3, v2
.LBB1_3444:
	s_or_b64 exec, exec, s[6:7]
	s_movk_i32 s4, 0xff
	v_and_b32_sdwa v3, v5, s4 dst_sel:DWORD dst_unused:UNUSED_PAD src0_sel:WORD_1 src1_sel:DWORD
	s_movk_i32 s4, 0x7f
	v_cmp_lt_i16_e32 vcc, s4, v3
	s_mov_b64 s[4:5], 0
                                        ; implicit-def: $sgpr10
	s_and_saveexec_b64 s[6:7], vcc
	s_xor_b64 s[6:7], exec, s[6:7]
	s_cbranch_execz .LBB1_3445
; %bb.39285:
	s_getpc_b64 s[14:15]
.Lpost_getpc5306:
	s_add_u32 s14, s14, (.LBB1_17781-.Lpost_getpc5306)&4294967295
	s_addc_u32 s15, s15, (.LBB1_17781-.Lpost_getpc5306)>>32
	s_setpc_b64 s[14:15]
.LBB1_3445:
	s_or_saveexec_b64 s[6:7], s[6:7]
	v_mov_b32_e32 v4, s10
	s_xor_b64 exec, exec, s[6:7]
	s_cbranch_execz .LBB1_3446
; %bb.39287:
	s_getpc_b64 s[14:15]
.Lpost_getpc5307:
	s_add_u32 s14, s14, (.LBB1_17784-.Lpost_getpc5307)&4294967295
	s_addc_u32 s15, s15, (.LBB1_17784-.Lpost_getpc5307)>>32
	s_setpc_b64 s[14:15]
.LBB1_3446:
	s_or_b64 exec, exec, s[6:7]
	s_and_saveexec_b64 s[6:7], s[4:5]
	s_cbranch_execz .LBB1_3448
.LBB1_3447:
	v_bfe_u32 v3, v5, 16, 3
	v_ffbh_u32_e32 v7, v3
	v_min_u32_e32 v7, 32, v7
	v_lshrrev_b32_e32 v4, 19, v5
	v_subrev_u32_e32 v8, 28, v7
	v_and_b32_e32 v4, 15, v4
	v_lshlrev_b32_sdwa v8, v8, v5 dst_sel:DWORD dst_unused:UNUSED_PAD src0_sel:DWORD src1_sel:WORD_1
	v_bfe_u32 v6, v5, 19, 4
	v_sub_u32_e32 v7, 29, v7
	v_and_b32_e32 v8, 7, v8
	v_cmp_eq_u16_e32 vcc, 0, v4
	v_cndmask_b32_e32 v3, v3, v8, vcc
	v_cndmask_b32_e32 v4, v6, v7, vcc
	v_lshlrev_b32_e32 v6, 8, v5
	v_mov_b32_e32 v7, 0x3b800000
	v_lshlrev_b32_e32 v3, 20, v3
	v_and_b32_e32 v6, 0x80000000, v6
	v_lshl_add_u32 v4, v4, 23, v7
	v_or3_b32 v4, v6, v4, v3
.LBB1_3448:
	s_or_b64 exec, exec, s[6:7]
	s_nop 0
	v_mfma_f32_16x16x4f32 a[0:3], v2, v4, a[0:3]
	s_movk_i32 s4, 0x7f
	v_cmp_gt_i16_sdwa s[6:7], v9, s4 src0_sel:BYTE_3 src1_sel:DWORD
	s_mov_b64 s[4:5], 0
                                        ; implicit-def: $sgpr10
	s_and_saveexec_b64 s[8:9], s[6:7]
	s_xor_b64 s[6:7], exec, s[8:9]
	s_cbranch_execz .LBB1_3449
; %bb.39289:
	s_getpc_b64 s[14:15]
.Lpost_getpc5308:
	s_add_u32 s14, s14, (.LBB1_17785-.Lpost_getpc5308)&4294967295
	s_addc_u32 s15, s15, (.LBB1_17785-.Lpost_getpc5308)>>32
	s_setpc_b64 s[14:15]
.LBB1_3449:
	s_or_saveexec_b64 s[6:7], s[6:7]
	v_mov_b32_e32 v2, s10
	s_xor_b64 exec, exec, s[6:7]
	s_cbranch_execz .LBB1_3450
; %bb.39291:
	s_getpc_b64 s[14:15]
.Lpost_getpc5309:
	s_add_u32 s14, s14, (.LBB1_17788-.Lpost_getpc5309)&4294967295
	s_addc_u32 s15, s15, (.LBB1_17788-.Lpost_getpc5309)>>32
	s_setpc_b64 s[14:15]
.LBB1_3450:
	s_or_b64 exec, exec, s[6:7]
	s_and_saveexec_b64 s[6:7], s[4:5]
	s_cbranch_execz .LBB1_3452
.LBB1_3451:
	v_bfe_u32 v2, v9, 24, 3
	v_ffbh_u32_e32 v7, v2
	v_min_u32_e32 v7, 32, v7
	v_lshrrev_b32_e32 v4, 27, v9
	v_subrev_u32_e32 v8, 28, v7
	v_and_b32_e32 v4, 15, v4
	v_lshlrev_b32_sdwa v8, v8, v9 dst_sel:DWORD dst_unused:UNUSED_PAD src0_sel:DWORD src1_sel:BYTE_3
	v_bfe_u32 v6, v9, 27, 4
	v_sub_u32_e32 v7, 29, v7
	v_and_b32_e32 v8, 7, v8
	v_cmp_eq_u16_e32 vcc, 0, v4
	v_cndmask_b32_e32 v2, v2, v8, vcc
	v_cndmask_b32_e32 v4, v6, v7, vcc
	v_mov_b32_e32 v6, 0x3b800000
	v_and_b32_e32 v3, 0x80000000, v9
	v_lshlrev_b32_e32 v2, 20, v2
	v_lshl_add_u32 v4, v4, 23, v6
	v_or3_b32 v2, v3, v4, v2
.LBB1_3452:
	s_or_b64 exec, exec, s[6:7]
	s_movk_i32 s4, 0x7f
	v_cmp_gt_i16_sdwa s[6:7], v5, s4 src0_sel:BYTE_3 src1_sel:DWORD
	s_mov_b64 s[4:5], 0
                                        ; implicit-def: $sgpr10
	s_and_saveexec_b64 s[8:9], s[6:7]
	s_xor_b64 s[6:7], exec, s[8:9]
	s_cbranch_execz .LBB1_3453
; %bb.39293:
	s_getpc_b64 s[14:15]
.Lpost_getpc5310:
	s_add_u32 s14, s14, (.LBB1_17789-.Lpost_getpc5310)&4294967295
	s_addc_u32 s15, s15, (.LBB1_17789-.Lpost_getpc5310)>>32
	s_setpc_b64 s[14:15]
.LBB1_3453:
	s_or_saveexec_b64 s[6:7], s[6:7]
	v_mov_b32_e32 v3, s10
	s_xor_b64 exec, exec, s[6:7]
	s_cbranch_execz .LBB1_3454
; %bb.39295:
	s_getpc_b64 s[14:15]
.Lpost_getpc5311:
	s_add_u32 s14, s14, (.LBB1_17792-.Lpost_getpc5311)&4294967295
	s_addc_u32 s15, s15, (.LBB1_17792-.Lpost_getpc5311)>>32
	s_setpc_b64 s[14:15]
.LBB1_3454:
	s_or_b64 exec, exec, s[6:7]
	s_and_saveexec_b64 s[6:7], s[4:5]
	s_cbranch_execz .LBB1_3456
.LBB1_3455:
	v_bfe_u32 v3, v5, 24, 3
	v_ffbh_u32_e32 v8, v3
	v_min_u32_e32 v8, 32, v8
	v_lshrrev_b32_e32 v6, 27, v5
	v_subrev_u32_e32 v9, 28, v8
	v_and_b32_e32 v4, 0x80000000, v5
	v_and_b32_e32 v6, 15, v6
	v_bfe_u32 v7, v5, 27, 4
	v_lshlrev_b32_sdwa v5, v9, v5 dst_sel:DWORD dst_unused:UNUSED_PAD src0_sel:DWORD src1_sel:BYTE_3
	v_sub_u32_e32 v8, 29, v8
	v_and_b32_e32 v5, 7, v5
	v_cmp_eq_u16_e32 vcc, 0, v6
	v_cndmask_b32_e32 v3, v3, v5, vcc
	v_cndmask_b32_e32 v5, v7, v8, vcc
	v_mov_b32_e32 v6, 0x3b800000
	v_lshlrev_b32_e32 v3, 20, v3
	v_lshl_add_u32 v5, v5, 23, v6
	v_or3_b32 v3, v4, v5, v3
.LBB1_3456:
	s_or_b64 exec, exec, s[6:7]
	s_nop 0
	v_mfma_f32_16x16x4f32 a[0:3], v2, v3, a[0:3]
	s_movk_i32 s4, 0x7f
                                        ; implicit-def: $sgpr10
	s_nop 7
	s_nop 1
	flat_store_dwordx4 v[10:11], a[0:3] offset:416
	flat_load_dwordx4 v[12:15], v[0:1]
	s_nop 0
	flat_load_dwordx2 v[10:11], v[0:1] offset:16
	s_waitcnt vmcnt(0) lgkmcnt(0)
	flat_load_dwordx4 v[6:9], v[12:13] offset:48
	flat_load_dwordx4 v[2:5], v[14:15] offset:48
	s_waitcnt vmcnt(0) lgkmcnt(0)
	v_cmp_gt_i16_sdwa s[6:7], v6, s4 src0_sel:BYTE_0 src1_sel:DWORD
	s_mov_b64 s[4:5], 0
	s_and_saveexec_b64 s[8:9], s[6:7]
	s_xor_b64 s[6:7], exec, s[8:9]
	s_cbranch_execz .LBB1_3457
; %bb.39297:
	s_getpc_b64 s[14:15]
.Lpost_getpc5312:
	s_add_u32 s14, s14, (.LBB1_17793-.Lpost_getpc5312)&4294967295
	s_addc_u32 s15, s15, (.LBB1_17793-.Lpost_getpc5312)>>32
	s_setpc_b64 s[14:15]
.LBB1_3457:
	s_or_saveexec_b64 s[6:7], s[6:7]
	v_mov_b32_e32 v12, s10
	s_xor_b64 exec, exec, s[6:7]
	s_cbranch_execz .LBB1_3458
; %bb.39299:
	s_getpc_b64 s[14:15]
.Lpost_getpc5313:
	s_add_u32 s14, s14, (.LBB1_17796-.Lpost_getpc5313)&4294967295
	s_addc_u32 s15, s15, (.LBB1_17796-.Lpost_getpc5313)>>32
	s_setpc_b64 s[14:15]
.LBB1_3458:
	s_or_b64 exec, exec, s[6:7]
	s_and_saveexec_b64 s[6:7], s[4:5]
	s_cbranch_execz .LBB1_3460
.LBB1_3459:
	v_and_b32_e32 v12, 7, v6
	v_ffbh_u32_e32 v14, v12
	v_min_u32_e32 v14, 32, v14
	v_lshrrev_b16_e32 v13, 3, v6
	v_subrev_u32_e32 v15, 28, v14
	v_and_b32_e32 v13, 15, v13
	v_lshlrev_b32_e32 v15, v15, v6
	v_sub_u32_e32 v14, 29, v14
	v_and_b32_e32 v15, 7, v15
	v_cmp_eq_u16_e32 vcc, 0, v13
	v_cndmask_b32_e32 v12, v12, v15, vcc
	v_cndmask_b32_e32 v13, v13, v14, vcc
	v_lshlrev_b32_e32 v14, 24, v6
	v_mov_b32_e32 v15, 0x3b800000
	v_lshlrev_b32_e32 v12, 20, v12
	v_and_b32_e32 v14, 0x80000000, v14
	v_lshl_add_u32 v13, v13, 23, v15
	v_or3_b32 v12, v14, v13, v12
.LBB1_3460:
	s_or_b64 exec, exec, s[6:7]
	s_movk_i32 s4, 0x7f
	v_cmp_gt_i16_sdwa s[6:7], v2, s4 src0_sel:BYTE_0 src1_sel:DWORD
	s_mov_b64 s[4:5], 0
                                        ; implicit-def: $sgpr10
	s_and_saveexec_b64 s[8:9], s[6:7]
	s_xor_b64 s[6:7], exec, s[8:9]
	s_cbranch_execz .LBB1_3461
; %bb.39301:
	s_getpc_b64 s[14:15]
.Lpost_getpc5314:
	s_add_u32 s14, s14, (.LBB1_17797-.Lpost_getpc5314)&4294967295
	s_addc_u32 s15, s15, (.LBB1_17797-.Lpost_getpc5314)>>32
	s_setpc_b64 s[14:15]
.LBB1_3461:
	s_or_saveexec_b64 s[6:7], s[6:7]
	v_mov_b32_e32 v13, s10
	s_xor_b64 exec, exec, s[6:7]
	s_cbranch_execz .LBB1_3462
; %bb.39303:
	s_getpc_b64 s[14:15]
.Lpost_getpc5315:
	s_add_u32 s14, s14, (.LBB1_17800-.Lpost_getpc5315)&4294967295
	s_addc_u32 s15, s15, (.LBB1_17800-.Lpost_getpc5315)>>32
	s_setpc_b64 s[14:15]
.LBB1_3462:
	s_or_b64 exec, exec, s[6:7]
	s_and_saveexec_b64 s[6:7], s[4:5]
	s_cbranch_execz .LBB1_3464
.LBB1_3463:
	v_and_b32_e32 v13, 7, v2
	v_ffbh_u32_e32 v15, v13
	v_min_u32_e32 v15, 32, v15
	v_lshrrev_b16_e32 v14, 3, v2
	v_subrev_u32_e32 v16, 28, v15
	v_and_b32_e32 v14, 15, v14
	v_lshlrev_b32_e32 v16, v16, v2
	v_sub_u32_e32 v15, 29, v15
	v_and_b32_e32 v16, 7, v16
	v_cmp_eq_u16_e32 vcc, 0, v14
	v_cndmask_b32_e32 v13, v13, v16, vcc
	v_cndmask_b32_e32 v14, v14, v15, vcc
	v_lshlrev_b32_e32 v15, 24, v2
	v_mov_b32_e32 v16, 0x3b800000
	v_lshlrev_b32_e32 v13, 20, v13
	v_and_b32_e32 v15, 0x80000000, v15
	v_lshl_add_u32 v14, v14, 23, v16
	v_or3_b32 v13, v15, v14, v13
.LBB1_3464:
	s_or_b64 exec, exec, s[6:7]
	flat_load_dwordx4 a[0:3], v[10:11] offset:432
	s_movk_i32 s4, 0x7f
                                        ; implicit-def: $sgpr10
	s_waitcnt vmcnt(0) lgkmcnt(0)
	v_mfma_f32_16x16x4f32 a[0:3], v12, v13, a[0:3]
	v_lshrrev_b32_e32 v13, 8, v6
	v_cmp_gt_i16_sdwa s[6:7], v13, s4 src0_sel:BYTE_0 src1_sel:DWORD
	s_mov_b64 s[4:5], 0
	s_and_saveexec_b64 s[8:9], s[6:7]
	s_xor_b64 s[6:7], exec, s[8:9]
	s_cbranch_execz .LBB1_3465
; %bb.39305:
	s_getpc_b64 s[14:15]
.Lpost_getpc5316:
	s_add_u32 s14, s14, (.LBB1_17801-.Lpost_getpc5316)&4294967295
	s_addc_u32 s15, s15, (.LBB1_17801-.Lpost_getpc5316)>>32
	s_setpc_b64 s[14:15]
.LBB1_3465:
	s_or_saveexec_b64 s[6:7], s[6:7]
	v_mov_b32_e32 v12, s10
	s_xor_b64 exec, exec, s[6:7]
	s_cbranch_execz .LBB1_3466
; %bb.39307:
	s_getpc_b64 s[14:15]
.Lpost_getpc5317:
	s_add_u32 s14, s14, (.LBB1_17804-.Lpost_getpc5317)&4294967295
	s_addc_u32 s15, s15, (.LBB1_17804-.Lpost_getpc5317)>>32
	s_setpc_b64 s[14:15]
.LBB1_3466:
	s_or_b64 exec, exec, s[6:7]
	s_and_saveexec_b64 s[6:7], s[4:5]
	s_cbranch_execz .LBB1_3468
.LBB1_3467:
	v_bfe_u32 v12, v6, 8, 3
	v_ffbh_u32_e32 v15, v12
	v_min_u32_e32 v15, 32, v15
	v_lshrrev_b16_e32 v14, 3, v13
	v_subrev_u32_e32 v16, 28, v15
	v_and_b32_e32 v14, 15, v14
	v_lshlrev_b32_e32 v13, v16, v13
	v_sub_u32_e32 v15, 29, v15
	v_and_b32_e32 v13, 7, v13
	v_cmp_eq_u16_e32 vcc, 0, v14
	v_cndmask_b32_e32 v12, v12, v13, vcc
	v_cndmask_b32_e32 v13, v14, v15, vcc
	v_lshlrev_b32_e32 v14, 16, v6
	v_mov_b32_e32 v15, 0x3b800000
	v_lshlrev_b32_e32 v12, 20, v12
	v_and_b32_e32 v14, 0x80000000, v14
	v_lshl_add_u32 v13, v13, 23, v15
	v_or3_b32 v12, v14, v13, v12
.LBB1_3468:
	s_or_b64 exec, exec, s[6:7]
	v_lshrrev_b32_e32 v13, 8, v2
	s_movk_i32 s4, 0x7f
	v_cmp_gt_i16_sdwa s[6:7], v13, s4 src0_sel:BYTE_0 src1_sel:DWORD
	s_mov_b64 s[4:5], 0
                                        ; implicit-def: $sgpr10
	s_and_saveexec_b64 s[8:9], s[6:7]
	s_xor_b64 s[6:7], exec, s[8:9]
	s_cbranch_execz .LBB1_3469
; %bb.39309:
	s_getpc_b64 s[14:15]
.Lpost_getpc5318:
	s_add_u32 s14, s14, (.LBB1_17805-.Lpost_getpc5318)&4294967295
	s_addc_u32 s15, s15, (.LBB1_17805-.Lpost_getpc5318)>>32
	s_setpc_b64 s[14:15]
.LBB1_3469:
	s_or_saveexec_b64 s[6:7], s[6:7]
	v_mov_b32_e32 v14, s10
	s_xor_b64 exec, exec, s[6:7]
	s_cbranch_execz .LBB1_3470
; %bb.39311:
	s_getpc_b64 s[14:15]
.Lpost_getpc5319:
	s_add_u32 s14, s14, (.LBB1_17808-.Lpost_getpc5319)&4294967295
	s_addc_u32 s15, s15, (.LBB1_17808-.Lpost_getpc5319)>>32
	s_setpc_b64 s[14:15]
.LBB1_3470:
	s_or_b64 exec, exec, s[6:7]
	s_and_saveexec_b64 s[6:7], s[4:5]
	s_cbranch_execz .LBB1_3472
.LBB1_3471:
	v_bfe_u32 v14, v2, 8, 3
	v_ffbh_u32_e32 v16, v14
	v_min_u32_e32 v16, 32, v16
	v_lshrrev_b16_e32 v15, 3, v13
	v_subrev_u32_e32 v17, 28, v16
	v_and_b32_e32 v15, 15, v15
	v_lshlrev_b32_e32 v13, v17, v13
	v_sub_u32_e32 v16, 29, v16
	v_and_b32_e32 v13, 7, v13
	v_cmp_eq_u16_e32 vcc, 0, v15
	v_cndmask_b32_e32 v13, v14, v13, vcc
	v_cndmask_b32_e32 v14, v15, v16, vcc
	v_lshlrev_b32_e32 v15, 16, v2
	v_mov_b32_e32 v16, 0x3b800000
	v_lshlrev_b32_e32 v13, 20, v13
	v_and_b32_e32 v15, 0x80000000, v15
	v_lshl_add_u32 v14, v14, 23, v16
	v_or3_b32 v14, v15, v14, v13
.LBB1_3472:
	s_or_b64 exec, exec, s[6:7]
	s_nop 0
	v_mfma_f32_16x16x4f32 a[0:3], v12, v14, a[0:3]
	s_movk_i32 s4, 0xff
	v_and_b32_sdwa v13, v6, s4 dst_sel:DWORD dst_unused:UNUSED_PAD src0_sel:WORD_1 src1_sel:DWORD
	s_movk_i32 s4, 0x7f
	v_cmp_lt_i16_e32 vcc, s4, v13
	s_mov_b64 s[4:5], 0
                                        ; implicit-def: $sgpr10
	s_and_saveexec_b64 s[6:7], vcc
	s_xor_b64 s[6:7], exec, s[6:7]
	s_cbranch_execz .LBB1_3473
; %bb.39313:
	s_getpc_b64 s[14:15]
.Lpost_getpc5320:
	s_add_u32 s14, s14, (.LBB1_17809-.Lpost_getpc5320)&4294967295
	s_addc_u32 s15, s15, (.LBB1_17809-.Lpost_getpc5320)>>32
	s_setpc_b64 s[14:15]
.LBB1_3473:
	s_or_saveexec_b64 s[6:7], s[6:7]
	v_mov_b32_e32 v12, s10
	s_xor_b64 exec, exec, s[6:7]
	s_cbranch_execz .LBB1_3474
; %bb.39315:
	s_getpc_b64 s[14:15]
.Lpost_getpc5321:
	s_add_u32 s14, s14, (.LBB1_17812-.Lpost_getpc5321)&4294967295
	s_addc_u32 s15, s15, (.LBB1_17812-.Lpost_getpc5321)>>32
	s_setpc_b64 s[14:15]
.LBB1_3474:
	s_or_b64 exec, exec, s[6:7]
	s_and_saveexec_b64 s[6:7], s[4:5]
	s_cbranch_execz .LBB1_3476
.LBB1_3475:
	v_bfe_u32 v12, v6, 16, 3
	v_ffbh_u32_e32 v15, v12
	v_min_u32_e32 v15, 32, v15
	v_lshrrev_b32_e32 v13, 19, v6
	v_subrev_u32_e32 v16, 28, v15
	v_and_b32_e32 v13, 15, v13
	v_lshlrev_b32_sdwa v16, v16, v6 dst_sel:DWORD dst_unused:UNUSED_PAD src0_sel:DWORD src1_sel:WORD_1
	v_bfe_u32 v14, v6, 19, 4
	v_sub_u32_e32 v15, 29, v15
	v_and_b32_e32 v16, 7, v16
	v_cmp_eq_u16_e32 vcc, 0, v13
	v_cndmask_b32_e32 v12, v12, v16, vcc
	v_cndmask_b32_e32 v13, v14, v15, vcc
	v_lshlrev_b32_e32 v14, 8, v6
	v_mov_b32_e32 v15, 0x3b800000
	v_lshlrev_b32_e32 v12, 20, v12
	v_and_b32_e32 v14, 0x80000000, v14
	v_lshl_add_u32 v13, v13, 23, v15
	v_or3_b32 v12, v14, v13, v12
.LBB1_3476:
	s_or_b64 exec, exec, s[6:7]
	s_movk_i32 s4, 0xff
	v_and_b32_sdwa v13, v2, s4 dst_sel:DWORD dst_unused:UNUSED_PAD src0_sel:WORD_1 src1_sel:DWORD
	s_movk_i32 s4, 0x7f
	v_cmp_lt_i16_e32 vcc, s4, v13
	s_mov_b64 s[4:5], 0
                                        ; implicit-def: $sgpr10
	s_and_saveexec_b64 s[6:7], vcc
	s_xor_b64 s[6:7], exec, s[6:7]
	s_cbranch_execz .LBB1_3477
; %bb.39317:
	s_getpc_b64 s[14:15]
.Lpost_getpc5322:
	s_add_u32 s14, s14, (.LBB1_17813-.Lpost_getpc5322)&4294967295
	s_addc_u32 s15, s15, (.LBB1_17813-.Lpost_getpc5322)>>32
	s_setpc_b64 s[14:15]
.LBB1_3477:
	s_or_saveexec_b64 s[6:7], s[6:7]
	v_mov_b32_e32 v14, s10
	s_xor_b64 exec, exec, s[6:7]
	s_cbranch_execz .LBB1_3478
; %bb.39319:
	s_getpc_b64 s[14:15]
.Lpost_getpc5323:
	s_add_u32 s14, s14, (.LBB1_17816-.Lpost_getpc5323)&4294967295
	s_addc_u32 s15, s15, (.LBB1_17816-.Lpost_getpc5323)>>32
	s_setpc_b64 s[14:15]
.LBB1_3478:
	s_or_b64 exec, exec, s[6:7]
	s_and_saveexec_b64 s[6:7], s[4:5]
	s_cbranch_execz .LBB1_3480
.LBB1_3479:
	v_bfe_u32 v13, v2, 16, 3
	v_ffbh_u32_e32 v16, v13
	v_min_u32_e32 v16, 32, v16
	v_lshrrev_b32_e32 v14, 19, v2
	v_subrev_u32_e32 v17, 28, v16
	v_and_b32_e32 v14, 15, v14
	v_lshlrev_b32_sdwa v17, v17, v2 dst_sel:DWORD dst_unused:UNUSED_PAD src0_sel:DWORD src1_sel:WORD_1
	v_bfe_u32 v15, v2, 19, 4
	v_sub_u32_e32 v16, 29, v16
	v_and_b32_e32 v17, 7, v17
	v_cmp_eq_u16_e32 vcc, 0, v14
	v_cndmask_b32_e32 v13, v13, v17, vcc
	v_cndmask_b32_e32 v14, v15, v16, vcc
	v_lshlrev_b32_e32 v15, 8, v2
	v_mov_b32_e32 v16, 0x3b800000
	v_lshlrev_b32_e32 v13, 20, v13
	v_and_b32_e32 v15, 0x80000000, v15
	v_lshl_add_u32 v14, v14, 23, v16
	v_or3_b32 v14, v15, v14, v13
.LBB1_3480:
	s_or_b64 exec, exec, s[6:7]
	s_nop 0
	v_mfma_f32_16x16x4f32 a[0:3], v12, v14, a[0:3]
	s_movk_i32 s4, 0x7f
	v_cmp_gt_i16_sdwa s[6:7], v6, s4 src0_sel:BYTE_3 src1_sel:DWORD
	s_mov_b64 s[4:5], 0
                                        ; implicit-def: $sgpr10
	s_and_saveexec_b64 s[8:9], s[6:7]
	s_xor_b64 s[6:7], exec, s[8:9]
	s_cbranch_execz .LBB1_3481
; %bb.39321:
	s_getpc_b64 s[14:15]
.Lpost_getpc5324:
	s_add_u32 s14, s14, (.LBB1_17817-.Lpost_getpc5324)&4294967295
	s_addc_u32 s15, s15, (.LBB1_17817-.Lpost_getpc5324)>>32
	s_setpc_b64 s[14:15]
.LBB1_3481:
	s_or_saveexec_b64 s[6:7], s[6:7]
	v_mov_b32_e32 v12, s10
	s_xor_b64 exec, exec, s[6:7]
	s_cbranch_execz .LBB1_3482
; %bb.39323:
	s_getpc_b64 s[14:15]
.Lpost_getpc5325:
	s_add_u32 s14, s14, (.LBB1_17820-.Lpost_getpc5325)&4294967295
	s_addc_u32 s15, s15, (.LBB1_17820-.Lpost_getpc5325)>>32
	s_setpc_b64 s[14:15]
.LBB1_3482:
	s_or_b64 exec, exec, s[6:7]
	s_and_saveexec_b64 s[6:7], s[4:5]
	s_cbranch_execz .LBB1_3484
.LBB1_3483:
	v_bfe_u32 v12, v6, 24, 3
	v_ffbh_u32_e32 v16, v12
	v_min_u32_e32 v16, 32, v16
	v_lshrrev_b32_e32 v14, 27, v6
	v_subrev_u32_e32 v17, 28, v16
	v_and_b32_e32 v13, 0x80000000, v6
	v_and_b32_e32 v14, 15, v14
	v_bfe_u32 v15, v6, 27, 4
	v_lshlrev_b32_sdwa v6, v17, v6 dst_sel:DWORD dst_unused:UNUSED_PAD src0_sel:DWORD src1_sel:BYTE_3
	v_sub_u32_e32 v16, 29, v16
	v_and_b32_e32 v6, 7, v6
	v_cmp_eq_u16_e32 vcc, 0, v14
	v_cndmask_b32_e32 v6, v12, v6, vcc
	v_cndmask_b32_e32 v12, v15, v16, vcc
	v_mov_b32_e32 v14, 0x3b800000
	v_lshlrev_b32_e32 v6, 20, v6
	v_lshl_add_u32 v12, v12, 23, v14
	v_or3_b32 v12, v13, v12, v6
.LBB1_3484:
	s_or_b64 exec, exec, s[6:7]
	s_movk_i32 s4, 0x7f
	v_cmp_gt_i16_sdwa s[6:7], v2, s4 src0_sel:BYTE_3 src1_sel:DWORD
	s_mov_b64 s[4:5], 0
                                        ; implicit-def: $sgpr10
	s_and_saveexec_b64 s[8:9], s[6:7]
	s_xor_b64 s[6:7], exec, s[8:9]
	s_cbranch_execz .LBB1_3485
; %bb.39325:
	s_getpc_b64 s[14:15]
.Lpost_getpc5326:
	s_add_u32 s14, s14, (.LBB1_17821-.Lpost_getpc5326)&4294967295
	s_addc_u32 s15, s15, (.LBB1_17821-.Lpost_getpc5326)>>32
	s_setpc_b64 s[14:15]
.LBB1_3485:
	s_or_saveexec_b64 s[6:7], s[6:7]
	v_mov_b32_e32 v6, s10
	s_xor_b64 exec, exec, s[6:7]
	s_cbranch_execz .LBB1_3486
; %bb.39327:
	s_getpc_b64 s[14:15]
.Lpost_getpc5327:
	s_add_u32 s14, s14, (.LBB1_17824-.Lpost_getpc5327)&4294967295
	s_addc_u32 s15, s15, (.LBB1_17824-.Lpost_getpc5327)>>32
	s_setpc_b64 s[14:15]
.LBB1_3486:
	s_or_b64 exec, exec, s[6:7]
	s_and_saveexec_b64 s[6:7], s[4:5]
	s_cbranch_execz .LBB1_3488
.LBB1_3487:
	v_bfe_u32 v6, v2, 24, 3
	v_ffbh_u32_e32 v16, v6
	v_min_u32_e32 v16, 32, v16
	v_lshrrev_b32_e32 v14, 27, v2
	v_subrev_u32_e32 v17, 28, v16
	v_and_b32_e32 v13, 0x80000000, v2
	v_and_b32_e32 v14, 15, v14
	v_bfe_u32 v15, v2, 27, 4
	v_lshlrev_b32_sdwa v2, v17, v2 dst_sel:DWORD dst_unused:UNUSED_PAD src0_sel:DWORD src1_sel:BYTE_3
	v_sub_u32_e32 v16, 29, v16
	v_and_b32_e32 v2, 7, v2
	v_cmp_eq_u16_e32 vcc, 0, v14
	v_cndmask_b32_e32 v2, v6, v2, vcc
	v_cndmask_b32_e32 v6, v15, v16, vcc
	v_mov_b32_e32 v14, 0x3b800000
	v_lshlrev_b32_e32 v2, 20, v2
	v_lshl_add_u32 v6, v6, 23, v14
	v_or3_b32 v6, v13, v6, v2
.LBB1_3488:
	s_or_b64 exec, exec, s[6:7]
	s_nop 0
	v_mfma_f32_16x16x4f32 a[0:3], v12, v6, a[0:3]
	s_movk_i32 s4, 0x7f
	v_cmp_gt_i16_sdwa s[6:7], v7, s4 src0_sel:BYTE_0 src1_sel:DWORD
	s_mov_b64 s[4:5], 0
                                        ; implicit-def: $sgpr10
	s_and_saveexec_b64 s[8:9], s[6:7]
	s_xor_b64 s[6:7], exec, s[8:9]
	s_cbranch_execz .LBB1_3489
; %bb.39329:
	s_getpc_b64 s[14:15]
.Lpost_getpc5328:
	s_add_u32 s14, s14, (.LBB1_17825-.Lpost_getpc5328)&4294967295
	s_addc_u32 s15, s15, (.LBB1_17825-.Lpost_getpc5328)>>32
	s_setpc_b64 s[14:15]
.LBB1_3489:
	s_or_saveexec_b64 s[6:7], s[6:7]
	v_mov_b32_e32 v2, s10
	s_xor_b64 exec, exec, s[6:7]
	s_cbranch_execz .LBB1_3490
; %bb.39331:
	s_getpc_b64 s[14:15]
.Lpost_getpc5329:
	s_add_u32 s14, s14, (.LBB1_17828-.Lpost_getpc5329)&4294967295
	s_addc_u32 s15, s15, (.LBB1_17828-.Lpost_getpc5329)>>32
	s_setpc_b64 s[14:15]
.LBB1_3490:
	s_or_b64 exec, exec, s[6:7]
	s_and_saveexec_b64 s[6:7], s[4:5]
	s_cbranch_execz .LBB1_3492
.LBB1_3491:
	v_and_b32_e32 v2, 7, v7
	v_ffbh_u32_e32 v12, v2
	v_min_u32_e32 v12, 32, v12
	v_lshrrev_b16_e32 v6, 3, v7
	v_subrev_u32_e32 v13, 28, v12
	v_and_b32_e32 v6, 15, v6
	v_lshlrev_b32_e32 v13, v13, v7
	v_sub_u32_e32 v12, 29, v12
	v_and_b32_e32 v13, 7, v13
	v_cmp_eq_u16_e32 vcc, 0, v6
	v_cndmask_b32_e32 v2, v2, v13, vcc
	v_cndmask_b32_e32 v6, v6, v12, vcc
	v_lshlrev_b32_e32 v12, 24, v7
	v_mov_b32_e32 v13, 0x3b800000
	v_lshlrev_b32_e32 v2, 20, v2
	v_and_b32_e32 v12, 0x80000000, v12
	v_lshl_add_u32 v6, v6, 23, v13
	v_or3_b32 v2, v12, v6, v2
.LBB1_3492:
	s_or_b64 exec, exec, s[6:7]
	s_movk_i32 s4, 0x7f
	v_cmp_gt_i16_sdwa s[6:7], v3, s4 src0_sel:BYTE_0 src1_sel:DWORD
	s_mov_b64 s[4:5], 0
                                        ; implicit-def: $sgpr10
	s_and_saveexec_b64 s[8:9], s[6:7]
	s_xor_b64 s[6:7], exec, s[8:9]
	s_cbranch_execz .LBB1_3493
; %bb.39333:
	s_getpc_b64 s[14:15]
.Lpost_getpc5330:
	s_add_u32 s14, s14, (.LBB1_17829-.Lpost_getpc5330)&4294967295
	s_addc_u32 s15, s15, (.LBB1_17829-.Lpost_getpc5330)>>32
	s_setpc_b64 s[14:15]
.LBB1_3493:
	s_or_saveexec_b64 s[6:7], s[6:7]
	v_mov_b32_e32 v6, s10
	s_xor_b64 exec, exec, s[6:7]
	s_cbranch_execz .LBB1_3494
; %bb.39335:
	s_getpc_b64 s[14:15]
.Lpost_getpc5331:
	s_add_u32 s14, s14, (.LBB1_17832-.Lpost_getpc5331)&4294967295
	s_addc_u32 s15, s15, (.LBB1_17832-.Lpost_getpc5331)>>32
	s_setpc_b64 s[14:15]
.LBB1_3494:
	s_or_b64 exec, exec, s[6:7]
	s_and_saveexec_b64 s[6:7], s[4:5]
	s_cbranch_execz .LBB1_3496
.LBB1_3495:
	v_and_b32_e32 v6, 7, v3
	v_ffbh_u32_e32 v13, v6
	v_min_u32_e32 v13, 32, v13
	v_lshrrev_b16_e32 v12, 3, v3
	v_subrev_u32_e32 v14, 28, v13
	v_and_b32_e32 v12, 15, v12
	v_lshlrev_b32_e32 v14, v14, v3
	v_sub_u32_e32 v13, 29, v13
	v_and_b32_e32 v14, 7, v14
	v_cmp_eq_u16_e32 vcc, 0, v12
	v_cndmask_b32_e32 v6, v6, v14, vcc
	v_cndmask_b32_e32 v12, v12, v13, vcc
	v_lshlrev_b32_e32 v13, 24, v3
	v_mov_b32_e32 v14, 0x3b800000
	v_lshlrev_b32_e32 v6, 20, v6
	v_and_b32_e32 v13, 0x80000000, v13
	v_lshl_add_u32 v12, v12, 23, v14
	v_or3_b32 v6, v13, v12, v6
.LBB1_3496:
	s_or_b64 exec, exec, s[6:7]
	s_nop 0
	v_mfma_f32_16x16x4f32 a[0:3], v2, v6, a[0:3]
	v_lshrrev_b32_e32 v6, 8, v7
	s_movk_i32 s4, 0x7f
	v_cmp_gt_i16_sdwa s[6:7], v6, s4 src0_sel:BYTE_0 src1_sel:DWORD
	s_mov_b64 s[4:5], 0
                                        ; implicit-def: $sgpr10
	s_and_saveexec_b64 s[8:9], s[6:7]
	s_xor_b64 s[6:7], exec, s[8:9]
	s_cbranch_execz .LBB1_3497
; %bb.39337:
	s_getpc_b64 s[14:15]
.Lpost_getpc5332:
	s_add_u32 s14, s14, (.LBB1_17833-.Lpost_getpc5332)&4294967295
	s_addc_u32 s15, s15, (.LBB1_17833-.Lpost_getpc5332)>>32
	s_setpc_b64 s[14:15]
.LBB1_3497:
	s_or_saveexec_b64 s[6:7], s[6:7]
	v_mov_b32_e32 v2, s10
	s_xor_b64 exec, exec, s[6:7]
	s_cbranch_execz .LBB1_3498
; %bb.39339:
	s_getpc_b64 s[14:15]
.Lpost_getpc5333:
	s_add_u32 s14, s14, (.LBB1_17836-.Lpost_getpc5333)&4294967295
	s_addc_u32 s15, s15, (.LBB1_17836-.Lpost_getpc5333)>>32
	s_setpc_b64 s[14:15]
.LBB1_3498:
	s_or_b64 exec, exec, s[6:7]
	s_and_saveexec_b64 s[6:7], s[4:5]
	s_cbranch_execz .LBB1_3500
.LBB1_3499:
	v_bfe_u32 v2, v7, 8, 3
	v_ffbh_u32_e32 v13, v2
	v_min_u32_e32 v13, 32, v13
	v_lshrrev_b16_e32 v12, 3, v6
	v_subrev_u32_e32 v14, 28, v13
	v_and_b32_e32 v12, 15, v12
	v_lshlrev_b32_e32 v6, v14, v6
	v_sub_u32_e32 v13, 29, v13
	v_and_b32_e32 v6, 7, v6
	v_cmp_eq_u16_e32 vcc, 0, v12
	v_cndmask_b32_e32 v2, v2, v6, vcc
	v_cndmask_b32_e32 v6, v12, v13, vcc
	v_lshlrev_b32_e32 v12, 16, v7
	v_mov_b32_e32 v13, 0x3b800000
	v_lshlrev_b32_e32 v2, 20, v2
	v_and_b32_e32 v12, 0x80000000, v12
	v_lshl_add_u32 v6, v6, 23, v13
	v_or3_b32 v2, v12, v6, v2
.LBB1_3500:
	s_or_b64 exec, exec, s[6:7]
	v_lshrrev_b32_e32 v6, 8, v3
	s_movk_i32 s4, 0x7f
	v_cmp_gt_i16_sdwa s[6:7], v6, s4 src0_sel:BYTE_0 src1_sel:DWORD
	s_mov_b64 s[4:5], 0
                                        ; implicit-def: $sgpr10
	s_and_saveexec_b64 s[8:9], s[6:7]
	s_xor_b64 s[6:7], exec, s[8:9]
	s_cbranch_execz .LBB1_3501
; %bb.39341:
	s_getpc_b64 s[14:15]
.Lpost_getpc5334:
	s_add_u32 s14, s14, (.LBB1_17837-.Lpost_getpc5334)&4294967295
	s_addc_u32 s15, s15, (.LBB1_17837-.Lpost_getpc5334)>>32
	s_setpc_b64 s[14:15]
.LBB1_3501:
	s_or_saveexec_b64 s[6:7], s[6:7]
	v_mov_b32_e32 v12, s10
	s_xor_b64 exec, exec, s[6:7]
	s_cbranch_execz .LBB1_3502
; %bb.39343:
	s_getpc_b64 s[14:15]
.Lpost_getpc5335:
	s_add_u32 s14, s14, (.LBB1_17840-.Lpost_getpc5335)&4294967295
	s_addc_u32 s15, s15, (.LBB1_17840-.Lpost_getpc5335)>>32
	s_setpc_b64 s[14:15]
.LBB1_3502:
	s_or_b64 exec, exec, s[6:7]
	s_and_saveexec_b64 s[6:7], s[4:5]
	s_cbranch_execz .LBB1_3504
.LBB1_3503:
	v_bfe_u32 v12, v3, 8, 3
	v_ffbh_u32_e32 v14, v12
	v_min_u32_e32 v14, 32, v14
	v_lshrrev_b16_e32 v13, 3, v6
	v_subrev_u32_e32 v15, 28, v14
	v_and_b32_e32 v13, 15, v13
	v_lshlrev_b32_e32 v6, v15, v6
	v_sub_u32_e32 v14, 29, v14
	v_and_b32_e32 v6, 7, v6
	v_cmp_eq_u16_e32 vcc, 0, v13
	v_cndmask_b32_e32 v6, v12, v6, vcc
	v_cndmask_b32_e32 v12, v13, v14, vcc
	v_lshlrev_b32_e32 v13, 16, v3
	v_mov_b32_e32 v14, 0x3b800000
	v_lshlrev_b32_e32 v6, 20, v6
	v_and_b32_e32 v13, 0x80000000, v13
	v_lshl_add_u32 v12, v12, 23, v14
	v_or3_b32 v12, v13, v12, v6
.LBB1_3504:
	s_or_b64 exec, exec, s[6:7]
	s_nop 0
	v_mfma_f32_16x16x4f32 a[0:3], v2, v12, a[0:3]
	s_movk_i32 s4, 0xff
	v_and_b32_sdwa v6, v7, s4 dst_sel:DWORD dst_unused:UNUSED_PAD src0_sel:WORD_1 src1_sel:DWORD
	s_movk_i32 s4, 0x7f
	v_cmp_lt_i16_e32 vcc, s4, v6
	s_mov_b64 s[4:5], 0
                                        ; implicit-def: $sgpr10
	s_and_saveexec_b64 s[6:7], vcc
	s_xor_b64 s[6:7], exec, s[6:7]
	s_cbranch_execz .LBB1_3505
; %bb.39345:
	s_getpc_b64 s[14:15]
.Lpost_getpc5336:
	s_add_u32 s14, s14, (.LBB1_17841-.Lpost_getpc5336)&4294967295
	s_addc_u32 s15, s15, (.LBB1_17841-.Lpost_getpc5336)>>32
	s_setpc_b64 s[14:15]
.LBB1_3505:
	s_or_saveexec_b64 s[6:7], s[6:7]
	v_mov_b32_e32 v2, s10
	s_xor_b64 exec, exec, s[6:7]
	s_cbranch_execz .LBB1_3506
; %bb.39347:
	s_getpc_b64 s[14:15]
.Lpost_getpc5337:
	s_add_u32 s14, s14, (.LBB1_17844-.Lpost_getpc5337)&4294967295
	s_addc_u32 s15, s15, (.LBB1_17844-.Lpost_getpc5337)>>32
	s_setpc_b64 s[14:15]
.LBB1_3506:
	s_or_b64 exec, exec, s[6:7]
	s_and_saveexec_b64 s[6:7], s[4:5]
	s_cbranch_execz .LBB1_3508
.LBB1_3507:
	v_bfe_u32 v2, v7, 16, 3
	v_ffbh_u32_e32 v13, v2
	v_min_u32_e32 v13, 32, v13
	v_lshrrev_b32_e32 v6, 19, v7
	v_subrev_u32_e32 v14, 28, v13
	v_and_b32_e32 v6, 15, v6
	v_lshlrev_b32_sdwa v14, v14, v7 dst_sel:DWORD dst_unused:UNUSED_PAD src0_sel:DWORD src1_sel:WORD_1
	v_bfe_u32 v12, v7, 19, 4
	v_sub_u32_e32 v13, 29, v13
	v_and_b32_e32 v14, 7, v14
	v_cmp_eq_u16_e32 vcc, 0, v6
	v_cndmask_b32_e32 v2, v2, v14, vcc
	v_cndmask_b32_e32 v6, v12, v13, vcc
	v_lshlrev_b32_e32 v12, 8, v7
	v_mov_b32_e32 v13, 0x3b800000
	v_lshlrev_b32_e32 v2, 20, v2
	v_and_b32_e32 v12, 0x80000000, v12
	v_lshl_add_u32 v6, v6, 23, v13
	v_or3_b32 v2, v12, v6, v2
.LBB1_3508:
	s_or_b64 exec, exec, s[6:7]
	s_movk_i32 s4, 0xff
	v_and_b32_sdwa v6, v3, s4 dst_sel:DWORD dst_unused:UNUSED_PAD src0_sel:WORD_1 src1_sel:DWORD
	s_movk_i32 s4, 0x7f
	v_cmp_lt_i16_e32 vcc, s4, v6
	s_mov_b64 s[4:5], 0
                                        ; implicit-def: $sgpr10
	s_and_saveexec_b64 s[6:7], vcc
	s_xor_b64 s[6:7], exec, s[6:7]
	s_cbranch_execz .LBB1_3509
; %bb.39349:
	s_getpc_b64 s[14:15]
.Lpost_getpc5338:
	s_add_u32 s14, s14, (.LBB1_17845-.Lpost_getpc5338)&4294967295
	s_addc_u32 s15, s15, (.LBB1_17845-.Lpost_getpc5338)>>32
	s_setpc_b64 s[14:15]
.LBB1_3509:
	s_or_saveexec_b64 s[6:7], s[6:7]
	v_mov_b32_e32 v12, s10
	s_xor_b64 exec, exec, s[6:7]
	s_cbranch_execz .LBB1_3510
; %bb.39351:
	s_getpc_b64 s[14:15]
.Lpost_getpc5339:
	s_add_u32 s14, s14, (.LBB1_17848-.Lpost_getpc5339)&4294967295
	s_addc_u32 s15, s15, (.LBB1_17848-.Lpost_getpc5339)>>32
	s_setpc_b64 s[14:15]
.LBB1_3510:
	s_or_b64 exec, exec, s[6:7]
	s_and_saveexec_b64 s[6:7], s[4:5]
	s_cbranch_execz .LBB1_3512
.LBB1_3511:
	v_bfe_u32 v6, v3, 16, 3
	v_ffbh_u32_e32 v14, v6
	v_min_u32_e32 v14, 32, v14
	v_lshrrev_b32_e32 v12, 19, v3
	v_subrev_u32_e32 v15, 28, v14
	v_and_b32_e32 v12, 15, v12
	v_lshlrev_b32_sdwa v15, v15, v3 dst_sel:DWORD dst_unused:UNUSED_PAD src0_sel:DWORD src1_sel:WORD_1
	v_bfe_u32 v13, v3, 19, 4
	v_sub_u32_e32 v14, 29, v14
	v_and_b32_e32 v15, 7, v15
	v_cmp_eq_u16_e32 vcc, 0, v12
	v_cndmask_b32_e32 v6, v6, v15, vcc
	v_cndmask_b32_e32 v12, v13, v14, vcc
	v_lshlrev_b32_e32 v13, 8, v3
	v_mov_b32_e32 v14, 0x3b800000
	v_lshlrev_b32_e32 v6, 20, v6
	v_and_b32_e32 v13, 0x80000000, v13
	v_lshl_add_u32 v12, v12, 23, v14
	v_or3_b32 v12, v13, v12, v6
.LBB1_3512:
	s_or_b64 exec, exec, s[6:7]
	s_nop 0
	v_mfma_f32_16x16x4f32 a[0:3], v2, v12, a[0:3]
	s_movk_i32 s4, 0x7f
	v_cmp_gt_i16_sdwa s[6:7], v7, s4 src0_sel:BYTE_3 src1_sel:DWORD
	s_mov_b64 s[4:5], 0
                                        ; implicit-def: $sgpr10
	s_and_saveexec_b64 s[8:9], s[6:7]
	s_xor_b64 s[6:7], exec, s[8:9]
	s_cbranch_execz .LBB1_3513
; %bb.39353:
	s_getpc_b64 s[14:15]
.Lpost_getpc5340:
	s_add_u32 s14, s14, (.LBB1_17849-.Lpost_getpc5340)&4294967295
	s_addc_u32 s15, s15, (.LBB1_17849-.Lpost_getpc5340)>>32
	s_setpc_b64 s[14:15]
.LBB1_3513:
	s_or_saveexec_b64 s[6:7], s[6:7]
	v_mov_b32_e32 v2, s10
	s_xor_b64 exec, exec, s[6:7]
	s_cbranch_execz .LBB1_3514
; %bb.39355:
	s_getpc_b64 s[14:15]
.Lpost_getpc5341:
	s_add_u32 s14, s14, (.LBB1_17852-.Lpost_getpc5341)&4294967295
	s_addc_u32 s15, s15, (.LBB1_17852-.Lpost_getpc5341)>>32
	s_setpc_b64 s[14:15]
.LBB1_3514:
	s_or_b64 exec, exec, s[6:7]
	s_and_saveexec_b64 s[6:7], s[4:5]
	s_cbranch_execz .LBB1_3516
.LBB1_3515:
	v_bfe_u32 v2, v7, 24, 3
	v_ffbh_u32_e32 v14, v2
	v_min_u32_e32 v14, 32, v14
	v_lshrrev_b32_e32 v12, 27, v7
	v_subrev_u32_e32 v15, 28, v14
	v_and_b32_e32 v6, 0x80000000, v7
	v_and_b32_e32 v12, 15, v12
	v_bfe_u32 v13, v7, 27, 4
	v_lshlrev_b32_sdwa v7, v15, v7 dst_sel:DWORD dst_unused:UNUSED_PAD src0_sel:DWORD src1_sel:BYTE_3
	v_sub_u32_e32 v14, 29, v14
	v_and_b32_e32 v7, 7, v7
	v_cmp_eq_u16_e32 vcc, 0, v12
	v_cndmask_b32_e32 v2, v2, v7, vcc
	v_cndmask_b32_e32 v7, v13, v14, vcc
	v_mov_b32_e32 v12, 0x3b800000
	v_lshlrev_b32_e32 v2, 20, v2
	v_lshl_add_u32 v7, v7, 23, v12
	v_or3_b32 v2, v6, v7, v2
.LBB1_3516:
	s_or_b64 exec, exec, s[6:7]
	s_movk_i32 s4, 0x7f
	v_cmp_gt_i16_sdwa s[6:7], v3, s4 src0_sel:BYTE_3 src1_sel:DWORD
	s_mov_b64 s[4:5], 0
                                        ; implicit-def: $sgpr10
	s_and_saveexec_b64 s[8:9], s[6:7]
	s_xor_b64 s[6:7], exec, s[8:9]
	s_cbranch_execz .LBB1_3517
; %bb.39357:
	s_getpc_b64 s[14:15]
.Lpost_getpc5342:
	s_add_u32 s14, s14, (.LBB1_17853-.Lpost_getpc5342)&4294967295
	s_addc_u32 s15, s15, (.LBB1_17853-.Lpost_getpc5342)>>32
	s_setpc_b64 s[14:15]
.LBB1_3517:
	s_or_saveexec_b64 s[6:7], s[6:7]
	v_mov_b32_e32 v6, s10
	s_xor_b64 exec, exec, s[6:7]
	s_cbranch_execz .LBB1_3518
; %bb.39359:
	s_getpc_b64 s[14:15]
.Lpost_getpc5343:
	s_add_u32 s14, s14, (.LBB1_17856-.Lpost_getpc5343)&4294967295
	s_addc_u32 s15, s15, (.LBB1_17856-.Lpost_getpc5343)>>32
	s_setpc_b64 s[14:15]
.LBB1_3518:
	s_or_b64 exec, exec, s[6:7]
	s_and_saveexec_b64 s[6:7], s[4:5]
	s_cbranch_execz .LBB1_3520
.LBB1_3519:
	v_bfe_u32 v6, v3, 24, 3
	v_ffbh_u32_e32 v14, v6
	v_min_u32_e32 v14, 32, v14
	v_lshrrev_b32_e32 v12, 27, v3
	v_subrev_u32_e32 v15, 28, v14
	v_and_b32_e32 v7, 0x80000000, v3
	v_and_b32_e32 v12, 15, v12
	v_bfe_u32 v13, v3, 27, 4
	v_lshlrev_b32_sdwa v3, v15, v3 dst_sel:DWORD dst_unused:UNUSED_PAD src0_sel:DWORD src1_sel:BYTE_3
	v_sub_u32_e32 v14, 29, v14
	v_and_b32_e32 v3, 7, v3
	v_cmp_eq_u16_e32 vcc, 0, v12
	v_cndmask_b32_e32 v3, v6, v3, vcc
	v_cndmask_b32_e32 v6, v13, v14, vcc
	v_mov_b32_e32 v12, 0x3b800000
	v_lshlrev_b32_e32 v3, 20, v3
	v_lshl_add_u32 v6, v6, 23, v12
	v_or3_b32 v6, v7, v6, v3
.LBB1_3520:
	s_or_b64 exec, exec, s[6:7]
	s_nop 0
	v_mfma_f32_16x16x4f32 a[0:3], v2, v6, a[0:3]
	s_movk_i32 s4, 0x7f
	v_cmp_gt_i16_sdwa s[6:7], v8, s4 src0_sel:BYTE_0 src1_sel:DWORD
	s_mov_b64 s[4:5], 0
                                        ; implicit-def: $sgpr10
	s_and_saveexec_b64 s[8:9], s[6:7]
	s_xor_b64 s[6:7], exec, s[8:9]
	s_cbranch_execz .LBB1_3521
; %bb.39361:
	s_getpc_b64 s[14:15]
.Lpost_getpc5344:
	s_add_u32 s14, s14, (.LBB1_17857-.Lpost_getpc5344)&4294967295
	s_addc_u32 s15, s15, (.LBB1_17857-.Lpost_getpc5344)>>32
	s_setpc_b64 s[14:15]
.LBB1_3521:
	s_or_saveexec_b64 s[6:7], s[6:7]
	v_mov_b32_e32 v2, s10
	s_xor_b64 exec, exec, s[6:7]
	s_cbranch_execz .LBB1_3522
; %bb.39363:
	s_getpc_b64 s[14:15]
.Lpost_getpc5345:
	s_add_u32 s14, s14, (.LBB1_17860-.Lpost_getpc5345)&4294967295
	s_addc_u32 s15, s15, (.LBB1_17860-.Lpost_getpc5345)>>32
	s_setpc_b64 s[14:15]
.LBB1_3522:
	s_or_b64 exec, exec, s[6:7]
	s_and_saveexec_b64 s[6:7], s[4:5]
	s_cbranch_execz .LBB1_3524
.LBB1_3523:
	v_and_b32_e32 v2, 7, v8
	v_ffbh_u32_e32 v6, v2
	v_min_u32_e32 v6, 32, v6
	v_lshrrev_b16_e32 v3, 3, v8
	v_subrev_u32_e32 v7, 28, v6
	v_and_b32_e32 v3, 15, v3
	v_lshlrev_b32_e32 v7, v7, v8
	v_sub_u32_e32 v6, 29, v6
	v_and_b32_e32 v7, 7, v7
	v_cmp_eq_u16_e32 vcc, 0, v3
	v_cndmask_b32_e32 v2, v2, v7, vcc
	v_cndmask_b32_e32 v3, v3, v6, vcc
	v_lshlrev_b32_e32 v6, 24, v8
	v_mov_b32_e32 v7, 0x3b800000
	v_lshlrev_b32_e32 v2, 20, v2
	v_and_b32_e32 v6, 0x80000000, v6
	v_lshl_add_u32 v3, v3, 23, v7
	v_or3_b32 v2, v6, v3, v2
.LBB1_3524:
	s_or_b64 exec, exec, s[6:7]
	s_movk_i32 s4, 0x7f
	v_cmp_gt_i16_sdwa s[6:7], v4, s4 src0_sel:BYTE_0 src1_sel:DWORD
	s_mov_b64 s[4:5], 0
                                        ; implicit-def: $sgpr10
	s_and_saveexec_b64 s[8:9], s[6:7]
	s_xor_b64 s[6:7], exec, s[8:9]
	s_cbranch_execz .LBB1_3525
; %bb.39365:
	s_getpc_b64 s[14:15]
.Lpost_getpc5346:
	s_add_u32 s14, s14, (.LBB1_17861-.Lpost_getpc5346)&4294967295
	s_addc_u32 s15, s15, (.LBB1_17861-.Lpost_getpc5346)>>32
	s_setpc_b64 s[14:15]
.LBB1_3525:
	s_or_saveexec_b64 s[6:7], s[6:7]
	v_mov_b32_e32 v3, s10
	s_xor_b64 exec, exec, s[6:7]
	s_cbranch_execz .LBB1_3526
; %bb.39367:
	s_getpc_b64 s[14:15]
.Lpost_getpc5347:
	s_add_u32 s14, s14, (.LBB1_17864-.Lpost_getpc5347)&4294967295
	s_addc_u32 s15, s15, (.LBB1_17864-.Lpost_getpc5347)>>32
	s_setpc_b64 s[14:15]
.LBB1_3526:
	s_or_b64 exec, exec, s[6:7]
	s_and_saveexec_b64 s[6:7], s[4:5]
	s_cbranch_execz .LBB1_3528
.LBB1_3527:
	v_and_b32_e32 v3, 7, v4
	v_ffbh_u32_e32 v7, v3
	v_min_u32_e32 v7, 32, v7
	v_lshrrev_b16_e32 v6, 3, v4
	v_subrev_u32_e32 v12, 28, v7
	v_and_b32_e32 v6, 15, v6
	v_lshlrev_b32_e32 v12, v12, v4
	v_sub_u32_e32 v7, 29, v7
	v_and_b32_e32 v12, 7, v12
	v_cmp_eq_u16_e32 vcc, 0, v6
	v_cndmask_b32_e32 v3, v3, v12, vcc
	v_cndmask_b32_e32 v6, v6, v7, vcc
	v_lshlrev_b32_e32 v7, 24, v4
	v_mov_b32_e32 v12, 0x3b800000
	v_lshlrev_b32_e32 v3, 20, v3
	v_and_b32_e32 v7, 0x80000000, v7
	v_lshl_add_u32 v6, v6, 23, v12
	v_or3_b32 v3, v7, v6, v3
.LBB1_3528:
	s_or_b64 exec, exec, s[6:7]
	s_nop 0
	v_mfma_f32_16x16x4f32 a[0:3], v2, v3, a[0:3]
	v_lshrrev_b32_e32 v3, 8, v8
	s_movk_i32 s4, 0x7f
	v_cmp_gt_i16_sdwa s[6:7], v3, s4 src0_sel:BYTE_0 src1_sel:DWORD
	s_mov_b64 s[4:5], 0
                                        ; implicit-def: $sgpr10
	s_and_saveexec_b64 s[8:9], s[6:7]
	s_xor_b64 s[6:7], exec, s[8:9]
	s_cbranch_execz .LBB1_3529
; %bb.39369:
	s_getpc_b64 s[14:15]
.Lpost_getpc5348:
	s_add_u32 s14, s14, (.LBB1_17865-.Lpost_getpc5348)&4294967295
	s_addc_u32 s15, s15, (.LBB1_17865-.Lpost_getpc5348)>>32
	s_setpc_b64 s[14:15]
.LBB1_3529:
	s_or_saveexec_b64 s[6:7], s[6:7]
	v_mov_b32_e32 v2, s10
	s_xor_b64 exec, exec, s[6:7]
	s_cbranch_execz .LBB1_3530
; %bb.39371:
	s_getpc_b64 s[14:15]
.Lpost_getpc5349:
	s_add_u32 s14, s14, (.LBB1_17868-.Lpost_getpc5349)&4294967295
	s_addc_u32 s15, s15, (.LBB1_17868-.Lpost_getpc5349)>>32
	s_setpc_b64 s[14:15]
.LBB1_3530:
	s_or_b64 exec, exec, s[6:7]
	s_and_saveexec_b64 s[6:7], s[4:5]
	s_cbranch_execz .LBB1_3532
.LBB1_3531:
	v_bfe_u32 v2, v8, 8, 3
	v_ffbh_u32_e32 v7, v2
	v_min_u32_e32 v7, 32, v7
	v_lshrrev_b16_e32 v6, 3, v3
	v_subrev_u32_e32 v12, 28, v7
	v_and_b32_e32 v6, 15, v6
	v_lshlrev_b32_e32 v3, v12, v3
	v_sub_u32_e32 v7, 29, v7
	v_and_b32_e32 v3, 7, v3
	v_cmp_eq_u16_e32 vcc, 0, v6
	v_cndmask_b32_e32 v2, v2, v3, vcc
	v_cndmask_b32_e32 v3, v6, v7, vcc
	v_lshlrev_b32_e32 v6, 16, v8
	v_mov_b32_e32 v7, 0x3b800000
	v_lshlrev_b32_e32 v2, 20, v2
	v_and_b32_e32 v6, 0x80000000, v6
	v_lshl_add_u32 v3, v3, 23, v7
	v_or3_b32 v2, v6, v3, v2
.LBB1_3532:
	s_or_b64 exec, exec, s[6:7]
	v_lshrrev_b32_e32 v3, 8, v4
	s_movk_i32 s4, 0x7f
	v_cmp_gt_i16_sdwa s[6:7], v3, s4 src0_sel:BYTE_0 src1_sel:DWORD
	s_mov_b64 s[4:5], 0
                                        ; implicit-def: $sgpr10
	s_and_saveexec_b64 s[8:9], s[6:7]
	s_xor_b64 s[6:7], exec, s[8:9]
	s_cbranch_execz .LBB1_3533
; %bb.39373:
	s_getpc_b64 s[14:15]
.Lpost_getpc5350:
	s_add_u32 s14, s14, (.LBB1_17869-.Lpost_getpc5350)&4294967295
	s_addc_u32 s15, s15, (.LBB1_17869-.Lpost_getpc5350)>>32
	s_setpc_b64 s[14:15]
.LBB1_3533:
	s_or_saveexec_b64 s[6:7], s[6:7]
	v_mov_b32_e32 v6, s10
	s_xor_b64 exec, exec, s[6:7]
	s_cbranch_execz .LBB1_3534
; %bb.39375:
	s_getpc_b64 s[14:15]
.Lpost_getpc5351:
	s_add_u32 s14, s14, (.LBB1_17872-.Lpost_getpc5351)&4294967295
	s_addc_u32 s15, s15, (.LBB1_17872-.Lpost_getpc5351)>>32
	s_setpc_b64 s[14:15]
.LBB1_3534:
	s_or_b64 exec, exec, s[6:7]
	s_and_saveexec_b64 s[6:7], s[4:5]
	s_cbranch_execz .LBB1_3536
.LBB1_3535:
	v_bfe_u32 v6, v4, 8, 3
	v_ffbh_u32_e32 v12, v6
	v_min_u32_e32 v12, 32, v12
	v_lshrrev_b16_e32 v7, 3, v3
	v_subrev_u32_e32 v13, 28, v12
	v_and_b32_e32 v7, 15, v7
	v_lshlrev_b32_e32 v3, v13, v3
	v_sub_u32_e32 v12, 29, v12
	v_and_b32_e32 v3, 7, v3
	v_cmp_eq_u16_e32 vcc, 0, v7
	v_cndmask_b32_e32 v3, v6, v3, vcc
	v_cndmask_b32_e32 v6, v7, v12, vcc
	v_lshlrev_b32_e32 v7, 16, v4
	v_mov_b32_e32 v12, 0x3b800000
	v_lshlrev_b32_e32 v3, 20, v3
	v_and_b32_e32 v7, 0x80000000, v7
	v_lshl_add_u32 v6, v6, 23, v12
	v_or3_b32 v6, v7, v6, v3
.LBB1_3536:
	s_or_b64 exec, exec, s[6:7]
	s_nop 0
	v_mfma_f32_16x16x4f32 a[0:3], v2, v6, a[0:3]
	s_movk_i32 s4, 0xff
	v_and_b32_sdwa v3, v8, s4 dst_sel:DWORD dst_unused:UNUSED_PAD src0_sel:WORD_1 src1_sel:DWORD
	s_movk_i32 s4, 0x7f
	v_cmp_lt_i16_e32 vcc, s4, v3
	s_mov_b64 s[4:5], 0
                                        ; implicit-def: $sgpr10
	s_and_saveexec_b64 s[6:7], vcc
	s_xor_b64 s[6:7], exec, s[6:7]
	s_cbranch_execz .LBB1_3537
; %bb.39377:
	s_getpc_b64 s[14:15]
.Lpost_getpc5352:
	s_add_u32 s14, s14, (.LBB1_17873-.Lpost_getpc5352)&4294967295
	s_addc_u32 s15, s15, (.LBB1_17873-.Lpost_getpc5352)>>32
	s_setpc_b64 s[14:15]
.LBB1_3537:
	s_or_saveexec_b64 s[6:7], s[6:7]
	v_mov_b32_e32 v2, s10
	s_xor_b64 exec, exec, s[6:7]
	s_cbranch_execz .LBB1_3538
; %bb.39379:
	s_getpc_b64 s[14:15]
.Lpost_getpc5353:
	s_add_u32 s14, s14, (.LBB1_17876-.Lpost_getpc5353)&4294967295
	s_addc_u32 s15, s15, (.LBB1_17876-.Lpost_getpc5353)>>32
	s_setpc_b64 s[14:15]
.LBB1_3538:
	s_or_b64 exec, exec, s[6:7]
	s_and_saveexec_b64 s[6:7], s[4:5]
	s_cbranch_execz .LBB1_3540
.LBB1_3539:
	v_bfe_u32 v2, v8, 16, 3
	v_ffbh_u32_e32 v7, v2
	v_min_u32_e32 v7, 32, v7
	v_lshrrev_b32_e32 v3, 19, v8
	v_subrev_u32_e32 v12, 28, v7
	v_and_b32_e32 v3, 15, v3
	v_lshlrev_b32_sdwa v12, v12, v8 dst_sel:DWORD dst_unused:UNUSED_PAD src0_sel:DWORD src1_sel:WORD_1
	v_bfe_u32 v6, v8, 19, 4
	v_sub_u32_e32 v7, 29, v7
	v_and_b32_e32 v12, 7, v12
	v_cmp_eq_u16_e32 vcc, 0, v3
	v_cndmask_b32_e32 v2, v2, v12, vcc
	v_cndmask_b32_e32 v3, v6, v7, vcc
	v_lshlrev_b32_e32 v6, 8, v8
	v_mov_b32_e32 v7, 0x3b800000
	v_lshlrev_b32_e32 v2, 20, v2
	v_and_b32_e32 v6, 0x80000000, v6
	v_lshl_add_u32 v3, v3, 23, v7
	v_or3_b32 v2, v6, v3, v2
.LBB1_3540:
	s_or_b64 exec, exec, s[6:7]
	s_movk_i32 s4, 0xff
	v_and_b32_sdwa v3, v4, s4 dst_sel:DWORD dst_unused:UNUSED_PAD src0_sel:WORD_1 src1_sel:DWORD
	s_movk_i32 s4, 0x7f
	v_cmp_lt_i16_e32 vcc, s4, v3
	s_mov_b64 s[4:5], 0
                                        ; implicit-def: $sgpr10
	s_and_saveexec_b64 s[6:7], vcc
	s_xor_b64 s[6:7], exec, s[6:7]
	s_cbranch_execz .LBB1_3541
; %bb.39381:
	s_getpc_b64 s[14:15]
.Lpost_getpc5354:
	s_add_u32 s14, s14, (.LBB1_17877-.Lpost_getpc5354)&4294967295
	s_addc_u32 s15, s15, (.LBB1_17877-.Lpost_getpc5354)>>32
	s_setpc_b64 s[14:15]
.LBB1_3541:
	s_or_saveexec_b64 s[6:7], s[6:7]
	v_mov_b32_e32 v6, s10
	s_xor_b64 exec, exec, s[6:7]
	s_cbranch_execz .LBB1_3542
; %bb.39383:
	s_getpc_b64 s[14:15]
.Lpost_getpc5355:
	s_add_u32 s14, s14, (.LBB1_17880-.Lpost_getpc5355)&4294967295
	s_addc_u32 s15, s15, (.LBB1_17880-.Lpost_getpc5355)>>32
	s_setpc_b64 s[14:15]
.LBB1_3542:
	s_or_b64 exec, exec, s[6:7]
	s_and_saveexec_b64 s[6:7], s[4:5]
	s_cbranch_execz .LBB1_3544
.LBB1_3543:
	v_bfe_u32 v3, v4, 16, 3
	v_ffbh_u32_e32 v12, v3
	v_min_u32_e32 v12, 32, v12
	v_lshrrev_b32_e32 v6, 19, v4
	v_subrev_u32_e32 v13, 28, v12
	v_and_b32_e32 v6, 15, v6
	v_lshlrev_b32_sdwa v13, v13, v4 dst_sel:DWORD dst_unused:UNUSED_PAD src0_sel:DWORD src1_sel:WORD_1
	v_bfe_u32 v7, v4, 19, 4
	v_sub_u32_e32 v12, 29, v12
	v_and_b32_e32 v13, 7, v13
	v_cmp_eq_u16_e32 vcc, 0, v6
	v_cndmask_b32_e32 v3, v3, v13, vcc
	v_cndmask_b32_e32 v6, v7, v12, vcc
	v_lshlrev_b32_e32 v7, 8, v4
	v_mov_b32_e32 v12, 0x3b800000
	v_lshlrev_b32_e32 v3, 20, v3
	v_and_b32_e32 v7, 0x80000000, v7
	v_lshl_add_u32 v6, v6, 23, v12
	v_or3_b32 v6, v7, v6, v3
.LBB1_3544:
	s_or_b64 exec, exec, s[6:7]
	s_nop 0
	v_mfma_f32_16x16x4f32 a[0:3], v2, v6, a[0:3]
	s_movk_i32 s4, 0x7f
	v_cmp_gt_i16_sdwa s[6:7], v8, s4 src0_sel:BYTE_3 src1_sel:DWORD
	s_mov_b64 s[4:5], 0
                                        ; implicit-def: $sgpr10
	s_and_saveexec_b64 s[8:9], s[6:7]
	s_xor_b64 s[6:7], exec, s[8:9]
	s_cbranch_execz .LBB1_3545
; %bb.39385:
	s_getpc_b64 s[14:15]
.Lpost_getpc5356:
	s_add_u32 s14, s14, (.LBB1_17881-.Lpost_getpc5356)&4294967295
	s_addc_u32 s15, s15, (.LBB1_17881-.Lpost_getpc5356)>>32
	s_setpc_b64 s[14:15]
.LBB1_3545:
	s_or_saveexec_b64 s[6:7], s[6:7]
	v_mov_b32_e32 v2, s10
	s_xor_b64 exec, exec, s[6:7]
	s_cbranch_execz .LBB1_3546
; %bb.39387:
	s_getpc_b64 s[14:15]
.Lpost_getpc5357:
	s_add_u32 s14, s14, (.LBB1_17884-.Lpost_getpc5357)&4294967295
	s_addc_u32 s15, s15, (.LBB1_17884-.Lpost_getpc5357)>>32
	s_setpc_b64 s[14:15]
.LBB1_3546:
	s_or_b64 exec, exec, s[6:7]
	s_and_saveexec_b64 s[6:7], s[4:5]
	s_cbranch_execz .LBB1_3548
.LBB1_3547:
	v_bfe_u32 v2, v8, 24, 3
	v_ffbh_u32_e32 v12, v2
	v_min_u32_e32 v12, 32, v12
	v_lshrrev_b32_e32 v6, 27, v8
	v_subrev_u32_e32 v13, 28, v12
	v_and_b32_e32 v3, 0x80000000, v8
	v_and_b32_e32 v6, 15, v6
	v_bfe_u32 v7, v8, 27, 4
	v_lshlrev_b32_sdwa v8, v13, v8 dst_sel:DWORD dst_unused:UNUSED_PAD src0_sel:DWORD src1_sel:BYTE_3
	v_sub_u32_e32 v12, 29, v12
	v_and_b32_e32 v8, 7, v8
	v_cmp_eq_u16_e32 vcc, 0, v6
	v_cndmask_b32_e32 v2, v2, v8, vcc
	v_cndmask_b32_e32 v6, v7, v12, vcc
	v_mov_b32_e32 v7, 0x3b800000
	v_lshlrev_b32_e32 v2, 20, v2
	v_lshl_add_u32 v6, v6, 23, v7
	v_or3_b32 v2, v3, v6, v2
.LBB1_3548:
	s_or_b64 exec, exec, s[6:7]
	s_movk_i32 s4, 0x7f
	v_cmp_gt_i16_sdwa s[6:7], v4, s4 src0_sel:BYTE_3 src1_sel:DWORD
	s_mov_b64 s[4:5], 0
                                        ; implicit-def: $sgpr10
	s_and_saveexec_b64 s[8:9], s[6:7]
	s_xor_b64 s[6:7], exec, s[8:9]
	s_cbranch_execz .LBB1_3549
; %bb.39389:
	s_getpc_b64 s[14:15]
.Lpost_getpc5358:
	s_add_u32 s14, s14, (.LBB1_17885-.Lpost_getpc5358)&4294967295
	s_addc_u32 s15, s15, (.LBB1_17885-.Lpost_getpc5358)>>32
	s_setpc_b64 s[14:15]
.LBB1_3549:
	s_or_saveexec_b64 s[6:7], s[6:7]
	v_mov_b32_e32 v3, s10
	s_xor_b64 exec, exec, s[6:7]
	s_cbranch_execz .LBB1_3550
; %bb.39391:
	s_getpc_b64 s[14:15]
.Lpost_getpc5359:
	s_add_u32 s14, s14, (.LBB1_17888-.Lpost_getpc5359)&4294967295
	s_addc_u32 s15, s15, (.LBB1_17888-.Lpost_getpc5359)>>32
	s_setpc_b64 s[14:15]
.LBB1_3550:
	s_or_b64 exec, exec, s[6:7]
	s_and_saveexec_b64 s[6:7], s[4:5]
	s_cbranch_execz .LBB1_3552
.LBB1_3551:
	v_bfe_u32 v3, v4, 24, 3
	v_ffbh_u32_e32 v12, v3
	v_min_u32_e32 v12, 32, v12
	v_lshrrev_b32_e32 v7, 27, v4
	v_subrev_u32_e32 v13, 28, v12
	v_and_b32_e32 v6, 0x80000000, v4
	v_and_b32_e32 v7, 15, v7
	v_bfe_u32 v8, v4, 27, 4
	v_lshlrev_b32_sdwa v4, v13, v4 dst_sel:DWORD dst_unused:UNUSED_PAD src0_sel:DWORD src1_sel:BYTE_3
	v_sub_u32_e32 v12, 29, v12
	v_and_b32_e32 v4, 7, v4
	v_cmp_eq_u16_e32 vcc, 0, v7
	v_cndmask_b32_e32 v3, v3, v4, vcc
	v_cndmask_b32_e32 v4, v8, v12, vcc
	v_mov_b32_e32 v7, 0x3b800000
	v_lshlrev_b32_e32 v3, 20, v3
	v_lshl_add_u32 v4, v4, 23, v7
	v_or3_b32 v3, v6, v4, v3
.LBB1_3552:
	s_or_b64 exec, exec, s[6:7]
	s_nop 0
	v_mfma_f32_16x16x4f32 a[0:3], v2, v3, a[0:3]
	s_movk_i32 s4, 0x7f
	v_cmp_gt_i16_sdwa s[6:7], v9, s4 src0_sel:BYTE_0 src1_sel:DWORD
	s_mov_b64 s[4:5], 0
                                        ; implicit-def: $sgpr10
	s_and_saveexec_b64 s[8:9], s[6:7]
	s_xor_b64 s[6:7], exec, s[8:9]
	s_cbranch_execz .LBB1_3553
; %bb.39393:
	s_getpc_b64 s[14:15]
.Lpost_getpc5360:
	s_add_u32 s14, s14, (.LBB1_17889-.Lpost_getpc5360)&4294967295
	s_addc_u32 s15, s15, (.LBB1_17889-.Lpost_getpc5360)>>32
	s_setpc_b64 s[14:15]
.LBB1_3553:
	s_or_saveexec_b64 s[6:7], s[6:7]
	v_mov_b32_e32 v2, s10
	s_xor_b64 exec, exec, s[6:7]
	s_cbranch_execz .LBB1_3554
; %bb.39395:
	s_getpc_b64 s[14:15]
.Lpost_getpc5361:
	s_add_u32 s14, s14, (.LBB1_17892-.Lpost_getpc5361)&4294967295
	s_addc_u32 s15, s15, (.LBB1_17892-.Lpost_getpc5361)>>32
	s_setpc_b64 s[14:15]
.LBB1_3554:
	s_or_b64 exec, exec, s[6:7]
	s_and_saveexec_b64 s[6:7], s[4:5]
	s_cbranch_execz .LBB1_3556
.LBB1_3555:
	v_mov_b32_e32 v2, 8
	v_and_b32_e32 v3, 7, v9
	v_lshrrev_b32_sdwa v2, v2, v9 dst_sel:BYTE_1 dst_unused:UNUSED_PAD src0_sel:DWORD src1_sel:DWORD
	v_ffbh_u32_e32 v4, v3
	v_or_b32_sdwa v2, v9, v2 dst_sel:DWORD dst_unused:UNUSED_PAD src0_sel:BYTE_0 src1_sel:DWORD
	v_min_u32_e32 v4, 32, v4
	v_lshrrev_b16_e32 v2, 3, v2
	v_subrev_u32_e32 v6, 28, v4
	v_and_b32_e32 v2, 15, v2
	v_lshlrev_b32_e32 v6, v6, v9
	v_sub_u32_e32 v4, 29, v4
	v_and_b32_e32 v6, 7, v6
	v_cmp_eq_u16_e32 vcc, 0, v2
	v_cndmask_b32_e32 v3, v3, v6, vcc
	v_cndmask_b32_e32 v2, v2, v4, vcc
	v_lshlrev_b32_e32 v4, 24, v9
	v_mov_b32_e32 v6, 0x3b800000
	v_lshlrev_b32_e32 v3, 20, v3
	v_and_b32_e32 v4, 0x80000000, v4
	v_lshl_add_u32 v2, v2, 23, v6
	v_or3_b32 v2, v4, v2, v3
.LBB1_3556:
	s_or_b64 exec, exec, s[6:7]
	s_movk_i32 s4, 0x7f
	v_cmp_gt_i16_sdwa s[6:7], v5, s4 src0_sel:BYTE_0 src1_sel:DWORD
	s_mov_b64 s[4:5], 0
                                        ; implicit-def: $sgpr10
	s_and_saveexec_b64 s[8:9], s[6:7]
	s_xor_b64 s[6:7], exec, s[8:9]
	s_cbranch_execz .LBB1_3557
; %bb.39397:
	s_getpc_b64 s[14:15]
.Lpost_getpc5362:
	s_add_u32 s14, s14, (.LBB1_17893-.Lpost_getpc5362)&4294967295
	s_addc_u32 s15, s15, (.LBB1_17893-.Lpost_getpc5362)>>32
	s_setpc_b64 s[14:15]
.LBB1_3557:
	s_or_saveexec_b64 s[6:7], s[6:7]
	v_mov_b32_e32 v3, s10
	s_xor_b64 exec, exec, s[6:7]
	s_cbranch_execz .LBB1_3558
; %bb.39399:
	s_getpc_b64 s[14:15]
.Lpost_getpc5363:
	s_add_u32 s14, s14, (.LBB1_17896-.Lpost_getpc5363)&4294967295
	s_addc_u32 s15, s15, (.LBB1_17896-.Lpost_getpc5363)>>32
	s_setpc_b64 s[14:15]
.LBB1_3558:
	s_or_b64 exec, exec, s[6:7]
	s_and_saveexec_b64 s[6:7], s[4:5]
	s_cbranch_execz .LBB1_3560
.LBB1_3559:
	v_mov_b32_e32 v3, 8
	v_and_b32_e32 v4, 7, v5
	v_lshrrev_b32_sdwa v3, v3, v5 dst_sel:BYTE_1 dst_unused:UNUSED_PAD src0_sel:DWORD src1_sel:DWORD
	v_ffbh_u32_e32 v6, v4
	v_or_b32_sdwa v3, v5, v3 dst_sel:DWORD dst_unused:UNUSED_PAD src0_sel:BYTE_0 src1_sel:DWORD
	v_min_u32_e32 v6, 32, v6
	v_lshrrev_b16_e32 v3, 3, v3
	v_subrev_u32_e32 v7, 28, v6
	v_and_b32_e32 v3, 15, v3
	v_lshlrev_b32_e32 v7, v7, v5
	v_sub_u32_e32 v6, 29, v6
	v_and_b32_e32 v7, 7, v7
	v_cmp_eq_u16_e32 vcc, 0, v3
	v_cndmask_b32_e32 v4, v4, v7, vcc
	v_cndmask_b32_e32 v3, v3, v6, vcc
	v_lshlrev_b32_e32 v6, 24, v5
	v_mov_b32_e32 v7, 0x3b800000
	v_lshlrev_b32_e32 v4, 20, v4
	v_and_b32_e32 v6, 0x80000000, v6
	v_lshl_add_u32 v3, v3, 23, v7
	v_or3_b32 v3, v6, v3, v4
.LBB1_3560:
	s_or_b64 exec, exec, s[6:7]
	s_nop 0
	v_mfma_f32_16x16x4f32 a[0:3], v2, v3, a[0:3]
	v_lshrrev_b32_e32 v3, 8, v9
	s_movk_i32 s4, 0x7f
	v_cmp_gt_i16_sdwa s[6:7], v3, s4 src0_sel:BYTE_0 src1_sel:DWORD
	s_mov_b64 s[4:5], 0
                                        ; implicit-def: $sgpr10
	s_and_saveexec_b64 s[8:9], s[6:7]
	s_xor_b64 s[6:7], exec, s[8:9]
	s_cbranch_execz .LBB1_3561
; %bb.39401:
	s_getpc_b64 s[14:15]
.Lpost_getpc5364:
	s_add_u32 s14, s14, (.LBB1_17897-.Lpost_getpc5364)&4294967295
	s_addc_u32 s15, s15, (.LBB1_17897-.Lpost_getpc5364)>>32
	s_setpc_b64 s[14:15]
.LBB1_3561:
	s_or_saveexec_b64 s[6:7], s[6:7]
	v_mov_b32_e32 v2, s10
	s_xor_b64 exec, exec, s[6:7]
	s_cbranch_execz .LBB1_3562
; %bb.39403:
	s_getpc_b64 s[14:15]
.Lpost_getpc5365:
	s_add_u32 s14, s14, (.LBB1_17900-.Lpost_getpc5365)&4294967295
	s_addc_u32 s15, s15, (.LBB1_17900-.Lpost_getpc5365)>>32
	s_setpc_b64 s[14:15]
.LBB1_3562:
	s_or_b64 exec, exec, s[6:7]
	s_and_saveexec_b64 s[6:7], s[4:5]
	s_cbranch_execz .LBB1_3564
.LBB1_3563:
	v_bfe_u32 v2, v9, 8, 3
	v_ffbh_u32_e32 v6, v2
	v_min_u32_e32 v6, 32, v6
	v_lshrrev_b16_e32 v4, 3, v3
	v_subrev_u32_e32 v7, 28, v6
	v_and_b32_e32 v4, 15, v4
	v_lshlrev_b32_e32 v3, v7, v3
	v_sub_u32_e32 v6, 29, v6
	v_and_b32_e32 v3, 7, v3
	v_cmp_eq_u16_e32 vcc, 0, v4
	v_cndmask_b32_e32 v2, v2, v3, vcc
	v_cndmask_b32_e32 v3, v4, v6, vcc
	v_lshlrev_b32_e32 v4, 16, v9
	v_mov_b32_e32 v6, 0x3b800000
	v_lshlrev_b32_e32 v2, 20, v2
	v_and_b32_e32 v4, 0x80000000, v4
	v_lshl_add_u32 v3, v3, 23, v6
	v_or3_b32 v2, v4, v3, v2
.LBB1_3564:
	s_or_b64 exec, exec, s[6:7]
	v_lshrrev_b32_e32 v3, 8, v5
	s_movk_i32 s4, 0x7f
	v_cmp_gt_i16_sdwa s[6:7], v3, s4 src0_sel:BYTE_0 src1_sel:DWORD
	s_mov_b64 s[4:5], 0
                                        ; implicit-def: $sgpr10
	s_and_saveexec_b64 s[8:9], s[6:7]
	s_xor_b64 s[6:7], exec, s[8:9]
	s_cbranch_execz .LBB1_3565
; %bb.39405:
	s_getpc_b64 s[14:15]
.Lpost_getpc5366:
	s_add_u32 s14, s14, (.LBB1_17901-.Lpost_getpc5366)&4294967295
	s_addc_u32 s15, s15, (.LBB1_17901-.Lpost_getpc5366)>>32
	s_setpc_b64 s[14:15]
.LBB1_3565:
	s_or_saveexec_b64 s[6:7], s[6:7]
	v_mov_b32_e32 v4, s10
	s_xor_b64 exec, exec, s[6:7]
	s_cbranch_execz .LBB1_3566
; %bb.39407:
	s_getpc_b64 s[14:15]
.Lpost_getpc5367:
	s_add_u32 s14, s14, (.LBB1_17904-.Lpost_getpc5367)&4294967295
	s_addc_u32 s15, s15, (.LBB1_17904-.Lpost_getpc5367)>>32
	s_setpc_b64 s[14:15]
.LBB1_3566:
	s_or_b64 exec, exec, s[6:7]
	s_and_saveexec_b64 s[6:7], s[4:5]
	s_cbranch_execz .LBB1_3568
.LBB1_3567:
	v_bfe_u32 v4, v5, 8, 3
	v_ffbh_u32_e32 v7, v4
	v_min_u32_e32 v7, 32, v7
	v_lshrrev_b16_e32 v6, 3, v3
	v_subrev_u32_e32 v8, 28, v7
	v_and_b32_e32 v6, 15, v6
	v_lshlrev_b32_e32 v3, v8, v3
	v_sub_u32_e32 v7, 29, v7
	v_and_b32_e32 v3, 7, v3
	v_cmp_eq_u16_e32 vcc, 0, v6
	v_cndmask_b32_e32 v3, v4, v3, vcc
	v_cndmask_b32_e32 v4, v6, v7, vcc
	v_lshlrev_b32_e32 v6, 16, v5
	v_mov_b32_e32 v7, 0x3b800000
	v_lshlrev_b32_e32 v3, 20, v3
	v_and_b32_e32 v6, 0x80000000, v6
	v_lshl_add_u32 v4, v4, 23, v7
	v_or3_b32 v4, v6, v4, v3
.LBB1_3568:
	s_or_b64 exec, exec, s[6:7]
	s_nop 0
	v_mfma_f32_16x16x4f32 a[0:3], v2, v4, a[0:3]
	s_movk_i32 s4, 0xff
	v_and_b32_sdwa v3, v9, s4 dst_sel:DWORD dst_unused:UNUSED_PAD src0_sel:WORD_1 src1_sel:DWORD
	s_movk_i32 s4, 0x7f
	v_cmp_lt_i16_e32 vcc, s4, v3
	s_mov_b64 s[4:5], 0
                                        ; implicit-def: $sgpr10
	s_and_saveexec_b64 s[6:7], vcc
	s_xor_b64 s[6:7], exec, s[6:7]
	s_cbranch_execz .LBB1_3569
; %bb.39409:
	s_getpc_b64 s[14:15]
.Lpost_getpc5368:
	s_add_u32 s14, s14, (.LBB1_17905-.Lpost_getpc5368)&4294967295
	s_addc_u32 s15, s15, (.LBB1_17905-.Lpost_getpc5368)>>32
	s_setpc_b64 s[14:15]
.LBB1_3569:
	s_or_saveexec_b64 s[6:7], s[6:7]
	v_mov_b32_e32 v2, s10
	s_xor_b64 exec, exec, s[6:7]
	s_cbranch_execz .LBB1_3570
; %bb.39411:
	s_getpc_b64 s[14:15]
.Lpost_getpc5369:
	s_add_u32 s14, s14, (.LBB1_17908-.Lpost_getpc5369)&4294967295
	s_addc_u32 s15, s15, (.LBB1_17908-.Lpost_getpc5369)>>32
	s_setpc_b64 s[14:15]
.LBB1_3570:
	s_or_b64 exec, exec, s[6:7]
	s_and_saveexec_b64 s[6:7], s[4:5]
	s_cbranch_execz .LBB1_3572
.LBB1_3571:
	v_bfe_u32 v2, v9, 16, 3
	v_ffbh_u32_e32 v6, v2
	v_min_u32_e32 v6, 32, v6
	v_lshrrev_b32_e32 v3, 19, v9
	v_subrev_u32_e32 v7, 28, v6
	v_and_b32_e32 v3, 15, v3
	v_lshlrev_b32_sdwa v7, v7, v9 dst_sel:DWORD dst_unused:UNUSED_PAD src0_sel:DWORD src1_sel:WORD_1
	v_bfe_u32 v4, v9, 19, 4
	v_sub_u32_e32 v6, 29, v6
	v_and_b32_e32 v7, 7, v7
	v_cmp_eq_u16_e32 vcc, 0, v3
	v_cndmask_b32_e32 v2, v2, v7, vcc
	v_cndmask_b32_e32 v3, v4, v6, vcc
	v_lshlrev_b32_e32 v4, 8, v9
	v_mov_b32_e32 v6, 0x3b800000
	v_lshlrev_b32_e32 v2, 20, v2
	v_and_b32_e32 v4, 0x80000000, v4
	v_lshl_add_u32 v3, v3, 23, v6
	v_or3_b32 v2, v4, v3, v2
.LBB1_3572:
	s_or_b64 exec, exec, s[6:7]
	s_movk_i32 s4, 0xff
	v_and_b32_sdwa v3, v5, s4 dst_sel:DWORD dst_unused:UNUSED_PAD src0_sel:WORD_1 src1_sel:DWORD
	s_movk_i32 s4, 0x7f
	v_cmp_lt_i16_e32 vcc, s4, v3
	s_mov_b64 s[4:5], 0
                                        ; implicit-def: $sgpr10
	s_and_saveexec_b64 s[6:7], vcc
	s_xor_b64 s[6:7], exec, s[6:7]
	s_cbranch_execz .LBB1_3573
; %bb.39413:
	s_getpc_b64 s[14:15]
.Lpost_getpc5370:
	s_add_u32 s14, s14, (.LBB1_17909-.Lpost_getpc5370)&4294967295
	s_addc_u32 s15, s15, (.LBB1_17909-.Lpost_getpc5370)>>32
	s_setpc_b64 s[14:15]
.LBB1_3573:
	s_or_saveexec_b64 s[6:7], s[6:7]
	v_mov_b32_e32 v4, s10
	s_xor_b64 exec, exec, s[6:7]
	s_cbranch_execz .LBB1_3574
; %bb.39415:
	s_getpc_b64 s[14:15]
.Lpost_getpc5371:
	s_add_u32 s14, s14, (.LBB1_17912-.Lpost_getpc5371)&4294967295
	s_addc_u32 s15, s15, (.LBB1_17912-.Lpost_getpc5371)>>32
	s_setpc_b64 s[14:15]
.LBB1_3574:
	s_or_b64 exec, exec, s[6:7]
	s_and_saveexec_b64 s[6:7], s[4:5]
	s_cbranch_execz .LBB1_3576
.LBB1_3575:
	v_bfe_u32 v3, v5, 16, 3
	v_ffbh_u32_e32 v7, v3
	v_min_u32_e32 v7, 32, v7
	v_lshrrev_b32_e32 v4, 19, v5
	v_subrev_u32_e32 v8, 28, v7
	v_and_b32_e32 v4, 15, v4
	v_lshlrev_b32_sdwa v8, v8, v5 dst_sel:DWORD dst_unused:UNUSED_PAD src0_sel:DWORD src1_sel:WORD_1
	v_bfe_u32 v6, v5, 19, 4
	v_sub_u32_e32 v7, 29, v7
	v_and_b32_e32 v8, 7, v8
	v_cmp_eq_u16_e32 vcc, 0, v4
	v_cndmask_b32_e32 v3, v3, v8, vcc
	v_cndmask_b32_e32 v4, v6, v7, vcc
	v_lshlrev_b32_e32 v6, 8, v5
	v_mov_b32_e32 v7, 0x3b800000
	v_lshlrev_b32_e32 v3, 20, v3
	v_and_b32_e32 v6, 0x80000000, v6
	v_lshl_add_u32 v4, v4, 23, v7
	v_or3_b32 v4, v6, v4, v3
.LBB1_3576:
	s_or_b64 exec, exec, s[6:7]
	s_nop 0
	v_mfma_f32_16x16x4f32 a[0:3], v2, v4, a[0:3]
	s_movk_i32 s4, 0x7f
	v_cmp_gt_i16_sdwa s[6:7], v9, s4 src0_sel:BYTE_3 src1_sel:DWORD
	s_mov_b64 s[4:5], 0
                                        ; implicit-def: $sgpr10
	s_and_saveexec_b64 s[8:9], s[6:7]
	s_xor_b64 s[6:7], exec, s[8:9]
	s_cbranch_execz .LBB1_3577
; %bb.39417:
	s_getpc_b64 s[14:15]
.Lpost_getpc5372:
	s_add_u32 s14, s14, (.LBB1_17913-.Lpost_getpc5372)&4294967295
	s_addc_u32 s15, s15, (.LBB1_17913-.Lpost_getpc5372)>>32
	s_setpc_b64 s[14:15]
.LBB1_3577:
	s_or_saveexec_b64 s[6:7], s[6:7]
	v_mov_b32_e32 v2, s10
	s_xor_b64 exec, exec, s[6:7]
	s_cbranch_execz .LBB1_3578
; %bb.39419:
	s_getpc_b64 s[14:15]
.Lpost_getpc5373:
	s_add_u32 s14, s14, (.LBB1_17916-.Lpost_getpc5373)&4294967295
	s_addc_u32 s15, s15, (.LBB1_17916-.Lpost_getpc5373)>>32
	s_setpc_b64 s[14:15]
.LBB1_3578:
	s_or_b64 exec, exec, s[6:7]
	s_and_saveexec_b64 s[6:7], s[4:5]
	s_cbranch_execz .LBB1_3580
.LBB1_3579:
	v_bfe_u32 v2, v9, 24, 3
	v_ffbh_u32_e32 v7, v2
	v_min_u32_e32 v7, 32, v7
	v_lshrrev_b32_e32 v4, 27, v9
	v_subrev_u32_e32 v8, 28, v7
	v_and_b32_e32 v4, 15, v4
	v_lshlrev_b32_sdwa v8, v8, v9 dst_sel:DWORD dst_unused:UNUSED_PAD src0_sel:DWORD src1_sel:BYTE_3
	v_bfe_u32 v6, v9, 27, 4
	v_sub_u32_e32 v7, 29, v7
	v_and_b32_e32 v8, 7, v8
	v_cmp_eq_u16_e32 vcc, 0, v4
	v_cndmask_b32_e32 v2, v2, v8, vcc
	v_cndmask_b32_e32 v4, v6, v7, vcc
	v_mov_b32_e32 v6, 0x3b800000
	v_and_b32_e32 v3, 0x80000000, v9
	v_lshlrev_b32_e32 v2, 20, v2
	v_lshl_add_u32 v4, v4, 23, v6
	v_or3_b32 v2, v3, v4, v2
.LBB1_3580:
	s_or_b64 exec, exec, s[6:7]
	s_movk_i32 s4, 0x7f
	v_cmp_gt_i16_sdwa s[6:7], v5, s4 src0_sel:BYTE_3 src1_sel:DWORD
	s_mov_b64 s[4:5], 0
                                        ; implicit-def: $sgpr10
	s_and_saveexec_b64 s[8:9], s[6:7]
	s_xor_b64 s[6:7], exec, s[8:9]
	s_cbranch_execz .LBB1_3581
; %bb.39421:
	s_getpc_b64 s[14:15]
.Lpost_getpc5374:
	s_add_u32 s14, s14, (.LBB1_17917-.Lpost_getpc5374)&4294967295
	s_addc_u32 s15, s15, (.LBB1_17917-.Lpost_getpc5374)>>32
	s_setpc_b64 s[14:15]
.LBB1_3581:
	s_or_saveexec_b64 s[6:7], s[6:7]
	v_mov_b32_e32 v3, s10
	s_xor_b64 exec, exec, s[6:7]
	s_cbranch_execz .LBB1_3582
; %bb.39423:
	s_getpc_b64 s[14:15]
.Lpost_getpc5375:
	s_add_u32 s14, s14, (.LBB1_17920-.Lpost_getpc5375)&4294967295
	s_addc_u32 s15, s15, (.LBB1_17920-.Lpost_getpc5375)>>32
	s_setpc_b64 s[14:15]
.LBB1_3582:
	s_or_b64 exec, exec, s[6:7]
	s_and_saveexec_b64 s[6:7], s[4:5]
	s_cbranch_execz .LBB1_3584
.LBB1_3583:
	v_bfe_u32 v3, v5, 24, 3
	v_ffbh_u32_e32 v8, v3
	v_min_u32_e32 v8, 32, v8
	v_lshrrev_b32_e32 v6, 27, v5
	v_subrev_u32_e32 v9, 28, v8
	v_and_b32_e32 v4, 0x80000000, v5
	v_and_b32_e32 v6, 15, v6
	v_bfe_u32 v7, v5, 27, 4
	v_lshlrev_b32_sdwa v5, v9, v5 dst_sel:DWORD dst_unused:UNUSED_PAD src0_sel:DWORD src1_sel:BYTE_3
	v_sub_u32_e32 v8, 29, v8
	v_and_b32_e32 v5, 7, v5
	v_cmp_eq_u16_e32 vcc, 0, v6
	v_cndmask_b32_e32 v3, v3, v5, vcc
	v_cndmask_b32_e32 v5, v7, v8, vcc
	v_mov_b32_e32 v6, 0x3b800000
	v_lshlrev_b32_e32 v3, 20, v3
	v_lshl_add_u32 v5, v5, 23, v6
	v_or3_b32 v3, v4, v5, v3
.LBB1_3584:
	s_or_b64 exec, exec, s[6:7]
	s_nop 0
	v_mfma_f32_16x16x4f32 a[0:3], v2, v3, a[0:3]
	s_movk_i32 s4, 0x7f
                                        ; implicit-def: $sgpr10
	s_nop 7
	s_nop 1
	flat_store_dwordx4 v[10:11], a[0:3] offset:432
	flat_load_dwordx4 v[12:15], v[0:1]
	s_nop 0
	flat_load_dwordx2 v[10:11], v[0:1] offset:16
	s_waitcnt vmcnt(0) lgkmcnt(0)
	flat_load_dwordx4 v[6:9], v[12:13] offset:48
	flat_load_dwordx4 v[2:5], v[14:15] offset:64
	s_waitcnt vmcnt(0) lgkmcnt(0)
	v_cmp_gt_i16_sdwa s[6:7], v6, s4 src0_sel:BYTE_0 src1_sel:DWORD
	s_mov_b64 s[4:5], 0
	s_and_saveexec_b64 s[8:9], s[6:7]
	s_xor_b64 s[6:7], exec, s[8:9]
	s_cbranch_execz .LBB1_3585
; %bb.39425:
	s_getpc_b64 s[14:15]
.Lpost_getpc5376:
	s_add_u32 s14, s14, (.LBB1_17921-.Lpost_getpc5376)&4294967295
	s_addc_u32 s15, s15, (.LBB1_17921-.Lpost_getpc5376)>>32
	s_setpc_b64 s[14:15]
.LBB1_3585:
	s_or_saveexec_b64 s[6:7], s[6:7]
	v_mov_b32_e32 v12, s10
	s_xor_b64 exec, exec, s[6:7]
	s_cbranch_execz .LBB1_3586
; %bb.39427:
	s_getpc_b64 s[14:15]
.Lpost_getpc5377:
	s_add_u32 s14, s14, (.LBB1_17924-.Lpost_getpc5377)&4294967295
	s_addc_u32 s15, s15, (.LBB1_17924-.Lpost_getpc5377)>>32
	s_setpc_b64 s[14:15]
.LBB1_3586:
	s_or_b64 exec, exec, s[6:7]
	s_and_saveexec_b64 s[6:7], s[4:5]
	s_cbranch_execz .LBB1_3588
.LBB1_3587:
	v_and_b32_e32 v12, 7, v6
	v_ffbh_u32_e32 v14, v12
	v_min_u32_e32 v14, 32, v14
	v_lshrrev_b16_e32 v13, 3, v6
	v_subrev_u32_e32 v15, 28, v14
	v_and_b32_e32 v13, 15, v13
	v_lshlrev_b32_e32 v15, v15, v6
	v_sub_u32_e32 v14, 29, v14
	v_and_b32_e32 v15, 7, v15
	v_cmp_eq_u16_e32 vcc, 0, v13
	v_cndmask_b32_e32 v12, v12, v15, vcc
	v_cndmask_b32_e32 v13, v13, v14, vcc
	v_lshlrev_b32_e32 v14, 24, v6
	v_mov_b32_e32 v15, 0x3b800000
	v_lshlrev_b32_e32 v12, 20, v12
	v_and_b32_e32 v14, 0x80000000, v14
	v_lshl_add_u32 v13, v13, 23, v15
	v_or3_b32 v12, v14, v13, v12
.LBB1_3588:
	s_or_b64 exec, exec, s[6:7]
	s_movk_i32 s4, 0x7f
	v_cmp_gt_i16_sdwa s[6:7], v2, s4 src0_sel:BYTE_0 src1_sel:DWORD
	s_mov_b64 s[4:5], 0
                                        ; implicit-def: $sgpr10
	s_and_saveexec_b64 s[8:9], s[6:7]
	s_xor_b64 s[6:7], exec, s[8:9]
	s_cbranch_execz .LBB1_3589
; %bb.39429:
	s_getpc_b64 s[14:15]
.Lpost_getpc5378:
	s_add_u32 s14, s14, (.LBB1_17925-.Lpost_getpc5378)&4294967295
	s_addc_u32 s15, s15, (.LBB1_17925-.Lpost_getpc5378)>>32
	s_setpc_b64 s[14:15]
.LBB1_3589:
	s_or_saveexec_b64 s[6:7], s[6:7]
	v_mov_b32_e32 v13, s10
	s_xor_b64 exec, exec, s[6:7]
	s_cbranch_execz .LBB1_3590
; %bb.39431:
	s_getpc_b64 s[14:15]
.Lpost_getpc5379:
	s_add_u32 s14, s14, (.LBB1_17928-.Lpost_getpc5379)&4294967295
	s_addc_u32 s15, s15, (.LBB1_17928-.Lpost_getpc5379)>>32
	s_setpc_b64 s[14:15]
.LBB1_3590:
	s_or_b64 exec, exec, s[6:7]
	s_and_saveexec_b64 s[6:7], s[4:5]
	s_cbranch_execz .LBB1_3592
.LBB1_3591:
	v_and_b32_e32 v13, 7, v2
	v_ffbh_u32_e32 v15, v13
	v_min_u32_e32 v15, 32, v15
	v_lshrrev_b16_e32 v14, 3, v2
	v_subrev_u32_e32 v16, 28, v15
	v_and_b32_e32 v14, 15, v14
	v_lshlrev_b32_e32 v16, v16, v2
	v_sub_u32_e32 v15, 29, v15
	v_and_b32_e32 v16, 7, v16
	v_cmp_eq_u16_e32 vcc, 0, v14
	v_cndmask_b32_e32 v13, v13, v16, vcc
	v_cndmask_b32_e32 v14, v14, v15, vcc
	v_lshlrev_b32_e32 v15, 24, v2
	v_mov_b32_e32 v16, 0x3b800000
	v_lshlrev_b32_e32 v13, 20, v13
	v_and_b32_e32 v15, 0x80000000, v15
	v_lshl_add_u32 v14, v14, 23, v16
	v_or3_b32 v13, v15, v14, v13
.LBB1_3592:
	s_or_b64 exec, exec, s[6:7]
	flat_load_dwordx4 a[0:3], v[10:11] offset:448
	s_movk_i32 s4, 0x7f
                                        ; implicit-def: $sgpr10
	s_waitcnt vmcnt(0) lgkmcnt(0)
	v_mfma_f32_16x16x4f32 a[0:3], v12, v13, a[0:3]
	v_lshrrev_b32_e32 v13, 8, v6
	v_cmp_gt_i16_sdwa s[6:7], v13, s4 src0_sel:BYTE_0 src1_sel:DWORD
	s_mov_b64 s[4:5], 0
	s_and_saveexec_b64 s[8:9], s[6:7]
	s_xor_b64 s[6:7], exec, s[8:9]
	s_cbranch_execz .LBB1_3593
; %bb.39433:
	s_getpc_b64 s[14:15]
.Lpost_getpc5380:
	s_add_u32 s14, s14, (.LBB1_17929-.Lpost_getpc5380)&4294967295
	s_addc_u32 s15, s15, (.LBB1_17929-.Lpost_getpc5380)>>32
	s_setpc_b64 s[14:15]
.LBB1_3593:
	s_or_saveexec_b64 s[6:7], s[6:7]
	v_mov_b32_e32 v12, s10
	s_xor_b64 exec, exec, s[6:7]
	s_cbranch_execz .LBB1_3594
; %bb.39435:
	s_getpc_b64 s[14:15]
.Lpost_getpc5381:
	s_add_u32 s14, s14, (.LBB1_17932-.Lpost_getpc5381)&4294967295
	s_addc_u32 s15, s15, (.LBB1_17932-.Lpost_getpc5381)>>32
	s_setpc_b64 s[14:15]
.LBB1_3594:
	s_or_b64 exec, exec, s[6:7]
	s_and_saveexec_b64 s[6:7], s[4:5]
	s_cbranch_execz .LBB1_3596
.LBB1_3595:
	v_bfe_u32 v12, v6, 8, 3
	v_ffbh_u32_e32 v15, v12
	v_min_u32_e32 v15, 32, v15
	v_lshrrev_b16_e32 v14, 3, v13
	v_subrev_u32_e32 v16, 28, v15
	v_and_b32_e32 v14, 15, v14
	v_lshlrev_b32_e32 v13, v16, v13
	v_sub_u32_e32 v15, 29, v15
	v_and_b32_e32 v13, 7, v13
	v_cmp_eq_u16_e32 vcc, 0, v14
	v_cndmask_b32_e32 v12, v12, v13, vcc
	v_cndmask_b32_e32 v13, v14, v15, vcc
	v_lshlrev_b32_e32 v14, 16, v6
	v_mov_b32_e32 v15, 0x3b800000
	v_lshlrev_b32_e32 v12, 20, v12
	v_and_b32_e32 v14, 0x80000000, v14
	v_lshl_add_u32 v13, v13, 23, v15
	v_or3_b32 v12, v14, v13, v12
.LBB1_3596:
	s_or_b64 exec, exec, s[6:7]
	v_lshrrev_b32_e32 v13, 8, v2
	s_movk_i32 s4, 0x7f
	v_cmp_gt_i16_sdwa s[6:7], v13, s4 src0_sel:BYTE_0 src1_sel:DWORD
	s_mov_b64 s[4:5], 0
                                        ; implicit-def: $sgpr10
	s_and_saveexec_b64 s[8:9], s[6:7]
	s_xor_b64 s[6:7], exec, s[8:9]
	s_cbranch_execz .LBB1_3597
; %bb.39437:
	s_getpc_b64 s[14:15]
.Lpost_getpc5382:
	s_add_u32 s14, s14, (.LBB1_17933-.Lpost_getpc5382)&4294967295
	s_addc_u32 s15, s15, (.LBB1_17933-.Lpost_getpc5382)>>32
	s_setpc_b64 s[14:15]
.LBB1_3597:
	s_or_saveexec_b64 s[6:7], s[6:7]
	v_mov_b32_e32 v14, s10
	s_xor_b64 exec, exec, s[6:7]
	s_cbranch_execz .LBB1_3598
; %bb.39439:
	s_getpc_b64 s[14:15]
.Lpost_getpc5383:
	s_add_u32 s14, s14, (.LBB1_17936-.Lpost_getpc5383)&4294967295
	s_addc_u32 s15, s15, (.LBB1_17936-.Lpost_getpc5383)>>32
	s_setpc_b64 s[14:15]
.LBB1_3598:
	s_or_b64 exec, exec, s[6:7]
	s_and_saveexec_b64 s[6:7], s[4:5]
	s_cbranch_execz .LBB1_3600
.LBB1_3599:
	v_bfe_u32 v14, v2, 8, 3
	v_ffbh_u32_e32 v16, v14
	v_min_u32_e32 v16, 32, v16
	v_lshrrev_b16_e32 v15, 3, v13
	v_subrev_u32_e32 v17, 28, v16
	v_and_b32_e32 v15, 15, v15
	v_lshlrev_b32_e32 v13, v17, v13
	v_sub_u32_e32 v16, 29, v16
	v_and_b32_e32 v13, 7, v13
	v_cmp_eq_u16_e32 vcc, 0, v15
	v_cndmask_b32_e32 v13, v14, v13, vcc
	v_cndmask_b32_e32 v14, v15, v16, vcc
	v_lshlrev_b32_e32 v15, 16, v2
	v_mov_b32_e32 v16, 0x3b800000
	v_lshlrev_b32_e32 v13, 20, v13
	v_and_b32_e32 v15, 0x80000000, v15
	v_lshl_add_u32 v14, v14, 23, v16
	v_or3_b32 v14, v15, v14, v13
.LBB1_3600:
	s_or_b64 exec, exec, s[6:7]
	s_nop 0
	v_mfma_f32_16x16x4f32 a[0:3], v12, v14, a[0:3]
	s_movk_i32 s4, 0xff
	v_and_b32_sdwa v13, v6, s4 dst_sel:DWORD dst_unused:UNUSED_PAD src0_sel:WORD_1 src1_sel:DWORD
	s_movk_i32 s4, 0x7f
	v_cmp_lt_i16_e32 vcc, s4, v13
	s_mov_b64 s[4:5], 0
                                        ; implicit-def: $sgpr10
	s_and_saveexec_b64 s[6:7], vcc
	s_xor_b64 s[6:7], exec, s[6:7]
	s_cbranch_execz .LBB1_3601
; %bb.39441:
	s_getpc_b64 s[14:15]
.Lpost_getpc5384:
	s_add_u32 s14, s14, (.LBB1_17937-.Lpost_getpc5384)&4294967295
	s_addc_u32 s15, s15, (.LBB1_17937-.Lpost_getpc5384)>>32
	s_setpc_b64 s[14:15]
.LBB1_3601:
	s_or_saveexec_b64 s[6:7], s[6:7]
	v_mov_b32_e32 v12, s10
	s_xor_b64 exec, exec, s[6:7]
	s_cbranch_execz .LBB1_3602
; %bb.39443:
	s_getpc_b64 s[14:15]
.Lpost_getpc5385:
	s_add_u32 s14, s14, (.LBB1_17940-.Lpost_getpc5385)&4294967295
	s_addc_u32 s15, s15, (.LBB1_17940-.Lpost_getpc5385)>>32
	s_setpc_b64 s[14:15]
.LBB1_3602:
	s_or_b64 exec, exec, s[6:7]
	s_and_saveexec_b64 s[6:7], s[4:5]
	s_cbranch_execz .LBB1_3604
.LBB1_3603:
	v_bfe_u32 v12, v6, 16, 3
	v_ffbh_u32_e32 v15, v12
	v_min_u32_e32 v15, 32, v15
	v_lshrrev_b32_e32 v13, 19, v6
	v_subrev_u32_e32 v16, 28, v15
	v_and_b32_e32 v13, 15, v13
	v_lshlrev_b32_sdwa v16, v16, v6 dst_sel:DWORD dst_unused:UNUSED_PAD src0_sel:DWORD src1_sel:WORD_1
	v_bfe_u32 v14, v6, 19, 4
	v_sub_u32_e32 v15, 29, v15
	v_and_b32_e32 v16, 7, v16
	v_cmp_eq_u16_e32 vcc, 0, v13
	v_cndmask_b32_e32 v12, v12, v16, vcc
	v_cndmask_b32_e32 v13, v14, v15, vcc
	v_lshlrev_b32_e32 v14, 8, v6
	v_mov_b32_e32 v15, 0x3b800000
	v_lshlrev_b32_e32 v12, 20, v12
	v_and_b32_e32 v14, 0x80000000, v14
	v_lshl_add_u32 v13, v13, 23, v15
	v_or3_b32 v12, v14, v13, v12
.LBB1_3604:
	s_or_b64 exec, exec, s[6:7]
	s_movk_i32 s4, 0xff
	v_and_b32_sdwa v13, v2, s4 dst_sel:DWORD dst_unused:UNUSED_PAD src0_sel:WORD_1 src1_sel:DWORD
	s_movk_i32 s4, 0x7f
	v_cmp_lt_i16_e32 vcc, s4, v13
	s_mov_b64 s[4:5], 0
                                        ; implicit-def: $sgpr10
	s_and_saveexec_b64 s[6:7], vcc
	s_xor_b64 s[6:7], exec, s[6:7]
	s_cbranch_execz .LBB1_3605
; %bb.39445:
	s_getpc_b64 s[14:15]
.Lpost_getpc5386:
	s_add_u32 s14, s14, (.LBB1_17941-.Lpost_getpc5386)&4294967295
	s_addc_u32 s15, s15, (.LBB1_17941-.Lpost_getpc5386)>>32
	s_setpc_b64 s[14:15]
.LBB1_3605:
	s_or_saveexec_b64 s[6:7], s[6:7]
	v_mov_b32_e32 v14, s10
	s_xor_b64 exec, exec, s[6:7]
	s_cbranch_execz .LBB1_3606
; %bb.39447:
	s_getpc_b64 s[14:15]
.Lpost_getpc5387:
	s_add_u32 s14, s14, (.LBB1_17944-.Lpost_getpc5387)&4294967295
	s_addc_u32 s15, s15, (.LBB1_17944-.Lpost_getpc5387)>>32
	s_setpc_b64 s[14:15]
.LBB1_3606:
	s_or_b64 exec, exec, s[6:7]
	s_and_saveexec_b64 s[6:7], s[4:5]
	s_cbranch_execz .LBB1_3608
.LBB1_3607:
	v_bfe_u32 v13, v2, 16, 3
	v_ffbh_u32_e32 v16, v13
	v_min_u32_e32 v16, 32, v16
	v_lshrrev_b32_e32 v14, 19, v2
	v_subrev_u32_e32 v17, 28, v16
	v_and_b32_e32 v14, 15, v14
	v_lshlrev_b32_sdwa v17, v17, v2 dst_sel:DWORD dst_unused:UNUSED_PAD src0_sel:DWORD src1_sel:WORD_1
	v_bfe_u32 v15, v2, 19, 4
	v_sub_u32_e32 v16, 29, v16
	v_and_b32_e32 v17, 7, v17
	v_cmp_eq_u16_e32 vcc, 0, v14
	v_cndmask_b32_e32 v13, v13, v17, vcc
	v_cndmask_b32_e32 v14, v15, v16, vcc
	v_lshlrev_b32_e32 v15, 8, v2
	v_mov_b32_e32 v16, 0x3b800000
	v_lshlrev_b32_e32 v13, 20, v13
	v_and_b32_e32 v15, 0x80000000, v15
	v_lshl_add_u32 v14, v14, 23, v16
	v_or3_b32 v14, v15, v14, v13
.LBB1_3608:
	s_or_b64 exec, exec, s[6:7]
	s_nop 0
	v_mfma_f32_16x16x4f32 a[0:3], v12, v14, a[0:3]
	s_movk_i32 s4, 0x7f
	v_cmp_gt_i16_sdwa s[6:7], v6, s4 src0_sel:BYTE_3 src1_sel:DWORD
	s_mov_b64 s[4:5], 0
                                        ; implicit-def: $sgpr10
	s_and_saveexec_b64 s[8:9], s[6:7]
	s_xor_b64 s[6:7], exec, s[8:9]
	s_cbranch_execz .LBB1_3609
; %bb.39449:
	s_getpc_b64 s[14:15]
.Lpost_getpc5388:
	s_add_u32 s14, s14, (.LBB1_17945-.Lpost_getpc5388)&4294967295
	s_addc_u32 s15, s15, (.LBB1_17945-.Lpost_getpc5388)>>32
	s_setpc_b64 s[14:15]
.LBB1_3609:
	s_or_saveexec_b64 s[6:7], s[6:7]
	v_mov_b32_e32 v12, s10
	s_xor_b64 exec, exec, s[6:7]
	s_cbranch_execz .LBB1_3610
; %bb.39451:
	s_getpc_b64 s[14:15]
.Lpost_getpc5389:
	s_add_u32 s14, s14, (.LBB1_17948-.Lpost_getpc5389)&4294967295
	s_addc_u32 s15, s15, (.LBB1_17948-.Lpost_getpc5389)>>32
	s_setpc_b64 s[14:15]
.LBB1_3610:
	s_or_b64 exec, exec, s[6:7]
	s_and_saveexec_b64 s[6:7], s[4:5]
	s_cbranch_execz .LBB1_3612
.LBB1_3611:
	v_bfe_u32 v12, v6, 24, 3
	v_ffbh_u32_e32 v16, v12
	v_min_u32_e32 v16, 32, v16
	v_lshrrev_b32_e32 v14, 27, v6
	v_subrev_u32_e32 v17, 28, v16
	v_and_b32_e32 v13, 0x80000000, v6
	v_and_b32_e32 v14, 15, v14
	v_bfe_u32 v15, v6, 27, 4
	v_lshlrev_b32_sdwa v6, v17, v6 dst_sel:DWORD dst_unused:UNUSED_PAD src0_sel:DWORD src1_sel:BYTE_3
	v_sub_u32_e32 v16, 29, v16
	v_and_b32_e32 v6, 7, v6
	v_cmp_eq_u16_e32 vcc, 0, v14
	v_cndmask_b32_e32 v6, v12, v6, vcc
	v_cndmask_b32_e32 v12, v15, v16, vcc
	v_mov_b32_e32 v14, 0x3b800000
	v_lshlrev_b32_e32 v6, 20, v6
	v_lshl_add_u32 v12, v12, 23, v14
	v_or3_b32 v12, v13, v12, v6
.LBB1_3612:
	s_or_b64 exec, exec, s[6:7]
	s_movk_i32 s4, 0x7f
	v_cmp_gt_i16_sdwa s[6:7], v2, s4 src0_sel:BYTE_3 src1_sel:DWORD
	s_mov_b64 s[4:5], 0
                                        ; implicit-def: $sgpr10
	s_and_saveexec_b64 s[8:9], s[6:7]
	s_xor_b64 s[6:7], exec, s[8:9]
	s_cbranch_execz .LBB1_3613
; %bb.39453:
	s_getpc_b64 s[14:15]
.Lpost_getpc5390:
	s_add_u32 s14, s14, (.LBB1_17949-.Lpost_getpc5390)&4294967295
	s_addc_u32 s15, s15, (.LBB1_17949-.Lpost_getpc5390)>>32
	s_setpc_b64 s[14:15]
.LBB1_3613:
	s_or_saveexec_b64 s[6:7], s[6:7]
	v_mov_b32_e32 v6, s10
	s_xor_b64 exec, exec, s[6:7]
	s_cbranch_execz .LBB1_3614
; %bb.39455:
	s_getpc_b64 s[14:15]
.Lpost_getpc5391:
	s_add_u32 s14, s14, (.LBB1_17952-.Lpost_getpc5391)&4294967295
	s_addc_u32 s15, s15, (.LBB1_17952-.Lpost_getpc5391)>>32
	s_setpc_b64 s[14:15]
.LBB1_3614:
	s_or_b64 exec, exec, s[6:7]
	s_and_saveexec_b64 s[6:7], s[4:5]
	s_cbranch_execz .LBB1_3616
.LBB1_3615:
	v_bfe_u32 v6, v2, 24, 3
	v_ffbh_u32_e32 v16, v6
	v_min_u32_e32 v16, 32, v16
	v_lshrrev_b32_e32 v14, 27, v2
	v_subrev_u32_e32 v17, 28, v16
	v_and_b32_e32 v13, 0x80000000, v2
	v_and_b32_e32 v14, 15, v14
	v_bfe_u32 v15, v2, 27, 4
	v_lshlrev_b32_sdwa v2, v17, v2 dst_sel:DWORD dst_unused:UNUSED_PAD src0_sel:DWORD src1_sel:BYTE_3
	v_sub_u32_e32 v16, 29, v16
	v_and_b32_e32 v2, 7, v2
	v_cmp_eq_u16_e32 vcc, 0, v14
	v_cndmask_b32_e32 v2, v6, v2, vcc
	v_cndmask_b32_e32 v6, v15, v16, vcc
	v_mov_b32_e32 v14, 0x3b800000
	v_lshlrev_b32_e32 v2, 20, v2
	v_lshl_add_u32 v6, v6, 23, v14
	v_or3_b32 v6, v13, v6, v2
.LBB1_3616:
	s_or_b64 exec, exec, s[6:7]
	s_nop 0
	v_mfma_f32_16x16x4f32 a[0:3], v12, v6, a[0:3]
	s_movk_i32 s4, 0x7f
	v_cmp_gt_i16_sdwa s[6:7], v7, s4 src0_sel:BYTE_0 src1_sel:DWORD
	s_mov_b64 s[4:5], 0
                                        ; implicit-def: $sgpr10
	s_and_saveexec_b64 s[8:9], s[6:7]
	s_xor_b64 s[6:7], exec, s[8:9]
	s_cbranch_execz .LBB1_3617
; %bb.39457:
	s_getpc_b64 s[14:15]
.Lpost_getpc5392:
	s_add_u32 s14, s14, (.LBB1_17953-.Lpost_getpc5392)&4294967295
	s_addc_u32 s15, s15, (.LBB1_17953-.Lpost_getpc5392)>>32
	s_setpc_b64 s[14:15]
.LBB1_3617:
	s_or_saveexec_b64 s[6:7], s[6:7]
	v_mov_b32_e32 v2, s10
	s_xor_b64 exec, exec, s[6:7]
	s_cbranch_execz .LBB1_3618
; %bb.39459:
	s_getpc_b64 s[14:15]
.Lpost_getpc5393:
	s_add_u32 s14, s14, (.LBB1_17956-.Lpost_getpc5393)&4294967295
	s_addc_u32 s15, s15, (.LBB1_17956-.Lpost_getpc5393)>>32
	s_setpc_b64 s[14:15]
.LBB1_3618:
	s_or_b64 exec, exec, s[6:7]
	s_and_saveexec_b64 s[6:7], s[4:5]
	s_cbranch_execz .LBB1_3620
.LBB1_3619:
	v_and_b32_e32 v2, 7, v7
	v_ffbh_u32_e32 v12, v2
	v_min_u32_e32 v12, 32, v12
	v_lshrrev_b16_e32 v6, 3, v7
	v_subrev_u32_e32 v13, 28, v12
	v_and_b32_e32 v6, 15, v6
	v_lshlrev_b32_e32 v13, v13, v7
	v_sub_u32_e32 v12, 29, v12
	v_and_b32_e32 v13, 7, v13
	v_cmp_eq_u16_e32 vcc, 0, v6
	v_cndmask_b32_e32 v2, v2, v13, vcc
	v_cndmask_b32_e32 v6, v6, v12, vcc
	v_lshlrev_b32_e32 v12, 24, v7
	v_mov_b32_e32 v13, 0x3b800000
	v_lshlrev_b32_e32 v2, 20, v2
	v_and_b32_e32 v12, 0x80000000, v12
	v_lshl_add_u32 v6, v6, 23, v13
	v_or3_b32 v2, v12, v6, v2
.LBB1_3620:
	s_or_b64 exec, exec, s[6:7]
	s_movk_i32 s4, 0x7f
	v_cmp_gt_i16_sdwa s[6:7], v3, s4 src0_sel:BYTE_0 src1_sel:DWORD
	s_mov_b64 s[4:5], 0
                                        ; implicit-def: $sgpr10
	s_and_saveexec_b64 s[8:9], s[6:7]
	s_xor_b64 s[6:7], exec, s[8:9]
	s_cbranch_execz .LBB1_3621
; %bb.39461:
	s_getpc_b64 s[14:15]
.Lpost_getpc5394:
	s_add_u32 s14, s14, (.LBB1_17957-.Lpost_getpc5394)&4294967295
	s_addc_u32 s15, s15, (.LBB1_17957-.Lpost_getpc5394)>>32
	s_setpc_b64 s[14:15]
.LBB1_3621:
	s_or_saveexec_b64 s[6:7], s[6:7]
	v_mov_b32_e32 v6, s10
	s_xor_b64 exec, exec, s[6:7]
	s_cbranch_execz .LBB1_3622
; %bb.39463:
	s_getpc_b64 s[14:15]
.Lpost_getpc5395:
	s_add_u32 s14, s14, (.LBB1_17960-.Lpost_getpc5395)&4294967295
	s_addc_u32 s15, s15, (.LBB1_17960-.Lpost_getpc5395)>>32
	s_setpc_b64 s[14:15]
.LBB1_3622:
	s_or_b64 exec, exec, s[6:7]
	s_and_saveexec_b64 s[6:7], s[4:5]
	s_cbranch_execz .LBB1_3624
.LBB1_3623:
	v_and_b32_e32 v6, 7, v3
	v_ffbh_u32_e32 v13, v6
	v_min_u32_e32 v13, 32, v13
	v_lshrrev_b16_e32 v12, 3, v3
	v_subrev_u32_e32 v14, 28, v13
	v_and_b32_e32 v12, 15, v12
	v_lshlrev_b32_e32 v14, v14, v3
	v_sub_u32_e32 v13, 29, v13
	v_and_b32_e32 v14, 7, v14
	v_cmp_eq_u16_e32 vcc, 0, v12
	v_cndmask_b32_e32 v6, v6, v14, vcc
	v_cndmask_b32_e32 v12, v12, v13, vcc
	v_lshlrev_b32_e32 v13, 24, v3
	v_mov_b32_e32 v14, 0x3b800000
	v_lshlrev_b32_e32 v6, 20, v6
	v_and_b32_e32 v13, 0x80000000, v13
	v_lshl_add_u32 v12, v12, 23, v14
	v_or3_b32 v6, v13, v12, v6
.LBB1_3624:
	s_or_b64 exec, exec, s[6:7]
	s_nop 0
	v_mfma_f32_16x16x4f32 a[0:3], v2, v6, a[0:3]
	v_lshrrev_b32_e32 v6, 8, v7
	s_movk_i32 s4, 0x7f
	v_cmp_gt_i16_sdwa s[6:7], v6, s4 src0_sel:BYTE_0 src1_sel:DWORD
	s_mov_b64 s[4:5], 0
                                        ; implicit-def: $sgpr10
	s_and_saveexec_b64 s[8:9], s[6:7]
	s_xor_b64 s[6:7], exec, s[8:9]
	s_cbranch_execz .LBB1_3625
; %bb.39465:
	s_getpc_b64 s[14:15]
.Lpost_getpc5396:
	s_add_u32 s14, s14, (.LBB1_17961-.Lpost_getpc5396)&4294967295
	s_addc_u32 s15, s15, (.LBB1_17961-.Lpost_getpc5396)>>32
	s_setpc_b64 s[14:15]
.LBB1_3625:
	s_or_saveexec_b64 s[6:7], s[6:7]
	v_mov_b32_e32 v2, s10
	s_xor_b64 exec, exec, s[6:7]
	s_cbranch_execz .LBB1_3626
; %bb.39467:
	s_getpc_b64 s[14:15]
.Lpost_getpc5397:
	s_add_u32 s14, s14, (.LBB1_17964-.Lpost_getpc5397)&4294967295
	s_addc_u32 s15, s15, (.LBB1_17964-.Lpost_getpc5397)>>32
	s_setpc_b64 s[14:15]
.LBB1_3626:
	s_or_b64 exec, exec, s[6:7]
	s_and_saveexec_b64 s[6:7], s[4:5]
	s_cbranch_execz .LBB1_3628
.LBB1_3627:
	v_bfe_u32 v2, v7, 8, 3
	v_ffbh_u32_e32 v13, v2
	v_min_u32_e32 v13, 32, v13
	v_lshrrev_b16_e32 v12, 3, v6
	v_subrev_u32_e32 v14, 28, v13
	v_and_b32_e32 v12, 15, v12
	v_lshlrev_b32_e32 v6, v14, v6
	v_sub_u32_e32 v13, 29, v13
	v_and_b32_e32 v6, 7, v6
	v_cmp_eq_u16_e32 vcc, 0, v12
	v_cndmask_b32_e32 v2, v2, v6, vcc
	v_cndmask_b32_e32 v6, v12, v13, vcc
	v_lshlrev_b32_e32 v12, 16, v7
	v_mov_b32_e32 v13, 0x3b800000
	v_lshlrev_b32_e32 v2, 20, v2
	v_and_b32_e32 v12, 0x80000000, v12
	v_lshl_add_u32 v6, v6, 23, v13
	v_or3_b32 v2, v12, v6, v2
.LBB1_3628:
	s_or_b64 exec, exec, s[6:7]
	v_lshrrev_b32_e32 v6, 8, v3
	s_movk_i32 s4, 0x7f
	v_cmp_gt_i16_sdwa s[6:7], v6, s4 src0_sel:BYTE_0 src1_sel:DWORD
	s_mov_b64 s[4:5], 0
                                        ; implicit-def: $sgpr10
	s_and_saveexec_b64 s[8:9], s[6:7]
	s_xor_b64 s[6:7], exec, s[8:9]
	s_cbranch_execz .LBB1_3629
; %bb.39469:
	s_getpc_b64 s[14:15]
.Lpost_getpc5398:
	s_add_u32 s14, s14, (.LBB1_17965-.Lpost_getpc5398)&4294967295
	s_addc_u32 s15, s15, (.LBB1_17965-.Lpost_getpc5398)>>32
	s_setpc_b64 s[14:15]
.LBB1_3629:
	s_or_saveexec_b64 s[6:7], s[6:7]
	v_mov_b32_e32 v12, s10
	s_xor_b64 exec, exec, s[6:7]
	s_cbranch_execz .LBB1_3630
; %bb.39471:
	s_getpc_b64 s[14:15]
.Lpost_getpc5399:
	s_add_u32 s14, s14, (.LBB1_17968-.Lpost_getpc5399)&4294967295
	s_addc_u32 s15, s15, (.LBB1_17968-.Lpost_getpc5399)>>32
	s_setpc_b64 s[14:15]
.LBB1_3630:
	s_or_b64 exec, exec, s[6:7]
	s_and_saveexec_b64 s[6:7], s[4:5]
	s_cbranch_execz .LBB1_3632
.LBB1_3631:
	v_bfe_u32 v12, v3, 8, 3
	v_ffbh_u32_e32 v14, v12
	v_min_u32_e32 v14, 32, v14
	v_lshrrev_b16_e32 v13, 3, v6
	v_subrev_u32_e32 v15, 28, v14
	v_and_b32_e32 v13, 15, v13
	v_lshlrev_b32_e32 v6, v15, v6
	v_sub_u32_e32 v14, 29, v14
	v_and_b32_e32 v6, 7, v6
	v_cmp_eq_u16_e32 vcc, 0, v13
	v_cndmask_b32_e32 v6, v12, v6, vcc
	v_cndmask_b32_e32 v12, v13, v14, vcc
	v_lshlrev_b32_e32 v13, 16, v3
	v_mov_b32_e32 v14, 0x3b800000
	v_lshlrev_b32_e32 v6, 20, v6
	v_and_b32_e32 v13, 0x80000000, v13
	v_lshl_add_u32 v12, v12, 23, v14
	v_or3_b32 v12, v13, v12, v6
.LBB1_3632:
	s_or_b64 exec, exec, s[6:7]
	s_nop 0
	v_mfma_f32_16x16x4f32 a[0:3], v2, v12, a[0:3]
	s_movk_i32 s4, 0xff
	v_and_b32_sdwa v6, v7, s4 dst_sel:DWORD dst_unused:UNUSED_PAD src0_sel:WORD_1 src1_sel:DWORD
	s_movk_i32 s4, 0x7f
	v_cmp_lt_i16_e32 vcc, s4, v6
	s_mov_b64 s[4:5], 0
                                        ; implicit-def: $sgpr10
	s_and_saveexec_b64 s[6:7], vcc
	s_xor_b64 s[6:7], exec, s[6:7]
	s_cbranch_execz .LBB1_3633
; %bb.39473:
	s_getpc_b64 s[14:15]
.Lpost_getpc5400:
	s_add_u32 s14, s14, (.LBB1_17969-.Lpost_getpc5400)&4294967295
	s_addc_u32 s15, s15, (.LBB1_17969-.Lpost_getpc5400)>>32
	s_setpc_b64 s[14:15]
.LBB1_3633:
	s_or_saveexec_b64 s[6:7], s[6:7]
	v_mov_b32_e32 v2, s10
	s_xor_b64 exec, exec, s[6:7]
	s_cbranch_execz .LBB1_3634
; %bb.39475:
	s_getpc_b64 s[14:15]
.Lpost_getpc5401:
	s_add_u32 s14, s14, (.LBB1_17972-.Lpost_getpc5401)&4294967295
	s_addc_u32 s15, s15, (.LBB1_17972-.Lpost_getpc5401)>>32
	s_setpc_b64 s[14:15]
.LBB1_3634:
	s_or_b64 exec, exec, s[6:7]
	s_and_saveexec_b64 s[6:7], s[4:5]
	s_cbranch_execz .LBB1_3636
.LBB1_3635:
	v_bfe_u32 v2, v7, 16, 3
	v_ffbh_u32_e32 v13, v2
	v_min_u32_e32 v13, 32, v13
	v_lshrrev_b32_e32 v6, 19, v7
	v_subrev_u32_e32 v14, 28, v13
	v_and_b32_e32 v6, 15, v6
	v_lshlrev_b32_sdwa v14, v14, v7 dst_sel:DWORD dst_unused:UNUSED_PAD src0_sel:DWORD src1_sel:WORD_1
	v_bfe_u32 v12, v7, 19, 4
	v_sub_u32_e32 v13, 29, v13
	v_and_b32_e32 v14, 7, v14
	v_cmp_eq_u16_e32 vcc, 0, v6
	v_cndmask_b32_e32 v2, v2, v14, vcc
	v_cndmask_b32_e32 v6, v12, v13, vcc
	v_lshlrev_b32_e32 v12, 8, v7
	v_mov_b32_e32 v13, 0x3b800000
	v_lshlrev_b32_e32 v2, 20, v2
	v_and_b32_e32 v12, 0x80000000, v12
	v_lshl_add_u32 v6, v6, 23, v13
	v_or3_b32 v2, v12, v6, v2
.LBB1_3636:
	s_or_b64 exec, exec, s[6:7]
	s_movk_i32 s4, 0xff
	v_and_b32_sdwa v6, v3, s4 dst_sel:DWORD dst_unused:UNUSED_PAD src0_sel:WORD_1 src1_sel:DWORD
	s_movk_i32 s4, 0x7f
	v_cmp_lt_i16_e32 vcc, s4, v6
	s_mov_b64 s[4:5], 0
                                        ; implicit-def: $sgpr10
	s_and_saveexec_b64 s[6:7], vcc
	s_xor_b64 s[6:7], exec, s[6:7]
	s_cbranch_execz .LBB1_3637
; %bb.39477:
	s_getpc_b64 s[14:15]
.Lpost_getpc5402:
	s_add_u32 s14, s14, (.LBB1_17973-.Lpost_getpc5402)&4294967295
	s_addc_u32 s15, s15, (.LBB1_17973-.Lpost_getpc5402)>>32
	s_setpc_b64 s[14:15]
.LBB1_3637:
	s_or_saveexec_b64 s[6:7], s[6:7]
	v_mov_b32_e32 v12, s10
	s_xor_b64 exec, exec, s[6:7]
	s_cbranch_execz .LBB1_3638
; %bb.39479:
	s_getpc_b64 s[14:15]
.Lpost_getpc5403:
	s_add_u32 s14, s14, (.LBB1_17976-.Lpost_getpc5403)&4294967295
	s_addc_u32 s15, s15, (.LBB1_17976-.Lpost_getpc5403)>>32
	s_setpc_b64 s[14:15]
.LBB1_3638:
	s_or_b64 exec, exec, s[6:7]
	s_and_saveexec_b64 s[6:7], s[4:5]
	s_cbranch_execz .LBB1_3640
.LBB1_3639:
	v_bfe_u32 v6, v3, 16, 3
	v_ffbh_u32_e32 v14, v6
	v_min_u32_e32 v14, 32, v14
	v_lshrrev_b32_e32 v12, 19, v3
	v_subrev_u32_e32 v15, 28, v14
	v_and_b32_e32 v12, 15, v12
	v_lshlrev_b32_sdwa v15, v15, v3 dst_sel:DWORD dst_unused:UNUSED_PAD src0_sel:DWORD src1_sel:WORD_1
	v_bfe_u32 v13, v3, 19, 4
	v_sub_u32_e32 v14, 29, v14
	v_and_b32_e32 v15, 7, v15
	v_cmp_eq_u16_e32 vcc, 0, v12
	v_cndmask_b32_e32 v6, v6, v15, vcc
	v_cndmask_b32_e32 v12, v13, v14, vcc
	v_lshlrev_b32_e32 v13, 8, v3
	v_mov_b32_e32 v14, 0x3b800000
	v_lshlrev_b32_e32 v6, 20, v6
	v_and_b32_e32 v13, 0x80000000, v13
	v_lshl_add_u32 v12, v12, 23, v14
	v_or3_b32 v12, v13, v12, v6
.LBB1_3640:
	s_or_b64 exec, exec, s[6:7]
	s_nop 0
	v_mfma_f32_16x16x4f32 a[0:3], v2, v12, a[0:3]
	s_movk_i32 s4, 0x7f
	v_cmp_gt_i16_sdwa s[6:7], v7, s4 src0_sel:BYTE_3 src1_sel:DWORD
	s_mov_b64 s[4:5], 0
                                        ; implicit-def: $sgpr10
	s_and_saveexec_b64 s[8:9], s[6:7]
	s_xor_b64 s[6:7], exec, s[8:9]
	s_cbranch_execz .LBB1_3641
; %bb.39481:
	s_getpc_b64 s[14:15]
.Lpost_getpc5404:
	s_add_u32 s14, s14, (.LBB1_17977-.Lpost_getpc5404)&4294967295
	s_addc_u32 s15, s15, (.LBB1_17977-.Lpost_getpc5404)>>32
	s_setpc_b64 s[14:15]
.LBB1_3641:
	s_or_saveexec_b64 s[6:7], s[6:7]
	v_mov_b32_e32 v2, s10
	s_xor_b64 exec, exec, s[6:7]
	s_cbranch_execz .LBB1_3642
; %bb.39483:
	s_getpc_b64 s[14:15]
.Lpost_getpc5405:
	s_add_u32 s14, s14, (.LBB1_17980-.Lpost_getpc5405)&4294967295
	s_addc_u32 s15, s15, (.LBB1_17980-.Lpost_getpc5405)>>32
	s_setpc_b64 s[14:15]
.LBB1_3642:
	s_or_b64 exec, exec, s[6:7]
	s_and_saveexec_b64 s[6:7], s[4:5]
	s_cbranch_execz .LBB1_3644
.LBB1_3643:
	v_bfe_u32 v2, v7, 24, 3
	v_ffbh_u32_e32 v14, v2
	v_min_u32_e32 v14, 32, v14
	v_lshrrev_b32_e32 v12, 27, v7
	v_subrev_u32_e32 v15, 28, v14
	v_and_b32_e32 v6, 0x80000000, v7
	v_and_b32_e32 v12, 15, v12
	v_bfe_u32 v13, v7, 27, 4
	v_lshlrev_b32_sdwa v7, v15, v7 dst_sel:DWORD dst_unused:UNUSED_PAD src0_sel:DWORD src1_sel:BYTE_3
	v_sub_u32_e32 v14, 29, v14
	v_and_b32_e32 v7, 7, v7
	v_cmp_eq_u16_e32 vcc, 0, v12
	v_cndmask_b32_e32 v2, v2, v7, vcc
	v_cndmask_b32_e32 v7, v13, v14, vcc
	v_mov_b32_e32 v12, 0x3b800000
	v_lshlrev_b32_e32 v2, 20, v2
	v_lshl_add_u32 v7, v7, 23, v12
	v_or3_b32 v2, v6, v7, v2
.LBB1_3644:
	s_or_b64 exec, exec, s[6:7]
	s_movk_i32 s4, 0x7f
	v_cmp_gt_i16_sdwa s[6:7], v3, s4 src0_sel:BYTE_3 src1_sel:DWORD
	s_mov_b64 s[4:5], 0
                                        ; implicit-def: $sgpr10
	s_and_saveexec_b64 s[8:9], s[6:7]
	s_xor_b64 s[6:7], exec, s[8:9]
	s_cbranch_execz .LBB1_3645
; %bb.39485:
	s_getpc_b64 s[14:15]
.Lpost_getpc5406:
	s_add_u32 s14, s14, (.LBB1_17981-.Lpost_getpc5406)&4294967295
	s_addc_u32 s15, s15, (.LBB1_17981-.Lpost_getpc5406)>>32
	s_setpc_b64 s[14:15]
.LBB1_3645:
	s_or_saveexec_b64 s[6:7], s[6:7]
	v_mov_b32_e32 v6, s10
	s_xor_b64 exec, exec, s[6:7]
	s_cbranch_execz .LBB1_3646
; %bb.39487:
	s_getpc_b64 s[14:15]
.Lpost_getpc5407:
	s_add_u32 s14, s14, (.LBB1_17984-.Lpost_getpc5407)&4294967295
	s_addc_u32 s15, s15, (.LBB1_17984-.Lpost_getpc5407)>>32
	s_setpc_b64 s[14:15]
.LBB1_3646:
	s_or_b64 exec, exec, s[6:7]
	s_and_saveexec_b64 s[6:7], s[4:5]
	s_cbranch_execz .LBB1_3648
.LBB1_3647:
	v_bfe_u32 v6, v3, 24, 3
	v_ffbh_u32_e32 v14, v6
	v_min_u32_e32 v14, 32, v14
	v_lshrrev_b32_e32 v12, 27, v3
	v_subrev_u32_e32 v15, 28, v14
	v_and_b32_e32 v7, 0x80000000, v3
	v_and_b32_e32 v12, 15, v12
	v_bfe_u32 v13, v3, 27, 4
	v_lshlrev_b32_sdwa v3, v15, v3 dst_sel:DWORD dst_unused:UNUSED_PAD src0_sel:DWORD src1_sel:BYTE_3
	v_sub_u32_e32 v14, 29, v14
	v_and_b32_e32 v3, 7, v3
	v_cmp_eq_u16_e32 vcc, 0, v12
	v_cndmask_b32_e32 v3, v6, v3, vcc
	v_cndmask_b32_e32 v6, v13, v14, vcc
	v_mov_b32_e32 v12, 0x3b800000
	v_lshlrev_b32_e32 v3, 20, v3
	v_lshl_add_u32 v6, v6, 23, v12
	v_or3_b32 v6, v7, v6, v3
.LBB1_3648:
	s_or_b64 exec, exec, s[6:7]
	s_nop 0
	v_mfma_f32_16x16x4f32 a[0:3], v2, v6, a[0:3]
	s_movk_i32 s4, 0x7f
	v_cmp_gt_i16_sdwa s[6:7], v8, s4 src0_sel:BYTE_0 src1_sel:DWORD
	s_mov_b64 s[4:5], 0
                                        ; implicit-def: $sgpr10
	s_and_saveexec_b64 s[8:9], s[6:7]
	s_xor_b64 s[6:7], exec, s[8:9]
	s_cbranch_execz .LBB1_3649
; %bb.39489:
	s_getpc_b64 s[14:15]
.Lpost_getpc5408:
	s_add_u32 s14, s14, (.LBB1_17985-.Lpost_getpc5408)&4294967295
	s_addc_u32 s15, s15, (.LBB1_17985-.Lpost_getpc5408)>>32
	s_setpc_b64 s[14:15]
.LBB1_3649:
	s_or_saveexec_b64 s[6:7], s[6:7]
	v_mov_b32_e32 v2, s10
	s_xor_b64 exec, exec, s[6:7]
	s_cbranch_execz .LBB1_3650
; %bb.39491:
	s_getpc_b64 s[14:15]
.Lpost_getpc5409:
	s_add_u32 s14, s14, (.LBB1_17988-.Lpost_getpc5409)&4294967295
	s_addc_u32 s15, s15, (.LBB1_17988-.Lpost_getpc5409)>>32
	s_setpc_b64 s[14:15]
.LBB1_3650:
	s_or_b64 exec, exec, s[6:7]
	s_and_saveexec_b64 s[6:7], s[4:5]
	s_cbranch_execz .LBB1_3652
.LBB1_3651:
	v_and_b32_e32 v2, 7, v8
	v_ffbh_u32_e32 v6, v2
	v_min_u32_e32 v6, 32, v6
	v_lshrrev_b16_e32 v3, 3, v8
	v_subrev_u32_e32 v7, 28, v6
	v_and_b32_e32 v3, 15, v3
	v_lshlrev_b32_e32 v7, v7, v8
	v_sub_u32_e32 v6, 29, v6
	v_and_b32_e32 v7, 7, v7
	v_cmp_eq_u16_e32 vcc, 0, v3
	v_cndmask_b32_e32 v2, v2, v7, vcc
	v_cndmask_b32_e32 v3, v3, v6, vcc
	v_lshlrev_b32_e32 v6, 24, v8
	v_mov_b32_e32 v7, 0x3b800000
	v_lshlrev_b32_e32 v2, 20, v2
	v_and_b32_e32 v6, 0x80000000, v6
	v_lshl_add_u32 v3, v3, 23, v7
	v_or3_b32 v2, v6, v3, v2
.LBB1_3652:
	s_or_b64 exec, exec, s[6:7]
	s_movk_i32 s4, 0x7f
	v_cmp_gt_i16_sdwa s[6:7], v4, s4 src0_sel:BYTE_0 src1_sel:DWORD
	s_mov_b64 s[4:5], 0
                                        ; implicit-def: $sgpr10
	s_and_saveexec_b64 s[8:9], s[6:7]
	s_xor_b64 s[6:7], exec, s[8:9]
	s_cbranch_execz .LBB1_3653
; %bb.39493:
	s_getpc_b64 s[14:15]
.Lpost_getpc5410:
	s_add_u32 s14, s14, (.LBB1_17989-.Lpost_getpc5410)&4294967295
	s_addc_u32 s15, s15, (.LBB1_17989-.Lpost_getpc5410)>>32
	s_setpc_b64 s[14:15]
.LBB1_3653:
	s_or_saveexec_b64 s[6:7], s[6:7]
	v_mov_b32_e32 v3, s10
	s_xor_b64 exec, exec, s[6:7]
	s_cbranch_execz .LBB1_3654
; %bb.39495:
	s_getpc_b64 s[14:15]
.Lpost_getpc5411:
	s_add_u32 s14, s14, (.LBB1_17992-.Lpost_getpc5411)&4294967295
	s_addc_u32 s15, s15, (.LBB1_17992-.Lpost_getpc5411)>>32
	s_setpc_b64 s[14:15]
.LBB1_3654:
	s_or_b64 exec, exec, s[6:7]
	s_and_saveexec_b64 s[6:7], s[4:5]
	s_cbranch_execz .LBB1_3656
.LBB1_3655:
	v_and_b32_e32 v3, 7, v4
	v_ffbh_u32_e32 v7, v3
	v_min_u32_e32 v7, 32, v7
	v_lshrrev_b16_e32 v6, 3, v4
	v_subrev_u32_e32 v12, 28, v7
	v_and_b32_e32 v6, 15, v6
	v_lshlrev_b32_e32 v12, v12, v4
	v_sub_u32_e32 v7, 29, v7
	v_and_b32_e32 v12, 7, v12
	v_cmp_eq_u16_e32 vcc, 0, v6
	v_cndmask_b32_e32 v3, v3, v12, vcc
	v_cndmask_b32_e32 v6, v6, v7, vcc
	v_lshlrev_b32_e32 v7, 24, v4
	v_mov_b32_e32 v12, 0x3b800000
	v_lshlrev_b32_e32 v3, 20, v3
	v_and_b32_e32 v7, 0x80000000, v7
	v_lshl_add_u32 v6, v6, 23, v12
	v_or3_b32 v3, v7, v6, v3
.LBB1_3656:
	s_or_b64 exec, exec, s[6:7]
	s_nop 0
	v_mfma_f32_16x16x4f32 a[0:3], v2, v3, a[0:3]
	v_lshrrev_b32_e32 v3, 8, v8
	s_movk_i32 s4, 0x7f
	v_cmp_gt_i16_sdwa s[6:7], v3, s4 src0_sel:BYTE_0 src1_sel:DWORD
	s_mov_b64 s[4:5], 0
                                        ; implicit-def: $sgpr10
	s_and_saveexec_b64 s[8:9], s[6:7]
	s_xor_b64 s[6:7], exec, s[8:9]
	s_cbranch_execz .LBB1_3657
; %bb.39497:
	s_getpc_b64 s[14:15]
.Lpost_getpc5412:
	s_add_u32 s14, s14, (.LBB1_17993-.Lpost_getpc5412)&4294967295
	s_addc_u32 s15, s15, (.LBB1_17993-.Lpost_getpc5412)>>32
	s_setpc_b64 s[14:15]
.LBB1_3657:
	s_or_saveexec_b64 s[6:7], s[6:7]
	v_mov_b32_e32 v2, s10
	s_xor_b64 exec, exec, s[6:7]
	s_cbranch_execz .LBB1_3658
; %bb.39499:
	s_getpc_b64 s[14:15]
.Lpost_getpc5413:
	s_add_u32 s14, s14, (.LBB1_17996-.Lpost_getpc5413)&4294967295
	s_addc_u32 s15, s15, (.LBB1_17996-.Lpost_getpc5413)>>32
	s_setpc_b64 s[14:15]
.LBB1_3658:
	s_or_b64 exec, exec, s[6:7]
	s_and_saveexec_b64 s[6:7], s[4:5]
	s_cbranch_execz .LBB1_3660
.LBB1_3659:
	v_bfe_u32 v2, v8, 8, 3
	v_ffbh_u32_e32 v7, v2
	v_min_u32_e32 v7, 32, v7
	v_lshrrev_b16_e32 v6, 3, v3
	v_subrev_u32_e32 v12, 28, v7
	v_and_b32_e32 v6, 15, v6
	v_lshlrev_b32_e32 v3, v12, v3
	v_sub_u32_e32 v7, 29, v7
	v_and_b32_e32 v3, 7, v3
	v_cmp_eq_u16_e32 vcc, 0, v6
	v_cndmask_b32_e32 v2, v2, v3, vcc
	v_cndmask_b32_e32 v3, v6, v7, vcc
	v_lshlrev_b32_e32 v6, 16, v8
	v_mov_b32_e32 v7, 0x3b800000
	v_lshlrev_b32_e32 v2, 20, v2
	v_and_b32_e32 v6, 0x80000000, v6
	v_lshl_add_u32 v3, v3, 23, v7
	v_or3_b32 v2, v6, v3, v2
.LBB1_3660:
	s_or_b64 exec, exec, s[6:7]
	v_lshrrev_b32_e32 v3, 8, v4
	s_movk_i32 s4, 0x7f
	v_cmp_gt_i16_sdwa s[6:7], v3, s4 src0_sel:BYTE_0 src1_sel:DWORD
	s_mov_b64 s[4:5], 0
                                        ; implicit-def: $sgpr10
	s_and_saveexec_b64 s[8:9], s[6:7]
	s_xor_b64 s[6:7], exec, s[8:9]
	s_cbranch_execz .LBB1_3661
; %bb.39501:
	s_getpc_b64 s[14:15]
.Lpost_getpc5414:
	s_add_u32 s14, s14, (.LBB1_17997-.Lpost_getpc5414)&4294967295
	s_addc_u32 s15, s15, (.LBB1_17997-.Lpost_getpc5414)>>32
	s_setpc_b64 s[14:15]
.LBB1_3661:
	s_or_saveexec_b64 s[6:7], s[6:7]
	v_mov_b32_e32 v6, s10
	s_xor_b64 exec, exec, s[6:7]
	s_cbranch_execz .LBB1_3662
; %bb.39503:
	s_getpc_b64 s[14:15]
.Lpost_getpc5415:
	s_add_u32 s14, s14, (.LBB1_18000-.Lpost_getpc5415)&4294967295
	s_addc_u32 s15, s15, (.LBB1_18000-.Lpost_getpc5415)>>32
	s_setpc_b64 s[14:15]
.LBB1_3662:
	s_or_b64 exec, exec, s[6:7]
	s_and_saveexec_b64 s[6:7], s[4:5]
	s_cbranch_execz .LBB1_3664
.LBB1_3663:
	v_bfe_u32 v6, v4, 8, 3
	v_ffbh_u32_e32 v12, v6
	v_min_u32_e32 v12, 32, v12
	v_lshrrev_b16_e32 v7, 3, v3
	v_subrev_u32_e32 v13, 28, v12
	v_and_b32_e32 v7, 15, v7
	v_lshlrev_b32_e32 v3, v13, v3
	v_sub_u32_e32 v12, 29, v12
	v_and_b32_e32 v3, 7, v3
	v_cmp_eq_u16_e32 vcc, 0, v7
	v_cndmask_b32_e32 v3, v6, v3, vcc
	v_cndmask_b32_e32 v6, v7, v12, vcc
	v_lshlrev_b32_e32 v7, 16, v4
	v_mov_b32_e32 v12, 0x3b800000
	v_lshlrev_b32_e32 v3, 20, v3
	v_and_b32_e32 v7, 0x80000000, v7
	v_lshl_add_u32 v6, v6, 23, v12
	v_or3_b32 v6, v7, v6, v3
.LBB1_3664:
	s_or_b64 exec, exec, s[6:7]
	s_nop 0
	v_mfma_f32_16x16x4f32 a[0:3], v2, v6, a[0:3]
	s_movk_i32 s4, 0xff
	v_and_b32_sdwa v3, v8, s4 dst_sel:DWORD dst_unused:UNUSED_PAD src0_sel:WORD_1 src1_sel:DWORD
	s_movk_i32 s4, 0x7f
	v_cmp_lt_i16_e32 vcc, s4, v3
	s_mov_b64 s[4:5], 0
                                        ; implicit-def: $sgpr10
	s_and_saveexec_b64 s[6:7], vcc
	s_xor_b64 s[6:7], exec, s[6:7]
	s_cbranch_execz .LBB1_3665
; %bb.39505:
	s_getpc_b64 s[14:15]
.Lpost_getpc5416:
	s_add_u32 s14, s14, (.LBB1_18001-.Lpost_getpc5416)&4294967295
	s_addc_u32 s15, s15, (.LBB1_18001-.Lpost_getpc5416)>>32
	s_setpc_b64 s[14:15]
.LBB1_3665:
	s_or_saveexec_b64 s[6:7], s[6:7]
	v_mov_b32_e32 v2, s10
	s_xor_b64 exec, exec, s[6:7]
	s_cbranch_execz .LBB1_3666
; %bb.39507:
	s_getpc_b64 s[14:15]
.Lpost_getpc5417:
	s_add_u32 s14, s14, (.LBB1_18004-.Lpost_getpc5417)&4294967295
	s_addc_u32 s15, s15, (.LBB1_18004-.Lpost_getpc5417)>>32
	s_setpc_b64 s[14:15]
.LBB1_3666:
	s_or_b64 exec, exec, s[6:7]
	s_and_saveexec_b64 s[6:7], s[4:5]
	s_cbranch_execz .LBB1_3668
.LBB1_3667:
	v_bfe_u32 v2, v8, 16, 3
	v_ffbh_u32_e32 v7, v2
	v_min_u32_e32 v7, 32, v7
	v_lshrrev_b32_e32 v3, 19, v8
	v_subrev_u32_e32 v12, 28, v7
	v_and_b32_e32 v3, 15, v3
	v_lshlrev_b32_sdwa v12, v12, v8 dst_sel:DWORD dst_unused:UNUSED_PAD src0_sel:DWORD src1_sel:WORD_1
	v_bfe_u32 v6, v8, 19, 4
	v_sub_u32_e32 v7, 29, v7
	v_and_b32_e32 v12, 7, v12
	v_cmp_eq_u16_e32 vcc, 0, v3
	v_cndmask_b32_e32 v2, v2, v12, vcc
	v_cndmask_b32_e32 v3, v6, v7, vcc
	v_lshlrev_b32_e32 v6, 8, v8
	v_mov_b32_e32 v7, 0x3b800000
	v_lshlrev_b32_e32 v2, 20, v2
	v_and_b32_e32 v6, 0x80000000, v6
	v_lshl_add_u32 v3, v3, 23, v7
	v_or3_b32 v2, v6, v3, v2
.LBB1_3668:
	s_or_b64 exec, exec, s[6:7]
	s_movk_i32 s4, 0xff
	v_and_b32_sdwa v3, v4, s4 dst_sel:DWORD dst_unused:UNUSED_PAD src0_sel:WORD_1 src1_sel:DWORD
	s_movk_i32 s4, 0x7f
	v_cmp_lt_i16_e32 vcc, s4, v3
	s_mov_b64 s[4:5], 0
                                        ; implicit-def: $sgpr10
	s_and_saveexec_b64 s[6:7], vcc
	s_xor_b64 s[6:7], exec, s[6:7]
	s_cbranch_execz .LBB1_3669
; %bb.39509:
	s_getpc_b64 s[14:15]
.Lpost_getpc5418:
	s_add_u32 s14, s14, (.LBB1_18005-.Lpost_getpc5418)&4294967295
	s_addc_u32 s15, s15, (.LBB1_18005-.Lpost_getpc5418)>>32
	s_setpc_b64 s[14:15]
.LBB1_3669:
	s_or_saveexec_b64 s[6:7], s[6:7]
	v_mov_b32_e32 v6, s10
	s_xor_b64 exec, exec, s[6:7]
	s_cbranch_execz .LBB1_3670
; %bb.39511:
	s_getpc_b64 s[14:15]
.Lpost_getpc5419:
	s_add_u32 s14, s14, (.LBB1_18008-.Lpost_getpc5419)&4294967295
	s_addc_u32 s15, s15, (.LBB1_18008-.Lpost_getpc5419)>>32
	s_setpc_b64 s[14:15]
.LBB1_3670:
	s_or_b64 exec, exec, s[6:7]
	s_and_saveexec_b64 s[6:7], s[4:5]
	s_cbranch_execz .LBB1_3672
.LBB1_3671:
	v_bfe_u32 v3, v4, 16, 3
	v_ffbh_u32_e32 v12, v3
	v_min_u32_e32 v12, 32, v12
	v_lshrrev_b32_e32 v6, 19, v4
	v_subrev_u32_e32 v13, 28, v12
	v_and_b32_e32 v6, 15, v6
	v_lshlrev_b32_sdwa v13, v13, v4 dst_sel:DWORD dst_unused:UNUSED_PAD src0_sel:DWORD src1_sel:WORD_1
	v_bfe_u32 v7, v4, 19, 4
	v_sub_u32_e32 v12, 29, v12
	v_and_b32_e32 v13, 7, v13
	v_cmp_eq_u16_e32 vcc, 0, v6
	v_cndmask_b32_e32 v3, v3, v13, vcc
	v_cndmask_b32_e32 v6, v7, v12, vcc
	v_lshlrev_b32_e32 v7, 8, v4
	v_mov_b32_e32 v12, 0x3b800000
	v_lshlrev_b32_e32 v3, 20, v3
	v_and_b32_e32 v7, 0x80000000, v7
	v_lshl_add_u32 v6, v6, 23, v12
	v_or3_b32 v6, v7, v6, v3
.LBB1_3672:
	s_or_b64 exec, exec, s[6:7]
	s_nop 0
	v_mfma_f32_16x16x4f32 a[0:3], v2, v6, a[0:3]
	s_movk_i32 s4, 0x7f
	v_cmp_gt_i16_sdwa s[6:7], v8, s4 src0_sel:BYTE_3 src1_sel:DWORD
	s_mov_b64 s[4:5], 0
                                        ; implicit-def: $sgpr10
	s_and_saveexec_b64 s[8:9], s[6:7]
	s_xor_b64 s[6:7], exec, s[8:9]
	s_cbranch_execz .LBB1_3673
; %bb.39513:
	s_getpc_b64 s[14:15]
.Lpost_getpc5420:
	s_add_u32 s14, s14, (.LBB1_18009-.Lpost_getpc5420)&4294967295
	s_addc_u32 s15, s15, (.LBB1_18009-.Lpost_getpc5420)>>32
	s_setpc_b64 s[14:15]
.LBB1_3673:
	s_or_saveexec_b64 s[6:7], s[6:7]
	v_mov_b32_e32 v2, s10
	s_xor_b64 exec, exec, s[6:7]
	s_cbranch_execz .LBB1_3674
; %bb.39515:
	s_getpc_b64 s[14:15]
.Lpost_getpc5421:
	s_add_u32 s14, s14, (.LBB1_18012-.Lpost_getpc5421)&4294967295
	s_addc_u32 s15, s15, (.LBB1_18012-.Lpost_getpc5421)>>32
	s_setpc_b64 s[14:15]
.LBB1_3674:
	s_or_b64 exec, exec, s[6:7]
	s_and_saveexec_b64 s[6:7], s[4:5]
	s_cbranch_execz .LBB1_3676
.LBB1_3675:
	v_bfe_u32 v2, v8, 24, 3
	v_ffbh_u32_e32 v12, v2
	v_min_u32_e32 v12, 32, v12
	v_lshrrev_b32_e32 v6, 27, v8
	v_subrev_u32_e32 v13, 28, v12
	v_and_b32_e32 v3, 0x80000000, v8
	v_and_b32_e32 v6, 15, v6
	v_bfe_u32 v7, v8, 27, 4
	v_lshlrev_b32_sdwa v8, v13, v8 dst_sel:DWORD dst_unused:UNUSED_PAD src0_sel:DWORD src1_sel:BYTE_3
	v_sub_u32_e32 v12, 29, v12
	v_and_b32_e32 v8, 7, v8
	v_cmp_eq_u16_e32 vcc, 0, v6
	v_cndmask_b32_e32 v2, v2, v8, vcc
	v_cndmask_b32_e32 v6, v7, v12, vcc
	v_mov_b32_e32 v7, 0x3b800000
	v_lshlrev_b32_e32 v2, 20, v2
	v_lshl_add_u32 v6, v6, 23, v7
	v_or3_b32 v2, v3, v6, v2
.LBB1_3676:
	s_or_b64 exec, exec, s[6:7]
	s_movk_i32 s4, 0x7f
	v_cmp_gt_i16_sdwa s[6:7], v4, s4 src0_sel:BYTE_3 src1_sel:DWORD
	s_mov_b64 s[4:5], 0
                                        ; implicit-def: $sgpr10
	s_and_saveexec_b64 s[8:9], s[6:7]
	s_xor_b64 s[6:7], exec, s[8:9]
	s_cbranch_execz .LBB1_3677
; %bb.39517:
	s_getpc_b64 s[14:15]
.Lpost_getpc5422:
	s_add_u32 s14, s14, (.LBB1_18013-.Lpost_getpc5422)&4294967295
	s_addc_u32 s15, s15, (.LBB1_18013-.Lpost_getpc5422)>>32
	s_setpc_b64 s[14:15]
.LBB1_3677:
	s_or_saveexec_b64 s[6:7], s[6:7]
	v_mov_b32_e32 v3, s10
	s_xor_b64 exec, exec, s[6:7]
	s_cbranch_execz .LBB1_3678
; %bb.39519:
	s_getpc_b64 s[14:15]
.Lpost_getpc5423:
	s_add_u32 s14, s14, (.LBB1_18016-.Lpost_getpc5423)&4294967295
	s_addc_u32 s15, s15, (.LBB1_18016-.Lpost_getpc5423)>>32
	s_setpc_b64 s[14:15]
.LBB1_3678:
	s_or_b64 exec, exec, s[6:7]
	s_and_saveexec_b64 s[6:7], s[4:5]
	s_cbranch_execz .LBB1_3680
.LBB1_3679:
	v_bfe_u32 v3, v4, 24, 3
	v_ffbh_u32_e32 v12, v3
	v_min_u32_e32 v12, 32, v12
	v_lshrrev_b32_e32 v7, 27, v4
	v_subrev_u32_e32 v13, 28, v12
	v_and_b32_e32 v6, 0x80000000, v4
	v_and_b32_e32 v7, 15, v7
	v_bfe_u32 v8, v4, 27, 4
	v_lshlrev_b32_sdwa v4, v13, v4 dst_sel:DWORD dst_unused:UNUSED_PAD src0_sel:DWORD src1_sel:BYTE_3
	v_sub_u32_e32 v12, 29, v12
	v_and_b32_e32 v4, 7, v4
	v_cmp_eq_u16_e32 vcc, 0, v7
	v_cndmask_b32_e32 v3, v3, v4, vcc
	v_cndmask_b32_e32 v4, v8, v12, vcc
	v_mov_b32_e32 v7, 0x3b800000
	v_lshlrev_b32_e32 v3, 20, v3
	v_lshl_add_u32 v4, v4, 23, v7
	v_or3_b32 v3, v6, v4, v3
.LBB1_3680:
	s_or_b64 exec, exec, s[6:7]
	s_nop 0
	v_mfma_f32_16x16x4f32 a[0:3], v2, v3, a[0:3]
	s_movk_i32 s4, 0x7f
	v_cmp_gt_i16_sdwa s[6:7], v9, s4 src0_sel:BYTE_0 src1_sel:DWORD
	s_mov_b64 s[4:5], 0
                                        ; implicit-def: $sgpr10
	s_and_saveexec_b64 s[8:9], s[6:7]
	s_xor_b64 s[6:7], exec, s[8:9]
	s_cbranch_execz .LBB1_3681
; %bb.39521:
	s_getpc_b64 s[14:15]
.Lpost_getpc5424:
	s_add_u32 s14, s14, (.LBB1_18017-.Lpost_getpc5424)&4294967295
	s_addc_u32 s15, s15, (.LBB1_18017-.Lpost_getpc5424)>>32
	s_setpc_b64 s[14:15]
.LBB1_3681:
	s_or_saveexec_b64 s[6:7], s[6:7]
	v_mov_b32_e32 v2, s10
	s_xor_b64 exec, exec, s[6:7]
	s_cbranch_execz .LBB1_3682
; %bb.39523:
	s_getpc_b64 s[14:15]
.Lpost_getpc5425:
	s_add_u32 s14, s14, (.LBB1_18020-.Lpost_getpc5425)&4294967295
	s_addc_u32 s15, s15, (.LBB1_18020-.Lpost_getpc5425)>>32
	s_setpc_b64 s[14:15]
.LBB1_3682:
	s_or_b64 exec, exec, s[6:7]
	s_and_saveexec_b64 s[6:7], s[4:5]
	s_cbranch_execz .LBB1_3684
.LBB1_3683:
	v_mov_b32_e32 v2, 8
	v_and_b32_e32 v3, 7, v9
	v_lshrrev_b32_sdwa v2, v2, v9 dst_sel:BYTE_1 dst_unused:UNUSED_PAD src0_sel:DWORD src1_sel:DWORD
	v_ffbh_u32_e32 v4, v3
	v_or_b32_sdwa v2, v9, v2 dst_sel:DWORD dst_unused:UNUSED_PAD src0_sel:BYTE_0 src1_sel:DWORD
	v_min_u32_e32 v4, 32, v4
	v_lshrrev_b16_e32 v2, 3, v2
	v_subrev_u32_e32 v6, 28, v4
	v_and_b32_e32 v2, 15, v2
	v_lshlrev_b32_e32 v6, v6, v9
	v_sub_u32_e32 v4, 29, v4
	v_and_b32_e32 v6, 7, v6
	v_cmp_eq_u16_e32 vcc, 0, v2
	v_cndmask_b32_e32 v3, v3, v6, vcc
	v_cndmask_b32_e32 v2, v2, v4, vcc
	v_lshlrev_b32_e32 v4, 24, v9
	v_mov_b32_e32 v6, 0x3b800000
	v_lshlrev_b32_e32 v3, 20, v3
	v_and_b32_e32 v4, 0x80000000, v4
	v_lshl_add_u32 v2, v2, 23, v6
	v_or3_b32 v2, v4, v2, v3
.LBB1_3684:
	s_or_b64 exec, exec, s[6:7]
	s_movk_i32 s4, 0x7f
	v_cmp_gt_i16_sdwa s[6:7], v5, s4 src0_sel:BYTE_0 src1_sel:DWORD
	s_mov_b64 s[4:5], 0
                                        ; implicit-def: $sgpr10
	s_and_saveexec_b64 s[8:9], s[6:7]
	s_xor_b64 s[6:7], exec, s[8:9]
	s_cbranch_execz .LBB1_3685
; %bb.39525:
	s_getpc_b64 s[14:15]
.Lpost_getpc5426:
	s_add_u32 s14, s14, (.LBB1_18021-.Lpost_getpc5426)&4294967295
	s_addc_u32 s15, s15, (.LBB1_18021-.Lpost_getpc5426)>>32
	s_setpc_b64 s[14:15]
.LBB1_3685:
	s_or_saveexec_b64 s[6:7], s[6:7]
	v_mov_b32_e32 v3, s10
	s_xor_b64 exec, exec, s[6:7]
	s_cbranch_execz .LBB1_3686
; %bb.39527:
	s_getpc_b64 s[14:15]
.Lpost_getpc5427:
	s_add_u32 s14, s14, (.LBB1_18024-.Lpost_getpc5427)&4294967295
	s_addc_u32 s15, s15, (.LBB1_18024-.Lpost_getpc5427)>>32
	s_setpc_b64 s[14:15]
.LBB1_3686:
	s_or_b64 exec, exec, s[6:7]
	s_and_saveexec_b64 s[6:7], s[4:5]
	s_cbranch_execz .LBB1_3688
.LBB1_3687:
	v_mov_b32_e32 v3, 8
	v_and_b32_e32 v4, 7, v5
	v_lshrrev_b32_sdwa v3, v3, v5 dst_sel:BYTE_1 dst_unused:UNUSED_PAD src0_sel:DWORD src1_sel:DWORD
	v_ffbh_u32_e32 v6, v4
	v_or_b32_sdwa v3, v5, v3 dst_sel:DWORD dst_unused:UNUSED_PAD src0_sel:BYTE_0 src1_sel:DWORD
	v_min_u32_e32 v6, 32, v6
	v_lshrrev_b16_e32 v3, 3, v3
	v_subrev_u32_e32 v7, 28, v6
	v_and_b32_e32 v3, 15, v3
	v_lshlrev_b32_e32 v7, v7, v5
	v_sub_u32_e32 v6, 29, v6
	v_and_b32_e32 v7, 7, v7
	v_cmp_eq_u16_e32 vcc, 0, v3
	v_cndmask_b32_e32 v4, v4, v7, vcc
	v_cndmask_b32_e32 v3, v3, v6, vcc
	v_lshlrev_b32_e32 v6, 24, v5
	v_mov_b32_e32 v7, 0x3b800000
	v_lshlrev_b32_e32 v4, 20, v4
	v_and_b32_e32 v6, 0x80000000, v6
	v_lshl_add_u32 v3, v3, 23, v7
	v_or3_b32 v3, v6, v3, v4
.LBB1_3688:
	s_or_b64 exec, exec, s[6:7]
	s_nop 0
	v_mfma_f32_16x16x4f32 a[0:3], v2, v3, a[0:3]
	v_lshrrev_b32_e32 v3, 8, v9
	s_movk_i32 s4, 0x7f
	v_cmp_gt_i16_sdwa s[6:7], v3, s4 src0_sel:BYTE_0 src1_sel:DWORD
	s_mov_b64 s[4:5], 0
                                        ; implicit-def: $sgpr10
	s_and_saveexec_b64 s[8:9], s[6:7]
	s_xor_b64 s[6:7], exec, s[8:9]
	s_cbranch_execz .LBB1_3689
; %bb.39529:
	s_getpc_b64 s[14:15]
.Lpost_getpc5428:
	s_add_u32 s14, s14, (.LBB1_18025-.Lpost_getpc5428)&4294967295
	s_addc_u32 s15, s15, (.LBB1_18025-.Lpost_getpc5428)>>32
	s_setpc_b64 s[14:15]
.LBB1_3689:
	s_or_saveexec_b64 s[6:7], s[6:7]
	v_mov_b32_e32 v2, s10
	s_xor_b64 exec, exec, s[6:7]
	s_cbranch_execz .LBB1_3690
; %bb.39531:
	s_getpc_b64 s[14:15]
.Lpost_getpc5429:
	s_add_u32 s14, s14, (.LBB1_18028-.Lpost_getpc5429)&4294967295
	s_addc_u32 s15, s15, (.LBB1_18028-.Lpost_getpc5429)>>32
	s_setpc_b64 s[14:15]
.LBB1_3690:
	s_or_b64 exec, exec, s[6:7]
	s_and_saveexec_b64 s[6:7], s[4:5]
	s_cbranch_execz .LBB1_3692
.LBB1_3691:
	v_bfe_u32 v2, v9, 8, 3
	v_ffbh_u32_e32 v6, v2
	v_min_u32_e32 v6, 32, v6
	v_lshrrev_b16_e32 v4, 3, v3
	v_subrev_u32_e32 v7, 28, v6
	v_and_b32_e32 v4, 15, v4
	v_lshlrev_b32_e32 v3, v7, v3
	v_sub_u32_e32 v6, 29, v6
	v_and_b32_e32 v3, 7, v3
	v_cmp_eq_u16_e32 vcc, 0, v4
	v_cndmask_b32_e32 v2, v2, v3, vcc
	v_cndmask_b32_e32 v3, v4, v6, vcc
	v_lshlrev_b32_e32 v4, 16, v9
	v_mov_b32_e32 v6, 0x3b800000
	v_lshlrev_b32_e32 v2, 20, v2
	v_and_b32_e32 v4, 0x80000000, v4
	v_lshl_add_u32 v3, v3, 23, v6
	v_or3_b32 v2, v4, v3, v2
.LBB1_3692:
	s_or_b64 exec, exec, s[6:7]
	v_lshrrev_b32_e32 v3, 8, v5
	s_movk_i32 s4, 0x7f
	v_cmp_gt_i16_sdwa s[6:7], v3, s4 src0_sel:BYTE_0 src1_sel:DWORD
	s_mov_b64 s[4:5], 0
                                        ; implicit-def: $sgpr10
	s_and_saveexec_b64 s[8:9], s[6:7]
	s_xor_b64 s[6:7], exec, s[8:9]
	s_cbranch_execz .LBB1_3693
; %bb.39533:
	s_getpc_b64 s[14:15]
.Lpost_getpc5430:
	s_add_u32 s14, s14, (.LBB1_18029-.Lpost_getpc5430)&4294967295
	s_addc_u32 s15, s15, (.LBB1_18029-.Lpost_getpc5430)>>32
	s_setpc_b64 s[14:15]
.LBB1_3693:
	s_or_saveexec_b64 s[6:7], s[6:7]
	v_mov_b32_e32 v4, s10
	s_xor_b64 exec, exec, s[6:7]
	s_cbranch_execz .LBB1_3694
; %bb.39535:
	s_getpc_b64 s[14:15]
.Lpost_getpc5431:
	s_add_u32 s14, s14, (.LBB1_18032-.Lpost_getpc5431)&4294967295
	s_addc_u32 s15, s15, (.LBB1_18032-.Lpost_getpc5431)>>32
	s_setpc_b64 s[14:15]
.LBB1_3694:
	s_or_b64 exec, exec, s[6:7]
	s_and_saveexec_b64 s[6:7], s[4:5]
	s_cbranch_execz .LBB1_3696
.LBB1_3695:
	v_bfe_u32 v4, v5, 8, 3
	v_ffbh_u32_e32 v7, v4
	v_min_u32_e32 v7, 32, v7
	v_lshrrev_b16_e32 v6, 3, v3
	v_subrev_u32_e32 v8, 28, v7
	v_and_b32_e32 v6, 15, v6
	v_lshlrev_b32_e32 v3, v8, v3
	v_sub_u32_e32 v7, 29, v7
	v_and_b32_e32 v3, 7, v3
	v_cmp_eq_u16_e32 vcc, 0, v6
	v_cndmask_b32_e32 v3, v4, v3, vcc
	v_cndmask_b32_e32 v4, v6, v7, vcc
	v_lshlrev_b32_e32 v6, 16, v5
	v_mov_b32_e32 v7, 0x3b800000
	v_lshlrev_b32_e32 v3, 20, v3
	v_and_b32_e32 v6, 0x80000000, v6
	v_lshl_add_u32 v4, v4, 23, v7
	v_or3_b32 v4, v6, v4, v3
.LBB1_3696:
	s_or_b64 exec, exec, s[6:7]
	s_nop 0
	v_mfma_f32_16x16x4f32 a[0:3], v2, v4, a[0:3]
	s_movk_i32 s4, 0xff
	v_and_b32_sdwa v3, v9, s4 dst_sel:DWORD dst_unused:UNUSED_PAD src0_sel:WORD_1 src1_sel:DWORD
	s_movk_i32 s4, 0x7f
	v_cmp_lt_i16_e32 vcc, s4, v3
	s_mov_b64 s[4:5], 0
                                        ; implicit-def: $sgpr10
	s_and_saveexec_b64 s[6:7], vcc
	s_xor_b64 s[6:7], exec, s[6:7]
	s_cbranch_execz .LBB1_3697
; %bb.39537:
	s_getpc_b64 s[14:15]
.Lpost_getpc5432:
	s_add_u32 s14, s14, (.LBB1_18033-.Lpost_getpc5432)&4294967295
	s_addc_u32 s15, s15, (.LBB1_18033-.Lpost_getpc5432)>>32
	s_setpc_b64 s[14:15]
.LBB1_3697:
	s_or_saveexec_b64 s[6:7], s[6:7]
	v_mov_b32_e32 v2, s10
	s_xor_b64 exec, exec, s[6:7]
	s_cbranch_execz .LBB1_3698
; %bb.39539:
	s_getpc_b64 s[14:15]
.Lpost_getpc5433:
	s_add_u32 s14, s14, (.LBB1_18036-.Lpost_getpc5433)&4294967295
	s_addc_u32 s15, s15, (.LBB1_18036-.Lpost_getpc5433)>>32
	s_setpc_b64 s[14:15]
.LBB1_3698:
	s_or_b64 exec, exec, s[6:7]
	s_and_saveexec_b64 s[6:7], s[4:5]
	s_cbranch_execz .LBB1_3700
.LBB1_3699:
	v_bfe_u32 v2, v9, 16, 3
	v_ffbh_u32_e32 v6, v2
	v_min_u32_e32 v6, 32, v6
	v_lshrrev_b32_e32 v3, 19, v9
	v_subrev_u32_e32 v7, 28, v6
	v_and_b32_e32 v3, 15, v3
	v_lshlrev_b32_sdwa v7, v7, v9 dst_sel:DWORD dst_unused:UNUSED_PAD src0_sel:DWORD src1_sel:WORD_1
	v_bfe_u32 v4, v9, 19, 4
	v_sub_u32_e32 v6, 29, v6
	v_and_b32_e32 v7, 7, v7
	v_cmp_eq_u16_e32 vcc, 0, v3
	v_cndmask_b32_e32 v2, v2, v7, vcc
	v_cndmask_b32_e32 v3, v4, v6, vcc
	v_lshlrev_b32_e32 v4, 8, v9
	v_mov_b32_e32 v6, 0x3b800000
	v_lshlrev_b32_e32 v2, 20, v2
	v_and_b32_e32 v4, 0x80000000, v4
	v_lshl_add_u32 v3, v3, 23, v6
	v_or3_b32 v2, v4, v3, v2
.LBB1_3700:
	s_or_b64 exec, exec, s[6:7]
	s_movk_i32 s4, 0xff
	v_and_b32_sdwa v3, v5, s4 dst_sel:DWORD dst_unused:UNUSED_PAD src0_sel:WORD_1 src1_sel:DWORD
	s_movk_i32 s4, 0x7f
	v_cmp_lt_i16_e32 vcc, s4, v3
	s_mov_b64 s[4:5], 0
                                        ; implicit-def: $sgpr10
	s_and_saveexec_b64 s[6:7], vcc
	s_xor_b64 s[6:7], exec, s[6:7]
	s_cbranch_execz .LBB1_3701
; %bb.39541:
	s_getpc_b64 s[14:15]
.Lpost_getpc5434:
	s_add_u32 s14, s14, (.LBB1_18037-.Lpost_getpc5434)&4294967295
	s_addc_u32 s15, s15, (.LBB1_18037-.Lpost_getpc5434)>>32
	s_setpc_b64 s[14:15]
.LBB1_3701:
	s_or_saveexec_b64 s[6:7], s[6:7]
	v_mov_b32_e32 v4, s10
	s_xor_b64 exec, exec, s[6:7]
	s_cbranch_execz .LBB1_3702
; %bb.39543:
	s_getpc_b64 s[14:15]
.Lpost_getpc5435:
	s_add_u32 s14, s14, (.LBB1_18040-.Lpost_getpc5435)&4294967295
	s_addc_u32 s15, s15, (.LBB1_18040-.Lpost_getpc5435)>>32
	s_setpc_b64 s[14:15]
.LBB1_3702:
	s_or_b64 exec, exec, s[6:7]
	s_and_saveexec_b64 s[6:7], s[4:5]
	s_cbranch_execz .LBB1_3704
.LBB1_3703:
	v_bfe_u32 v3, v5, 16, 3
	v_ffbh_u32_e32 v7, v3
	v_min_u32_e32 v7, 32, v7
	v_lshrrev_b32_e32 v4, 19, v5
	v_subrev_u32_e32 v8, 28, v7
	v_and_b32_e32 v4, 15, v4
	v_lshlrev_b32_sdwa v8, v8, v5 dst_sel:DWORD dst_unused:UNUSED_PAD src0_sel:DWORD src1_sel:WORD_1
	v_bfe_u32 v6, v5, 19, 4
	v_sub_u32_e32 v7, 29, v7
	v_and_b32_e32 v8, 7, v8
	v_cmp_eq_u16_e32 vcc, 0, v4
	v_cndmask_b32_e32 v3, v3, v8, vcc
	v_cndmask_b32_e32 v4, v6, v7, vcc
	v_lshlrev_b32_e32 v6, 8, v5
	v_mov_b32_e32 v7, 0x3b800000
	v_lshlrev_b32_e32 v3, 20, v3
	v_and_b32_e32 v6, 0x80000000, v6
	v_lshl_add_u32 v4, v4, 23, v7
	v_or3_b32 v4, v6, v4, v3
.LBB1_3704:
	s_or_b64 exec, exec, s[6:7]
	s_nop 0
	v_mfma_f32_16x16x4f32 a[0:3], v2, v4, a[0:3]
	s_movk_i32 s4, 0x7f
	v_cmp_gt_i16_sdwa s[6:7], v9, s4 src0_sel:BYTE_3 src1_sel:DWORD
	s_mov_b64 s[4:5], 0
                                        ; implicit-def: $sgpr10
	s_and_saveexec_b64 s[8:9], s[6:7]
	s_xor_b64 s[6:7], exec, s[8:9]
	s_cbranch_execz .LBB1_3705
; %bb.39545:
	s_getpc_b64 s[14:15]
.Lpost_getpc5436:
	s_add_u32 s14, s14, (.LBB1_18041-.Lpost_getpc5436)&4294967295
	s_addc_u32 s15, s15, (.LBB1_18041-.Lpost_getpc5436)>>32
	s_setpc_b64 s[14:15]
.LBB1_3705:
	s_or_saveexec_b64 s[6:7], s[6:7]
	v_mov_b32_e32 v2, s10
	s_xor_b64 exec, exec, s[6:7]
	s_cbranch_execz .LBB1_3706
; %bb.39547:
	s_getpc_b64 s[14:15]
.Lpost_getpc5437:
	s_add_u32 s14, s14, (.LBB1_18044-.Lpost_getpc5437)&4294967295
	s_addc_u32 s15, s15, (.LBB1_18044-.Lpost_getpc5437)>>32
	s_setpc_b64 s[14:15]
.LBB1_3706:
	s_or_b64 exec, exec, s[6:7]
	s_and_saveexec_b64 s[6:7], s[4:5]
	s_cbranch_execz .LBB1_3708
.LBB1_3707:
	v_bfe_u32 v2, v9, 24, 3
	v_ffbh_u32_e32 v7, v2
	v_min_u32_e32 v7, 32, v7
	v_lshrrev_b32_e32 v4, 27, v9
	v_subrev_u32_e32 v8, 28, v7
	v_and_b32_e32 v4, 15, v4
	v_lshlrev_b32_sdwa v8, v8, v9 dst_sel:DWORD dst_unused:UNUSED_PAD src0_sel:DWORD src1_sel:BYTE_3
	v_bfe_u32 v6, v9, 27, 4
	v_sub_u32_e32 v7, 29, v7
	v_and_b32_e32 v8, 7, v8
	v_cmp_eq_u16_e32 vcc, 0, v4
	v_cndmask_b32_e32 v2, v2, v8, vcc
	v_cndmask_b32_e32 v4, v6, v7, vcc
	v_mov_b32_e32 v6, 0x3b800000
	v_and_b32_e32 v3, 0x80000000, v9
	v_lshlrev_b32_e32 v2, 20, v2
	v_lshl_add_u32 v4, v4, 23, v6
	v_or3_b32 v2, v3, v4, v2
.LBB1_3708:
	s_or_b64 exec, exec, s[6:7]
	s_movk_i32 s4, 0x7f
	v_cmp_gt_i16_sdwa s[6:7], v5, s4 src0_sel:BYTE_3 src1_sel:DWORD
	s_mov_b64 s[4:5], 0
                                        ; implicit-def: $sgpr10
	s_and_saveexec_b64 s[8:9], s[6:7]
	s_xor_b64 s[6:7], exec, s[8:9]
	s_cbranch_execz .LBB1_3709
; %bb.39549:
	s_getpc_b64 s[14:15]
.Lpost_getpc5438:
	s_add_u32 s14, s14, (.LBB1_18045-.Lpost_getpc5438)&4294967295
	s_addc_u32 s15, s15, (.LBB1_18045-.Lpost_getpc5438)>>32
	s_setpc_b64 s[14:15]
.LBB1_3709:
	s_or_saveexec_b64 s[6:7], s[6:7]
	v_mov_b32_e32 v3, s10
	s_xor_b64 exec, exec, s[6:7]
	s_cbranch_execz .LBB1_3710
; %bb.39551:
	s_getpc_b64 s[14:15]
.Lpost_getpc5439:
	s_add_u32 s14, s14, (.LBB1_18048-.Lpost_getpc5439)&4294967295
	s_addc_u32 s15, s15, (.LBB1_18048-.Lpost_getpc5439)>>32
	s_setpc_b64 s[14:15]
.LBB1_3710:
	s_or_b64 exec, exec, s[6:7]
	s_and_saveexec_b64 s[6:7], s[4:5]
	s_cbranch_execz .LBB1_3712
.LBB1_3711:
	v_bfe_u32 v3, v5, 24, 3
	v_ffbh_u32_e32 v8, v3
	v_min_u32_e32 v8, 32, v8
	v_lshrrev_b32_e32 v6, 27, v5
	v_subrev_u32_e32 v9, 28, v8
	v_and_b32_e32 v4, 0x80000000, v5
	v_and_b32_e32 v6, 15, v6
	v_bfe_u32 v7, v5, 27, 4
	v_lshlrev_b32_sdwa v5, v9, v5 dst_sel:DWORD dst_unused:UNUSED_PAD src0_sel:DWORD src1_sel:BYTE_3
	v_sub_u32_e32 v8, 29, v8
	v_and_b32_e32 v5, 7, v5
	v_cmp_eq_u16_e32 vcc, 0, v6
	v_cndmask_b32_e32 v3, v3, v5, vcc
	v_cndmask_b32_e32 v5, v7, v8, vcc
	v_mov_b32_e32 v6, 0x3b800000
	v_lshlrev_b32_e32 v3, 20, v3
	v_lshl_add_u32 v5, v5, 23, v6
	v_or3_b32 v3, v4, v5, v3
.LBB1_3712:
	s_or_b64 exec, exec, s[6:7]
	s_nop 0
	v_mfma_f32_16x16x4f32 a[0:3], v2, v3, a[0:3]
	s_movk_i32 s4, 0x7f
                                        ; implicit-def: $sgpr10
	s_nop 7
	s_nop 1
	flat_store_dwordx4 v[10:11], a[0:3] offset:448
	flat_load_dwordx4 v[12:15], v[0:1]
	s_nop 0
	flat_load_dwordx2 v[10:11], v[0:1] offset:16
	s_waitcnt vmcnt(0) lgkmcnt(0)
	flat_load_dwordx4 v[6:9], v[12:13] offset:48
	flat_load_dwordx4 v[2:5], v[14:15] offset:80
	s_waitcnt vmcnt(0) lgkmcnt(0)
	v_cmp_gt_i16_sdwa s[6:7], v6, s4 src0_sel:BYTE_0 src1_sel:DWORD
	s_mov_b64 s[4:5], 0
	s_and_saveexec_b64 s[8:9], s[6:7]
	s_xor_b64 s[6:7], exec, s[8:9]
	s_cbranch_execz .LBB1_3713
; %bb.39553:
	s_getpc_b64 s[14:15]
.Lpost_getpc5440:
	s_add_u32 s14, s14, (.LBB1_18049-.Lpost_getpc5440)&4294967295
	s_addc_u32 s15, s15, (.LBB1_18049-.Lpost_getpc5440)>>32
	s_setpc_b64 s[14:15]
.LBB1_3713:
	s_or_saveexec_b64 s[6:7], s[6:7]
	v_mov_b32_e32 v12, s10
	s_xor_b64 exec, exec, s[6:7]
	s_cbranch_execz .LBB1_3714
; %bb.39555:
	s_getpc_b64 s[14:15]
.Lpost_getpc5441:
	s_add_u32 s14, s14, (.LBB1_18052-.Lpost_getpc5441)&4294967295
	s_addc_u32 s15, s15, (.LBB1_18052-.Lpost_getpc5441)>>32
	s_setpc_b64 s[14:15]
.LBB1_3714:
	s_or_b64 exec, exec, s[6:7]
	s_and_saveexec_b64 s[6:7], s[4:5]
	s_cbranch_execz .LBB1_3716
.LBB1_3715:
	v_and_b32_e32 v12, 7, v6
	v_ffbh_u32_e32 v14, v12
	v_min_u32_e32 v14, 32, v14
	v_lshrrev_b16_e32 v13, 3, v6
	v_subrev_u32_e32 v15, 28, v14
	v_and_b32_e32 v13, 15, v13
	v_lshlrev_b32_e32 v15, v15, v6
	v_sub_u32_e32 v14, 29, v14
	v_and_b32_e32 v15, 7, v15
	v_cmp_eq_u16_e32 vcc, 0, v13
	v_cndmask_b32_e32 v12, v12, v15, vcc
	v_cndmask_b32_e32 v13, v13, v14, vcc
	v_lshlrev_b32_e32 v14, 24, v6
	v_mov_b32_e32 v15, 0x3b800000
	v_lshlrev_b32_e32 v12, 20, v12
	v_and_b32_e32 v14, 0x80000000, v14
	v_lshl_add_u32 v13, v13, 23, v15
	v_or3_b32 v12, v14, v13, v12
.LBB1_3716:
	s_or_b64 exec, exec, s[6:7]
	s_movk_i32 s4, 0x7f
	v_cmp_gt_i16_sdwa s[6:7], v2, s4 src0_sel:BYTE_0 src1_sel:DWORD
	s_mov_b64 s[4:5], 0
                                        ; implicit-def: $sgpr10
	s_and_saveexec_b64 s[8:9], s[6:7]
	s_xor_b64 s[6:7], exec, s[8:9]
	s_cbranch_execz .LBB1_3717
; %bb.39557:
	s_getpc_b64 s[14:15]
.Lpost_getpc5442:
	s_add_u32 s14, s14, (.LBB1_18053-.Lpost_getpc5442)&4294967295
	s_addc_u32 s15, s15, (.LBB1_18053-.Lpost_getpc5442)>>32
	s_setpc_b64 s[14:15]
.LBB1_3717:
	s_or_saveexec_b64 s[6:7], s[6:7]
	v_mov_b32_e32 v13, s10
	s_xor_b64 exec, exec, s[6:7]
	s_cbranch_execz .LBB1_3718
; %bb.39559:
	s_getpc_b64 s[14:15]
.Lpost_getpc5443:
	s_add_u32 s14, s14, (.LBB1_18056-.Lpost_getpc5443)&4294967295
	s_addc_u32 s15, s15, (.LBB1_18056-.Lpost_getpc5443)>>32
	s_setpc_b64 s[14:15]
.LBB1_3718:
	s_or_b64 exec, exec, s[6:7]
	s_and_saveexec_b64 s[6:7], s[4:5]
	s_cbranch_execz .LBB1_3720
.LBB1_3719:
	v_and_b32_e32 v13, 7, v2
	v_ffbh_u32_e32 v15, v13
	v_min_u32_e32 v15, 32, v15
	v_lshrrev_b16_e32 v14, 3, v2
	v_subrev_u32_e32 v16, 28, v15
	v_and_b32_e32 v14, 15, v14
	v_lshlrev_b32_e32 v16, v16, v2
	v_sub_u32_e32 v15, 29, v15
	v_and_b32_e32 v16, 7, v16
	v_cmp_eq_u16_e32 vcc, 0, v14
	v_cndmask_b32_e32 v13, v13, v16, vcc
	v_cndmask_b32_e32 v14, v14, v15, vcc
	v_lshlrev_b32_e32 v15, 24, v2
	v_mov_b32_e32 v16, 0x3b800000
	v_lshlrev_b32_e32 v13, 20, v13
	v_and_b32_e32 v15, 0x80000000, v15
	v_lshl_add_u32 v14, v14, 23, v16
	v_or3_b32 v13, v15, v14, v13
.LBB1_3720:
	s_or_b64 exec, exec, s[6:7]
	flat_load_dwordx4 a[0:3], v[10:11] offset:464
	s_movk_i32 s4, 0x7f
                                        ; implicit-def: $sgpr10
	s_waitcnt vmcnt(0) lgkmcnt(0)
	v_mfma_f32_16x16x4f32 a[0:3], v12, v13, a[0:3]
	v_lshrrev_b32_e32 v13, 8, v6
	v_cmp_gt_i16_sdwa s[6:7], v13, s4 src0_sel:BYTE_0 src1_sel:DWORD
	s_mov_b64 s[4:5], 0
	s_and_saveexec_b64 s[8:9], s[6:7]
	s_xor_b64 s[6:7], exec, s[8:9]
	s_cbranch_execz .LBB1_3721
; %bb.39561:
	s_getpc_b64 s[14:15]
.Lpost_getpc5444:
	s_add_u32 s14, s14, (.LBB1_18057-.Lpost_getpc5444)&4294967295
	s_addc_u32 s15, s15, (.LBB1_18057-.Lpost_getpc5444)>>32
	s_setpc_b64 s[14:15]
.LBB1_3721:
	s_or_saveexec_b64 s[6:7], s[6:7]
	v_mov_b32_e32 v12, s10
	s_xor_b64 exec, exec, s[6:7]
	s_cbranch_execz .LBB1_3722
; %bb.39563:
	s_getpc_b64 s[14:15]
.Lpost_getpc5445:
	s_add_u32 s14, s14, (.LBB1_18060-.Lpost_getpc5445)&4294967295
	s_addc_u32 s15, s15, (.LBB1_18060-.Lpost_getpc5445)>>32
	s_setpc_b64 s[14:15]
.LBB1_3722:
	s_or_b64 exec, exec, s[6:7]
	s_and_saveexec_b64 s[6:7], s[4:5]
	s_cbranch_execz .LBB1_3724
.LBB1_3723:
	v_bfe_u32 v12, v6, 8, 3
	v_ffbh_u32_e32 v15, v12
	v_min_u32_e32 v15, 32, v15
	v_lshrrev_b16_e32 v14, 3, v13
	v_subrev_u32_e32 v16, 28, v15
	v_and_b32_e32 v14, 15, v14
	v_lshlrev_b32_e32 v13, v16, v13
	v_sub_u32_e32 v15, 29, v15
	v_and_b32_e32 v13, 7, v13
	v_cmp_eq_u16_e32 vcc, 0, v14
	v_cndmask_b32_e32 v12, v12, v13, vcc
	v_cndmask_b32_e32 v13, v14, v15, vcc
	v_lshlrev_b32_e32 v14, 16, v6
	v_mov_b32_e32 v15, 0x3b800000
	v_lshlrev_b32_e32 v12, 20, v12
	v_and_b32_e32 v14, 0x80000000, v14
	v_lshl_add_u32 v13, v13, 23, v15
	v_or3_b32 v12, v14, v13, v12
.LBB1_3724:
	s_or_b64 exec, exec, s[6:7]
	v_lshrrev_b32_e32 v13, 8, v2
	s_movk_i32 s4, 0x7f
	v_cmp_gt_i16_sdwa s[6:7], v13, s4 src0_sel:BYTE_0 src1_sel:DWORD
	s_mov_b64 s[4:5], 0
                                        ; implicit-def: $sgpr10
	s_and_saveexec_b64 s[8:9], s[6:7]
	s_xor_b64 s[6:7], exec, s[8:9]
	s_cbranch_execz .LBB1_3725
; %bb.39565:
	s_getpc_b64 s[14:15]
.Lpost_getpc5446:
	s_add_u32 s14, s14, (.LBB1_18061-.Lpost_getpc5446)&4294967295
	s_addc_u32 s15, s15, (.LBB1_18061-.Lpost_getpc5446)>>32
	s_setpc_b64 s[14:15]
.LBB1_3725:
	s_or_saveexec_b64 s[6:7], s[6:7]
	v_mov_b32_e32 v14, s10
	s_xor_b64 exec, exec, s[6:7]
	s_cbranch_execz .LBB1_3726
; %bb.39567:
	s_getpc_b64 s[14:15]
.Lpost_getpc5447:
	s_add_u32 s14, s14, (.LBB1_18064-.Lpost_getpc5447)&4294967295
	s_addc_u32 s15, s15, (.LBB1_18064-.Lpost_getpc5447)>>32
	s_setpc_b64 s[14:15]
.LBB1_3726:
	s_or_b64 exec, exec, s[6:7]
	s_and_saveexec_b64 s[6:7], s[4:5]
	s_cbranch_execz .LBB1_3728
.LBB1_3727:
	v_bfe_u32 v14, v2, 8, 3
	v_ffbh_u32_e32 v16, v14
	v_min_u32_e32 v16, 32, v16
	v_lshrrev_b16_e32 v15, 3, v13
	v_subrev_u32_e32 v17, 28, v16
	v_and_b32_e32 v15, 15, v15
	v_lshlrev_b32_e32 v13, v17, v13
	v_sub_u32_e32 v16, 29, v16
	v_and_b32_e32 v13, 7, v13
	v_cmp_eq_u16_e32 vcc, 0, v15
	v_cndmask_b32_e32 v13, v14, v13, vcc
	v_cndmask_b32_e32 v14, v15, v16, vcc
	v_lshlrev_b32_e32 v15, 16, v2
	v_mov_b32_e32 v16, 0x3b800000
	v_lshlrev_b32_e32 v13, 20, v13
	v_and_b32_e32 v15, 0x80000000, v15
	v_lshl_add_u32 v14, v14, 23, v16
	v_or3_b32 v14, v15, v14, v13
.LBB1_3728:
	s_or_b64 exec, exec, s[6:7]
	s_nop 0
	v_mfma_f32_16x16x4f32 a[0:3], v12, v14, a[0:3]
	s_movk_i32 s4, 0xff
	v_and_b32_sdwa v13, v6, s4 dst_sel:DWORD dst_unused:UNUSED_PAD src0_sel:WORD_1 src1_sel:DWORD
	s_movk_i32 s4, 0x7f
	v_cmp_lt_i16_e32 vcc, s4, v13
	s_mov_b64 s[4:5], 0
                                        ; implicit-def: $sgpr10
	s_and_saveexec_b64 s[6:7], vcc
	s_xor_b64 s[6:7], exec, s[6:7]
	s_cbranch_execz .LBB1_3729
; %bb.39569:
	s_getpc_b64 s[14:15]
.Lpost_getpc5448:
	s_add_u32 s14, s14, (.LBB1_18065-.Lpost_getpc5448)&4294967295
	s_addc_u32 s15, s15, (.LBB1_18065-.Lpost_getpc5448)>>32
	s_setpc_b64 s[14:15]
.LBB1_3729:
	s_or_saveexec_b64 s[6:7], s[6:7]
	v_mov_b32_e32 v12, s10
	s_xor_b64 exec, exec, s[6:7]
	s_cbranch_execz .LBB1_3730
; %bb.39571:
	s_getpc_b64 s[14:15]
.Lpost_getpc5449:
	s_add_u32 s14, s14, (.LBB1_18068-.Lpost_getpc5449)&4294967295
	s_addc_u32 s15, s15, (.LBB1_18068-.Lpost_getpc5449)>>32
	s_setpc_b64 s[14:15]
.LBB1_3730:
	s_or_b64 exec, exec, s[6:7]
	s_and_saveexec_b64 s[6:7], s[4:5]
	s_cbranch_execz .LBB1_3732
.LBB1_3731:
	v_bfe_u32 v12, v6, 16, 3
	v_ffbh_u32_e32 v15, v12
	v_min_u32_e32 v15, 32, v15
	v_lshrrev_b32_e32 v13, 19, v6
	v_subrev_u32_e32 v16, 28, v15
	v_and_b32_e32 v13, 15, v13
	v_lshlrev_b32_sdwa v16, v16, v6 dst_sel:DWORD dst_unused:UNUSED_PAD src0_sel:DWORD src1_sel:WORD_1
	v_bfe_u32 v14, v6, 19, 4
	v_sub_u32_e32 v15, 29, v15
	v_and_b32_e32 v16, 7, v16
	v_cmp_eq_u16_e32 vcc, 0, v13
	v_cndmask_b32_e32 v12, v12, v16, vcc
	v_cndmask_b32_e32 v13, v14, v15, vcc
	v_lshlrev_b32_e32 v14, 8, v6
	v_mov_b32_e32 v15, 0x3b800000
	v_lshlrev_b32_e32 v12, 20, v12
	v_and_b32_e32 v14, 0x80000000, v14
	v_lshl_add_u32 v13, v13, 23, v15
	v_or3_b32 v12, v14, v13, v12
.LBB1_3732:
	s_or_b64 exec, exec, s[6:7]
	s_movk_i32 s4, 0xff
	v_and_b32_sdwa v13, v2, s4 dst_sel:DWORD dst_unused:UNUSED_PAD src0_sel:WORD_1 src1_sel:DWORD
	s_movk_i32 s4, 0x7f
	v_cmp_lt_i16_e32 vcc, s4, v13
	s_mov_b64 s[4:5], 0
                                        ; implicit-def: $sgpr10
	s_and_saveexec_b64 s[6:7], vcc
	s_xor_b64 s[6:7], exec, s[6:7]
	s_cbranch_execz .LBB1_3733
; %bb.39573:
	s_getpc_b64 s[14:15]
.Lpost_getpc5450:
	s_add_u32 s14, s14, (.LBB1_18069-.Lpost_getpc5450)&4294967295
	s_addc_u32 s15, s15, (.LBB1_18069-.Lpost_getpc5450)>>32
	s_setpc_b64 s[14:15]
.LBB1_3733:
	s_or_saveexec_b64 s[6:7], s[6:7]
	v_mov_b32_e32 v14, s10
	s_xor_b64 exec, exec, s[6:7]
	s_cbranch_execz .LBB1_3734
; %bb.39575:
	s_getpc_b64 s[14:15]
.Lpost_getpc5451:
	s_add_u32 s14, s14, (.LBB1_18072-.Lpost_getpc5451)&4294967295
	s_addc_u32 s15, s15, (.LBB1_18072-.Lpost_getpc5451)>>32
	s_setpc_b64 s[14:15]
.LBB1_3734:
	s_or_b64 exec, exec, s[6:7]
	s_and_saveexec_b64 s[6:7], s[4:5]
	s_cbranch_execz .LBB1_3736
.LBB1_3735:
	v_bfe_u32 v13, v2, 16, 3
	v_ffbh_u32_e32 v16, v13
	v_min_u32_e32 v16, 32, v16
	v_lshrrev_b32_e32 v14, 19, v2
	v_subrev_u32_e32 v17, 28, v16
	v_and_b32_e32 v14, 15, v14
	v_lshlrev_b32_sdwa v17, v17, v2 dst_sel:DWORD dst_unused:UNUSED_PAD src0_sel:DWORD src1_sel:WORD_1
	v_bfe_u32 v15, v2, 19, 4
	v_sub_u32_e32 v16, 29, v16
	v_and_b32_e32 v17, 7, v17
	v_cmp_eq_u16_e32 vcc, 0, v14
	v_cndmask_b32_e32 v13, v13, v17, vcc
	v_cndmask_b32_e32 v14, v15, v16, vcc
	v_lshlrev_b32_e32 v15, 8, v2
	v_mov_b32_e32 v16, 0x3b800000
	v_lshlrev_b32_e32 v13, 20, v13
	v_and_b32_e32 v15, 0x80000000, v15
	v_lshl_add_u32 v14, v14, 23, v16
	v_or3_b32 v14, v15, v14, v13
.LBB1_3736:
	s_or_b64 exec, exec, s[6:7]
	s_nop 0
	v_mfma_f32_16x16x4f32 a[0:3], v12, v14, a[0:3]
	s_movk_i32 s4, 0x7f
	v_cmp_gt_i16_sdwa s[6:7], v6, s4 src0_sel:BYTE_3 src1_sel:DWORD
	s_mov_b64 s[4:5], 0
                                        ; implicit-def: $sgpr10
	s_and_saveexec_b64 s[8:9], s[6:7]
	s_xor_b64 s[6:7], exec, s[8:9]
	s_cbranch_execz .LBB1_3737
; %bb.39577:
	s_getpc_b64 s[14:15]
.Lpost_getpc5452:
	s_add_u32 s14, s14, (.LBB1_18073-.Lpost_getpc5452)&4294967295
	s_addc_u32 s15, s15, (.LBB1_18073-.Lpost_getpc5452)>>32
	s_setpc_b64 s[14:15]
.LBB1_3737:
	s_or_saveexec_b64 s[6:7], s[6:7]
	v_mov_b32_e32 v12, s10
	s_xor_b64 exec, exec, s[6:7]
	s_cbranch_execz .LBB1_3738
; %bb.39579:
	s_getpc_b64 s[14:15]
.Lpost_getpc5453:
	s_add_u32 s14, s14, (.LBB1_18076-.Lpost_getpc5453)&4294967295
	s_addc_u32 s15, s15, (.LBB1_18076-.Lpost_getpc5453)>>32
	s_setpc_b64 s[14:15]
.LBB1_3738:
	s_or_b64 exec, exec, s[6:7]
	s_and_saveexec_b64 s[6:7], s[4:5]
	s_cbranch_execz .LBB1_3740
.LBB1_3739:
	v_bfe_u32 v12, v6, 24, 3
	v_ffbh_u32_e32 v16, v12
	v_min_u32_e32 v16, 32, v16
	v_lshrrev_b32_e32 v14, 27, v6
	v_subrev_u32_e32 v17, 28, v16
	v_and_b32_e32 v13, 0x80000000, v6
	v_and_b32_e32 v14, 15, v14
	v_bfe_u32 v15, v6, 27, 4
	v_lshlrev_b32_sdwa v6, v17, v6 dst_sel:DWORD dst_unused:UNUSED_PAD src0_sel:DWORD src1_sel:BYTE_3
	v_sub_u32_e32 v16, 29, v16
	v_and_b32_e32 v6, 7, v6
	v_cmp_eq_u16_e32 vcc, 0, v14
	v_cndmask_b32_e32 v6, v12, v6, vcc
	v_cndmask_b32_e32 v12, v15, v16, vcc
	v_mov_b32_e32 v14, 0x3b800000
	v_lshlrev_b32_e32 v6, 20, v6
	v_lshl_add_u32 v12, v12, 23, v14
	v_or3_b32 v12, v13, v12, v6
.LBB1_3740:
	s_or_b64 exec, exec, s[6:7]
	s_movk_i32 s4, 0x7f
	v_cmp_gt_i16_sdwa s[6:7], v2, s4 src0_sel:BYTE_3 src1_sel:DWORD
	s_mov_b64 s[4:5], 0
                                        ; implicit-def: $sgpr10
	s_and_saveexec_b64 s[8:9], s[6:7]
	s_xor_b64 s[6:7], exec, s[8:9]
	s_cbranch_execz .LBB1_3741
; %bb.39581:
	s_getpc_b64 s[14:15]
.Lpost_getpc5454:
	s_add_u32 s14, s14, (.LBB1_18077-.Lpost_getpc5454)&4294967295
	s_addc_u32 s15, s15, (.LBB1_18077-.Lpost_getpc5454)>>32
	s_setpc_b64 s[14:15]
.LBB1_3741:
	s_or_saveexec_b64 s[6:7], s[6:7]
	v_mov_b32_e32 v6, s10
	s_xor_b64 exec, exec, s[6:7]
	s_cbranch_execz .LBB1_3742
; %bb.39583:
	s_getpc_b64 s[14:15]
.Lpost_getpc5455:
	s_add_u32 s14, s14, (.LBB1_18080-.Lpost_getpc5455)&4294967295
	s_addc_u32 s15, s15, (.LBB1_18080-.Lpost_getpc5455)>>32
	s_setpc_b64 s[14:15]
.LBB1_3742:
	s_or_b64 exec, exec, s[6:7]
	s_and_saveexec_b64 s[6:7], s[4:5]
	s_cbranch_execz .LBB1_3744
.LBB1_3743:
	v_bfe_u32 v6, v2, 24, 3
	v_ffbh_u32_e32 v16, v6
	v_min_u32_e32 v16, 32, v16
	v_lshrrev_b32_e32 v14, 27, v2
	v_subrev_u32_e32 v17, 28, v16
	v_and_b32_e32 v13, 0x80000000, v2
	v_and_b32_e32 v14, 15, v14
	v_bfe_u32 v15, v2, 27, 4
	v_lshlrev_b32_sdwa v2, v17, v2 dst_sel:DWORD dst_unused:UNUSED_PAD src0_sel:DWORD src1_sel:BYTE_3
	v_sub_u32_e32 v16, 29, v16
	v_and_b32_e32 v2, 7, v2
	v_cmp_eq_u16_e32 vcc, 0, v14
	v_cndmask_b32_e32 v2, v6, v2, vcc
	v_cndmask_b32_e32 v6, v15, v16, vcc
	v_mov_b32_e32 v14, 0x3b800000
	v_lshlrev_b32_e32 v2, 20, v2
	v_lshl_add_u32 v6, v6, 23, v14
	v_or3_b32 v6, v13, v6, v2
.LBB1_3744:
	s_or_b64 exec, exec, s[6:7]
	s_nop 0
	v_mfma_f32_16x16x4f32 a[0:3], v12, v6, a[0:3]
	s_movk_i32 s4, 0x7f
	v_cmp_gt_i16_sdwa s[6:7], v7, s4 src0_sel:BYTE_0 src1_sel:DWORD
	s_mov_b64 s[4:5], 0
                                        ; implicit-def: $sgpr10
	s_and_saveexec_b64 s[8:9], s[6:7]
	s_xor_b64 s[6:7], exec, s[8:9]
	s_cbranch_execz .LBB1_3745
; %bb.39585:
	s_getpc_b64 s[14:15]
.Lpost_getpc5456:
	s_add_u32 s14, s14, (.LBB1_18081-.Lpost_getpc5456)&4294967295
	s_addc_u32 s15, s15, (.LBB1_18081-.Lpost_getpc5456)>>32
	s_setpc_b64 s[14:15]
.LBB1_3745:
	s_or_saveexec_b64 s[6:7], s[6:7]
	v_mov_b32_e32 v2, s10
	s_xor_b64 exec, exec, s[6:7]
	s_cbranch_execz .LBB1_3746
; %bb.39587:
	s_getpc_b64 s[14:15]
.Lpost_getpc5457:
	s_add_u32 s14, s14, (.LBB1_18084-.Lpost_getpc5457)&4294967295
	s_addc_u32 s15, s15, (.LBB1_18084-.Lpost_getpc5457)>>32
	s_setpc_b64 s[14:15]
.LBB1_3746:
	s_or_b64 exec, exec, s[6:7]
	s_and_saveexec_b64 s[6:7], s[4:5]
	s_cbranch_execz .LBB1_3748
.LBB1_3747:
	v_and_b32_e32 v2, 7, v7
	v_ffbh_u32_e32 v12, v2
	v_min_u32_e32 v12, 32, v12
	v_lshrrev_b16_e32 v6, 3, v7
	v_subrev_u32_e32 v13, 28, v12
	v_and_b32_e32 v6, 15, v6
	v_lshlrev_b32_e32 v13, v13, v7
	v_sub_u32_e32 v12, 29, v12
	v_and_b32_e32 v13, 7, v13
	v_cmp_eq_u16_e32 vcc, 0, v6
	v_cndmask_b32_e32 v2, v2, v13, vcc
	v_cndmask_b32_e32 v6, v6, v12, vcc
	v_lshlrev_b32_e32 v12, 24, v7
	v_mov_b32_e32 v13, 0x3b800000
	v_lshlrev_b32_e32 v2, 20, v2
	v_and_b32_e32 v12, 0x80000000, v12
	v_lshl_add_u32 v6, v6, 23, v13
	v_or3_b32 v2, v12, v6, v2
.LBB1_3748:
	s_or_b64 exec, exec, s[6:7]
	s_movk_i32 s4, 0x7f
	v_cmp_gt_i16_sdwa s[6:7], v3, s4 src0_sel:BYTE_0 src1_sel:DWORD
	s_mov_b64 s[4:5], 0
                                        ; implicit-def: $sgpr10
	s_and_saveexec_b64 s[8:9], s[6:7]
	s_xor_b64 s[6:7], exec, s[8:9]
	s_cbranch_execz .LBB1_3749
; %bb.39589:
	s_getpc_b64 s[14:15]
.Lpost_getpc5458:
	s_add_u32 s14, s14, (.LBB1_18085-.Lpost_getpc5458)&4294967295
	s_addc_u32 s15, s15, (.LBB1_18085-.Lpost_getpc5458)>>32
	s_setpc_b64 s[14:15]
.LBB1_3749:
	s_or_saveexec_b64 s[6:7], s[6:7]
	v_mov_b32_e32 v6, s10
	s_xor_b64 exec, exec, s[6:7]
	s_cbranch_execz .LBB1_3750
; %bb.39591:
	s_getpc_b64 s[14:15]
.Lpost_getpc5459:
	s_add_u32 s14, s14, (.LBB1_18088-.Lpost_getpc5459)&4294967295
	s_addc_u32 s15, s15, (.LBB1_18088-.Lpost_getpc5459)>>32
	s_setpc_b64 s[14:15]
.LBB1_3750:
	s_or_b64 exec, exec, s[6:7]
	s_and_saveexec_b64 s[6:7], s[4:5]
	s_cbranch_execz .LBB1_3752
.LBB1_3751:
	v_and_b32_e32 v6, 7, v3
	v_ffbh_u32_e32 v13, v6
	v_min_u32_e32 v13, 32, v13
	v_lshrrev_b16_e32 v12, 3, v3
	v_subrev_u32_e32 v14, 28, v13
	v_and_b32_e32 v12, 15, v12
	v_lshlrev_b32_e32 v14, v14, v3
	v_sub_u32_e32 v13, 29, v13
	v_and_b32_e32 v14, 7, v14
	v_cmp_eq_u16_e32 vcc, 0, v12
	v_cndmask_b32_e32 v6, v6, v14, vcc
	v_cndmask_b32_e32 v12, v12, v13, vcc
	v_lshlrev_b32_e32 v13, 24, v3
	v_mov_b32_e32 v14, 0x3b800000
	v_lshlrev_b32_e32 v6, 20, v6
	v_and_b32_e32 v13, 0x80000000, v13
	v_lshl_add_u32 v12, v12, 23, v14
	v_or3_b32 v6, v13, v12, v6
.LBB1_3752:
	s_or_b64 exec, exec, s[6:7]
	s_nop 0
	v_mfma_f32_16x16x4f32 a[0:3], v2, v6, a[0:3]
	v_lshrrev_b32_e32 v6, 8, v7
	s_movk_i32 s4, 0x7f
	v_cmp_gt_i16_sdwa s[6:7], v6, s4 src0_sel:BYTE_0 src1_sel:DWORD
	s_mov_b64 s[4:5], 0
                                        ; implicit-def: $sgpr10
	s_and_saveexec_b64 s[8:9], s[6:7]
	s_xor_b64 s[6:7], exec, s[8:9]
	s_cbranch_execz .LBB1_3753
; %bb.39593:
	s_getpc_b64 s[14:15]
.Lpost_getpc5460:
	s_add_u32 s14, s14, (.LBB1_18089-.Lpost_getpc5460)&4294967295
	s_addc_u32 s15, s15, (.LBB1_18089-.Lpost_getpc5460)>>32
	s_setpc_b64 s[14:15]
.LBB1_3753:
	s_or_saveexec_b64 s[6:7], s[6:7]
	v_mov_b32_e32 v2, s10
	s_xor_b64 exec, exec, s[6:7]
	s_cbranch_execz .LBB1_3754
; %bb.39595:
	s_getpc_b64 s[14:15]
.Lpost_getpc5461:
	s_add_u32 s14, s14, (.LBB1_18092-.Lpost_getpc5461)&4294967295
	s_addc_u32 s15, s15, (.LBB1_18092-.Lpost_getpc5461)>>32
	s_setpc_b64 s[14:15]
.LBB1_3754:
	s_or_b64 exec, exec, s[6:7]
	s_and_saveexec_b64 s[6:7], s[4:5]
	s_cbranch_execz .LBB1_3756
.LBB1_3755:
	v_bfe_u32 v2, v7, 8, 3
	v_ffbh_u32_e32 v13, v2
	v_min_u32_e32 v13, 32, v13
	v_lshrrev_b16_e32 v12, 3, v6
	v_subrev_u32_e32 v14, 28, v13
	v_and_b32_e32 v12, 15, v12
	v_lshlrev_b32_e32 v6, v14, v6
	v_sub_u32_e32 v13, 29, v13
	v_and_b32_e32 v6, 7, v6
	v_cmp_eq_u16_e32 vcc, 0, v12
	v_cndmask_b32_e32 v2, v2, v6, vcc
	v_cndmask_b32_e32 v6, v12, v13, vcc
	v_lshlrev_b32_e32 v12, 16, v7
	v_mov_b32_e32 v13, 0x3b800000
	v_lshlrev_b32_e32 v2, 20, v2
	v_and_b32_e32 v12, 0x80000000, v12
	v_lshl_add_u32 v6, v6, 23, v13
	v_or3_b32 v2, v12, v6, v2
.LBB1_3756:
	s_or_b64 exec, exec, s[6:7]
	v_lshrrev_b32_e32 v6, 8, v3
	s_movk_i32 s4, 0x7f
	v_cmp_gt_i16_sdwa s[6:7], v6, s4 src0_sel:BYTE_0 src1_sel:DWORD
	s_mov_b64 s[4:5], 0
                                        ; implicit-def: $sgpr10
	s_and_saveexec_b64 s[8:9], s[6:7]
	s_xor_b64 s[6:7], exec, s[8:9]
	s_cbranch_execz .LBB1_3757
; %bb.39597:
	s_getpc_b64 s[14:15]
.Lpost_getpc5462:
	s_add_u32 s14, s14, (.LBB1_18093-.Lpost_getpc5462)&4294967295
	s_addc_u32 s15, s15, (.LBB1_18093-.Lpost_getpc5462)>>32
	s_setpc_b64 s[14:15]
.LBB1_3757:
	s_or_saveexec_b64 s[6:7], s[6:7]
	v_mov_b32_e32 v12, s10
	s_xor_b64 exec, exec, s[6:7]
	s_cbranch_execz .LBB1_3758
; %bb.39599:
	s_getpc_b64 s[14:15]
.Lpost_getpc5463:
	s_add_u32 s14, s14, (.LBB1_18096-.Lpost_getpc5463)&4294967295
	s_addc_u32 s15, s15, (.LBB1_18096-.Lpost_getpc5463)>>32
	s_setpc_b64 s[14:15]
.LBB1_3758:
	s_or_b64 exec, exec, s[6:7]
	s_and_saveexec_b64 s[6:7], s[4:5]
	s_cbranch_execz .LBB1_3760
.LBB1_3759:
	v_bfe_u32 v12, v3, 8, 3
	v_ffbh_u32_e32 v14, v12
	v_min_u32_e32 v14, 32, v14
	v_lshrrev_b16_e32 v13, 3, v6
	v_subrev_u32_e32 v15, 28, v14
	v_and_b32_e32 v13, 15, v13
	v_lshlrev_b32_e32 v6, v15, v6
	v_sub_u32_e32 v14, 29, v14
	v_and_b32_e32 v6, 7, v6
	v_cmp_eq_u16_e32 vcc, 0, v13
	v_cndmask_b32_e32 v6, v12, v6, vcc
	v_cndmask_b32_e32 v12, v13, v14, vcc
	v_lshlrev_b32_e32 v13, 16, v3
	v_mov_b32_e32 v14, 0x3b800000
	v_lshlrev_b32_e32 v6, 20, v6
	v_and_b32_e32 v13, 0x80000000, v13
	v_lshl_add_u32 v12, v12, 23, v14
	v_or3_b32 v12, v13, v12, v6
.LBB1_3760:
	s_or_b64 exec, exec, s[6:7]
	s_nop 0
	v_mfma_f32_16x16x4f32 a[0:3], v2, v12, a[0:3]
	s_movk_i32 s4, 0xff
	v_and_b32_sdwa v6, v7, s4 dst_sel:DWORD dst_unused:UNUSED_PAD src0_sel:WORD_1 src1_sel:DWORD
	s_movk_i32 s4, 0x7f
	v_cmp_lt_i16_e32 vcc, s4, v6
	s_mov_b64 s[4:5], 0
                                        ; implicit-def: $sgpr10
	s_and_saveexec_b64 s[6:7], vcc
	s_xor_b64 s[6:7], exec, s[6:7]
	s_cbranch_execz .LBB1_3761
; %bb.39601:
	s_getpc_b64 s[14:15]
.Lpost_getpc5464:
	s_add_u32 s14, s14, (.LBB1_18097-.Lpost_getpc5464)&4294967295
	s_addc_u32 s15, s15, (.LBB1_18097-.Lpost_getpc5464)>>32
	s_setpc_b64 s[14:15]
.LBB1_3761:
	s_or_saveexec_b64 s[6:7], s[6:7]
	v_mov_b32_e32 v2, s10
	s_xor_b64 exec, exec, s[6:7]
	s_cbranch_execz .LBB1_3762
; %bb.39603:
	s_getpc_b64 s[14:15]
.Lpost_getpc5465:
	s_add_u32 s14, s14, (.LBB1_18100-.Lpost_getpc5465)&4294967295
	s_addc_u32 s15, s15, (.LBB1_18100-.Lpost_getpc5465)>>32
	s_setpc_b64 s[14:15]
.LBB1_3762:
	s_or_b64 exec, exec, s[6:7]
	s_and_saveexec_b64 s[6:7], s[4:5]
	s_cbranch_execz .LBB1_3764
.LBB1_3763:
	v_bfe_u32 v2, v7, 16, 3
	v_ffbh_u32_e32 v13, v2
	v_min_u32_e32 v13, 32, v13
	v_lshrrev_b32_e32 v6, 19, v7
	v_subrev_u32_e32 v14, 28, v13
	v_and_b32_e32 v6, 15, v6
	v_lshlrev_b32_sdwa v14, v14, v7 dst_sel:DWORD dst_unused:UNUSED_PAD src0_sel:DWORD src1_sel:WORD_1
	v_bfe_u32 v12, v7, 19, 4
	v_sub_u32_e32 v13, 29, v13
	v_and_b32_e32 v14, 7, v14
	v_cmp_eq_u16_e32 vcc, 0, v6
	v_cndmask_b32_e32 v2, v2, v14, vcc
	v_cndmask_b32_e32 v6, v12, v13, vcc
	v_lshlrev_b32_e32 v12, 8, v7
	v_mov_b32_e32 v13, 0x3b800000
	v_lshlrev_b32_e32 v2, 20, v2
	v_and_b32_e32 v12, 0x80000000, v12
	v_lshl_add_u32 v6, v6, 23, v13
	v_or3_b32 v2, v12, v6, v2
.LBB1_3764:
	s_or_b64 exec, exec, s[6:7]
	s_movk_i32 s4, 0xff
	v_and_b32_sdwa v6, v3, s4 dst_sel:DWORD dst_unused:UNUSED_PAD src0_sel:WORD_1 src1_sel:DWORD
	s_movk_i32 s4, 0x7f
	v_cmp_lt_i16_e32 vcc, s4, v6
	s_mov_b64 s[4:5], 0
                                        ; implicit-def: $sgpr10
	s_and_saveexec_b64 s[6:7], vcc
	s_xor_b64 s[6:7], exec, s[6:7]
	s_cbranch_execz .LBB1_3765
; %bb.39605:
	s_getpc_b64 s[14:15]
.Lpost_getpc5466:
	s_add_u32 s14, s14, (.LBB1_18101-.Lpost_getpc5466)&4294967295
	s_addc_u32 s15, s15, (.LBB1_18101-.Lpost_getpc5466)>>32
	s_setpc_b64 s[14:15]
.LBB1_3765:
	s_or_saveexec_b64 s[6:7], s[6:7]
	v_mov_b32_e32 v12, s10
	s_xor_b64 exec, exec, s[6:7]
	s_cbranch_execz .LBB1_3766
; %bb.39607:
	s_getpc_b64 s[14:15]
.Lpost_getpc5467:
	s_add_u32 s14, s14, (.LBB1_18104-.Lpost_getpc5467)&4294967295
	s_addc_u32 s15, s15, (.LBB1_18104-.Lpost_getpc5467)>>32
	s_setpc_b64 s[14:15]
.LBB1_3766:
	s_or_b64 exec, exec, s[6:7]
	s_and_saveexec_b64 s[6:7], s[4:5]
	s_cbranch_execz .LBB1_3768
.LBB1_3767:
	v_bfe_u32 v6, v3, 16, 3
	v_ffbh_u32_e32 v14, v6
	v_min_u32_e32 v14, 32, v14
	v_lshrrev_b32_e32 v12, 19, v3
	v_subrev_u32_e32 v15, 28, v14
	v_and_b32_e32 v12, 15, v12
	v_lshlrev_b32_sdwa v15, v15, v3 dst_sel:DWORD dst_unused:UNUSED_PAD src0_sel:DWORD src1_sel:WORD_1
	v_bfe_u32 v13, v3, 19, 4
	v_sub_u32_e32 v14, 29, v14
	v_and_b32_e32 v15, 7, v15
	v_cmp_eq_u16_e32 vcc, 0, v12
	v_cndmask_b32_e32 v6, v6, v15, vcc
	v_cndmask_b32_e32 v12, v13, v14, vcc
	v_lshlrev_b32_e32 v13, 8, v3
	v_mov_b32_e32 v14, 0x3b800000
	v_lshlrev_b32_e32 v6, 20, v6
	v_and_b32_e32 v13, 0x80000000, v13
	v_lshl_add_u32 v12, v12, 23, v14
	v_or3_b32 v12, v13, v12, v6
.LBB1_3768:
	s_or_b64 exec, exec, s[6:7]
	s_nop 0
	v_mfma_f32_16x16x4f32 a[0:3], v2, v12, a[0:3]
	s_movk_i32 s4, 0x7f
	v_cmp_gt_i16_sdwa s[6:7], v7, s4 src0_sel:BYTE_3 src1_sel:DWORD
	s_mov_b64 s[4:5], 0
                                        ; implicit-def: $sgpr10
	s_and_saveexec_b64 s[8:9], s[6:7]
	s_xor_b64 s[6:7], exec, s[8:9]
	s_cbranch_execz .LBB1_3769
; %bb.39609:
	s_getpc_b64 s[14:15]
.Lpost_getpc5468:
	s_add_u32 s14, s14, (.LBB1_18105-.Lpost_getpc5468)&4294967295
	s_addc_u32 s15, s15, (.LBB1_18105-.Lpost_getpc5468)>>32
	s_setpc_b64 s[14:15]
.LBB1_3769:
	s_or_saveexec_b64 s[6:7], s[6:7]
	v_mov_b32_e32 v2, s10
	s_xor_b64 exec, exec, s[6:7]
	s_cbranch_execz .LBB1_3770
; %bb.39611:
	s_getpc_b64 s[14:15]
.Lpost_getpc5469:
	s_add_u32 s14, s14, (.LBB1_18108-.Lpost_getpc5469)&4294967295
	s_addc_u32 s15, s15, (.LBB1_18108-.Lpost_getpc5469)>>32
	s_setpc_b64 s[14:15]
.LBB1_3770:
	s_or_b64 exec, exec, s[6:7]
	s_and_saveexec_b64 s[6:7], s[4:5]
	s_cbranch_execz .LBB1_3772
.LBB1_3771:
	v_bfe_u32 v2, v7, 24, 3
	v_ffbh_u32_e32 v14, v2
	v_min_u32_e32 v14, 32, v14
	v_lshrrev_b32_e32 v12, 27, v7
	v_subrev_u32_e32 v15, 28, v14
	v_and_b32_e32 v6, 0x80000000, v7
	v_and_b32_e32 v12, 15, v12
	v_bfe_u32 v13, v7, 27, 4
	v_lshlrev_b32_sdwa v7, v15, v7 dst_sel:DWORD dst_unused:UNUSED_PAD src0_sel:DWORD src1_sel:BYTE_3
	v_sub_u32_e32 v14, 29, v14
	v_and_b32_e32 v7, 7, v7
	v_cmp_eq_u16_e32 vcc, 0, v12
	v_cndmask_b32_e32 v2, v2, v7, vcc
	v_cndmask_b32_e32 v7, v13, v14, vcc
	v_mov_b32_e32 v12, 0x3b800000
	v_lshlrev_b32_e32 v2, 20, v2
	v_lshl_add_u32 v7, v7, 23, v12
	v_or3_b32 v2, v6, v7, v2
.LBB1_3772:
	s_or_b64 exec, exec, s[6:7]
	s_movk_i32 s4, 0x7f
	v_cmp_gt_i16_sdwa s[6:7], v3, s4 src0_sel:BYTE_3 src1_sel:DWORD
	s_mov_b64 s[4:5], 0
                                        ; implicit-def: $sgpr10
	s_and_saveexec_b64 s[8:9], s[6:7]
	s_xor_b64 s[6:7], exec, s[8:9]
	s_cbranch_execz .LBB1_3773
; %bb.39613:
	s_getpc_b64 s[14:15]
.Lpost_getpc5470:
	s_add_u32 s14, s14, (.LBB1_18109-.Lpost_getpc5470)&4294967295
	s_addc_u32 s15, s15, (.LBB1_18109-.Lpost_getpc5470)>>32
	s_setpc_b64 s[14:15]
.LBB1_3773:
	s_or_saveexec_b64 s[6:7], s[6:7]
	v_mov_b32_e32 v6, s10
	s_xor_b64 exec, exec, s[6:7]
	s_cbranch_execz .LBB1_3774
; %bb.39615:
	s_getpc_b64 s[14:15]
.Lpost_getpc5471:
	s_add_u32 s14, s14, (.LBB1_18112-.Lpost_getpc5471)&4294967295
	s_addc_u32 s15, s15, (.LBB1_18112-.Lpost_getpc5471)>>32
	s_setpc_b64 s[14:15]
.LBB1_3774:
	s_or_b64 exec, exec, s[6:7]
	s_and_saveexec_b64 s[6:7], s[4:5]
	s_cbranch_execz .LBB1_3776
.LBB1_3775:
	v_bfe_u32 v6, v3, 24, 3
	v_ffbh_u32_e32 v14, v6
	v_min_u32_e32 v14, 32, v14
	v_lshrrev_b32_e32 v12, 27, v3
	v_subrev_u32_e32 v15, 28, v14
	v_and_b32_e32 v7, 0x80000000, v3
	v_and_b32_e32 v12, 15, v12
	v_bfe_u32 v13, v3, 27, 4
	v_lshlrev_b32_sdwa v3, v15, v3 dst_sel:DWORD dst_unused:UNUSED_PAD src0_sel:DWORD src1_sel:BYTE_3
	v_sub_u32_e32 v14, 29, v14
	v_and_b32_e32 v3, 7, v3
	v_cmp_eq_u16_e32 vcc, 0, v12
	v_cndmask_b32_e32 v3, v6, v3, vcc
	v_cndmask_b32_e32 v6, v13, v14, vcc
	v_mov_b32_e32 v12, 0x3b800000
	v_lshlrev_b32_e32 v3, 20, v3
	v_lshl_add_u32 v6, v6, 23, v12
	v_or3_b32 v6, v7, v6, v3
.LBB1_3776:
	s_or_b64 exec, exec, s[6:7]
	s_nop 0
	v_mfma_f32_16x16x4f32 a[0:3], v2, v6, a[0:3]
	s_movk_i32 s4, 0x7f
	v_cmp_gt_i16_sdwa s[6:7], v8, s4 src0_sel:BYTE_0 src1_sel:DWORD
	s_mov_b64 s[4:5], 0
                                        ; implicit-def: $sgpr10
	s_and_saveexec_b64 s[8:9], s[6:7]
	s_xor_b64 s[6:7], exec, s[8:9]
	s_cbranch_execz .LBB1_3777
; %bb.39617:
	s_getpc_b64 s[14:15]
.Lpost_getpc5472:
	s_add_u32 s14, s14, (.LBB1_18113-.Lpost_getpc5472)&4294967295
	s_addc_u32 s15, s15, (.LBB1_18113-.Lpost_getpc5472)>>32
	s_setpc_b64 s[14:15]
.LBB1_3777:
	s_or_saveexec_b64 s[6:7], s[6:7]
	v_mov_b32_e32 v2, s10
	s_xor_b64 exec, exec, s[6:7]
	s_cbranch_execz .LBB1_3778
; %bb.39619:
	s_getpc_b64 s[14:15]
.Lpost_getpc5473:
	s_add_u32 s14, s14, (.LBB1_18116-.Lpost_getpc5473)&4294967295
	s_addc_u32 s15, s15, (.LBB1_18116-.Lpost_getpc5473)>>32
	s_setpc_b64 s[14:15]
.LBB1_3778:
	s_or_b64 exec, exec, s[6:7]
	s_and_saveexec_b64 s[6:7], s[4:5]
	s_cbranch_execz .LBB1_3780
.LBB1_3779:
	v_and_b32_e32 v2, 7, v8
	v_ffbh_u32_e32 v6, v2
	v_min_u32_e32 v6, 32, v6
	v_lshrrev_b16_e32 v3, 3, v8
	v_subrev_u32_e32 v7, 28, v6
	v_and_b32_e32 v3, 15, v3
	v_lshlrev_b32_e32 v7, v7, v8
	v_sub_u32_e32 v6, 29, v6
	v_and_b32_e32 v7, 7, v7
	v_cmp_eq_u16_e32 vcc, 0, v3
	v_cndmask_b32_e32 v2, v2, v7, vcc
	v_cndmask_b32_e32 v3, v3, v6, vcc
	v_lshlrev_b32_e32 v6, 24, v8
	v_mov_b32_e32 v7, 0x3b800000
	v_lshlrev_b32_e32 v2, 20, v2
	v_and_b32_e32 v6, 0x80000000, v6
	v_lshl_add_u32 v3, v3, 23, v7
	v_or3_b32 v2, v6, v3, v2
.LBB1_3780:
	s_or_b64 exec, exec, s[6:7]
	s_movk_i32 s4, 0x7f
	v_cmp_gt_i16_sdwa s[6:7], v4, s4 src0_sel:BYTE_0 src1_sel:DWORD
	s_mov_b64 s[4:5], 0
                                        ; implicit-def: $sgpr10
	s_and_saveexec_b64 s[8:9], s[6:7]
	s_xor_b64 s[6:7], exec, s[8:9]
	s_cbranch_execz .LBB1_3781
; %bb.39621:
	s_getpc_b64 s[14:15]
.Lpost_getpc5474:
	s_add_u32 s14, s14, (.LBB1_18117-.Lpost_getpc5474)&4294967295
	s_addc_u32 s15, s15, (.LBB1_18117-.Lpost_getpc5474)>>32
	s_setpc_b64 s[14:15]
.LBB1_3781:
	s_or_saveexec_b64 s[6:7], s[6:7]
	v_mov_b32_e32 v3, s10
	s_xor_b64 exec, exec, s[6:7]
	s_cbranch_execz .LBB1_3782
; %bb.39623:
	s_getpc_b64 s[14:15]
.Lpost_getpc5475:
	s_add_u32 s14, s14, (.LBB1_18120-.Lpost_getpc5475)&4294967295
	s_addc_u32 s15, s15, (.LBB1_18120-.Lpost_getpc5475)>>32
	s_setpc_b64 s[14:15]
.LBB1_3782:
	s_or_b64 exec, exec, s[6:7]
	s_and_saveexec_b64 s[6:7], s[4:5]
	s_cbranch_execz .LBB1_3784
.LBB1_3783:
	v_and_b32_e32 v3, 7, v4
	v_ffbh_u32_e32 v7, v3
	v_min_u32_e32 v7, 32, v7
	v_lshrrev_b16_e32 v6, 3, v4
	v_subrev_u32_e32 v12, 28, v7
	v_and_b32_e32 v6, 15, v6
	v_lshlrev_b32_e32 v12, v12, v4
	v_sub_u32_e32 v7, 29, v7
	v_and_b32_e32 v12, 7, v12
	v_cmp_eq_u16_e32 vcc, 0, v6
	v_cndmask_b32_e32 v3, v3, v12, vcc
	v_cndmask_b32_e32 v6, v6, v7, vcc
	v_lshlrev_b32_e32 v7, 24, v4
	v_mov_b32_e32 v12, 0x3b800000
	v_lshlrev_b32_e32 v3, 20, v3
	v_and_b32_e32 v7, 0x80000000, v7
	v_lshl_add_u32 v6, v6, 23, v12
	v_or3_b32 v3, v7, v6, v3
.LBB1_3784:
	s_or_b64 exec, exec, s[6:7]
	s_nop 0
	v_mfma_f32_16x16x4f32 a[0:3], v2, v3, a[0:3]
	v_lshrrev_b32_e32 v3, 8, v8
	s_movk_i32 s4, 0x7f
	v_cmp_gt_i16_sdwa s[6:7], v3, s4 src0_sel:BYTE_0 src1_sel:DWORD
	s_mov_b64 s[4:5], 0
                                        ; implicit-def: $sgpr10
	s_and_saveexec_b64 s[8:9], s[6:7]
	s_xor_b64 s[6:7], exec, s[8:9]
	s_cbranch_execz .LBB1_3785
; %bb.39625:
	s_getpc_b64 s[14:15]
.Lpost_getpc5476:
	s_add_u32 s14, s14, (.LBB1_18121-.Lpost_getpc5476)&4294967295
	s_addc_u32 s15, s15, (.LBB1_18121-.Lpost_getpc5476)>>32
	s_setpc_b64 s[14:15]
.LBB1_3785:
	s_or_saveexec_b64 s[6:7], s[6:7]
	v_mov_b32_e32 v2, s10
	s_xor_b64 exec, exec, s[6:7]
	s_cbranch_execz .LBB1_3786
; %bb.39627:
	s_getpc_b64 s[14:15]
.Lpost_getpc5477:
	s_add_u32 s14, s14, (.LBB1_18124-.Lpost_getpc5477)&4294967295
	s_addc_u32 s15, s15, (.LBB1_18124-.Lpost_getpc5477)>>32
	s_setpc_b64 s[14:15]
.LBB1_3786:
	s_or_b64 exec, exec, s[6:7]
	s_and_saveexec_b64 s[6:7], s[4:5]
	s_cbranch_execz .LBB1_3788
.LBB1_3787:
	v_bfe_u32 v2, v8, 8, 3
	v_ffbh_u32_e32 v7, v2
	v_min_u32_e32 v7, 32, v7
	v_lshrrev_b16_e32 v6, 3, v3
	v_subrev_u32_e32 v12, 28, v7
	v_and_b32_e32 v6, 15, v6
	v_lshlrev_b32_e32 v3, v12, v3
	v_sub_u32_e32 v7, 29, v7
	v_and_b32_e32 v3, 7, v3
	v_cmp_eq_u16_e32 vcc, 0, v6
	v_cndmask_b32_e32 v2, v2, v3, vcc
	v_cndmask_b32_e32 v3, v6, v7, vcc
	v_lshlrev_b32_e32 v6, 16, v8
	v_mov_b32_e32 v7, 0x3b800000
	v_lshlrev_b32_e32 v2, 20, v2
	v_and_b32_e32 v6, 0x80000000, v6
	v_lshl_add_u32 v3, v3, 23, v7
	v_or3_b32 v2, v6, v3, v2
.LBB1_3788:
	s_or_b64 exec, exec, s[6:7]
	v_lshrrev_b32_e32 v3, 8, v4
	s_movk_i32 s4, 0x7f
	v_cmp_gt_i16_sdwa s[6:7], v3, s4 src0_sel:BYTE_0 src1_sel:DWORD
	s_mov_b64 s[4:5], 0
                                        ; implicit-def: $sgpr10
	s_and_saveexec_b64 s[8:9], s[6:7]
	s_xor_b64 s[6:7], exec, s[8:9]
	s_cbranch_execz .LBB1_3789
; %bb.39629:
	s_getpc_b64 s[14:15]
.Lpost_getpc5478:
	s_add_u32 s14, s14, (.LBB1_18125-.Lpost_getpc5478)&4294967295
	s_addc_u32 s15, s15, (.LBB1_18125-.Lpost_getpc5478)>>32
	s_setpc_b64 s[14:15]
.LBB1_3789:
	s_or_saveexec_b64 s[6:7], s[6:7]
	v_mov_b32_e32 v6, s10
	s_xor_b64 exec, exec, s[6:7]
	s_cbranch_execz .LBB1_3790
; %bb.39631:
	s_getpc_b64 s[14:15]
.Lpost_getpc5479:
	s_add_u32 s14, s14, (.LBB1_18128-.Lpost_getpc5479)&4294967295
	s_addc_u32 s15, s15, (.LBB1_18128-.Lpost_getpc5479)>>32
	s_setpc_b64 s[14:15]
.LBB1_3790:
	s_or_b64 exec, exec, s[6:7]
	s_and_saveexec_b64 s[6:7], s[4:5]
	s_cbranch_execz .LBB1_3792
.LBB1_3791:
	v_bfe_u32 v6, v4, 8, 3
	v_ffbh_u32_e32 v12, v6
	v_min_u32_e32 v12, 32, v12
	v_lshrrev_b16_e32 v7, 3, v3
	v_subrev_u32_e32 v13, 28, v12
	v_and_b32_e32 v7, 15, v7
	v_lshlrev_b32_e32 v3, v13, v3
	v_sub_u32_e32 v12, 29, v12
	v_and_b32_e32 v3, 7, v3
	v_cmp_eq_u16_e32 vcc, 0, v7
	v_cndmask_b32_e32 v3, v6, v3, vcc
	v_cndmask_b32_e32 v6, v7, v12, vcc
	v_lshlrev_b32_e32 v7, 16, v4
	v_mov_b32_e32 v12, 0x3b800000
	v_lshlrev_b32_e32 v3, 20, v3
	v_and_b32_e32 v7, 0x80000000, v7
	v_lshl_add_u32 v6, v6, 23, v12
	v_or3_b32 v6, v7, v6, v3
.LBB1_3792:
	s_or_b64 exec, exec, s[6:7]
	s_nop 0
	v_mfma_f32_16x16x4f32 a[0:3], v2, v6, a[0:3]
	s_movk_i32 s4, 0xff
	v_and_b32_sdwa v3, v8, s4 dst_sel:DWORD dst_unused:UNUSED_PAD src0_sel:WORD_1 src1_sel:DWORD
	s_movk_i32 s4, 0x7f
	v_cmp_lt_i16_e32 vcc, s4, v3
	s_mov_b64 s[4:5], 0
                                        ; implicit-def: $sgpr10
	s_and_saveexec_b64 s[6:7], vcc
	s_xor_b64 s[6:7], exec, s[6:7]
	s_cbranch_execz .LBB1_3793
; %bb.39633:
	s_getpc_b64 s[14:15]
.Lpost_getpc5480:
	s_add_u32 s14, s14, (.LBB1_18129-.Lpost_getpc5480)&4294967295
	s_addc_u32 s15, s15, (.LBB1_18129-.Lpost_getpc5480)>>32
	s_setpc_b64 s[14:15]
.LBB1_3793:
	s_or_saveexec_b64 s[6:7], s[6:7]
	v_mov_b32_e32 v2, s10
	s_xor_b64 exec, exec, s[6:7]
	s_cbranch_execz .LBB1_3794
; %bb.39635:
	s_getpc_b64 s[14:15]
.Lpost_getpc5481:
	s_add_u32 s14, s14, (.LBB1_18132-.Lpost_getpc5481)&4294967295
	s_addc_u32 s15, s15, (.LBB1_18132-.Lpost_getpc5481)>>32
	s_setpc_b64 s[14:15]
.LBB1_3794:
	s_or_b64 exec, exec, s[6:7]
	s_and_saveexec_b64 s[6:7], s[4:5]
	s_cbranch_execz .LBB1_3796
.LBB1_3795:
	v_bfe_u32 v2, v8, 16, 3
	v_ffbh_u32_e32 v7, v2
	v_min_u32_e32 v7, 32, v7
	v_lshrrev_b32_e32 v3, 19, v8
	v_subrev_u32_e32 v12, 28, v7
	v_and_b32_e32 v3, 15, v3
	v_lshlrev_b32_sdwa v12, v12, v8 dst_sel:DWORD dst_unused:UNUSED_PAD src0_sel:DWORD src1_sel:WORD_1
	v_bfe_u32 v6, v8, 19, 4
	v_sub_u32_e32 v7, 29, v7
	v_and_b32_e32 v12, 7, v12
	v_cmp_eq_u16_e32 vcc, 0, v3
	v_cndmask_b32_e32 v2, v2, v12, vcc
	v_cndmask_b32_e32 v3, v6, v7, vcc
	v_lshlrev_b32_e32 v6, 8, v8
	v_mov_b32_e32 v7, 0x3b800000
	v_lshlrev_b32_e32 v2, 20, v2
	v_and_b32_e32 v6, 0x80000000, v6
	v_lshl_add_u32 v3, v3, 23, v7
	v_or3_b32 v2, v6, v3, v2
.LBB1_3796:
	s_or_b64 exec, exec, s[6:7]
	s_movk_i32 s4, 0xff
	v_and_b32_sdwa v3, v4, s4 dst_sel:DWORD dst_unused:UNUSED_PAD src0_sel:WORD_1 src1_sel:DWORD
	s_movk_i32 s4, 0x7f
	v_cmp_lt_i16_e32 vcc, s4, v3
	s_mov_b64 s[4:5], 0
                                        ; implicit-def: $sgpr10
	s_and_saveexec_b64 s[6:7], vcc
	s_xor_b64 s[6:7], exec, s[6:7]
	s_cbranch_execz .LBB1_3797
; %bb.39637:
	s_getpc_b64 s[14:15]
.Lpost_getpc5482:
	s_add_u32 s14, s14, (.LBB1_18133-.Lpost_getpc5482)&4294967295
	s_addc_u32 s15, s15, (.LBB1_18133-.Lpost_getpc5482)>>32
	s_setpc_b64 s[14:15]
.LBB1_3797:
	s_or_saveexec_b64 s[6:7], s[6:7]
	v_mov_b32_e32 v6, s10
	s_xor_b64 exec, exec, s[6:7]
	s_cbranch_execz .LBB1_3798
; %bb.39639:
	s_getpc_b64 s[14:15]
.Lpost_getpc5483:
	s_add_u32 s14, s14, (.LBB1_18136-.Lpost_getpc5483)&4294967295
	s_addc_u32 s15, s15, (.LBB1_18136-.Lpost_getpc5483)>>32
	s_setpc_b64 s[14:15]
.LBB1_3798:
	s_or_b64 exec, exec, s[6:7]
	s_and_saveexec_b64 s[6:7], s[4:5]
	s_cbranch_execz .LBB1_3800
.LBB1_3799:
	v_bfe_u32 v3, v4, 16, 3
	v_ffbh_u32_e32 v12, v3
	v_min_u32_e32 v12, 32, v12
	v_lshrrev_b32_e32 v6, 19, v4
	v_subrev_u32_e32 v13, 28, v12
	v_and_b32_e32 v6, 15, v6
	v_lshlrev_b32_sdwa v13, v13, v4 dst_sel:DWORD dst_unused:UNUSED_PAD src0_sel:DWORD src1_sel:WORD_1
	v_bfe_u32 v7, v4, 19, 4
	v_sub_u32_e32 v12, 29, v12
	v_and_b32_e32 v13, 7, v13
	v_cmp_eq_u16_e32 vcc, 0, v6
	v_cndmask_b32_e32 v3, v3, v13, vcc
	v_cndmask_b32_e32 v6, v7, v12, vcc
	v_lshlrev_b32_e32 v7, 8, v4
	v_mov_b32_e32 v12, 0x3b800000
	v_lshlrev_b32_e32 v3, 20, v3
	v_and_b32_e32 v7, 0x80000000, v7
	v_lshl_add_u32 v6, v6, 23, v12
	v_or3_b32 v6, v7, v6, v3
.LBB1_3800:
	s_or_b64 exec, exec, s[6:7]
	s_nop 0
	v_mfma_f32_16x16x4f32 a[0:3], v2, v6, a[0:3]
	s_movk_i32 s4, 0x7f
	v_cmp_gt_i16_sdwa s[6:7], v8, s4 src0_sel:BYTE_3 src1_sel:DWORD
	s_mov_b64 s[4:5], 0
                                        ; implicit-def: $sgpr10
	s_and_saveexec_b64 s[8:9], s[6:7]
	s_xor_b64 s[6:7], exec, s[8:9]
	s_cbranch_execz .LBB1_3801
; %bb.39641:
	s_getpc_b64 s[14:15]
.Lpost_getpc5484:
	s_add_u32 s14, s14, (.LBB1_18137-.Lpost_getpc5484)&4294967295
	s_addc_u32 s15, s15, (.LBB1_18137-.Lpost_getpc5484)>>32
	s_setpc_b64 s[14:15]
.LBB1_3801:
	s_or_saveexec_b64 s[6:7], s[6:7]
	v_mov_b32_e32 v2, s10
	s_xor_b64 exec, exec, s[6:7]
	s_cbranch_execz .LBB1_3802
; %bb.39643:
	s_getpc_b64 s[14:15]
.Lpost_getpc5485:
	s_add_u32 s14, s14, (.LBB1_18140-.Lpost_getpc5485)&4294967295
	s_addc_u32 s15, s15, (.LBB1_18140-.Lpost_getpc5485)>>32
	s_setpc_b64 s[14:15]
.LBB1_3802:
	s_or_b64 exec, exec, s[6:7]
	s_and_saveexec_b64 s[6:7], s[4:5]
	s_cbranch_execz .LBB1_3804
.LBB1_3803:
	v_bfe_u32 v2, v8, 24, 3
	v_ffbh_u32_e32 v12, v2
	v_min_u32_e32 v12, 32, v12
	v_lshrrev_b32_e32 v6, 27, v8
	v_subrev_u32_e32 v13, 28, v12
	v_and_b32_e32 v3, 0x80000000, v8
	v_and_b32_e32 v6, 15, v6
	v_bfe_u32 v7, v8, 27, 4
	v_lshlrev_b32_sdwa v8, v13, v8 dst_sel:DWORD dst_unused:UNUSED_PAD src0_sel:DWORD src1_sel:BYTE_3
	v_sub_u32_e32 v12, 29, v12
	v_and_b32_e32 v8, 7, v8
	v_cmp_eq_u16_e32 vcc, 0, v6
	v_cndmask_b32_e32 v2, v2, v8, vcc
	v_cndmask_b32_e32 v6, v7, v12, vcc
	v_mov_b32_e32 v7, 0x3b800000
	v_lshlrev_b32_e32 v2, 20, v2
	v_lshl_add_u32 v6, v6, 23, v7
	v_or3_b32 v2, v3, v6, v2
.LBB1_3804:
	s_or_b64 exec, exec, s[6:7]
	s_movk_i32 s4, 0x7f
	v_cmp_gt_i16_sdwa s[6:7], v4, s4 src0_sel:BYTE_3 src1_sel:DWORD
	s_mov_b64 s[4:5], 0
                                        ; implicit-def: $sgpr10
	s_and_saveexec_b64 s[8:9], s[6:7]
	s_xor_b64 s[6:7], exec, s[8:9]
	s_cbranch_execz .LBB1_3805
; %bb.39645:
	s_getpc_b64 s[14:15]
.Lpost_getpc5486:
	s_add_u32 s14, s14, (.LBB1_18141-.Lpost_getpc5486)&4294967295
	s_addc_u32 s15, s15, (.LBB1_18141-.Lpost_getpc5486)>>32
	s_setpc_b64 s[14:15]
.LBB1_3805:
	s_or_saveexec_b64 s[6:7], s[6:7]
	v_mov_b32_e32 v3, s10
	s_xor_b64 exec, exec, s[6:7]
	s_cbranch_execz .LBB1_3806
; %bb.39647:
	s_getpc_b64 s[14:15]
.Lpost_getpc5487:
	s_add_u32 s14, s14, (.LBB1_18144-.Lpost_getpc5487)&4294967295
	s_addc_u32 s15, s15, (.LBB1_18144-.Lpost_getpc5487)>>32
	s_setpc_b64 s[14:15]
.LBB1_3806:
	s_or_b64 exec, exec, s[6:7]
	s_and_saveexec_b64 s[6:7], s[4:5]
	s_cbranch_execz .LBB1_3808
.LBB1_3807:
	v_bfe_u32 v3, v4, 24, 3
	v_ffbh_u32_e32 v12, v3
	v_min_u32_e32 v12, 32, v12
	v_lshrrev_b32_e32 v7, 27, v4
	v_subrev_u32_e32 v13, 28, v12
	v_and_b32_e32 v6, 0x80000000, v4
	v_and_b32_e32 v7, 15, v7
	v_bfe_u32 v8, v4, 27, 4
	v_lshlrev_b32_sdwa v4, v13, v4 dst_sel:DWORD dst_unused:UNUSED_PAD src0_sel:DWORD src1_sel:BYTE_3
	v_sub_u32_e32 v12, 29, v12
	v_and_b32_e32 v4, 7, v4
	v_cmp_eq_u16_e32 vcc, 0, v7
	v_cndmask_b32_e32 v3, v3, v4, vcc
	v_cndmask_b32_e32 v4, v8, v12, vcc
	v_mov_b32_e32 v7, 0x3b800000
	v_lshlrev_b32_e32 v3, 20, v3
	v_lshl_add_u32 v4, v4, 23, v7
	v_or3_b32 v3, v6, v4, v3
.LBB1_3808:
	s_or_b64 exec, exec, s[6:7]
	s_nop 0
	v_mfma_f32_16x16x4f32 a[0:3], v2, v3, a[0:3]
	s_movk_i32 s4, 0x7f
	v_cmp_gt_i16_sdwa s[6:7], v9, s4 src0_sel:BYTE_0 src1_sel:DWORD
	s_mov_b64 s[4:5], 0
                                        ; implicit-def: $sgpr10
	s_and_saveexec_b64 s[8:9], s[6:7]
	s_xor_b64 s[6:7], exec, s[8:9]
	s_cbranch_execz .LBB1_3809
; %bb.39649:
	s_getpc_b64 s[14:15]
.Lpost_getpc5488:
	s_add_u32 s14, s14, (.LBB1_18145-.Lpost_getpc5488)&4294967295
	s_addc_u32 s15, s15, (.LBB1_18145-.Lpost_getpc5488)>>32
	s_setpc_b64 s[14:15]
.LBB1_3809:
	s_or_saveexec_b64 s[6:7], s[6:7]
	v_mov_b32_e32 v2, s10
	s_xor_b64 exec, exec, s[6:7]
	s_cbranch_execz .LBB1_3810
; %bb.39651:
	s_getpc_b64 s[14:15]
.Lpost_getpc5489:
	s_add_u32 s14, s14, (.LBB1_18148-.Lpost_getpc5489)&4294967295
	s_addc_u32 s15, s15, (.LBB1_18148-.Lpost_getpc5489)>>32
	s_setpc_b64 s[14:15]
.LBB1_3810:
	s_or_b64 exec, exec, s[6:7]
	s_and_saveexec_b64 s[6:7], s[4:5]
	s_cbranch_execz .LBB1_3812
.LBB1_3811:
	v_mov_b32_e32 v2, 8
	v_and_b32_e32 v3, 7, v9
	v_lshrrev_b32_sdwa v2, v2, v9 dst_sel:BYTE_1 dst_unused:UNUSED_PAD src0_sel:DWORD src1_sel:DWORD
	v_ffbh_u32_e32 v4, v3
	v_or_b32_sdwa v2, v9, v2 dst_sel:DWORD dst_unused:UNUSED_PAD src0_sel:BYTE_0 src1_sel:DWORD
	v_min_u32_e32 v4, 32, v4
	v_lshrrev_b16_e32 v2, 3, v2
	v_subrev_u32_e32 v6, 28, v4
	v_and_b32_e32 v2, 15, v2
	v_lshlrev_b32_e32 v6, v6, v9
	v_sub_u32_e32 v4, 29, v4
	v_and_b32_e32 v6, 7, v6
	v_cmp_eq_u16_e32 vcc, 0, v2
	v_cndmask_b32_e32 v3, v3, v6, vcc
	v_cndmask_b32_e32 v2, v2, v4, vcc
	v_lshlrev_b32_e32 v4, 24, v9
	v_mov_b32_e32 v6, 0x3b800000
	v_lshlrev_b32_e32 v3, 20, v3
	v_and_b32_e32 v4, 0x80000000, v4
	v_lshl_add_u32 v2, v2, 23, v6
	v_or3_b32 v2, v4, v2, v3
.LBB1_3812:
	s_or_b64 exec, exec, s[6:7]
	s_movk_i32 s4, 0x7f
	v_cmp_gt_i16_sdwa s[6:7], v5, s4 src0_sel:BYTE_0 src1_sel:DWORD
	s_mov_b64 s[4:5], 0
                                        ; implicit-def: $sgpr10
	s_and_saveexec_b64 s[8:9], s[6:7]
	s_xor_b64 s[6:7], exec, s[8:9]
	s_cbranch_execz .LBB1_3813
; %bb.39653:
	s_getpc_b64 s[14:15]
.Lpost_getpc5490:
	s_add_u32 s14, s14, (.LBB1_18149-.Lpost_getpc5490)&4294967295
	s_addc_u32 s15, s15, (.LBB1_18149-.Lpost_getpc5490)>>32
	s_setpc_b64 s[14:15]
.LBB1_3813:
	s_or_saveexec_b64 s[6:7], s[6:7]
	v_mov_b32_e32 v3, s10
	s_xor_b64 exec, exec, s[6:7]
	s_cbranch_execz .LBB1_3814
; %bb.39655:
	s_getpc_b64 s[14:15]
.Lpost_getpc5491:
	s_add_u32 s14, s14, (.LBB1_18152-.Lpost_getpc5491)&4294967295
	s_addc_u32 s15, s15, (.LBB1_18152-.Lpost_getpc5491)>>32
	s_setpc_b64 s[14:15]
.LBB1_3814:
	s_or_b64 exec, exec, s[6:7]
	s_and_saveexec_b64 s[6:7], s[4:5]
	s_cbranch_execz .LBB1_3816
.LBB1_3815:
	v_mov_b32_e32 v3, 8
	v_and_b32_e32 v4, 7, v5
	v_lshrrev_b32_sdwa v3, v3, v5 dst_sel:BYTE_1 dst_unused:UNUSED_PAD src0_sel:DWORD src1_sel:DWORD
	v_ffbh_u32_e32 v6, v4
	v_or_b32_sdwa v3, v5, v3 dst_sel:DWORD dst_unused:UNUSED_PAD src0_sel:BYTE_0 src1_sel:DWORD
	v_min_u32_e32 v6, 32, v6
	v_lshrrev_b16_e32 v3, 3, v3
	v_subrev_u32_e32 v7, 28, v6
	v_and_b32_e32 v3, 15, v3
	v_lshlrev_b32_e32 v7, v7, v5
	v_sub_u32_e32 v6, 29, v6
	v_and_b32_e32 v7, 7, v7
	v_cmp_eq_u16_e32 vcc, 0, v3
	v_cndmask_b32_e32 v4, v4, v7, vcc
	v_cndmask_b32_e32 v3, v3, v6, vcc
	v_lshlrev_b32_e32 v6, 24, v5
	v_mov_b32_e32 v7, 0x3b800000
	v_lshlrev_b32_e32 v4, 20, v4
	v_and_b32_e32 v6, 0x80000000, v6
	v_lshl_add_u32 v3, v3, 23, v7
	v_or3_b32 v3, v6, v3, v4
.LBB1_3816:
	s_or_b64 exec, exec, s[6:7]
	s_nop 0
	v_mfma_f32_16x16x4f32 a[0:3], v2, v3, a[0:3]
	v_lshrrev_b32_e32 v3, 8, v9
	s_movk_i32 s4, 0x7f
	v_cmp_gt_i16_sdwa s[6:7], v3, s4 src0_sel:BYTE_0 src1_sel:DWORD
	s_mov_b64 s[4:5], 0
                                        ; implicit-def: $sgpr10
	s_and_saveexec_b64 s[8:9], s[6:7]
	s_xor_b64 s[6:7], exec, s[8:9]
	s_cbranch_execz .LBB1_3817
; %bb.39657:
	s_getpc_b64 s[14:15]
.Lpost_getpc5492:
	s_add_u32 s14, s14, (.LBB1_18153-.Lpost_getpc5492)&4294967295
	s_addc_u32 s15, s15, (.LBB1_18153-.Lpost_getpc5492)>>32
	s_setpc_b64 s[14:15]
.LBB1_3817:
	s_or_saveexec_b64 s[6:7], s[6:7]
	v_mov_b32_e32 v2, s10
	s_xor_b64 exec, exec, s[6:7]
	s_cbranch_execz .LBB1_3818
; %bb.39659:
	s_getpc_b64 s[14:15]
.Lpost_getpc5493:
	s_add_u32 s14, s14, (.LBB1_18156-.Lpost_getpc5493)&4294967295
	s_addc_u32 s15, s15, (.LBB1_18156-.Lpost_getpc5493)>>32
	s_setpc_b64 s[14:15]
.LBB1_3818:
	s_or_b64 exec, exec, s[6:7]
	s_and_saveexec_b64 s[6:7], s[4:5]
	s_cbranch_execz .LBB1_3820
.LBB1_3819:
	v_bfe_u32 v2, v9, 8, 3
	v_ffbh_u32_e32 v6, v2
	v_min_u32_e32 v6, 32, v6
	v_lshrrev_b16_e32 v4, 3, v3
	v_subrev_u32_e32 v7, 28, v6
	v_and_b32_e32 v4, 15, v4
	v_lshlrev_b32_e32 v3, v7, v3
	v_sub_u32_e32 v6, 29, v6
	v_and_b32_e32 v3, 7, v3
	v_cmp_eq_u16_e32 vcc, 0, v4
	v_cndmask_b32_e32 v2, v2, v3, vcc
	v_cndmask_b32_e32 v3, v4, v6, vcc
	v_lshlrev_b32_e32 v4, 16, v9
	v_mov_b32_e32 v6, 0x3b800000
	v_lshlrev_b32_e32 v2, 20, v2
	v_and_b32_e32 v4, 0x80000000, v4
	v_lshl_add_u32 v3, v3, 23, v6
	v_or3_b32 v2, v4, v3, v2
.LBB1_3820:
	s_or_b64 exec, exec, s[6:7]
	v_lshrrev_b32_e32 v3, 8, v5
	s_movk_i32 s4, 0x7f
	v_cmp_gt_i16_sdwa s[6:7], v3, s4 src0_sel:BYTE_0 src1_sel:DWORD
	s_mov_b64 s[4:5], 0
                                        ; implicit-def: $sgpr10
	s_and_saveexec_b64 s[8:9], s[6:7]
	s_xor_b64 s[6:7], exec, s[8:9]
	s_cbranch_execz .LBB1_3821
; %bb.39661:
	s_getpc_b64 s[14:15]
.Lpost_getpc5494:
	s_add_u32 s14, s14, (.LBB1_18157-.Lpost_getpc5494)&4294967295
	s_addc_u32 s15, s15, (.LBB1_18157-.Lpost_getpc5494)>>32
	s_setpc_b64 s[14:15]
.LBB1_3821:
	s_or_saveexec_b64 s[6:7], s[6:7]
	v_mov_b32_e32 v4, s10
	s_xor_b64 exec, exec, s[6:7]
	s_cbranch_execz .LBB1_3822
; %bb.39663:
	s_getpc_b64 s[14:15]
.Lpost_getpc5495:
	s_add_u32 s14, s14, (.LBB1_18160-.Lpost_getpc5495)&4294967295
	s_addc_u32 s15, s15, (.LBB1_18160-.Lpost_getpc5495)>>32
	s_setpc_b64 s[14:15]
.LBB1_3822:
	s_or_b64 exec, exec, s[6:7]
	s_and_saveexec_b64 s[6:7], s[4:5]
	s_cbranch_execz .LBB1_3824
.LBB1_3823:
	v_bfe_u32 v4, v5, 8, 3
	v_ffbh_u32_e32 v7, v4
	v_min_u32_e32 v7, 32, v7
	v_lshrrev_b16_e32 v6, 3, v3
	v_subrev_u32_e32 v8, 28, v7
	v_and_b32_e32 v6, 15, v6
	v_lshlrev_b32_e32 v3, v8, v3
	v_sub_u32_e32 v7, 29, v7
	v_and_b32_e32 v3, 7, v3
	v_cmp_eq_u16_e32 vcc, 0, v6
	v_cndmask_b32_e32 v3, v4, v3, vcc
	v_cndmask_b32_e32 v4, v6, v7, vcc
	v_lshlrev_b32_e32 v6, 16, v5
	v_mov_b32_e32 v7, 0x3b800000
	v_lshlrev_b32_e32 v3, 20, v3
	v_and_b32_e32 v6, 0x80000000, v6
	v_lshl_add_u32 v4, v4, 23, v7
	v_or3_b32 v4, v6, v4, v3
.LBB1_3824:
	s_or_b64 exec, exec, s[6:7]
	s_nop 0
	v_mfma_f32_16x16x4f32 a[0:3], v2, v4, a[0:3]
	s_movk_i32 s4, 0xff
	v_and_b32_sdwa v3, v9, s4 dst_sel:DWORD dst_unused:UNUSED_PAD src0_sel:WORD_1 src1_sel:DWORD
	s_movk_i32 s4, 0x7f
	v_cmp_lt_i16_e32 vcc, s4, v3
	s_mov_b64 s[4:5], 0
                                        ; implicit-def: $sgpr10
	s_and_saveexec_b64 s[6:7], vcc
	s_xor_b64 s[6:7], exec, s[6:7]
	s_cbranch_execz .LBB1_3825
; %bb.39665:
	s_getpc_b64 s[14:15]
.Lpost_getpc5496:
	s_add_u32 s14, s14, (.LBB1_18161-.Lpost_getpc5496)&4294967295
	s_addc_u32 s15, s15, (.LBB1_18161-.Lpost_getpc5496)>>32
	s_setpc_b64 s[14:15]
.LBB1_3825:
	s_or_saveexec_b64 s[6:7], s[6:7]
	v_mov_b32_e32 v2, s10
	s_xor_b64 exec, exec, s[6:7]
	s_cbranch_execz .LBB1_3826
; %bb.39667:
	s_getpc_b64 s[14:15]
.Lpost_getpc5497:
	s_add_u32 s14, s14, (.LBB1_18164-.Lpost_getpc5497)&4294967295
	s_addc_u32 s15, s15, (.LBB1_18164-.Lpost_getpc5497)>>32
	s_setpc_b64 s[14:15]
.LBB1_3826:
	s_or_b64 exec, exec, s[6:7]
	s_and_saveexec_b64 s[6:7], s[4:5]
	s_cbranch_execz .LBB1_3828
.LBB1_3827:
	v_bfe_u32 v2, v9, 16, 3
	v_ffbh_u32_e32 v6, v2
	v_min_u32_e32 v6, 32, v6
	v_lshrrev_b32_e32 v3, 19, v9
	v_subrev_u32_e32 v7, 28, v6
	v_and_b32_e32 v3, 15, v3
	v_lshlrev_b32_sdwa v7, v7, v9 dst_sel:DWORD dst_unused:UNUSED_PAD src0_sel:DWORD src1_sel:WORD_1
	v_bfe_u32 v4, v9, 19, 4
	v_sub_u32_e32 v6, 29, v6
	v_and_b32_e32 v7, 7, v7
	v_cmp_eq_u16_e32 vcc, 0, v3
	v_cndmask_b32_e32 v2, v2, v7, vcc
	v_cndmask_b32_e32 v3, v4, v6, vcc
	v_lshlrev_b32_e32 v4, 8, v9
	v_mov_b32_e32 v6, 0x3b800000
	v_lshlrev_b32_e32 v2, 20, v2
	v_and_b32_e32 v4, 0x80000000, v4
	v_lshl_add_u32 v3, v3, 23, v6
	v_or3_b32 v2, v4, v3, v2
.LBB1_3828:
	s_or_b64 exec, exec, s[6:7]
	s_movk_i32 s4, 0xff
	v_and_b32_sdwa v3, v5, s4 dst_sel:DWORD dst_unused:UNUSED_PAD src0_sel:WORD_1 src1_sel:DWORD
	s_movk_i32 s4, 0x7f
	v_cmp_lt_i16_e32 vcc, s4, v3
	s_mov_b64 s[4:5], 0
                                        ; implicit-def: $sgpr10
	s_and_saveexec_b64 s[6:7], vcc
	s_xor_b64 s[6:7], exec, s[6:7]
	s_cbranch_execz .LBB1_3829
; %bb.39669:
	s_getpc_b64 s[14:15]
.Lpost_getpc5498:
	s_add_u32 s14, s14, (.LBB1_18165-.Lpost_getpc5498)&4294967295
	s_addc_u32 s15, s15, (.LBB1_18165-.Lpost_getpc5498)>>32
	s_setpc_b64 s[14:15]
.LBB1_3829:
	s_or_saveexec_b64 s[6:7], s[6:7]
	v_mov_b32_e32 v4, s10
	s_xor_b64 exec, exec, s[6:7]
	s_cbranch_execz .LBB1_3830
; %bb.39671:
	s_getpc_b64 s[14:15]
.Lpost_getpc5499:
	s_add_u32 s14, s14, (.LBB1_18168-.Lpost_getpc5499)&4294967295
	s_addc_u32 s15, s15, (.LBB1_18168-.Lpost_getpc5499)>>32
	s_setpc_b64 s[14:15]
.LBB1_3830:
	s_or_b64 exec, exec, s[6:7]
	s_and_saveexec_b64 s[6:7], s[4:5]
	s_cbranch_execz .LBB1_3832
.LBB1_3831:
	v_bfe_u32 v3, v5, 16, 3
	v_ffbh_u32_e32 v7, v3
	v_min_u32_e32 v7, 32, v7
	v_lshrrev_b32_e32 v4, 19, v5
	v_subrev_u32_e32 v8, 28, v7
	v_and_b32_e32 v4, 15, v4
	v_lshlrev_b32_sdwa v8, v8, v5 dst_sel:DWORD dst_unused:UNUSED_PAD src0_sel:DWORD src1_sel:WORD_1
	v_bfe_u32 v6, v5, 19, 4
	v_sub_u32_e32 v7, 29, v7
	v_and_b32_e32 v8, 7, v8
	v_cmp_eq_u16_e32 vcc, 0, v4
	v_cndmask_b32_e32 v3, v3, v8, vcc
	v_cndmask_b32_e32 v4, v6, v7, vcc
	v_lshlrev_b32_e32 v6, 8, v5
	v_mov_b32_e32 v7, 0x3b800000
	v_lshlrev_b32_e32 v3, 20, v3
	v_and_b32_e32 v6, 0x80000000, v6
	v_lshl_add_u32 v4, v4, 23, v7
	v_or3_b32 v4, v6, v4, v3
.LBB1_3832:
	s_or_b64 exec, exec, s[6:7]
	s_nop 0
	v_mfma_f32_16x16x4f32 a[0:3], v2, v4, a[0:3]
	s_movk_i32 s4, 0x7f
	v_cmp_gt_i16_sdwa s[6:7], v9, s4 src0_sel:BYTE_3 src1_sel:DWORD
	s_mov_b64 s[4:5], 0
                                        ; implicit-def: $sgpr10
	s_and_saveexec_b64 s[8:9], s[6:7]
	s_xor_b64 s[6:7], exec, s[8:9]
	s_cbranch_execz .LBB1_3833
; %bb.39673:
	s_getpc_b64 s[14:15]
.Lpost_getpc5500:
	s_add_u32 s14, s14, (.LBB1_18169-.Lpost_getpc5500)&4294967295
	s_addc_u32 s15, s15, (.LBB1_18169-.Lpost_getpc5500)>>32
	s_setpc_b64 s[14:15]
.LBB1_3833:
	s_or_saveexec_b64 s[6:7], s[6:7]
	v_mov_b32_e32 v2, s10
	s_xor_b64 exec, exec, s[6:7]
	s_cbranch_execz .LBB1_3834
; %bb.39675:
	s_getpc_b64 s[14:15]
.Lpost_getpc5501:
	s_add_u32 s14, s14, (.LBB1_18172-.Lpost_getpc5501)&4294967295
	s_addc_u32 s15, s15, (.LBB1_18172-.Lpost_getpc5501)>>32
	s_setpc_b64 s[14:15]
.LBB1_3834:
	s_or_b64 exec, exec, s[6:7]
	s_and_saveexec_b64 s[6:7], s[4:5]
	s_cbranch_execz .LBB1_3836
.LBB1_3835:
	v_bfe_u32 v2, v9, 24, 3
	v_ffbh_u32_e32 v7, v2
	v_min_u32_e32 v7, 32, v7
	v_lshrrev_b32_e32 v4, 27, v9
	v_subrev_u32_e32 v8, 28, v7
	v_and_b32_e32 v4, 15, v4
	v_lshlrev_b32_sdwa v8, v8, v9 dst_sel:DWORD dst_unused:UNUSED_PAD src0_sel:DWORD src1_sel:BYTE_3
	v_bfe_u32 v6, v9, 27, 4
	v_sub_u32_e32 v7, 29, v7
	v_and_b32_e32 v8, 7, v8
	v_cmp_eq_u16_e32 vcc, 0, v4
	v_cndmask_b32_e32 v2, v2, v8, vcc
	v_cndmask_b32_e32 v4, v6, v7, vcc
	v_mov_b32_e32 v6, 0x3b800000
	v_and_b32_e32 v3, 0x80000000, v9
	v_lshlrev_b32_e32 v2, 20, v2
	v_lshl_add_u32 v4, v4, 23, v6
	v_or3_b32 v2, v3, v4, v2
.LBB1_3836:
	s_or_b64 exec, exec, s[6:7]
	s_movk_i32 s4, 0x7f
	v_cmp_gt_i16_sdwa s[6:7], v5, s4 src0_sel:BYTE_3 src1_sel:DWORD
	s_mov_b64 s[4:5], 0
                                        ; implicit-def: $sgpr10
	s_and_saveexec_b64 s[8:9], s[6:7]
	s_xor_b64 s[6:7], exec, s[8:9]
	s_cbranch_execz .LBB1_3837
; %bb.39677:
	s_getpc_b64 s[14:15]
.Lpost_getpc5502:
	s_add_u32 s14, s14, (.LBB1_18173-.Lpost_getpc5502)&4294967295
	s_addc_u32 s15, s15, (.LBB1_18173-.Lpost_getpc5502)>>32
	s_setpc_b64 s[14:15]
.LBB1_3837:
	s_or_saveexec_b64 s[6:7], s[6:7]
	v_mov_b32_e32 v3, s10
	s_xor_b64 exec, exec, s[6:7]
	s_cbranch_execz .LBB1_3838
; %bb.39679:
	s_getpc_b64 s[14:15]
.Lpost_getpc5503:
	s_add_u32 s14, s14, (.LBB1_18176-.Lpost_getpc5503)&4294967295
	s_addc_u32 s15, s15, (.LBB1_18176-.Lpost_getpc5503)>>32
	s_setpc_b64 s[14:15]
.LBB1_3838:
	s_or_b64 exec, exec, s[6:7]
	s_and_saveexec_b64 s[6:7], s[4:5]
	s_cbranch_execz .LBB1_3840
.LBB1_3839:
	v_bfe_u32 v3, v5, 24, 3
	v_ffbh_u32_e32 v8, v3
	v_min_u32_e32 v8, 32, v8
	v_lshrrev_b32_e32 v6, 27, v5
	v_subrev_u32_e32 v9, 28, v8
	v_and_b32_e32 v4, 0x80000000, v5
	v_and_b32_e32 v6, 15, v6
	v_bfe_u32 v7, v5, 27, 4
	v_lshlrev_b32_sdwa v5, v9, v5 dst_sel:DWORD dst_unused:UNUSED_PAD src0_sel:DWORD src1_sel:BYTE_3
	v_sub_u32_e32 v8, 29, v8
	v_and_b32_e32 v5, 7, v5
	v_cmp_eq_u16_e32 vcc, 0, v6
	v_cndmask_b32_e32 v3, v3, v5, vcc
	v_cndmask_b32_e32 v5, v7, v8, vcc
	v_mov_b32_e32 v6, 0x3b800000
	v_lshlrev_b32_e32 v3, 20, v3
	v_lshl_add_u32 v5, v5, 23, v6
	v_or3_b32 v3, v4, v5, v3
.LBB1_3840:
	s_or_b64 exec, exec, s[6:7]
	s_nop 0
	v_mfma_f32_16x16x4f32 a[0:3], v2, v3, a[0:3]
	s_movk_i32 s4, 0x7f
                                        ; implicit-def: $sgpr10
	s_nop 7
	s_nop 1
	flat_store_dwordx4 v[10:11], a[0:3] offset:464
	flat_load_dwordx4 v[12:15], v[0:1]
	s_nop 0
	flat_load_dwordx2 v[10:11], v[0:1] offset:16
	s_waitcnt vmcnt(0) lgkmcnt(0)
	flat_load_dwordx4 v[6:9], v[12:13] offset:48
	flat_load_dwordx4 v[2:5], v[14:15] offset:96
	s_waitcnt vmcnt(0) lgkmcnt(0)
	v_cmp_gt_i16_sdwa s[6:7], v6, s4 src0_sel:BYTE_0 src1_sel:DWORD
	s_mov_b64 s[4:5], 0
	s_and_saveexec_b64 s[8:9], s[6:7]
	s_xor_b64 s[6:7], exec, s[8:9]
	s_cbranch_execz .LBB1_3841
; %bb.39681:
	s_getpc_b64 s[14:15]
.Lpost_getpc5504:
	s_add_u32 s14, s14, (.LBB1_18177-.Lpost_getpc5504)&4294967295
	s_addc_u32 s15, s15, (.LBB1_18177-.Lpost_getpc5504)>>32
	s_setpc_b64 s[14:15]
.LBB1_3841:
	s_or_saveexec_b64 s[6:7], s[6:7]
	v_mov_b32_e32 v12, s10
	s_xor_b64 exec, exec, s[6:7]
	s_cbranch_execz .LBB1_3842
; %bb.39683:
	s_getpc_b64 s[14:15]
.Lpost_getpc5505:
	s_add_u32 s14, s14, (.LBB1_18180-.Lpost_getpc5505)&4294967295
	s_addc_u32 s15, s15, (.LBB1_18180-.Lpost_getpc5505)>>32
	s_setpc_b64 s[14:15]
.LBB1_3842:
	s_or_b64 exec, exec, s[6:7]
	s_and_saveexec_b64 s[6:7], s[4:5]
	s_cbranch_execz .LBB1_3844
.LBB1_3843:
	v_and_b32_e32 v12, 7, v6
	v_ffbh_u32_e32 v14, v12
	v_min_u32_e32 v14, 32, v14
	v_lshrrev_b16_e32 v13, 3, v6
	v_subrev_u32_e32 v15, 28, v14
	v_and_b32_e32 v13, 15, v13
	v_lshlrev_b32_e32 v15, v15, v6
	v_sub_u32_e32 v14, 29, v14
	v_and_b32_e32 v15, 7, v15
	v_cmp_eq_u16_e32 vcc, 0, v13
	v_cndmask_b32_e32 v12, v12, v15, vcc
	v_cndmask_b32_e32 v13, v13, v14, vcc
	v_lshlrev_b32_e32 v14, 24, v6
	v_mov_b32_e32 v15, 0x3b800000
	v_lshlrev_b32_e32 v12, 20, v12
	v_and_b32_e32 v14, 0x80000000, v14
	v_lshl_add_u32 v13, v13, 23, v15
	v_or3_b32 v12, v14, v13, v12
.LBB1_3844:
	s_or_b64 exec, exec, s[6:7]
	s_movk_i32 s4, 0x7f
	v_cmp_gt_i16_sdwa s[6:7], v2, s4 src0_sel:BYTE_0 src1_sel:DWORD
	s_mov_b64 s[4:5], 0
                                        ; implicit-def: $sgpr10
	s_and_saveexec_b64 s[8:9], s[6:7]
	s_xor_b64 s[6:7], exec, s[8:9]
	s_cbranch_execz .LBB1_3845
; %bb.39685:
	s_getpc_b64 s[14:15]
.Lpost_getpc5506:
	s_add_u32 s14, s14, (.LBB1_18181-.Lpost_getpc5506)&4294967295
	s_addc_u32 s15, s15, (.LBB1_18181-.Lpost_getpc5506)>>32
	s_setpc_b64 s[14:15]
.LBB1_3845:
	s_or_saveexec_b64 s[6:7], s[6:7]
	v_mov_b32_e32 v13, s10
	s_xor_b64 exec, exec, s[6:7]
	s_cbranch_execz .LBB1_3846
; %bb.39687:
	s_getpc_b64 s[14:15]
.Lpost_getpc5507:
	s_add_u32 s14, s14, (.LBB1_18184-.Lpost_getpc5507)&4294967295
	s_addc_u32 s15, s15, (.LBB1_18184-.Lpost_getpc5507)>>32
	s_setpc_b64 s[14:15]
.LBB1_3846:
	s_or_b64 exec, exec, s[6:7]
	s_and_saveexec_b64 s[6:7], s[4:5]
	s_cbranch_execz .LBB1_3848
.LBB1_3847:
	v_and_b32_e32 v13, 7, v2
	v_ffbh_u32_e32 v15, v13
	v_min_u32_e32 v15, 32, v15
	v_lshrrev_b16_e32 v14, 3, v2
	v_subrev_u32_e32 v16, 28, v15
	v_and_b32_e32 v14, 15, v14
	v_lshlrev_b32_e32 v16, v16, v2
	v_sub_u32_e32 v15, 29, v15
	v_and_b32_e32 v16, 7, v16
	v_cmp_eq_u16_e32 vcc, 0, v14
	v_cndmask_b32_e32 v13, v13, v16, vcc
	v_cndmask_b32_e32 v14, v14, v15, vcc
	v_lshlrev_b32_e32 v15, 24, v2
	v_mov_b32_e32 v16, 0x3b800000
	v_lshlrev_b32_e32 v13, 20, v13
	v_and_b32_e32 v15, 0x80000000, v15
	v_lshl_add_u32 v14, v14, 23, v16
	v_or3_b32 v13, v15, v14, v13
.LBB1_3848:
	s_or_b64 exec, exec, s[6:7]
	flat_load_dwordx4 a[0:3], v[10:11] offset:480
	s_movk_i32 s4, 0x7f
                                        ; implicit-def: $sgpr10
	s_waitcnt vmcnt(0) lgkmcnt(0)
	v_mfma_f32_16x16x4f32 a[0:3], v12, v13, a[0:3]
	v_lshrrev_b32_e32 v13, 8, v6
	v_cmp_gt_i16_sdwa s[6:7], v13, s4 src0_sel:BYTE_0 src1_sel:DWORD
	s_mov_b64 s[4:5], 0
	s_and_saveexec_b64 s[8:9], s[6:7]
	s_xor_b64 s[6:7], exec, s[8:9]
	s_cbranch_execz .LBB1_3849
; %bb.39689:
	s_getpc_b64 s[14:15]
.Lpost_getpc5508:
	s_add_u32 s14, s14, (.LBB1_18185-.Lpost_getpc5508)&4294967295
	s_addc_u32 s15, s15, (.LBB1_18185-.Lpost_getpc5508)>>32
	s_setpc_b64 s[14:15]
.LBB1_3849:
	s_or_saveexec_b64 s[6:7], s[6:7]
	v_mov_b32_e32 v12, s10
	s_xor_b64 exec, exec, s[6:7]
	s_cbranch_execz .LBB1_3850
; %bb.39691:
	s_getpc_b64 s[14:15]
.Lpost_getpc5509:
	s_add_u32 s14, s14, (.LBB1_18188-.Lpost_getpc5509)&4294967295
	s_addc_u32 s15, s15, (.LBB1_18188-.Lpost_getpc5509)>>32
	s_setpc_b64 s[14:15]
.LBB1_3850:
	s_or_b64 exec, exec, s[6:7]
	s_and_saveexec_b64 s[6:7], s[4:5]
	s_cbranch_execz .LBB1_3852
.LBB1_3851:
	v_bfe_u32 v12, v6, 8, 3
	v_ffbh_u32_e32 v15, v12
	v_min_u32_e32 v15, 32, v15
	v_lshrrev_b16_e32 v14, 3, v13
	v_subrev_u32_e32 v16, 28, v15
	v_and_b32_e32 v14, 15, v14
	v_lshlrev_b32_e32 v13, v16, v13
	v_sub_u32_e32 v15, 29, v15
	v_and_b32_e32 v13, 7, v13
	v_cmp_eq_u16_e32 vcc, 0, v14
	v_cndmask_b32_e32 v12, v12, v13, vcc
	v_cndmask_b32_e32 v13, v14, v15, vcc
	v_lshlrev_b32_e32 v14, 16, v6
	v_mov_b32_e32 v15, 0x3b800000
	v_lshlrev_b32_e32 v12, 20, v12
	v_and_b32_e32 v14, 0x80000000, v14
	v_lshl_add_u32 v13, v13, 23, v15
	v_or3_b32 v12, v14, v13, v12
.LBB1_3852:
	s_or_b64 exec, exec, s[6:7]
	v_lshrrev_b32_e32 v13, 8, v2
	s_movk_i32 s4, 0x7f
	v_cmp_gt_i16_sdwa s[6:7], v13, s4 src0_sel:BYTE_0 src1_sel:DWORD
	s_mov_b64 s[4:5], 0
                                        ; implicit-def: $sgpr10
	s_and_saveexec_b64 s[8:9], s[6:7]
	s_xor_b64 s[6:7], exec, s[8:9]
	s_cbranch_execz .LBB1_3853
; %bb.39693:
	s_getpc_b64 s[14:15]
.Lpost_getpc5510:
	s_add_u32 s14, s14, (.LBB1_18189-.Lpost_getpc5510)&4294967295
	s_addc_u32 s15, s15, (.LBB1_18189-.Lpost_getpc5510)>>32
	s_setpc_b64 s[14:15]
.LBB1_3853:
	s_or_saveexec_b64 s[6:7], s[6:7]
	v_mov_b32_e32 v14, s10
	s_xor_b64 exec, exec, s[6:7]
	s_cbranch_execz .LBB1_3854
; %bb.39695:
	s_getpc_b64 s[14:15]
.Lpost_getpc5511:
	s_add_u32 s14, s14, (.LBB1_18192-.Lpost_getpc5511)&4294967295
	s_addc_u32 s15, s15, (.LBB1_18192-.Lpost_getpc5511)>>32
	s_setpc_b64 s[14:15]
.LBB1_3854:
	s_or_b64 exec, exec, s[6:7]
	s_and_saveexec_b64 s[6:7], s[4:5]
	s_cbranch_execz .LBB1_3856
.LBB1_3855:
	v_bfe_u32 v14, v2, 8, 3
	v_ffbh_u32_e32 v16, v14
	v_min_u32_e32 v16, 32, v16
	v_lshrrev_b16_e32 v15, 3, v13
	v_subrev_u32_e32 v17, 28, v16
	v_and_b32_e32 v15, 15, v15
	v_lshlrev_b32_e32 v13, v17, v13
	v_sub_u32_e32 v16, 29, v16
	v_and_b32_e32 v13, 7, v13
	v_cmp_eq_u16_e32 vcc, 0, v15
	v_cndmask_b32_e32 v13, v14, v13, vcc
	v_cndmask_b32_e32 v14, v15, v16, vcc
	v_lshlrev_b32_e32 v15, 16, v2
	v_mov_b32_e32 v16, 0x3b800000
	v_lshlrev_b32_e32 v13, 20, v13
	v_and_b32_e32 v15, 0x80000000, v15
	v_lshl_add_u32 v14, v14, 23, v16
	v_or3_b32 v14, v15, v14, v13
.LBB1_3856:
	s_or_b64 exec, exec, s[6:7]
	s_nop 0
	v_mfma_f32_16x16x4f32 a[0:3], v12, v14, a[0:3]
	s_movk_i32 s4, 0xff
	v_and_b32_sdwa v13, v6, s4 dst_sel:DWORD dst_unused:UNUSED_PAD src0_sel:WORD_1 src1_sel:DWORD
	s_movk_i32 s4, 0x7f
	v_cmp_lt_i16_e32 vcc, s4, v13
	s_mov_b64 s[4:5], 0
                                        ; implicit-def: $sgpr10
	s_and_saveexec_b64 s[6:7], vcc
	s_xor_b64 s[6:7], exec, s[6:7]
	s_cbranch_execz .LBB1_3857
; %bb.39697:
	s_getpc_b64 s[14:15]
.Lpost_getpc5512:
	s_add_u32 s14, s14, (.LBB1_18193-.Lpost_getpc5512)&4294967295
	s_addc_u32 s15, s15, (.LBB1_18193-.Lpost_getpc5512)>>32
	s_setpc_b64 s[14:15]
.LBB1_3857:
	s_or_saveexec_b64 s[6:7], s[6:7]
	v_mov_b32_e32 v12, s10
	s_xor_b64 exec, exec, s[6:7]
	s_cbranch_execz .LBB1_3858
; %bb.39699:
	s_getpc_b64 s[14:15]
.Lpost_getpc5513:
	s_add_u32 s14, s14, (.LBB1_18196-.Lpost_getpc5513)&4294967295
	s_addc_u32 s15, s15, (.LBB1_18196-.Lpost_getpc5513)>>32
	s_setpc_b64 s[14:15]
.LBB1_3858:
	s_or_b64 exec, exec, s[6:7]
	s_and_saveexec_b64 s[6:7], s[4:5]
	s_cbranch_execz .LBB1_3860
.LBB1_3859:
	v_bfe_u32 v12, v6, 16, 3
	v_ffbh_u32_e32 v15, v12
	v_min_u32_e32 v15, 32, v15
	v_lshrrev_b32_e32 v13, 19, v6
	v_subrev_u32_e32 v16, 28, v15
	v_and_b32_e32 v13, 15, v13
	v_lshlrev_b32_sdwa v16, v16, v6 dst_sel:DWORD dst_unused:UNUSED_PAD src0_sel:DWORD src1_sel:WORD_1
	v_bfe_u32 v14, v6, 19, 4
	v_sub_u32_e32 v15, 29, v15
	v_and_b32_e32 v16, 7, v16
	v_cmp_eq_u16_e32 vcc, 0, v13
	v_cndmask_b32_e32 v12, v12, v16, vcc
	v_cndmask_b32_e32 v13, v14, v15, vcc
	v_lshlrev_b32_e32 v14, 8, v6
	v_mov_b32_e32 v15, 0x3b800000
	v_lshlrev_b32_e32 v12, 20, v12
	v_and_b32_e32 v14, 0x80000000, v14
	v_lshl_add_u32 v13, v13, 23, v15
	v_or3_b32 v12, v14, v13, v12
.LBB1_3860:
	s_or_b64 exec, exec, s[6:7]
	s_movk_i32 s4, 0xff
	v_and_b32_sdwa v13, v2, s4 dst_sel:DWORD dst_unused:UNUSED_PAD src0_sel:WORD_1 src1_sel:DWORD
	s_movk_i32 s4, 0x7f
	v_cmp_lt_i16_e32 vcc, s4, v13
	s_mov_b64 s[4:5], 0
                                        ; implicit-def: $sgpr10
	s_and_saveexec_b64 s[6:7], vcc
	s_xor_b64 s[6:7], exec, s[6:7]
	s_cbranch_execz .LBB1_3861
; %bb.39701:
	s_getpc_b64 s[14:15]
.Lpost_getpc5514:
	s_add_u32 s14, s14, (.LBB1_18197-.Lpost_getpc5514)&4294967295
	s_addc_u32 s15, s15, (.LBB1_18197-.Lpost_getpc5514)>>32
	s_setpc_b64 s[14:15]
.LBB1_3861:
	s_or_saveexec_b64 s[6:7], s[6:7]
	v_mov_b32_e32 v14, s10
	s_xor_b64 exec, exec, s[6:7]
	s_cbranch_execz .LBB1_3862
; %bb.39703:
	s_getpc_b64 s[14:15]
.Lpost_getpc5515:
	s_add_u32 s14, s14, (.LBB1_18200-.Lpost_getpc5515)&4294967295
	s_addc_u32 s15, s15, (.LBB1_18200-.Lpost_getpc5515)>>32
	s_setpc_b64 s[14:15]
.LBB1_3862:
	s_or_b64 exec, exec, s[6:7]
	s_and_saveexec_b64 s[6:7], s[4:5]
	s_cbranch_execz .LBB1_3864
.LBB1_3863:
	v_bfe_u32 v13, v2, 16, 3
	v_ffbh_u32_e32 v16, v13
	v_min_u32_e32 v16, 32, v16
	v_lshrrev_b32_e32 v14, 19, v2
	v_subrev_u32_e32 v17, 28, v16
	v_and_b32_e32 v14, 15, v14
	v_lshlrev_b32_sdwa v17, v17, v2 dst_sel:DWORD dst_unused:UNUSED_PAD src0_sel:DWORD src1_sel:WORD_1
	v_bfe_u32 v15, v2, 19, 4
	v_sub_u32_e32 v16, 29, v16
	v_and_b32_e32 v17, 7, v17
	v_cmp_eq_u16_e32 vcc, 0, v14
	v_cndmask_b32_e32 v13, v13, v17, vcc
	v_cndmask_b32_e32 v14, v15, v16, vcc
	v_lshlrev_b32_e32 v15, 8, v2
	v_mov_b32_e32 v16, 0x3b800000
	v_lshlrev_b32_e32 v13, 20, v13
	v_and_b32_e32 v15, 0x80000000, v15
	v_lshl_add_u32 v14, v14, 23, v16
	v_or3_b32 v14, v15, v14, v13
.LBB1_3864:
	s_or_b64 exec, exec, s[6:7]
	s_nop 0
	v_mfma_f32_16x16x4f32 a[0:3], v12, v14, a[0:3]
	s_movk_i32 s4, 0x7f
	v_cmp_gt_i16_sdwa s[6:7], v6, s4 src0_sel:BYTE_3 src1_sel:DWORD
	s_mov_b64 s[4:5], 0
                                        ; implicit-def: $sgpr10
	s_and_saveexec_b64 s[8:9], s[6:7]
	s_xor_b64 s[6:7], exec, s[8:9]
	s_cbranch_execz .LBB1_3865
; %bb.39705:
	s_getpc_b64 s[14:15]
.Lpost_getpc5516:
	s_add_u32 s14, s14, (.LBB1_18201-.Lpost_getpc5516)&4294967295
	s_addc_u32 s15, s15, (.LBB1_18201-.Lpost_getpc5516)>>32
	s_setpc_b64 s[14:15]
.LBB1_3865:
	s_or_saveexec_b64 s[6:7], s[6:7]
	v_mov_b32_e32 v12, s10
	s_xor_b64 exec, exec, s[6:7]
	s_cbranch_execz .LBB1_3866
; %bb.39707:
	s_getpc_b64 s[14:15]
.Lpost_getpc5517:
	s_add_u32 s14, s14, (.LBB1_18204-.Lpost_getpc5517)&4294967295
	s_addc_u32 s15, s15, (.LBB1_18204-.Lpost_getpc5517)>>32
	s_setpc_b64 s[14:15]
.LBB1_3866:
	s_or_b64 exec, exec, s[6:7]
	s_and_saveexec_b64 s[6:7], s[4:5]
	s_cbranch_execz .LBB1_3868
.LBB1_3867:
	v_bfe_u32 v12, v6, 24, 3
	v_ffbh_u32_e32 v16, v12
	v_min_u32_e32 v16, 32, v16
	v_lshrrev_b32_e32 v14, 27, v6
	v_subrev_u32_e32 v17, 28, v16
	v_and_b32_e32 v13, 0x80000000, v6
	v_and_b32_e32 v14, 15, v14
	v_bfe_u32 v15, v6, 27, 4
	v_lshlrev_b32_sdwa v6, v17, v6 dst_sel:DWORD dst_unused:UNUSED_PAD src0_sel:DWORD src1_sel:BYTE_3
	v_sub_u32_e32 v16, 29, v16
	v_and_b32_e32 v6, 7, v6
	v_cmp_eq_u16_e32 vcc, 0, v14
	v_cndmask_b32_e32 v6, v12, v6, vcc
	v_cndmask_b32_e32 v12, v15, v16, vcc
	v_mov_b32_e32 v14, 0x3b800000
	v_lshlrev_b32_e32 v6, 20, v6
	v_lshl_add_u32 v12, v12, 23, v14
	v_or3_b32 v12, v13, v12, v6
.LBB1_3868:
	s_or_b64 exec, exec, s[6:7]
	s_movk_i32 s4, 0x7f
	v_cmp_gt_i16_sdwa s[6:7], v2, s4 src0_sel:BYTE_3 src1_sel:DWORD
	s_mov_b64 s[4:5], 0
                                        ; implicit-def: $sgpr10
	s_and_saveexec_b64 s[8:9], s[6:7]
	s_xor_b64 s[6:7], exec, s[8:9]
	s_cbranch_execz .LBB1_3869
; %bb.39709:
	s_getpc_b64 s[14:15]
.Lpost_getpc5518:
	s_add_u32 s14, s14, (.LBB1_18205-.Lpost_getpc5518)&4294967295
	s_addc_u32 s15, s15, (.LBB1_18205-.Lpost_getpc5518)>>32
	s_setpc_b64 s[14:15]
.LBB1_3869:
	s_or_saveexec_b64 s[6:7], s[6:7]
	v_mov_b32_e32 v6, s10
	s_xor_b64 exec, exec, s[6:7]
	s_cbranch_execz .LBB1_3870
; %bb.39711:
	s_getpc_b64 s[14:15]
.Lpost_getpc5519:
	s_add_u32 s14, s14, (.LBB1_18208-.Lpost_getpc5519)&4294967295
	s_addc_u32 s15, s15, (.LBB1_18208-.Lpost_getpc5519)>>32
	s_setpc_b64 s[14:15]
.LBB1_3870:
	s_or_b64 exec, exec, s[6:7]
	s_and_saveexec_b64 s[6:7], s[4:5]
	s_cbranch_execz .LBB1_3872
.LBB1_3871:
	v_bfe_u32 v6, v2, 24, 3
	v_ffbh_u32_e32 v16, v6
	v_min_u32_e32 v16, 32, v16
	v_lshrrev_b32_e32 v14, 27, v2
	v_subrev_u32_e32 v17, 28, v16
	v_and_b32_e32 v13, 0x80000000, v2
	v_and_b32_e32 v14, 15, v14
	v_bfe_u32 v15, v2, 27, 4
	v_lshlrev_b32_sdwa v2, v17, v2 dst_sel:DWORD dst_unused:UNUSED_PAD src0_sel:DWORD src1_sel:BYTE_3
	v_sub_u32_e32 v16, 29, v16
	v_and_b32_e32 v2, 7, v2
	v_cmp_eq_u16_e32 vcc, 0, v14
	v_cndmask_b32_e32 v2, v6, v2, vcc
	v_cndmask_b32_e32 v6, v15, v16, vcc
	v_mov_b32_e32 v14, 0x3b800000
	v_lshlrev_b32_e32 v2, 20, v2
	v_lshl_add_u32 v6, v6, 23, v14
	v_or3_b32 v6, v13, v6, v2
.LBB1_3872:
	s_or_b64 exec, exec, s[6:7]
	s_nop 0
	v_mfma_f32_16x16x4f32 a[0:3], v12, v6, a[0:3]
	s_movk_i32 s4, 0x7f
	v_cmp_gt_i16_sdwa s[6:7], v7, s4 src0_sel:BYTE_0 src1_sel:DWORD
	s_mov_b64 s[4:5], 0
                                        ; implicit-def: $sgpr10
	s_and_saveexec_b64 s[8:9], s[6:7]
	s_xor_b64 s[6:7], exec, s[8:9]
	s_cbranch_execz .LBB1_3873
; %bb.39713:
	s_getpc_b64 s[14:15]
.Lpost_getpc5520:
	s_add_u32 s14, s14, (.LBB1_18209-.Lpost_getpc5520)&4294967295
	s_addc_u32 s15, s15, (.LBB1_18209-.Lpost_getpc5520)>>32
	s_setpc_b64 s[14:15]
.LBB1_3873:
	s_or_saveexec_b64 s[6:7], s[6:7]
	v_mov_b32_e32 v2, s10
	s_xor_b64 exec, exec, s[6:7]
	s_cbranch_execz .LBB1_3874
; %bb.39715:
	s_getpc_b64 s[14:15]
.Lpost_getpc5521:
	s_add_u32 s14, s14, (.LBB1_18212-.Lpost_getpc5521)&4294967295
	s_addc_u32 s15, s15, (.LBB1_18212-.Lpost_getpc5521)>>32
	s_setpc_b64 s[14:15]
.LBB1_3874:
	s_or_b64 exec, exec, s[6:7]
	s_and_saveexec_b64 s[6:7], s[4:5]
	s_cbranch_execz .LBB1_3876
.LBB1_3875:
	v_and_b32_e32 v2, 7, v7
	v_ffbh_u32_e32 v12, v2
	v_min_u32_e32 v12, 32, v12
	v_lshrrev_b16_e32 v6, 3, v7
	v_subrev_u32_e32 v13, 28, v12
	v_and_b32_e32 v6, 15, v6
	v_lshlrev_b32_e32 v13, v13, v7
	v_sub_u32_e32 v12, 29, v12
	v_and_b32_e32 v13, 7, v13
	v_cmp_eq_u16_e32 vcc, 0, v6
	v_cndmask_b32_e32 v2, v2, v13, vcc
	v_cndmask_b32_e32 v6, v6, v12, vcc
	v_lshlrev_b32_e32 v12, 24, v7
	v_mov_b32_e32 v13, 0x3b800000
	v_lshlrev_b32_e32 v2, 20, v2
	v_and_b32_e32 v12, 0x80000000, v12
	v_lshl_add_u32 v6, v6, 23, v13
	v_or3_b32 v2, v12, v6, v2
.LBB1_3876:
	s_or_b64 exec, exec, s[6:7]
	s_movk_i32 s4, 0x7f
	v_cmp_gt_i16_sdwa s[6:7], v3, s4 src0_sel:BYTE_0 src1_sel:DWORD
	s_mov_b64 s[4:5], 0
                                        ; implicit-def: $sgpr10
	s_and_saveexec_b64 s[8:9], s[6:7]
	s_xor_b64 s[6:7], exec, s[8:9]
	s_cbranch_execz .LBB1_3877
; %bb.39717:
	s_getpc_b64 s[14:15]
.Lpost_getpc5522:
	s_add_u32 s14, s14, (.LBB1_18213-.Lpost_getpc5522)&4294967295
	s_addc_u32 s15, s15, (.LBB1_18213-.Lpost_getpc5522)>>32
	s_setpc_b64 s[14:15]
.LBB1_3877:
	s_or_saveexec_b64 s[6:7], s[6:7]
	v_mov_b32_e32 v6, s10
	s_xor_b64 exec, exec, s[6:7]
	s_cbranch_execz .LBB1_3878
; %bb.39719:
	s_getpc_b64 s[14:15]
.Lpost_getpc5523:
	s_add_u32 s14, s14, (.LBB1_18216-.Lpost_getpc5523)&4294967295
	s_addc_u32 s15, s15, (.LBB1_18216-.Lpost_getpc5523)>>32
	s_setpc_b64 s[14:15]
.LBB1_3878:
	s_or_b64 exec, exec, s[6:7]
	s_and_saveexec_b64 s[6:7], s[4:5]
	s_cbranch_execz .LBB1_3880
.LBB1_3879:
	v_and_b32_e32 v6, 7, v3
	v_ffbh_u32_e32 v13, v6
	v_min_u32_e32 v13, 32, v13
	v_lshrrev_b16_e32 v12, 3, v3
	v_subrev_u32_e32 v14, 28, v13
	v_and_b32_e32 v12, 15, v12
	v_lshlrev_b32_e32 v14, v14, v3
	v_sub_u32_e32 v13, 29, v13
	v_and_b32_e32 v14, 7, v14
	v_cmp_eq_u16_e32 vcc, 0, v12
	v_cndmask_b32_e32 v6, v6, v14, vcc
	v_cndmask_b32_e32 v12, v12, v13, vcc
	v_lshlrev_b32_e32 v13, 24, v3
	v_mov_b32_e32 v14, 0x3b800000
	v_lshlrev_b32_e32 v6, 20, v6
	v_and_b32_e32 v13, 0x80000000, v13
	v_lshl_add_u32 v12, v12, 23, v14
	v_or3_b32 v6, v13, v12, v6
.LBB1_3880:
	s_or_b64 exec, exec, s[6:7]
	s_nop 0
	v_mfma_f32_16x16x4f32 a[0:3], v2, v6, a[0:3]
	v_lshrrev_b32_e32 v6, 8, v7
	s_movk_i32 s4, 0x7f
	v_cmp_gt_i16_sdwa s[6:7], v6, s4 src0_sel:BYTE_0 src1_sel:DWORD
	s_mov_b64 s[4:5], 0
                                        ; implicit-def: $sgpr10
	s_and_saveexec_b64 s[8:9], s[6:7]
	s_xor_b64 s[6:7], exec, s[8:9]
	s_cbranch_execz .LBB1_3881
; %bb.39721:
	s_getpc_b64 s[14:15]
.Lpost_getpc5524:
	s_add_u32 s14, s14, (.LBB1_18217-.Lpost_getpc5524)&4294967295
	s_addc_u32 s15, s15, (.LBB1_18217-.Lpost_getpc5524)>>32
	s_setpc_b64 s[14:15]
.LBB1_3881:
	s_or_saveexec_b64 s[6:7], s[6:7]
	v_mov_b32_e32 v2, s10
	s_xor_b64 exec, exec, s[6:7]
	s_cbranch_execz .LBB1_3882
; %bb.39723:
	s_getpc_b64 s[14:15]
.Lpost_getpc5525:
	s_add_u32 s14, s14, (.LBB1_18220-.Lpost_getpc5525)&4294967295
	s_addc_u32 s15, s15, (.LBB1_18220-.Lpost_getpc5525)>>32
	s_setpc_b64 s[14:15]
.LBB1_3882:
	s_or_b64 exec, exec, s[6:7]
	s_and_saveexec_b64 s[6:7], s[4:5]
	s_cbranch_execz .LBB1_3884
.LBB1_3883:
	v_bfe_u32 v2, v7, 8, 3
	v_ffbh_u32_e32 v13, v2
	v_min_u32_e32 v13, 32, v13
	v_lshrrev_b16_e32 v12, 3, v6
	v_subrev_u32_e32 v14, 28, v13
	v_and_b32_e32 v12, 15, v12
	v_lshlrev_b32_e32 v6, v14, v6
	v_sub_u32_e32 v13, 29, v13
	v_and_b32_e32 v6, 7, v6
	v_cmp_eq_u16_e32 vcc, 0, v12
	v_cndmask_b32_e32 v2, v2, v6, vcc
	v_cndmask_b32_e32 v6, v12, v13, vcc
	v_lshlrev_b32_e32 v12, 16, v7
	v_mov_b32_e32 v13, 0x3b800000
	v_lshlrev_b32_e32 v2, 20, v2
	v_and_b32_e32 v12, 0x80000000, v12
	v_lshl_add_u32 v6, v6, 23, v13
	v_or3_b32 v2, v12, v6, v2
.LBB1_3884:
	s_or_b64 exec, exec, s[6:7]
	v_lshrrev_b32_e32 v6, 8, v3
	s_movk_i32 s4, 0x7f
	v_cmp_gt_i16_sdwa s[6:7], v6, s4 src0_sel:BYTE_0 src1_sel:DWORD
	s_mov_b64 s[4:5], 0
                                        ; implicit-def: $sgpr10
	s_and_saveexec_b64 s[8:9], s[6:7]
	s_xor_b64 s[6:7], exec, s[8:9]
	s_cbranch_execz .LBB1_3885
; %bb.39725:
	s_getpc_b64 s[14:15]
.Lpost_getpc5526:
	s_add_u32 s14, s14, (.LBB1_18221-.Lpost_getpc5526)&4294967295
	s_addc_u32 s15, s15, (.LBB1_18221-.Lpost_getpc5526)>>32
	s_setpc_b64 s[14:15]
.LBB1_3885:
	s_or_saveexec_b64 s[6:7], s[6:7]
	v_mov_b32_e32 v12, s10
	s_xor_b64 exec, exec, s[6:7]
	s_cbranch_execz .LBB1_3886
; %bb.39727:
	s_getpc_b64 s[14:15]
.Lpost_getpc5527:
	s_add_u32 s14, s14, (.LBB1_18224-.Lpost_getpc5527)&4294967295
	s_addc_u32 s15, s15, (.LBB1_18224-.Lpost_getpc5527)>>32
	s_setpc_b64 s[14:15]
.LBB1_3886:
	s_or_b64 exec, exec, s[6:7]
	s_and_saveexec_b64 s[6:7], s[4:5]
	s_cbranch_execz .LBB1_3888
.LBB1_3887:
	v_bfe_u32 v12, v3, 8, 3
	v_ffbh_u32_e32 v14, v12
	v_min_u32_e32 v14, 32, v14
	v_lshrrev_b16_e32 v13, 3, v6
	v_subrev_u32_e32 v15, 28, v14
	v_and_b32_e32 v13, 15, v13
	v_lshlrev_b32_e32 v6, v15, v6
	v_sub_u32_e32 v14, 29, v14
	v_and_b32_e32 v6, 7, v6
	v_cmp_eq_u16_e32 vcc, 0, v13
	v_cndmask_b32_e32 v6, v12, v6, vcc
	v_cndmask_b32_e32 v12, v13, v14, vcc
	v_lshlrev_b32_e32 v13, 16, v3
	v_mov_b32_e32 v14, 0x3b800000
	v_lshlrev_b32_e32 v6, 20, v6
	v_and_b32_e32 v13, 0x80000000, v13
	v_lshl_add_u32 v12, v12, 23, v14
	v_or3_b32 v12, v13, v12, v6
.LBB1_3888:
	s_or_b64 exec, exec, s[6:7]
	s_nop 0
	v_mfma_f32_16x16x4f32 a[0:3], v2, v12, a[0:3]
	s_movk_i32 s4, 0xff
	v_and_b32_sdwa v6, v7, s4 dst_sel:DWORD dst_unused:UNUSED_PAD src0_sel:WORD_1 src1_sel:DWORD
	s_movk_i32 s4, 0x7f
	v_cmp_lt_i16_e32 vcc, s4, v6
	s_mov_b64 s[4:5], 0
                                        ; implicit-def: $sgpr10
	s_and_saveexec_b64 s[6:7], vcc
	s_xor_b64 s[6:7], exec, s[6:7]
	s_cbranch_execz .LBB1_3889
; %bb.39729:
	s_getpc_b64 s[14:15]
.Lpost_getpc5528:
	s_add_u32 s14, s14, (.LBB1_18225-.Lpost_getpc5528)&4294967295
	s_addc_u32 s15, s15, (.LBB1_18225-.Lpost_getpc5528)>>32
	s_setpc_b64 s[14:15]
.LBB1_3889:
	s_or_saveexec_b64 s[6:7], s[6:7]
	v_mov_b32_e32 v2, s10
	s_xor_b64 exec, exec, s[6:7]
	s_cbranch_execz .LBB1_3890
; %bb.39731:
	s_getpc_b64 s[14:15]
.Lpost_getpc5529:
	s_add_u32 s14, s14, (.LBB1_18228-.Lpost_getpc5529)&4294967295
	s_addc_u32 s15, s15, (.LBB1_18228-.Lpost_getpc5529)>>32
	s_setpc_b64 s[14:15]
.LBB1_3890:
	s_or_b64 exec, exec, s[6:7]
	s_and_saveexec_b64 s[6:7], s[4:5]
	s_cbranch_execz .LBB1_3892
.LBB1_3891:
	v_bfe_u32 v2, v7, 16, 3
	v_ffbh_u32_e32 v13, v2
	v_min_u32_e32 v13, 32, v13
	v_lshrrev_b32_e32 v6, 19, v7
	v_subrev_u32_e32 v14, 28, v13
	v_and_b32_e32 v6, 15, v6
	v_lshlrev_b32_sdwa v14, v14, v7 dst_sel:DWORD dst_unused:UNUSED_PAD src0_sel:DWORD src1_sel:WORD_1
	v_bfe_u32 v12, v7, 19, 4
	v_sub_u32_e32 v13, 29, v13
	v_and_b32_e32 v14, 7, v14
	v_cmp_eq_u16_e32 vcc, 0, v6
	v_cndmask_b32_e32 v2, v2, v14, vcc
	v_cndmask_b32_e32 v6, v12, v13, vcc
	v_lshlrev_b32_e32 v12, 8, v7
	v_mov_b32_e32 v13, 0x3b800000
	v_lshlrev_b32_e32 v2, 20, v2
	v_and_b32_e32 v12, 0x80000000, v12
	v_lshl_add_u32 v6, v6, 23, v13
	v_or3_b32 v2, v12, v6, v2
.LBB1_3892:
	s_or_b64 exec, exec, s[6:7]
	s_movk_i32 s4, 0xff
	v_and_b32_sdwa v6, v3, s4 dst_sel:DWORD dst_unused:UNUSED_PAD src0_sel:WORD_1 src1_sel:DWORD
	s_movk_i32 s4, 0x7f
	v_cmp_lt_i16_e32 vcc, s4, v6
	s_mov_b64 s[4:5], 0
                                        ; implicit-def: $sgpr10
	s_and_saveexec_b64 s[6:7], vcc
	s_xor_b64 s[6:7], exec, s[6:7]
	s_cbranch_execz .LBB1_3893
; %bb.39733:
	s_getpc_b64 s[14:15]
.Lpost_getpc5530:
	s_add_u32 s14, s14, (.LBB1_18229-.Lpost_getpc5530)&4294967295
	s_addc_u32 s15, s15, (.LBB1_18229-.Lpost_getpc5530)>>32
	s_setpc_b64 s[14:15]
.LBB1_3893:
	s_or_saveexec_b64 s[6:7], s[6:7]
	v_mov_b32_e32 v12, s10
	s_xor_b64 exec, exec, s[6:7]
	s_cbranch_execz .LBB1_3894
; %bb.39735:
	s_getpc_b64 s[14:15]
.Lpost_getpc5531:
	s_add_u32 s14, s14, (.LBB1_18232-.Lpost_getpc5531)&4294967295
	s_addc_u32 s15, s15, (.LBB1_18232-.Lpost_getpc5531)>>32
	s_setpc_b64 s[14:15]
.LBB1_3894:
	s_or_b64 exec, exec, s[6:7]
	s_and_saveexec_b64 s[6:7], s[4:5]
	s_cbranch_execz .LBB1_3896
.LBB1_3895:
	v_bfe_u32 v6, v3, 16, 3
	v_ffbh_u32_e32 v14, v6
	v_min_u32_e32 v14, 32, v14
	v_lshrrev_b32_e32 v12, 19, v3
	v_subrev_u32_e32 v15, 28, v14
	v_and_b32_e32 v12, 15, v12
	v_lshlrev_b32_sdwa v15, v15, v3 dst_sel:DWORD dst_unused:UNUSED_PAD src0_sel:DWORD src1_sel:WORD_1
	v_bfe_u32 v13, v3, 19, 4
	v_sub_u32_e32 v14, 29, v14
	v_and_b32_e32 v15, 7, v15
	v_cmp_eq_u16_e32 vcc, 0, v12
	v_cndmask_b32_e32 v6, v6, v15, vcc
	v_cndmask_b32_e32 v12, v13, v14, vcc
	v_lshlrev_b32_e32 v13, 8, v3
	v_mov_b32_e32 v14, 0x3b800000
	v_lshlrev_b32_e32 v6, 20, v6
	v_and_b32_e32 v13, 0x80000000, v13
	v_lshl_add_u32 v12, v12, 23, v14
	v_or3_b32 v12, v13, v12, v6
.LBB1_3896:
	s_or_b64 exec, exec, s[6:7]
	s_nop 0
	v_mfma_f32_16x16x4f32 a[0:3], v2, v12, a[0:3]
	s_movk_i32 s4, 0x7f
	v_cmp_gt_i16_sdwa s[6:7], v7, s4 src0_sel:BYTE_3 src1_sel:DWORD
	s_mov_b64 s[4:5], 0
                                        ; implicit-def: $sgpr10
	s_and_saveexec_b64 s[8:9], s[6:7]
	s_xor_b64 s[6:7], exec, s[8:9]
	s_cbranch_execz .LBB1_3897
; %bb.39737:
	s_getpc_b64 s[14:15]
.Lpost_getpc5532:
	s_add_u32 s14, s14, (.LBB1_18233-.Lpost_getpc5532)&4294967295
	s_addc_u32 s15, s15, (.LBB1_18233-.Lpost_getpc5532)>>32
	s_setpc_b64 s[14:15]
.LBB1_3897:
	s_or_saveexec_b64 s[6:7], s[6:7]
	v_mov_b32_e32 v2, s10
	s_xor_b64 exec, exec, s[6:7]
	s_cbranch_execz .LBB1_3898
; %bb.39739:
	s_getpc_b64 s[14:15]
.Lpost_getpc5533:
	s_add_u32 s14, s14, (.LBB1_18236-.Lpost_getpc5533)&4294967295
	s_addc_u32 s15, s15, (.LBB1_18236-.Lpost_getpc5533)>>32
	s_setpc_b64 s[14:15]
.LBB1_3898:
	s_or_b64 exec, exec, s[6:7]
	s_and_saveexec_b64 s[6:7], s[4:5]
	s_cbranch_execz .LBB1_3900
.LBB1_3899:
	v_bfe_u32 v2, v7, 24, 3
	v_ffbh_u32_e32 v14, v2
	v_min_u32_e32 v14, 32, v14
	v_lshrrev_b32_e32 v12, 27, v7
	v_subrev_u32_e32 v15, 28, v14
	v_and_b32_e32 v6, 0x80000000, v7
	v_and_b32_e32 v12, 15, v12
	v_bfe_u32 v13, v7, 27, 4
	v_lshlrev_b32_sdwa v7, v15, v7 dst_sel:DWORD dst_unused:UNUSED_PAD src0_sel:DWORD src1_sel:BYTE_3
	v_sub_u32_e32 v14, 29, v14
	v_and_b32_e32 v7, 7, v7
	v_cmp_eq_u16_e32 vcc, 0, v12
	v_cndmask_b32_e32 v2, v2, v7, vcc
	v_cndmask_b32_e32 v7, v13, v14, vcc
	v_mov_b32_e32 v12, 0x3b800000
	v_lshlrev_b32_e32 v2, 20, v2
	v_lshl_add_u32 v7, v7, 23, v12
	v_or3_b32 v2, v6, v7, v2
.LBB1_3900:
	s_or_b64 exec, exec, s[6:7]
	s_movk_i32 s4, 0x7f
	v_cmp_gt_i16_sdwa s[6:7], v3, s4 src0_sel:BYTE_3 src1_sel:DWORD
	s_mov_b64 s[4:5], 0
                                        ; implicit-def: $sgpr10
	s_and_saveexec_b64 s[8:9], s[6:7]
	s_xor_b64 s[6:7], exec, s[8:9]
	s_cbranch_execz .LBB1_3901
; %bb.39741:
	s_getpc_b64 s[14:15]
.Lpost_getpc5534:
	s_add_u32 s14, s14, (.LBB1_18237-.Lpost_getpc5534)&4294967295
	s_addc_u32 s15, s15, (.LBB1_18237-.Lpost_getpc5534)>>32
	s_setpc_b64 s[14:15]
.LBB1_3901:
	s_or_saveexec_b64 s[6:7], s[6:7]
	v_mov_b32_e32 v6, s10
	s_xor_b64 exec, exec, s[6:7]
	s_cbranch_execz .LBB1_3902
; %bb.39743:
	s_getpc_b64 s[14:15]
.Lpost_getpc5535:
	s_add_u32 s14, s14, (.LBB1_18240-.Lpost_getpc5535)&4294967295
	s_addc_u32 s15, s15, (.LBB1_18240-.Lpost_getpc5535)>>32
	s_setpc_b64 s[14:15]
.LBB1_3902:
	s_or_b64 exec, exec, s[6:7]
	s_and_saveexec_b64 s[6:7], s[4:5]
	s_cbranch_execz .LBB1_3904
.LBB1_3903:
	v_bfe_u32 v6, v3, 24, 3
	v_ffbh_u32_e32 v14, v6
	v_min_u32_e32 v14, 32, v14
	v_lshrrev_b32_e32 v12, 27, v3
	v_subrev_u32_e32 v15, 28, v14
	v_and_b32_e32 v7, 0x80000000, v3
	v_and_b32_e32 v12, 15, v12
	v_bfe_u32 v13, v3, 27, 4
	v_lshlrev_b32_sdwa v3, v15, v3 dst_sel:DWORD dst_unused:UNUSED_PAD src0_sel:DWORD src1_sel:BYTE_3
	v_sub_u32_e32 v14, 29, v14
	v_and_b32_e32 v3, 7, v3
	v_cmp_eq_u16_e32 vcc, 0, v12
	v_cndmask_b32_e32 v3, v6, v3, vcc
	v_cndmask_b32_e32 v6, v13, v14, vcc
	v_mov_b32_e32 v12, 0x3b800000
	v_lshlrev_b32_e32 v3, 20, v3
	v_lshl_add_u32 v6, v6, 23, v12
	v_or3_b32 v6, v7, v6, v3
.LBB1_3904:
	s_or_b64 exec, exec, s[6:7]
	s_nop 0
	v_mfma_f32_16x16x4f32 a[0:3], v2, v6, a[0:3]
	s_movk_i32 s4, 0x7f
	v_cmp_gt_i16_sdwa s[6:7], v8, s4 src0_sel:BYTE_0 src1_sel:DWORD
	s_mov_b64 s[4:5], 0
                                        ; implicit-def: $sgpr10
	s_and_saveexec_b64 s[8:9], s[6:7]
	s_xor_b64 s[6:7], exec, s[8:9]
	s_cbranch_execz .LBB1_3905
; %bb.39745:
	s_getpc_b64 s[14:15]
.Lpost_getpc5536:
	s_add_u32 s14, s14, (.LBB1_18241-.Lpost_getpc5536)&4294967295
	s_addc_u32 s15, s15, (.LBB1_18241-.Lpost_getpc5536)>>32
	s_setpc_b64 s[14:15]
.LBB1_3905:
	s_or_saveexec_b64 s[6:7], s[6:7]
	v_mov_b32_e32 v2, s10
	s_xor_b64 exec, exec, s[6:7]
	s_cbranch_execz .LBB1_3906
; %bb.39747:
	s_getpc_b64 s[14:15]
.Lpost_getpc5537:
	s_add_u32 s14, s14, (.LBB1_18244-.Lpost_getpc5537)&4294967295
	s_addc_u32 s15, s15, (.LBB1_18244-.Lpost_getpc5537)>>32
	s_setpc_b64 s[14:15]
.LBB1_3906:
	s_or_b64 exec, exec, s[6:7]
	s_and_saveexec_b64 s[6:7], s[4:5]
	s_cbranch_execz .LBB1_3908
.LBB1_3907:
	v_and_b32_e32 v2, 7, v8
	v_ffbh_u32_e32 v6, v2
	v_min_u32_e32 v6, 32, v6
	v_lshrrev_b16_e32 v3, 3, v8
	v_subrev_u32_e32 v7, 28, v6
	v_and_b32_e32 v3, 15, v3
	v_lshlrev_b32_e32 v7, v7, v8
	v_sub_u32_e32 v6, 29, v6
	v_and_b32_e32 v7, 7, v7
	v_cmp_eq_u16_e32 vcc, 0, v3
	v_cndmask_b32_e32 v2, v2, v7, vcc
	v_cndmask_b32_e32 v3, v3, v6, vcc
	v_lshlrev_b32_e32 v6, 24, v8
	v_mov_b32_e32 v7, 0x3b800000
	v_lshlrev_b32_e32 v2, 20, v2
	v_and_b32_e32 v6, 0x80000000, v6
	v_lshl_add_u32 v3, v3, 23, v7
	v_or3_b32 v2, v6, v3, v2
.LBB1_3908:
	s_or_b64 exec, exec, s[6:7]
	s_movk_i32 s4, 0x7f
	v_cmp_gt_i16_sdwa s[6:7], v4, s4 src0_sel:BYTE_0 src1_sel:DWORD
	s_mov_b64 s[4:5], 0
                                        ; implicit-def: $sgpr10
	s_and_saveexec_b64 s[8:9], s[6:7]
	s_xor_b64 s[6:7], exec, s[8:9]
	s_cbranch_execz .LBB1_3909
; %bb.39749:
	s_getpc_b64 s[14:15]
.Lpost_getpc5538:
	s_add_u32 s14, s14, (.LBB1_18245-.Lpost_getpc5538)&4294967295
	s_addc_u32 s15, s15, (.LBB1_18245-.Lpost_getpc5538)>>32
	s_setpc_b64 s[14:15]
.LBB1_3909:
	s_or_saveexec_b64 s[6:7], s[6:7]
	v_mov_b32_e32 v3, s10
	s_xor_b64 exec, exec, s[6:7]
	s_cbranch_execz .LBB1_3910
; %bb.39751:
	s_getpc_b64 s[14:15]
.Lpost_getpc5539:
	s_add_u32 s14, s14, (.LBB1_18248-.Lpost_getpc5539)&4294967295
	s_addc_u32 s15, s15, (.LBB1_18248-.Lpost_getpc5539)>>32
	s_setpc_b64 s[14:15]
.LBB1_3910:
	s_or_b64 exec, exec, s[6:7]
	s_and_saveexec_b64 s[6:7], s[4:5]
	s_cbranch_execz .LBB1_3912
.LBB1_3911:
	v_and_b32_e32 v3, 7, v4
	v_ffbh_u32_e32 v7, v3
	v_min_u32_e32 v7, 32, v7
	v_lshrrev_b16_e32 v6, 3, v4
	v_subrev_u32_e32 v12, 28, v7
	v_and_b32_e32 v6, 15, v6
	v_lshlrev_b32_e32 v12, v12, v4
	v_sub_u32_e32 v7, 29, v7
	v_and_b32_e32 v12, 7, v12
	v_cmp_eq_u16_e32 vcc, 0, v6
	v_cndmask_b32_e32 v3, v3, v12, vcc
	v_cndmask_b32_e32 v6, v6, v7, vcc
	v_lshlrev_b32_e32 v7, 24, v4
	v_mov_b32_e32 v12, 0x3b800000
	v_lshlrev_b32_e32 v3, 20, v3
	v_and_b32_e32 v7, 0x80000000, v7
	v_lshl_add_u32 v6, v6, 23, v12
	v_or3_b32 v3, v7, v6, v3
.LBB1_3912:
	s_or_b64 exec, exec, s[6:7]
	s_nop 0
	v_mfma_f32_16x16x4f32 a[0:3], v2, v3, a[0:3]
	v_lshrrev_b32_e32 v3, 8, v8
	s_movk_i32 s4, 0x7f
	v_cmp_gt_i16_sdwa s[6:7], v3, s4 src0_sel:BYTE_0 src1_sel:DWORD
	s_mov_b64 s[4:5], 0
                                        ; implicit-def: $sgpr10
	s_and_saveexec_b64 s[8:9], s[6:7]
	s_xor_b64 s[6:7], exec, s[8:9]
	s_cbranch_execz .LBB1_3913
; %bb.39753:
	s_getpc_b64 s[14:15]
.Lpost_getpc5540:
	s_add_u32 s14, s14, (.LBB1_18249-.Lpost_getpc5540)&4294967295
	s_addc_u32 s15, s15, (.LBB1_18249-.Lpost_getpc5540)>>32
	s_setpc_b64 s[14:15]
.LBB1_3913:
	s_or_saveexec_b64 s[6:7], s[6:7]
	v_mov_b32_e32 v2, s10
	s_xor_b64 exec, exec, s[6:7]
	s_cbranch_execz .LBB1_3914
; %bb.39755:
	s_getpc_b64 s[14:15]
.Lpost_getpc5541:
	s_add_u32 s14, s14, (.LBB1_18252-.Lpost_getpc5541)&4294967295
	s_addc_u32 s15, s15, (.LBB1_18252-.Lpost_getpc5541)>>32
	s_setpc_b64 s[14:15]
.LBB1_3914:
	s_or_b64 exec, exec, s[6:7]
	s_and_saveexec_b64 s[6:7], s[4:5]
	s_cbranch_execz .LBB1_3916
.LBB1_3915:
	v_bfe_u32 v2, v8, 8, 3
	v_ffbh_u32_e32 v7, v2
	v_min_u32_e32 v7, 32, v7
	v_lshrrev_b16_e32 v6, 3, v3
	v_subrev_u32_e32 v12, 28, v7
	v_and_b32_e32 v6, 15, v6
	v_lshlrev_b32_e32 v3, v12, v3
	v_sub_u32_e32 v7, 29, v7
	v_and_b32_e32 v3, 7, v3
	v_cmp_eq_u16_e32 vcc, 0, v6
	v_cndmask_b32_e32 v2, v2, v3, vcc
	v_cndmask_b32_e32 v3, v6, v7, vcc
	v_lshlrev_b32_e32 v6, 16, v8
	v_mov_b32_e32 v7, 0x3b800000
	v_lshlrev_b32_e32 v2, 20, v2
	v_and_b32_e32 v6, 0x80000000, v6
	v_lshl_add_u32 v3, v3, 23, v7
	v_or3_b32 v2, v6, v3, v2
.LBB1_3916:
	s_or_b64 exec, exec, s[6:7]
	v_lshrrev_b32_e32 v3, 8, v4
	s_movk_i32 s4, 0x7f
	v_cmp_gt_i16_sdwa s[6:7], v3, s4 src0_sel:BYTE_0 src1_sel:DWORD
	s_mov_b64 s[4:5], 0
                                        ; implicit-def: $sgpr10
	s_and_saveexec_b64 s[8:9], s[6:7]
	s_xor_b64 s[6:7], exec, s[8:9]
	s_cbranch_execz .LBB1_3917
; %bb.39757:
	s_getpc_b64 s[14:15]
.Lpost_getpc5542:
	s_add_u32 s14, s14, (.LBB1_18253-.Lpost_getpc5542)&4294967295
	s_addc_u32 s15, s15, (.LBB1_18253-.Lpost_getpc5542)>>32
	s_setpc_b64 s[14:15]
.LBB1_3917:
	s_or_saveexec_b64 s[6:7], s[6:7]
	v_mov_b32_e32 v6, s10
	s_xor_b64 exec, exec, s[6:7]
	s_cbranch_execz .LBB1_3918
; %bb.39759:
	s_getpc_b64 s[14:15]
.Lpost_getpc5543:
	s_add_u32 s14, s14, (.LBB1_18256-.Lpost_getpc5543)&4294967295
	s_addc_u32 s15, s15, (.LBB1_18256-.Lpost_getpc5543)>>32
	s_setpc_b64 s[14:15]
.LBB1_3918:
	s_or_b64 exec, exec, s[6:7]
	s_and_saveexec_b64 s[6:7], s[4:5]
	s_cbranch_execz .LBB1_3920
.LBB1_3919:
	v_bfe_u32 v6, v4, 8, 3
	v_ffbh_u32_e32 v12, v6
	v_min_u32_e32 v12, 32, v12
	v_lshrrev_b16_e32 v7, 3, v3
	v_subrev_u32_e32 v13, 28, v12
	v_and_b32_e32 v7, 15, v7
	v_lshlrev_b32_e32 v3, v13, v3
	v_sub_u32_e32 v12, 29, v12
	v_and_b32_e32 v3, 7, v3
	v_cmp_eq_u16_e32 vcc, 0, v7
	v_cndmask_b32_e32 v3, v6, v3, vcc
	v_cndmask_b32_e32 v6, v7, v12, vcc
	v_lshlrev_b32_e32 v7, 16, v4
	v_mov_b32_e32 v12, 0x3b800000
	v_lshlrev_b32_e32 v3, 20, v3
	v_and_b32_e32 v7, 0x80000000, v7
	v_lshl_add_u32 v6, v6, 23, v12
	v_or3_b32 v6, v7, v6, v3
.LBB1_3920:
	s_or_b64 exec, exec, s[6:7]
	s_nop 0
	v_mfma_f32_16x16x4f32 a[0:3], v2, v6, a[0:3]
	s_movk_i32 s4, 0xff
	v_and_b32_sdwa v3, v8, s4 dst_sel:DWORD dst_unused:UNUSED_PAD src0_sel:WORD_1 src1_sel:DWORD
	s_movk_i32 s4, 0x7f
	v_cmp_lt_i16_e32 vcc, s4, v3
	s_mov_b64 s[4:5], 0
                                        ; implicit-def: $sgpr10
	s_and_saveexec_b64 s[6:7], vcc
	s_xor_b64 s[6:7], exec, s[6:7]
	s_cbranch_execz .LBB1_3921
; %bb.39761:
	s_getpc_b64 s[14:15]
.Lpost_getpc5544:
	s_add_u32 s14, s14, (.LBB1_18257-.Lpost_getpc5544)&4294967295
	s_addc_u32 s15, s15, (.LBB1_18257-.Lpost_getpc5544)>>32
	s_setpc_b64 s[14:15]
.LBB1_3921:
	s_or_saveexec_b64 s[6:7], s[6:7]
	v_mov_b32_e32 v2, s10
	s_xor_b64 exec, exec, s[6:7]
	s_cbranch_execz .LBB1_3922
; %bb.39763:
	s_getpc_b64 s[14:15]
.Lpost_getpc5545:
	s_add_u32 s14, s14, (.LBB1_18260-.Lpost_getpc5545)&4294967295
	s_addc_u32 s15, s15, (.LBB1_18260-.Lpost_getpc5545)>>32
	s_setpc_b64 s[14:15]
.LBB1_3922:
	s_or_b64 exec, exec, s[6:7]
	s_and_saveexec_b64 s[6:7], s[4:5]
	s_cbranch_execz .LBB1_3924
.LBB1_3923:
	v_bfe_u32 v2, v8, 16, 3
	v_ffbh_u32_e32 v7, v2
	v_min_u32_e32 v7, 32, v7
	v_lshrrev_b32_e32 v3, 19, v8
	v_subrev_u32_e32 v12, 28, v7
	v_and_b32_e32 v3, 15, v3
	v_lshlrev_b32_sdwa v12, v12, v8 dst_sel:DWORD dst_unused:UNUSED_PAD src0_sel:DWORD src1_sel:WORD_1
	v_bfe_u32 v6, v8, 19, 4
	v_sub_u32_e32 v7, 29, v7
	v_and_b32_e32 v12, 7, v12
	v_cmp_eq_u16_e32 vcc, 0, v3
	v_cndmask_b32_e32 v2, v2, v12, vcc
	v_cndmask_b32_e32 v3, v6, v7, vcc
	v_lshlrev_b32_e32 v6, 8, v8
	v_mov_b32_e32 v7, 0x3b800000
	v_lshlrev_b32_e32 v2, 20, v2
	v_and_b32_e32 v6, 0x80000000, v6
	v_lshl_add_u32 v3, v3, 23, v7
	v_or3_b32 v2, v6, v3, v2
.LBB1_3924:
	s_or_b64 exec, exec, s[6:7]
	s_movk_i32 s4, 0xff
	v_and_b32_sdwa v3, v4, s4 dst_sel:DWORD dst_unused:UNUSED_PAD src0_sel:WORD_1 src1_sel:DWORD
	s_movk_i32 s4, 0x7f
	v_cmp_lt_i16_e32 vcc, s4, v3
	s_mov_b64 s[4:5], 0
                                        ; implicit-def: $sgpr10
	s_and_saveexec_b64 s[6:7], vcc
	s_xor_b64 s[6:7], exec, s[6:7]
	s_cbranch_execz .LBB1_3925
; %bb.39765:
	s_getpc_b64 s[14:15]
.Lpost_getpc5546:
	s_add_u32 s14, s14, (.LBB1_18261-.Lpost_getpc5546)&4294967295
	s_addc_u32 s15, s15, (.LBB1_18261-.Lpost_getpc5546)>>32
	s_setpc_b64 s[14:15]
.LBB1_3925:
	s_or_saveexec_b64 s[6:7], s[6:7]
	v_mov_b32_e32 v6, s10
	s_xor_b64 exec, exec, s[6:7]
	s_cbranch_execz .LBB1_3926
; %bb.39767:
	s_getpc_b64 s[14:15]
.Lpost_getpc5547:
	s_add_u32 s14, s14, (.LBB1_18264-.Lpost_getpc5547)&4294967295
	s_addc_u32 s15, s15, (.LBB1_18264-.Lpost_getpc5547)>>32
	s_setpc_b64 s[14:15]
.LBB1_3926:
	s_or_b64 exec, exec, s[6:7]
	s_and_saveexec_b64 s[6:7], s[4:5]
	s_cbranch_execz .LBB1_3928
.LBB1_3927:
	v_bfe_u32 v3, v4, 16, 3
	v_ffbh_u32_e32 v12, v3
	v_min_u32_e32 v12, 32, v12
	v_lshrrev_b32_e32 v6, 19, v4
	v_subrev_u32_e32 v13, 28, v12
	v_and_b32_e32 v6, 15, v6
	v_lshlrev_b32_sdwa v13, v13, v4 dst_sel:DWORD dst_unused:UNUSED_PAD src0_sel:DWORD src1_sel:WORD_1
	v_bfe_u32 v7, v4, 19, 4
	v_sub_u32_e32 v12, 29, v12
	v_and_b32_e32 v13, 7, v13
	v_cmp_eq_u16_e32 vcc, 0, v6
	v_cndmask_b32_e32 v3, v3, v13, vcc
	v_cndmask_b32_e32 v6, v7, v12, vcc
	v_lshlrev_b32_e32 v7, 8, v4
	v_mov_b32_e32 v12, 0x3b800000
	v_lshlrev_b32_e32 v3, 20, v3
	v_and_b32_e32 v7, 0x80000000, v7
	v_lshl_add_u32 v6, v6, 23, v12
	v_or3_b32 v6, v7, v6, v3
.LBB1_3928:
	s_or_b64 exec, exec, s[6:7]
	s_nop 0
	v_mfma_f32_16x16x4f32 a[0:3], v2, v6, a[0:3]
	s_movk_i32 s4, 0x7f
	v_cmp_gt_i16_sdwa s[6:7], v8, s4 src0_sel:BYTE_3 src1_sel:DWORD
	s_mov_b64 s[4:5], 0
                                        ; implicit-def: $sgpr10
	s_and_saveexec_b64 s[8:9], s[6:7]
	s_xor_b64 s[6:7], exec, s[8:9]
	s_cbranch_execz .LBB1_3929
; %bb.39769:
	s_getpc_b64 s[14:15]
.Lpost_getpc5548:
	s_add_u32 s14, s14, (.LBB1_18265-.Lpost_getpc5548)&4294967295
	s_addc_u32 s15, s15, (.LBB1_18265-.Lpost_getpc5548)>>32
	s_setpc_b64 s[14:15]
.LBB1_3929:
	s_or_saveexec_b64 s[6:7], s[6:7]
	v_mov_b32_e32 v2, s10
	s_xor_b64 exec, exec, s[6:7]
	s_cbranch_execz .LBB1_3930
; %bb.39771:
	s_getpc_b64 s[14:15]
.Lpost_getpc5549:
	s_add_u32 s14, s14, (.LBB1_18268-.Lpost_getpc5549)&4294967295
	s_addc_u32 s15, s15, (.LBB1_18268-.Lpost_getpc5549)>>32
	s_setpc_b64 s[14:15]
.LBB1_3930:
	s_or_b64 exec, exec, s[6:7]
	s_and_saveexec_b64 s[6:7], s[4:5]
	s_cbranch_execz .LBB1_3932
.LBB1_3931:
	v_bfe_u32 v2, v8, 24, 3
	v_ffbh_u32_e32 v12, v2
	v_min_u32_e32 v12, 32, v12
	v_lshrrev_b32_e32 v6, 27, v8
	v_subrev_u32_e32 v13, 28, v12
	v_and_b32_e32 v3, 0x80000000, v8
	v_and_b32_e32 v6, 15, v6
	v_bfe_u32 v7, v8, 27, 4
	v_lshlrev_b32_sdwa v8, v13, v8 dst_sel:DWORD dst_unused:UNUSED_PAD src0_sel:DWORD src1_sel:BYTE_3
	v_sub_u32_e32 v12, 29, v12
	v_and_b32_e32 v8, 7, v8
	v_cmp_eq_u16_e32 vcc, 0, v6
	v_cndmask_b32_e32 v2, v2, v8, vcc
	v_cndmask_b32_e32 v6, v7, v12, vcc
	v_mov_b32_e32 v7, 0x3b800000
	v_lshlrev_b32_e32 v2, 20, v2
	v_lshl_add_u32 v6, v6, 23, v7
	v_or3_b32 v2, v3, v6, v2
.LBB1_3932:
	s_or_b64 exec, exec, s[6:7]
	s_movk_i32 s4, 0x7f
	v_cmp_gt_i16_sdwa s[6:7], v4, s4 src0_sel:BYTE_3 src1_sel:DWORD
	s_mov_b64 s[4:5], 0
                                        ; implicit-def: $sgpr10
	s_and_saveexec_b64 s[8:9], s[6:7]
	s_xor_b64 s[6:7], exec, s[8:9]
	s_cbranch_execz .LBB1_3933
; %bb.39773:
	s_getpc_b64 s[14:15]
.Lpost_getpc5550:
	s_add_u32 s14, s14, (.LBB1_18269-.Lpost_getpc5550)&4294967295
	s_addc_u32 s15, s15, (.LBB1_18269-.Lpost_getpc5550)>>32
	s_setpc_b64 s[14:15]
.LBB1_3933:
	s_or_saveexec_b64 s[6:7], s[6:7]
	v_mov_b32_e32 v3, s10
	s_xor_b64 exec, exec, s[6:7]
	s_cbranch_execz .LBB1_3934
; %bb.39775:
	s_getpc_b64 s[14:15]
.Lpost_getpc5551:
	s_add_u32 s14, s14, (.LBB1_18272-.Lpost_getpc5551)&4294967295
	s_addc_u32 s15, s15, (.LBB1_18272-.Lpost_getpc5551)>>32
	s_setpc_b64 s[14:15]
.LBB1_3934:
	s_or_b64 exec, exec, s[6:7]
	s_and_saveexec_b64 s[6:7], s[4:5]
	s_cbranch_execz .LBB1_3936
.LBB1_3935:
	v_bfe_u32 v3, v4, 24, 3
	v_ffbh_u32_e32 v12, v3
	v_min_u32_e32 v12, 32, v12
	v_lshrrev_b32_e32 v7, 27, v4
	v_subrev_u32_e32 v13, 28, v12
	v_and_b32_e32 v6, 0x80000000, v4
	v_and_b32_e32 v7, 15, v7
	v_bfe_u32 v8, v4, 27, 4
	v_lshlrev_b32_sdwa v4, v13, v4 dst_sel:DWORD dst_unused:UNUSED_PAD src0_sel:DWORD src1_sel:BYTE_3
	v_sub_u32_e32 v12, 29, v12
	v_and_b32_e32 v4, 7, v4
	v_cmp_eq_u16_e32 vcc, 0, v7
	v_cndmask_b32_e32 v3, v3, v4, vcc
	v_cndmask_b32_e32 v4, v8, v12, vcc
	v_mov_b32_e32 v7, 0x3b800000
	v_lshlrev_b32_e32 v3, 20, v3
	v_lshl_add_u32 v4, v4, 23, v7
	v_or3_b32 v3, v6, v4, v3
.LBB1_3936:
	s_or_b64 exec, exec, s[6:7]
	s_nop 0
	v_mfma_f32_16x16x4f32 a[0:3], v2, v3, a[0:3]
	s_movk_i32 s4, 0x7f
	v_cmp_gt_i16_sdwa s[6:7], v9, s4 src0_sel:BYTE_0 src1_sel:DWORD
	s_mov_b64 s[4:5], 0
                                        ; implicit-def: $sgpr10
	s_and_saveexec_b64 s[8:9], s[6:7]
	s_xor_b64 s[6:7], exec, s[8:9]
	s_cbranch_execz .LBB1_3937
; %bb.39777:
	s_getpc_b64 s[14:15]
.Lpost_getpc5552:
	s_add_u32 s14, s14, (.LBB1_18273-.Lpost_getpc5552)&4294967295
	s_addc_u32 s15, s15, (.LBB1_18273-.Lpost_getpc5552)>>32
	s_setpc_b64 s[14:15]
.LBB1_3937:
	s_or_saveexec_b64 s[6:7], s[6:7]
	v_mov_b32_e32 v2, s10
	s_xor_b64 exec, exec, s[6:7]
	s_cbranch_execz .LBB1_3938
; %bb.39779:
	s_getpc_b64 s[14:15]
.Lpost_getpc5553:
	s_add_u32 s14, s14, (.LBB1_18276-.Lpost_getpc5553)&4294967295
	s_addc_u32 s15, s15, (.LBB1_18276-.Lpost_getpc5553)>>32
	s_setpc_b64 s[14:15]
.LBB1_3938:
	s_or_b64 exec, exec, s[6:7]
	s_and_saveexec_b64 s[6:7], s[4:5]
	s_cbranch_execz .LBB1_3940
.LBB1_3939:
	v_mov_b32_e32 v2, 8
	v_and_b32_e32 v3, 7, v9
	v_lshrrev_b32_sdwa v2, v2, v9 dst_sel:BYTE_1 dst_unused:UNUSED_PAD src0_sel:DWORD src1_sel:DWORD
	v_ffbh_u32_e32 v4, v3
	v_or_b32_sdwa v2, v9, v2 dst_sel:DWORD dst_unused:UNUSED_PAD src0_sel:BYTE_0 src1_sel:DWORD
	v_min_u32_e32 v4, 32, v4
	v_lshrrev_b16_e32 v2, 3, v2
	v_subrev_u32_e32 v6, 28, v4
	v_and_b32_e32 v2, 15, v2
	v_lshlrev_b32_e32 v6, v6, v9
	v_sub_u32_e32 v4, 29, v4
	v_and_b32_e32 v6, 7, v6
	v_cmp_eq_u16_e32 vcc, 0, v2
	v_cndmask_b32_e32 v3, v3, v6, vcc
	v_cndmask_b32_e32 v2, v2, v4, vcc
	v_lshlrev_b32_e32 v4, 24, v9
	v_mov_b32_e32 v6, 0x3b800000
	v_lshlrev_b32_e32 v3, 20, v3
	v_and_b32_e32 v4, 0x80000000, v4
	v_lshl_add_u32 v2, v2, 23, v6
	v_or3_b32 v2, v4, v2, v3
.LBB1_3940:
	s_or_b64 exec, exec, s[6:7]
	s_movk_i32 s4, 0x7f
	v_cmp_gt_i16_sdwa s[6:7], v5, s4 src0_sel:BYTE_0 src1_sel:DWORD
	s_mov_b64 s[4:5], 0
                                        ; implicit-def: $sgpr10
	s_and_saveexec_b64 s[8:9], s[6:7]
	s_xor_b64 s[6:7], exec, s[8:9]
	s_cbranch_execz .LBB1_3941
; %bb.39781:
	s_getpc_b64 s[14:15]
.Lpost_getpc5554:
	s_add_u32 s14, s14, (.LBB1_18277-.Lpost_getpc5554)&4294967295
	s_addc_u32 s15, s15, (.LBB1_18277-.Lpost_getpc5554)>>32
	s_setpc_b64 s[14:15]
.LBB1_3941:
	s_or_saveexec_b64 s[6:7], s[6:7]
	v_mov_b32_e32 v3, s10
	s_xor_b64 exec, exec, s[6:7]
	s_cbranch_execz .LBB1_3942
; %bb.39783:
	s_getpc_b64 s[14:15]
.Lpost_getpc5555:
	s_add_u32 s14, s14, (.LBB1_18280-.Lpost_getpc5555)&4294967295
	s_addc_u32 s15, s15, (.LBB1_18280-.Lpost_getpc5555)>>32
	s_setpc_b64 s[14:15]
.LBB1_3942:
	s_or_b64 exec, exec, s[6:7]
	s_and_saveexec_b64 s[6:7], s[4:5]
	s_cbranch_execz .LBB1_3944
.LBB1_3943:
	v_mov_b32_e32 v3, 8
	v_and_b32_e32 v4, 7, v5
	v_lshrrev_b32_sdwa v3, v3, v5 dst_sel:BYTE_1 dst_unused:UNUSED_PAD src0_sel:DWORD src1_sel:DWORD
	v_ffbh_u32_e32 v6, v4
	v_or_b32_sdwa v3, v5, v3 dst_sel:DWORD dst_unused:UNUSED_PAD src0_sel:BYTE_0 src1_sel:DWORD
	v_min_u32_e32 v6, 32, v6
	v_lshrrev_b16_e32 v3, 3, v3
	v_subrev_u32_e32 v7, 28, v6
	v_and_b32_e32 v3, 15, v3
	v_lshlrev_b32_e32 v7, v7, v5
	v_sub_u32_e32 v6, 29, v6
	v_and_b32_e32 v7, 7, v7
	v_cmp_eq_u16_e32 vcc, 0, v3
	v_cndmask_b32_e32 v4, v4, v7, vcc
	v_cndmask_b32_e32 v3, v3, v6, vcc
	v_lshlrev_b32_e32 v6, 24, v5
	v_mov_b32_e32 v7, 0x3b800000
	v_lshlrev_b32_e32 v4, 20, v4
	v_and_b32_e32 v6, 0x80000000, v6
	v_lshl_add_u32 v3, v3, 23, v7
	v_or3_b32 v3, v6, v3, v4
.LBB1_3944:
	s_or_b64 exec, exec, s[6:7]
	s_nop 0
	v_mfma_f32_16x16x4f32 a[0:3], v2, v3, a[0:3]
	v_lshrrev_b32_e32 v3, 8, v9
	s_movk_i32 s4, 0x7f
	v_cmp_gt_i16_sdwa s[6:7], v3, s4 src0_sel:BYTE_0 src1_sel:DWORD
	s_mov_b64 s[4:5], 0
                                        ; implicit-def: $sgpr10
	s_and_saveexec_b64 s[8:9], s[6:7]
	s_xor_b64 s[6:7], exec, s[8:9]
	s_cbranch_execz .LBB1_3945
; %bb.39785:
	s_getpc_b64 s[14:15]
.Lpost_getpc5556:
	s_add_u32 s14, s14, (.LBB1_18281-.Lpost_getpc5556)&4294967295
	s_addc_u32 s15, s15, (.LBB1_18281-.Lpost_getpc5556)>>32
	s_setpc_b64 s[14:15]
.LBB1_3945:
	s_or_saveexec_b64 s[6:7], s[6:7]
	v_mov_b32_e32 v2, s10
	s_xor_b64 exec, exec, s[6:7]
	s_cbranch_execz .LBB1_3946
; %bb.39787:
	s_getpc_b64 s[14:15]
.Lpost_getpc5557:
	s_add_u32 s14, s14, (.LBB1_18284-.Lpost_getpc5557)&4294967295
	s_addc_u32 s15, s15, (.LBB1_18284-.Lpost_getpc5557)>>32
	s_setpc_b64 s[14:15]
.LBB1_3946:
	s_or_b64 exec, exec, s[6:7]
	s_and_saveexec_b64 s[6:7], s[4:5]
	s_cbranch_execz .LBB1_3948
.LBB1_3947:
	v_bfe_u32 v2, v9, 8, 3
	v_ffbh_u32_e32 v6, v2
	v_min_u32_e32 v6, 32, v6
	v_lshrrev_b16_e32 v4, 3, v3
	v_subrev_u32_e32 v7, 28, v6
	v_and_b32_e32 v4, 15, v4
	v_lshlrev_b32_e32 v3, v7, v3
	v_sub_u32_e32 v6, 29, v6
	v_and_b32_e32 v3, 7, v3
	v_cmp_eq_u16_e32 vcc, 0, v4
	v_cndmask_b32_e32 v2, v2, v3, vcc
	v_cndmask_b32_e32 v3, v4, v6, vcc
	v_lshlrev_b32_e32 v4, 16, v9
	v_mov_b32_e32 v6, 0x3b800000
	v_lshlrev_b32_e32 v2, 20, v2
	v_and_b32_e32 v4, 0x80000000, v4
	v_lshl_add_u32 v3, v3, 23, v6
	v_or3_b32 v2, v4, v3, v2
.LBB1_3948:
	s_or_b64 exec, exec, s[6:7]
	v_lshrrev_b32_e32 v3, 8, v5
	s_movk_i32 s4, 0x7f
	v_cmp_gt_i16_sdwa s[6:7], v3, s4 src0_sel:BYTE_0 src1_sel:DWORD
	s_mov_b64 s[4:5], 0
                                        ; implicit-def: $sgpr10
	s_and_saveexec_b64 s[8:9], s[6:7]
	s_xor_b64 s[6:7], exec, s[8:9]
	s_cbranch_execz .LBB1_3949
; %bb.39789:
	s_getpc_b64 s[14:15]
.Lpost_getpc5558:
	s_add_u32 s14, s14, (.LBB1_18285-.Lpost_getpc5558)&4294967295
	s_addc_u32 s15, s15, (.LBB1_18285-.Lpost_getpc5558)>>32
	s_setpc_b64 s[14:15]
.LBB1_3949:
	s_or_saveexec_b64 s[6:7], s[6:7]
	v_mov_b32_e32 v4, s10
	s_xor_b64 exec, exec, s[6:7]
	s_cbranch_execz .LBB1_3950
; %bb.39791:
	s_getpc_b64 s[14:15]
.Lpost_getpc5559:
	s_add_u32 s14, s14, (.LBB1_18288-.Lpost_getpc5559)&4294967295
	s_addc_u32 s15, s15, (.LBB1_18288-.Lpost_getpc5559)>>32
	s_setpc_b64 s[14:15]
.LBB1_3950:
	s_or_b64 exec, exec, s[6:7]
	s_and_saveexec_b64 s[6:7], s[4:5]
	s_cbranch_execz .LBB1_3952
.LBB1_3951:
	v_bfe_u32 v4, v5, 8, 3
	v_ffbh_u32_e32 v7, v4
	v_min_u32_e32 v7, 32, v7
	v_lshrrev_b16_e32 v6, 3, v3
	v_subrev_u32_e32 v8, 28, v7
	v_and_b32_e32 v6, 15, v6
	v_lshlrev_b32_e32 v3, v8, v3
	v_sub_u32_e32 v7, 29, v7
	v_and_b32_e32 v3, 7, v3
	v_cmp_eq_u16_e32 vcc, 0, v6
	v_cndmask_b32_e32 v3, v4, v3, vcc
	v_cndmask_b32_e32 v4, v6, v7, vcc
	v_lshlrev_b32_e32 v6, 16, v5
	v_mov_b32_e32 v7, 0x3b800000
	v_lshlrev_b32_e32 v3, 20, v3
	v_and_b32_e32 v6, 0x80000000, v6
	v_lshl_add_u32 v4, v4, 23, v7
	v_or3_b32 v4, v6, v4, v3
.LBB1_3952:
	s_or_b64 exec, exec, s[6:7]
	s_nop 0
	v_mfma_f32_16x16x4f32 a[0:3], v2, v4, a[0:3]
	s_movk_i32 s4, 0xff
	v_and_b32_sdwa v3, v9, s4 dst_sel:DWORD dst_unused:UNUSED_PAD src0_sel:WORD_1 src1_sel:DWORD
	s_movk_i32 s4, 0x7f
	v_cmp_lt_i16_e32 vcc, s4, v3
	s_mov_b64 s[4:5], 0
                                        ; implicit-def: $sgpr10
	s_and_saveexec_b64 s[6:7], vcc
	s_xor_b64 s[6:7], exec, s[6:7]
	s_cbranch_execz .LBB1_3953
; %bb.39793:
	s_getpc_b64 s[14:15]
.Lpost_getpc5560:
	s_add_u32 s14, s14, (.LBB1_18289-.Lpost_getpc5560)&4294967295
	s_addc_u32 s15, s15, (.LBB1_18289-.Lpost_getpc5560)>>32
	s_setpc_b64 s[14:15]
.LBB1_3953:
	s_or_saveexec_b64 s[6:7], s[6:7]
	v_mov_b32_e32 v2, s10
	s_xor_b64 exec, exec, s[6:7]
	s_cbranch_execz .LBB1_3954
; %bb.39795:
	s_getpc_b64 s[14:15]
.Lpost_getpc5561:
	s_add_u32 s14, s14, (.LBB1_18292-.Lpost_getpc5561)&4294967295
	s_addc_u32 s15, s15, (.LBB1_18292-.Lpost_getpc5561)>>32
	s_setpc_b64 s[14:15]
.LBB1_3954:
	s_or_b64 exec, exec, s[6:7]
	s_and_saveexec_b64 s[6:7], s[4:5]
	s_cbranch_execz .LBB1_3956
.LBB1_3955:
	v_bfe_u32 v2, v9, 16, 3
	v_ffbh_u32_e32 v6, v2
	v_min_u32_e32 v6, 32, v6
	v_lshrrev_b32_e32 v3, 19, v9
	v_subrev_u32_e32 v7, 28, v6
	v_and_b32_e32 v3, 15, v3
	v_lshlrev_b32_sdwa v7, v7, v9 dst_sel:DWORD dst_unused:UNUSED_PAD src0_sel:DWORD src1_sel:WORD_1
	v_bfe_u32 v4, v9, 19, 4
	v_sub_u32_e32 v6, 29, v6
	v_and_b32_e32 v7, 7, v7
	v_cmp_eq_u16_e32 vcc, 0, v3
	v_cndmask_b32_e32 v2, v2, v7, vcc
	v_cndmask_b32_e32 v3, v4, v6, vcc
	v_lshlrev_b32_e32 v4, 8, v9
	v_mov_b32_e32 v6, 0x3b800000
	v_lshlrev_b32_e32 v2, 20, v2
	v_and_b32_e32 v4, 0x80000000, v4
	v_lshl_add_u32 v3, v3, 23, v6
	v_or3_b32 v2, v4, v3, v2
.LBB1_3956:
	s_or_b64 exec, exec, s[6:7]
	s_movk_i32 s4, 0xff
	v_and_b32_sdwa v3, v5, s4 dst_sel:DWORD dst_unused:UNUSED_PAD src0_sel:WORD_1 src1_sel:DWORD
	s_movk_i32 s4, 0x7f
	v_cmp_lt_i16_e32 vcc, s4, v3
	s_mov_b64 s[4:5], 0
                                        ; implicit-def: $sgpr10
	s_and_saveexec_b64 s[6:7], vcc
	s_xor_b64 s[6:7], exec, s[6:7]
	s_cbranch_execz .LBB1_3957
; %bb.39797:
	s_getpc_b64 s[14:15]
.Lpost_getpc5562:
	s_add_u32 s14, s14, (.LBB1_18293-.Lpost_getpc5562)&4294967295
	s_addc_u32 s15, s15, (.LBB1_18293-.Lpost_getpc5562)>>32
	s_setpc_b64 s[14:15]
.LBB1_3957:
	s_or_saveexec_b64 s[6:7], s[6:7]
	v_mov_b32_e32 v4, s10
	s_xor_b64 exec, exec, s[6:7]
	s_cbranch_execz .LBB1_3958
; %bb.39799:
	s_getpc_b64 s[14:15]
.Lpost_getpc5563:
	s_add_u32 s14, s14, (.LBB1_18296-.Lpost_getpc5563)&4294967295
	s_addc_u32 s15, s15, (.LBB1_18296-.Lpost_getpc5563)>>32
	s_setpc_b64 s[14:15]
.LBB1_3958:
	s_or_b64 exec, exec, s[6:7]
	s_and_saveexec_b64 s[6:7], s[4:5]
	s_cbranch_execz .LBB1_3960
.LBB1_3959:
	v_bfe_u32 v3, v5, 16, 3
	v_ffbh_u32_e32 v7, v3
	v_min_u32_e32 v7, 32, v7
	v_lshrrev_b32_e32 v4, 19, v5
	v_subrev_u32_e32 v8, 28, v7
	v_and_b32_e32 v4, 15, v4
	v_lshlrev_b32_sdwa v8, v8, v5 dst_sel:DWORD dst_unused:UNUSED_PAD src0_sel:DWORD src1_sel:WORD_1
	v_bfe_u32 v6, v5, 19, 4
	v_sub_u32_e32 v7, 29, v7
	v_and_b32_e32 v8, 7, v8
	v_cmp_eq_u16_e32 vcc, 0, v4
	v_cndmask_b32_e32 v3, v3, v8, vcc
	v_cndmask_b32_e32 v4, v6, v7, vcc
	v_lshlrev_b32_e32 v6, 8, v5
	v_mov_b32_e32 v7, 0x3b800000
	v_lshlrev_b32_e32 v3, 20, v3
	v_and_b32_e32 v6, 0x80000000, v6
	v_lshl_add_u32 v4, v4, 23, v7
	v_or3_b32 v4, v6, v4, v3
.LBB1_3960:
	s_or_b64 exec, exec, s[6:7]
	s_nop 0
	v_mfma_f32_16x16x4f32 a[0:3], v2, v4, a[0:3]
	s_movk_i32 s4, 0x7f
	v_cmp_gt_i16_sdwa s[6:7], v9, s4 src0_sel:BYTE_3 src1_sel:DWORD
	s_mov_b64 s[4:5], 0
                                        ; implicit-def: $sgpr10
	s_and_saveexec_b64 s[8:9], s[6:7]
	s_xor_b64 s[6:7], exec, s[8:9]
	s_cbranch_execz .LBB1_3961
; %bb.39801:
	s_getpc_b64 s[14:15]
.Lpost_getpc5564:
	s_add_u32 s14, s14, (.LBB1_18297-.Lpost_getpc5564)&4294967295
	s_addc_u32 s15, s15, (.LBB1_18297-.Lpost_getpc5564)>>32
	s_setpc_b64 s[14:15]
.LBB1_3961:
	s_or_saveexec_b64 s[6:7], s[6:7]
	v_mov_b32_e32 v2, s10
	s_xor_b64 exec, exec, s[6:7]
	s_cbranch_execz .LBB1_3962
; %bb.39803:
	s_getpc_b64 s[14:15]
.Lpost_getpc5565:
	s_add_u32 s14, s14, (.LBB1_18300-.Lpost_getpc5565)&4294967295
	s_addc_u32 s15, s15, (.LBB1_18300-.Lpost_getpc5565)>>32
	s_setpc_b64 s[14:15]
.LBB1_3962:
	s_or_b64 exec, exec, s[6:7]
	s_and_saveexec_b64 s[6:7], s[4:5]
	s_cbranch_execz .LBB1_3964
.LBB1_3963:
	v_bfe_u32 v2, v9, 24, 3
	v_ffbh_u32_e32 v7, v2
	v_min_u32_e32 v7, 32, v7
	v_lshrrev_b32_e32 v4, 27, v9
	v_subrev_u32_e32 v8, 28, v7
	v_and_b32_e32 v4, 15, v4
	v_lshlrev_b32_sdwa v8, v8, v9 dst_sel:DWORD dst_unused:UNUSED_PAD src0_sel:DWORD src1_sel:BYTE_3
	v_bfe_u32 v6, v9, 27, 4
	v_sub_u32_e32 v7, 29, v7
	v_and_b32_e32 v8, 7, v8
	v_cmp_eq_u16_e32 vcc, 0, v4
	v_cndmask_b32_e32 v2, v2, v8, vcc
	v_cndmask_b32_e32 v4, v6, v7, vcc
	v_mov_b32_e32 v6, 0x3b800000
	v_and_b32_e32 v3, 0x80000000, v9
	v_lshlrev_b32_e32 v2, 20, v2
	v_lshl_add_u32 v4, v4, 23, v6
	v_or3_b32 v2, v3, v4, v2
.LBB1_3964:
	s_or_b64 exec, exec, s[6:7]
	s_movk_i32 s4, 0x7f
	v_cmp_gt_i16_sdwa s[6:7], v5, s4 src0_sel:BYTE_3 src1_sel:DWORD
	s_mov_b64 s[4:5], 0
                                        ; implicit-def: $sgpr10
	s_and_saveexec_b64 s[8:9], s[6:7]
	s_xor_b64 s[6:7], exec, s[8:9]
	s_cbranch_execz .LBB1_3965
; %bb.39805:
	s_getpc_b64 s[14:15]
.Lpost_getpc5566:
	s_add_u32 s14, s14, (.LBB1_18301-.Lpost_getpc5566)&4294967295
	s_addc_u32 s15, s15, (.LBB1_18301-.Lpost_getpc5566)>>32
	s_setpc_b64 s[14:15]
.LBB1_3965:
	s_or_saveexec_b64 s[6:7], s[6:7]
	v_mov_b32_e32 v3, s10
	s_xor_b64 exec, exec, s[6:7]
	s_cbranch_execz .LBB1_3966
; %bb.39807:
	s_getpc_b64 s[14:15]
.Lpost_getpc5567:
	s_add_u32 s14, s14, (.LBB1_18304-.Lpost_getpc5567)&4294967295
	s_addc_u32 s15, s15, (.LBB1_18304-.Lpost_getpc5567)>>32
	s_setpc_b64 s[14:15]
.LBB1_3966:
	s_or_b64 exec, exec, s[6:7]
	s_and_saveexec_b64 s[6:7], s[4:5]
	s_cbranch_execz .LBB1_3968
.LBB1_3967:
	v_bfe_u32 v3, v5, 24, 3
	v_ffbh_u32_e32 v8, v3
	v_min_u32_e32 v8, 32, v8
	v_lshrrev_b32_e32 v6, 27, v5
	v_subrev_u32_e32 v9, 28, v8
	v_and_b32_e32 v4, 0x80000000, v5
	v_and_b32_e32 v6, 15, v6
	v_bfe_u32 v7, v5, 27, 4
	v_lshlrev_b32_sdwa v5, v9, v5 dst_sel:DWORD dst_unused:UNUSED_PAD src0_sel:DWORD src1_sel:BYTE_3
	v_sub_u32_e32 v8, 29, v8
	v_and_b32_e32 v5, 7, v5
	v_cmp_eq_u16_e32 vcc, 0, v6
	v_cndmask_b32_e32 v3, v3, v5, vcc
	v_cndmask_b32_e32 v5, v7, v8, vcc
	v_mov_b32_e32 v6, 0x3b800000
	v_lshlrev_b32_e32 v3, 20, v3
	v_lshl_add_u32 v5, v5, 23, v6
	v_or3_b32 v3, v4, v5, v3
.LBB1_3968:
	s_or_b64 exec, exec, s[6:7]
	s_nop 0
	v_mfma_f32_16x16x4f32 a[0:3], v2, v3, a[0:3]
	s_movk_i32 s4, 0x7f
                                        ; implicit-def: $sgpr10
	s_nop 7
	s_nop 1
	flat_store_dwordx4 v[10:11], a[0:3] offset:480
	flat_load_dwordx4 v[12:15], v[0:1]
	s_nop 0
	flat_load_dwordx2 v[10:11], v[0:1] offset:16
	s_waitcnt vmcnt(0) lgkmcnt(0)
	flat_load_dwordx4 v[6:9], v[12:13] offset:48
	flat_load_dwordx4 v[2:5], v[14:15] offset:112
	s_waitcnt vmcnt(0) lgkmcnt(0)
	v_cmp_gt_i16_sdwa s[6:7], v6, s4 src0_sel:BYTE_0 src1_sel:DWORD
	s_mov_b64 s[4:5], 0
	s_and_saveexec_b64 s[8:9], s[6:7]
	s_xor_b64 s[6:7], exec, s[8:9]
	s_cbranch_execz .LBB1_3969
; %bb.39809:
	s_getpc_b64 s[14:15]
.Lpost_getpc5568:
	s_add_u32 s14, s14, (.LBB1_18305-.Lpost_getpc5568)&4294967295
	s_addc_u32 s15, s15, (.LBB1_18305-.Lpost_getpc5568)>>32
	s_setpc_b64 s[14:15]
.LBB1_3969:
	s_or_saveexec_b64 s[6:7], s[6:7]
	v_mov_b32_e32 v12, s10
	s_xor_b64 exec, exec, s[6:7]
	s_cbranch_execz .LBB1_3970
; %bb.39811:
	s_getpc_b64 s[14:15]
.Lpost_getpc5569:
	s_add_u32 s14, s14, (.LBB1_18308-.Lpost_getpc5569)&4294967295
	s_addc_u32 s15, s15, (.LBB1_18308-.Lpost_getpc5569)>>32
	s_setpc_b64 s[14:15]
.LBB1_3970:
	s_or_b64 exec, exec, s[6:7]
	s_and_saveexec_b64 s[6:7], s[4:5]
	s_cbranch_execz .LBB1_3972
.LBB1_3971:
	v_and_b32_e32 v12, 7, v6
	v_ffbh_u32_e32 v14, v12
	v_min_u32_e32 v14, 32, v14
	v_lshrrev_b16_e32 v13, 3, v6
	v_subrev_u32_e32 v15, 28, v14
	v_and_b32_e32 v13, 15, v13
	v_lshlrev_b32_e32 v15, v15, v6
	v_sub_u32_e32 v14, 29, v14
	v_and_b32_e32 v15, 7, v15
	v_cmp_eq_u16_e32 vcc, 0, v13
	v_cndmask_b32_e32 v12, v12, v15, vcc
	v_cndmask_b32_e32 v13, v13, v14, vcc
	v_lshlrev_b32_e32 v14, 24, v6
	v_mov_b32_e32 v15, 0x3b800000
	v_lshlrev_b32_e32 v12, 20, v12
	v_and_b32_e32 v14, 0x80000000, v14
	v_lshl_add_u32 v13, v13, 23, v15
	v_or3_b32 v12, v14, v13, v12
.LBB1_3972:
	s_or_b64 exec, exec, s[6:7]
	s_movk_i32 s4, 0x7f
	v_cmp_gt_i16_sdwa s[6:7], v2, s4 src0_sel:BYTE_0 src1_sel:DWORD
	s_mov_b64 s[4:5], 0
                                        ; implicit-def: $sgpr10
	s_and_saveexec_b64 s[8:9], s[6:7]
	s_xor_b64 s[6:7], exec, s[8:9]
	s_cbranch_execz .LBB1_3973
; %bb.39813:
	s_getpc_b64 s[14:15]
.Lpost_getpc5570:
	s_add_u32 s14, s14, (.LBB1_18309-.Lpost_getpc5570)&4294967295
	s_addc_u32 s15, s15, (.LBB1_18309-.Lpost_getpc5570)>>32
	s_setpc_b64 s[14:15]
.LBB1_3973:
	s_or_saveexec_b64 s[6:7], s[6:7]
	v_mov_b32_e32 v13, s10
	s_xor_b64 exec, exec, s[6:7]
	s_cbranch_execz .LBB1_3974
; %bb.39815:
	s_getpc_b64 s[14:15]
.Lpost_getpc5571:
	s_add_u32 s14, s14, (.LBB1_18312-.Lpost_getpc5571)&4294967295
	s_addc_u32 s15, s15, (.LBB1_18312-.Lpost_getpc5571)>>32
	s_setpc_b64 s[14:15]
.LBB1_3974:
	s_or_b64 exec, exec, s[6:7]
	s_and_saveexec_b64 s[6:7], s[4:5]
	s_cbranch_execz .LBB1_3976
.LBB1_3975:
	v_and_b32_e32 v13, 7, v2
	v_ffbh_u32_e32 v15, v13
	v_min_u32_e32 v15, 32, v15
	v_lshrrev_b16_e32 v14, 3, v2
	v_subrev_u32_e32 v16, 28, v15
	v_and_b32_e32 v14, 15, v14
	v_lshlrev_b32_e32 v16, v16, v2
	v_sub_u32_e32 v15, 29, v15
	v_and_b32_e32 v16, 7, v16
	v_cmp_eq_u16_e32 vcc, 0, v14
	v_cndmask_b32_e32 v13, v13, v16, vcc
	v_cndmask_b32_e32 v14, v14, v15, vcc
	v_lshlrev_b32_e32 v15, 24, v2
	v_mov_b32_e32 v16, 0x3b800000
	v_lshlrev_b32_e32 v13, 20, v13
	v_and_b32_e32 v15, 0x80000000, v15
	v_lshl_add_u32 v14, v14, 23, v16
	v_or3_b32 v13, v15, v14, v13
.LBB1_3976:
	s_or_b64 exec, exec, s[6:7]
	flat_load_dwordx4 a[0:3], v[10:11] offset:496
	s_movk_i32 s4, 0x7f
                                        ; implicit-def: $sgpr10
	s_waitcnt vmcnt(0) lgkmcnt(0)
	v_mfma_f32_16x16x4f32 a[0:3], v12, v13, a[0:3]
	v_lshrrev_b32_e32 v13, 8, v6
	v_cmp_gt_i16_sdwa s[6:7], v13, s4 src0_sel:BYTE_0 src1_sel:DWORD
	s_mov_b64 s[4:5], 0
	s_and_saveexec_b64 s[8:9], s[6:7]
	s_xor_b64 s[6:7], exec, s[8:9]
	s_cbranch_execz .LBB1_3977
; %bb.39817:
	s_getpc_b64 s[14:15]
.Lpost_getpc5572:
	s_add_u32 s14, s14, (.LBB1_18313-.Lpost_getpc5572)&4294967295
	s_addc_u32 s15, s15, (.LBB1_18313-.Lpost_getpc5572)>>32
	s_setpc_b64 s[14:15]
.LBB1_3977:
	s_or_saveexec_b64 s[6:7], s[6:7]
	v_mov_b32_e32 v12, s10
	s_xor_b64 exec, exec, s[6:7]
	s_cbranch_execz .LBB1_3978
; %bb.39819:
	s_getpc_b64 s[14:15]
.Lpost_getpc5573:
	s_add_u32 s14, s14, (.LBB1_18316-.Lpost_getpc5573)&4294967295
	s_addc_u32 s15, s15, (.LBB1_18316-.Lpost_getpc5573)>>32
	s_setpc_b64 s[14:15]
.LBB1_3978:
	s_or_b64 exec, exec, s[6:7]
	s_and_saveexec_b64 s[6:7], s[4:5]
	s_cbranch_execz .LBB1_3980
.LBB1_3979:
	v_bfe_u32 v12, v6, 8, 3
	v_ffbh_u32_e32 v15, v12
	v_min_u32_e32 v15, 32, v15
	v_lshrrev_b16_e32 v14, 3, v13
	v_subrev_u32_e32 v16, 28, v15
	v_and_b32_e32 v14, 15, v14
	v_lshlrev_b32_e32 v13, v16, v13
	v_sub_u32_e32 v15, 29, v15
	v_and_b32_e32 v13, 7, v13
	v_cmp_eq_u16_e32 vcc, 0, v14
	v_cndmask_b32_e32 v12, v12, v13, vcc
	v_cndmask_b32_e32 v13, v14, v15, vcc
	v_lshlrev_b32_e32 v14, 16, v6
	v_mov_b32_e32 v15, 0x3b800000
	v_lshlrev_b32_e32 v12, 20, v12
	v_and_b32_e32 v14, 0x80000000, v14
	v_lshl_add_u32 v13, v13, 23, v15
	v_or3_b32 v12, v14, v13, v12
.LBB1_3980:
	s_or_b64 exec, exec, s[6:7]
	v_lshrrev_b32_e32 v13, 8, v2
	s_movk_i32 s4, 0x7f
	v_cmp_gt_i16_sdwa s[6:7], v13, s4 src0_sel:BYTE_0 src1_sel:DWORD
	s_mov_b64 s[4:5], 0
                                        ; implicit-def: $sgpr10
	s_and_saveexec_b64 s[8:9], s[6:7]
	s_xor_b64 s[6:7], exec, s[8:9]
	s_cbranch_execz .LBB1_3981
; %bb.39821:
	s_getpc_b64 s[14:15]
.Lpost_getpc5574:
	s_add_u32 s14, s14, (.LBB1_18317-.Lpost_getpc5574)&4294967295
	s_addc_u32 s15, s15, (.LBB1_18317-.Lpost_getpc5574)>>32
	s_setpc_b64 s[14:15]
.LBB1_3981:
	s_or_saveexec_b64 s[6:7], s[6:7]
	v_mov_b32_e32 v14, s10
	s_xor_b64 exec, exec, s[6:7]
	s_cbranch_execz .LBB1_3982
; %bb.39823:
	s_getpc_b64 s[14:15]
.Lpost_getpc5575:
	s_add_u32 s14, s14, (.LBB1_18320-.Lpost_getpc5575)&4294967295
	s_addc_u32 s15, s15, (.LBB1_18320-.Lpost_getpc5575)>>32
	s_setpc_b64 s[14:15]
.LBB1_3982:
	s_or_b64 exec, exec, s[6:7]
	s_and_saveexec_b64 s[6:7], s[4:5]
	s_cbranch_execz .LBB1_3984
.LBB1_3983:
	v_bfe_u32 v14, v2, 8, 3
	v_ffbh_u32_e32 v16, v14
	v_min_u32_e32 v16, 32, v16
	v_lshrrev_b16_e32 v15, 3, v13
	v_subrev_u32_e32 v17, 28, v16
	v_and_b32_e32 v15, 15, v15
	v_lshlrev_b32_e32 v13, v17, v13
	v_sub_u32_e32 v16, 29, v16
	v_and_b32_e32 v13, 7, v13
	v_cmp_eq_u16_e32 vcc, 0, v15
	v_cndmask_b32_e32 v13, v14, v13, vcc
	v_cndmask_b32_e32 v14, v15, v16, vcc
	v_lshlrev_b32_e32 v15, 16, v2
	v_mov_b32_e32 v16, 0x3b800000
	v_lshlrev_b32_e32 v13, 20, v13
	v_and_b32_e32 v15, 0x80000000, v15
	v_lshl_add_u32 v14, v14, 23, v16
	v_or3_b32 v14, v15, v14, v13
.LBB1_3984:
	s_or_b64 exec, exec, s[6:7]
	s_nop 0
	v_mfma_f32_16x16x4f32 a[0:3], v12, v14, a[0:3]
	s_movk_i32 s4, 0xff
	v_and_b32_sdwa v13, v6, s4 dst_sel:DWORD dst_unused:UNUSED_PAD src0_sel:WORD_1 src1_sel:DWORD
	s_movk_i32 s4, 0x7f
	v_cmp_lt_i16_e32 vcc, s4, v13
	s_mov_b64 s[4:5], 0
                                        ; implicit-def: $sgpr10
	s_and_saveexec_b64 s[6:7], vcc
	s_xor_b64 s[6:7], exec, s[6:7]
	s_cbranch_execz .LBB1_3985
; %bb.39825:
	s_getpc_b64 s[14:15]
.Lpost_getpc5576:
	s_add_u32 s14, s14, (.LBB1_18321-.Lpost_getpc5576)&4294967295
	s_addc_u32 s15, s15, (.LBB1_18321-.Lpost_getpc5576)>>32
	s_setpc_b64 s[14:15]
.LBB1_3985:
	s_or_saveexec_b64 s[6:7], s[6:7]
	v_mov_b32_e32 v12, s10
	s_xor_b64 exec, exec, s[6:7]
	s_cbranch_execz .LBB1_3986
; %bb.39827:
	s_getpc_b64 s[14:15]
.Lpost_getpc5577:
	s_add_u32 s14, s14, (.LBB1_18324-.Lpost_getpc5577)&4294967295
	s_addc_u32 s15, s15, (.LBB1_18324-.Lpost_getpc5577)>>32
	s_setpc_b64 s[14:15]
.LBB1_3986:
	s_or_b64 exec, exec, s[6:7]
	s_and_saveexec_b64 s[6:7], s[4:5]
	s_cbranch_execz .LBB1_3988
.LBB1_3987:
	v_bfe_u32 v12, v6, 16, 3
	v_ffbh_u32_e32 v15, v12
	v_min_u32_e32 v15, 32, v15
	v_lshrrev_b32_e32 v13, 19, v6
	v_subrev_u32_e32 v16, 28, v15
	v_and_b32_e32 v13, 15, v13
	v_lshlrev_b32_sdwa v16, v16, v6 dst_sel:DWORD dst_unused:UNUSED_PAD src0_sel:DWORD src1_sel:WORD_1
	v_bfe_u32 v14, v6, 19, 4
	v_sub_u32_e32 v15, 29, v15
	v_and_b32_e32 v16, 7, v16
	v_cmp_eq_u16_e32 vcc, 0, v13
	v_cndmask_b32_e32 v12, v12, v16, vcc
	v_cndmask_b32_e32 v13, v14, v15, vcc
	v_lshlrev_b32_e32 v14, 8, v6
	v_mov_b32_e32 v15, 0x3b800000
	v_lshlrev_b32_e32 v12, 20, v12
	v_and_b32_e32 v14, 0x80000000, v14
	v_lshl_add_u32 v13, v13, 23, v15
	v_or3_b32 v12, v14, v13, v12
.LBB1_3988:
	s_or_b64 exec, exec, s[6:7]
	s_movk_i32 s4, 0xff
	v_and_b32_sdwa v13, v2, s4 dst_sel:DWORD dst_unused:UNUSED_PAD src0_sel:WORD_1 src1_sel:DWORD
	s_movk_i32 s4, 0x7f
	v_cmp_lt_i16_e32 vcc, s4, v13
	s_mov_b64 s[4:5], 0
                                        ; implicit-def: $sgpr10
	s_and_saveexec_b64 s[6:7], vcc
	s_xor_b64 s[6:7], exec, s[6:7]
	s_cbranch_execz .LBB1_3989
; %bb.39829:
	s_getpc_b64 s[14:15]
.Lpost_getpc5578:
	s_add_u32 s14, s14, (.LBB1_18325-.Lpost_getpc5578)&4294967295
	s_addc_u32 s15, s15, (.LBB1_18325-.Lpost_getpc5578)>>32
	s_setpc_b64 s[14:15]
.LBB1_3989:
	s_or_saveexec_b64 s[6:7], s[6:7]
	v_mov_b32_e32 v14, s10
	s_xor_b64 exec, exec, s[6:7]
	s_cbranch_execz .LBB1_3990
; %bb.39831:
	s_getpc_b64 s[14:15]
.Lpost_getpc5579:
	s_add_u32 s14, s14, (.LBB1_18328-.Lpost_getpc5579)&4294967295
	s_addc_u32 s15, s15, (.LBB1_18328-.Lpost_getpc5579)>>32
	s_setpc_b64 s[14:15]
.LBB1_3990:
	s_or_b64 exec, exec, s[6:7]
	s_and_saveexec_b64 s[6:7], s[4:5]
	s_cbranch_execz .LBB1_3992
.LBB1_3991:
	v_bfe_u32 v13, v2, 16, 3
	v_ffbh_u32_e32 v16, v13
	v_min_u32_e32 v16, 32, v16
	v_lshrrev_b32_e32 v14, 19, v2
	v_subrev_u32_e32 v17, 28, v16
	v_and_b32_e32 v14, 15, v14
	v_lshlrev_b32_sdwa v17, v17, v2 dst_sel:DWORD dst_unused:UNUSED_PAD src0_sel:DWORD src1_sel:WORD_1
	v_bfe_u32 v15, v2, 19, 4
	v_sub_u32_e32 v16, 29, v16
	v_and_b32_e32 v17, 7, v17
	v_cmp_eq_u16_e32 vcc, 0, v14
	v_cndmask_b32_e32 v13, v13, v17, vcc
	v_cndmask_b32_e32 v14, v15, v16, vcc
	v_lshlrev_b32_e32 v15, 8, v2
	v_mov_b32_e32 v16, 0x3b800000
	v_lshlrev_b32_e32 v13, 20, v13
	v_and_b32_e32 v15, 0x80000000, v15
	v_lshl_add_u32 v14, v14, 23, v16
	v_or3_b32 v14, v15, v14, v13
.LBB1_3992:
	s_or_b64 exec, exec, s[6:7]
	s_nop 0
	v_mfma_f32_16x16x4f32 a[0:3], v12, v14, a[0:3]
	s_movk_i32 s4, 0x7f
	v_cmp_gt_i16_sdwa s[6:7], v6, s4 src0_sel:BYTE_3 src1_sel:DWORD
	s_mov_b64 s[4:5], 0
                                        ; implicit-def: $sgpr10
	s_and_saveexec_b64 s[8:9], s[6:7]
	s_xor_b64 s[6:7], exec, s[8:9]
	s_cbranch_execz .LBB1_3993
; %bb.39833:
	s_getpc_b64 s[14:15]
.Lpost_getpc5580:
	s_add_u32 s14, s14, (.LBB1_18329-.Lpost_getpc5580)&4294967295
	s_addc_u32 s15, s15, (.LBB1_18329-.Lpost_getpc5580)>>32
	s_setpc_b64 s[14:15]
.LBB1_3993:
	s_or_saveexec_b64 s[6:7], s[6:7]
	v_mov_b32_e32 v12, s10
	s_xor_b64 exec, exec, s[6:7]
	s_cbranch_execz .LBB1_3994
; %bb.39835:
	s_getpc_b64 s[14:15]
.Lpost_getpc5581:
	s_add_u32 s14, s14, (.LBB1_18332-.Lpost_getpc5581)&4294967295
	s_addc_u32 s15, s15, (.LBB1_18332-.Lpost_getpc5581)>>32
	s_setpc_b64 s[14:15]
.LBB1_3994:
	s_or_b64 exec, exec, s[6:7]
	s_and_saveexec_b64 s[6:7], s[4:5]
	s_cbranch_execz .LBB1_3996
.LBB1_3995:
	v_bfe_u32 v12, v6, 24, 3
	v_ffbh_u32_e32 v16, v12
	v_min_u32_e32 v16, 32, v16
	v_lshrrev_b32_e32 v14, 27, v6
	v_subrev_u32_e32 v17, 28, v16
	v_and_b32_e32 v13, 0x80000000, v6
	v_and_b32_e32 v14, 15, v14
	v_bfe_u32 v15, v6, 27, 4
	v_lshlrev_b32_sdwa v6, v17, v6 dst_sel:DWORD dst_unused:UNUSED_PAD src0_sel:DWORD src1_sel:BYTE_3
	v_sub_u32_e32 v16, 29, v16
	v_and_b32_e32 v6, 7, v6
	v_cmp_eq_u16_e32 vcc, 0, v14
	v_cndmask_b32_e32 v6, v12, v6, vcc
	v_cndmask_b32_e32 v12, v15, v16, vcc
	v_mov_b32_e32 v14, 0x3b800000
	v_lshlrev_b32_e32 v6, 20, v6
	v_lshl_add_u32 v12, v12, 23, v14
	v_or3_b32 v12, v13, v12, v6
.LBB1_3996:
	s_or_b64 exec, exec, s[6:7]
	s_movk_i32 s4, 0x7f
	v_cmp_gt_i16_sdwa s[6:7], v2, s4 src0_sel:BYTE_3 src1_sel:DWORD
	s_mov_b64 s[4:5], 0
                                        ; implicit-def: $sgpr10
	s_and_saveexec_b64 s[8:9], s[6:7]
	s_xor_b64 s[6:7], exec, s[8:9]
	s_cbranch_execz .LBB1_3997
; %bb.39837:
	s_getpc_b64 s[14:15]
.Lpost_getpc5582:
	s_add_u32 s14, s14, (.LBB1_18333-.Lpost_getpc5582)&4294967295
	s_addc_u32 s15, s15, (.LBB1_18333-.Lpost_getpc5582)>>32
	s_setpc_b64 s[14:15]
.LBB1_3997:
	s_or_saveexec_b64 s[6:7], s[6:7]
	v_mov_b32_e32 v6, s10
	s_xor_b64 exec, exec, s[6:7]
	s_cbranch_execz .LBB1_3998
; %bb.39839:
	s_getpc_b64 s[14:15]
.Lpost_getpc5583:
	s_add_u32 s14, s14, (.LBB1_18336-.Lpost_getpc5583)&4294967295
	s_addc_u32 s15, s15, (.LBB1_18336-.Lpost_getpc5583)>>32
	s_setpc_b64 s[14:15]
.LBB1_3998:
	s_or_b64 exec, exec, s[6:7]
	s_and_saveexec_b64 s[6:7], s[4:5]
	s_cbranch_execz .LBB1_4000
.LBB1_3999:
	v_bfe_u32 v6, v2, 24, 3
	v_ffbh_u32_e32 v16, v6
	v_min_u32_e32 v16, 32, v16
	v_lshrrev_b32_e32 v14, 27, v2
	v_subrev_u32_e32 v17, 28, v16
	v_and_b32_e32 v13, 0x80000000, v2
	v_and_b32_e32 v14, 15, v14
	v_bfe_u32 v15, v2, 27, 4
	v_lshlrev_b32_sdwa v2, v17, v2 dst_sel:DWORD dst_unused:UNUSED_PAD src0_sel:DWORD src1_sel:BYTE_3
	v_sub_u32_e32 v16, 29, v16
	v_and_b32_e32 v2, 7, v2
	v_cmp_eq_u16_e32 vcc, 0, v14
	v_cndmask_b32_e32 v2, v6, v2, vcc
	v_cndmask_b32_e32 v6, v15, v16, vcc
	v_mov_b32_e32 v14, 0x3b800000
	v_lshlrev_b32_e32 v2, 20, v2
	v_lshl_add_u32 v6, v6, 23, v14
	v_or3_b32 v6, v13, v6, v2
.LBB1_4000:
	s_or_b64 exec, exec, s[6:7]
	s_nop 0
	v_mfma_f32_16x16x4f32 a[0:3], v12, v6, a[0:3]
	s_movk_i32 s4, 0x7f
	v_cmp_gt_i16_sdwa s[6:7], v7, s4 src0_sel:BYTE_0 src1_sel:DWORD
	s_mov_b64 s[4:5], 0
                                        ; implicit-def: $sgpr10
	s_and_saveexec_b64 s[8:9], s[6:7]
	s_xor_b64 s[6:7], exec, s[8:9]
	s_cbranch_execz .LBB1_4001
; %bb.39841:
	s_getpc_b64 s[14:15]
.Lpost_getpc5584:
	s_add_u32 s14, s14, (.LBB1_18337-.Lpost_getpc5584)&4294967295
	s_addc_u32 s15, s15, (.LBB1_18337-.Lpost_getpc5584)>>32
	s_setpc_b64 s[14:15]
.LBB1_4001:
	s_or_saveexec_b64 s[6:7], s[6:7]
	v_mov_b32_e32 v2, s10
	s_xor_b64 exec, exec, s[6:7]
	s_cbranch_execz .LBB1_4002
; %bb.39843:
	s_getpc_b64 s[14:15]
.Lpost_getpc5585:
	s_add_u32 s14, s14, (.LBB1_18340-.Lpost_getpc5585)&4294967295
	s_addc_u32 s15, s15, (.LBB1_18340-.Lpost_getpc5585)>>32
	s_setpc_b64 s[14:15]
.LBB1_4002:
	s_or_b64 exec, exec, s[6:7]
	s_and_saveexec_b64 s[6:7], s[4:5]
	s_cbranch_execz .LBB1_4004
.LBB1_4003:
	v_and_b32_e32 v2, 7, v7
	v_ffbh_u32_e32 v12, v2
	v_min_u32_e32 v12, 32, v12
	v_lshrrev_b16_e32 v6, 3, v7
	v_subrev_u32_e32 v13, 28, v12
	v_and_b32_e32 v6, 15, v6
	v_lshlrev_b32_e32 v13, v13, v7
	v_sub_u32_e32 v12, 29, v12
	v_and_b32_e32 v13, 7, v13
	v_cmp_eq_u16_e32 vcc, 0, v6
	v_cndmask_b32_e32 v2, v2, v13, vcc
	v_cndmask_b32_e32 v6, v6, v12, vcc
	v_lshlrev_b32_e32 v12, 24, v7
	v_mov_b32_e32 v13, 0x3b800000
	v_lshlrev_b32_e32 v2, 20, v2
	v_and_b32_e32 v12, 0x80000000, v12
	v_lshl_add_u32 v6, v6, 23, v13
	v_or3_b32 v2, v12, v6, v2
.LBB1_4004:
	s_or_b64 exec, exec, s[6:7]
	s_movk_i32 s4, 0x7f
	v_cmp_gt_i16_sdwa s[6:7], v3, s4 src0_sel:BYTE_0 src1_sel:DWORD
	s_mov_b64 s[4:5], 0
                                        ; implicit-def: $sgpr10
	s_and_saveexec_b64 s[8:9], s[6:7]
	s_xor_b64 s[6:7], exec, s[8:9]
	s_cbranch_execz .LBB1_4005
; %bb.39845:
	s_getpc_b64 s[14:15]
.Lpost_getpc5586:
	s_add_u32 s14, s14, (.LBB1_18341-.Lpost_getpc5586)&4294967295
	s_addc_u32 s15, s15, (.LBB1_18341-.Lpost_getpc5586)>>32
	s_setpc_b64 s[14:15]
.LBB1_4005:
	s_or_saveexec_b64 s[6:7], s[6:7]
	v_mov_b32_e32 v6, s10
	s_xor_b64 exec, exec, s[6:7]
	s_cbranch_execz .LBB1_4006
; %bb.39847:
	s_getpc_b64 s[14:15]
.Lpost_getpc5587:
	s_add_u32 s14, s14, (.LBB1_18344-.Lpost_getpc5587)&4294967295
	s_addc_u32 s15, s15, (.LBB1_18344-.Lpost_getpc5587)>>32
	s_setpc_b64 s[14:15]
.LBB1_4006:
	s_or_b64 exec, exec, s[6:7]
	s_and_saveexec_b64 s[6:7], s[4:5]
	s_cbranch_execz .LBB1_4008
.LBB1_4007:
	v_and_b32_e32 v6, 7, v3
	v_ffbh_u32_e32 v13, v6
	v_min_u32_e32 v13, 32, v13
	v_lshrrev_b16_e32 v12, 3, v3
	v_subrev_u32_e32 v14, 28, v13
	v_and_b32_e32 v12, 15, v12
	v_lshlrev_b32_e32 v14, v14, v3
	v_sub_u32_e32 v13, 29, v13
	v_and_b32_e32 v14, 7, v14
	v_cmp_eq_u16_e32 vcc, 0, v12
	v_cndmask_b32_e32 v6, v6, v14, vcc
	v_cndmask_b32_e32 v12, v12, v13, vcc
	v_lshlrev_b32_e32 v13, 24, v3
	v_mov_b32_e32 v14, 0x3b800000
	v_lshlrev_b32_e32 v6, 20, v6
	v_and_b32_e32 v13, 0x80000000, v13
	v_lshl_add_u32 v12, v12, 23, v14
	v_or3_b32 v6, v13, v12, v6
.LBB1_4008:
	s_or_b64 exec, exec, s[6:7]
	s_nop 0
	v_mfma_f32_16x16x4f32 a[0:3], v2, v6, a[0:3]
	v_lshrrev_b32_e32 v6, 8, v7
	s_movk_i32 s4, 0x7f
	v_cmp_gt_i16_sdwa s[6:7], v6, s4 src0_sel:BYTE_0 src1_sel:DWORD
	s_mov_b64 s[4:5], 0
                                        ; implicit-def: $sgpr10
	s_and_saveexec_b64 s[8:9], s[6:7]
	s_xor_b64 s[6:7], exec, s[8:9]
	s_cbranch_execz .LBB1_4009
; %bb.39849:
	s_getpc_b64 s[14:15]
.Lpost_getpc5588:
	s_add_u32 s14, s14, (.LBB1_18345-.Lpost_getpc5588)&4294967295
	s_addc_u32 s15, s15, (.LBB1_18345-.Lpost_getpc5588)>>32
	s_setpc_b64 s[14:15]
.LBB1_4009:
	s_or_saveexec_b64 s[6:7], s[6:7]
	v_mov_b32_e32 v2, s10
	s_xor_b64 exec, exec, s[6:7]
	s_cbranch_execz .LBB1_4010
; %bb.39851:
	s_getpc_b64 s[14:15]
.Lpost_getpc5589:
	s_add_u32 s14, s14, (.LBB1_18348-.Lpost_getpc5589)&4294967295
	s_addc_u32 s15, s15, (.LBB1_18348-.Lpost_getpc5589)>>32
	s_setpc_b64 s[14:15]
.LBB1_4010:
	s_or_b64 exec, exec, s[6:7]
	s_and_saveexec_b64 s[6:7], s[4:5]
	s_cbranch_execz .LBB1_4012
.LBB1_4011:
	v_bfe_u32 v2, v7, 8, 3
	v_ffbh_u32_e32 v13, v2
	v_min_u32_e32 v13, 32, v13
	v_lshrrev_b16_e32 v12, 3, v6
	v_subrev_u32_e32 v14, 28, v13
	v_and_b32_e32 v12, 15, v12
	v_lshlrev_b32_e32 v6, v14, v6
	v_sub_u32_e32 v13, 29, v13
	v_and_b32_e32 v6, 7, v6
	v_cmp_eq_u16_e32 vcc, 0, v12
	v_cndmask_b32_e32 v2, v2, v6, vcc
	v_cndmask_b32_e32 v6, v12, v13, vcc
	v_lshlrev_b32_e32 v12, 16, v7
	v_mov_b32_e32 v13, 0x3b800000
	v_lshlrev_b32_e32 v2, 20, v2
	v_and_b32_e32 v12, 0x80000000, v12
	v_lshl_add_u32 v6, v6, 23, v13
	v_or3_b32 v2, v12, v6, v2
.LBB1_4012:
	s_or_b64 exec, exec, s[6:7]
	v_lshrrev_b32_e32 v6, 8, v3
	s_movk_i32 s4, 0x7f
	v_cmp_gt_i16_sdwa s[6:7], v6, s4 src0_sel:BYTE_0 src1_sel:DWORD
	s_mov_b64 s[4:5], 0
                                        ; implicit-def: $sgpr10
	s_and_saveexec_b64 s[8:9], s[6:7]
	s_xor_b64 s[6:7], exec, s[8:9]
	s_cbranch_execz .LBB1_4013
; %bb.39853:
	s_getpc_b64 s[14:15]
.Lpost_getpc5590:
	s_add_u32 s14, s14, (.LBB1_18349-.Lpost_getpc5590)&4294967295
	s_addc_u32 s15, s15, (.LBB1_18349-.Lpost_getpc5590)>>32
	s_setpc_b64 s[14:15]
.LBB1_4013:
	s_or_saveexec_b64 s[6:7], s[6:7]
	v_mov_b32_e32 v12, s10
	s_xor_b64 exec, exec, s[6:7]
	s_cbranch_execz .LBB1_4014
; %bb.39855:
	s_getpc_b64 s[14:15]
.Lpost_getpc5591:
	s_add_u32 s14, s14, (.LBB1_18352-.Lpost_getpc5591)&4294967295
	s_addc_u32 s15, s15, (.LBB1_18352-.Lpost_getpc5591)>>32
	s_setpc_b64 s[14:15]
.LBB1_4014:
	s_or_b64 exec, exec, s[6:7]
	s_and_saveexec_b64 s[6:7], s[4:5]
	s_cbranch_execz .LBB1_4016
.LBB1_4015:
	v_bfe_u32 v12, v3, 8, 3
	v_ffbh_u32_e32 v14, v12
	v_min_u32_e32 v14, 32, v14
	v_lshrrev_b16_e32 v13, 3, v6
	v_subrev_u32_e32 v15, 28, v14
	v_and_b32_e32 v13, 15, v13
	v_lshlrev_b32_e32 v6, v15, v6
	v_sub_u32_e32 v14, 29, v14
	v_and_b32_e32 v6, 7, v6
	v_cmp_eq_u16_e32 vcc, 0, v13
	v_cndmask_b32_e32 v6, v12, v6, vcc
	v_cndmask_b32_e32 v12, v13, v14, vcc
	v_lshlrev_b32_e32 v13, 16, v3
	v_mov_b32_e32 v14, 0x3b800000
	v_lshlrev_b32_e32 v6, 20, v6
	v_and_b32_e32 v13, 0x80000000, v13
	v_lshl_add_u32 v12, v12, 23, v14
	v_or3_b32 v12, v13, v12, v6
.LBB1_4016:
	s_or_b64 exec, exec, s[6:7]
	s_nop 0
	v_mfma_f32_16x16x4f32 a[0:3], v2, v12, a[0:3]
	s_movk_i32 s4, 0xff
	v_and_b32_sdwa v6, v7, s4 dst_sel:DWORD dst_unused:UNUSED_PAD src0_sel:WORD_1 src1_sel:DWORD
	s_movk_i32 s4, 0x7f
	v_cmp_lt_i16_e32 vcc, s4, v6
	s_mov_b64 s[4:5], 0
                                        ; implicit-def: $sgpr10
	s_and_saveexec_b64 s[6:7], vcc
	s_xor_b64 s[6:7], exec, s[6:7]
	s_cbranch_execz .LBB1_4017
; %bb.39857:
	s_getpc_b64 s[14:15]
.Lpost_getpc5592:
	s_add_u32 s14, s14, (.LBB1_18353-.Lpost_getpc5592)&4294967295
	s_addc_u32 s15, s15, (.LBB1_18353-.Lpost_getpc5592)>>32
	s_setpc_b64 s[14:15]
.LBB1_4017:
	s_or_saveexec_b64 s[6:7], s[6:7]
	v_mov_b32_e32 v2, s10
	s_xor_b64 exec, exec, s[6:7]
	s_cbranch_execz .LBB1_4018
; %bb.39859:
	s_getpc_b64 s[14:15]
.Lpost_getpc5593:
	s_add_u32 s14, s14, (.LBB1_18356-.Lpost_getpc5593)&4294967295
	s_addc_u32 s15, s15, (.LBB1_18356-.Lpost_getpc5593)>>32
	s_setpc_b64 s[14:15]
.LBB1_4018:
	s_or_b64 exec, exec, s[6:7]
	s_and_saveexec_b64 s[6:7], s[4:5]
	s_cbranch_execz .LBB1_4020
.LBB1_4019:
	v_bfe_u32 v2, v7, 16, 3
	v_ffbh_u32_e32 v13, v2
	v_min_u32_e32 v13, 32, v13
	v_lshrrev_b32_e32 v6, 19, v7
	v_subrev_u32_e32 v14, 28, v13
	v_and_b32_e32 v6, 15, v6
	v_lshlrev_b32_sdwa v14, v14, v7 dst_sel:DWORD dst_unused:UNUSED_PAD src0_sel:DWORD src1_sel:WORD_1
	v_bfe_u32 v12, v7, 19, 4
	v_sub_u32_e32 v13, 29, v13
	v_and_b32_e32 v14, 7, v14
	v_cmp_eq_u16_e32 vcc, 0, v6
	v_cndmask_b32_e32 v2, v2, v14, vcc
	v_cndmask_b32_e32 v6, v12, v13, vcc
	v_lshlrev_b32_e32 v12, 8, v7
	v_mov_b32_e32 v13, 0x3b800000
	v_lshlrev_b32_e32 v2, 20, v2
	v_and_b32_e32 v12, 0x80000000, v12
	v_lshl_add_u32 v6, v6, 23, v13
	v_or3_b32 v2, v12, v6, v2
.LBB1_4020:
	s_or_b64 exec, exec, s[6:7]
	s_movk_i32 s4, 0xff
	v_and_b32_sdwa v6, v3, s4 dst_sel:DWORD dst_unused:UNUSED_PAD src0_sel:WORD_1 src1_sel:DWORD
	s_movk_i32 s4, 0x7f
	v_cmp_lt_i16_e32 vcc, s4, v6
	s_mov_b64 s[4:5], 0
                                        ; implicit-def: $sgpr10
	s_and_saveexec_b64 s[6:7], vcc
	s_xor_b64 s[6:7], exec, s[6:7]
	s_cbranch_execz .LBB1_4021
; %bb.39861:
	s_getpc_b64 s[14:15]
.Lpost_getpc5594:
	s_add_u32 s14, s14, (.LBB1_18357-.Lpost_getpc5594)&4294967295
	s_addc_u32 s15, s15, (.LBB1_18357-.Lpost_getpc5594)>>32
	s_setpc_b64 s[14:15]
.LBB1_4021:
	s_or_saveexec_b64 s[6:7], s[6:7]
	v_mov_b32_e32 v12, s10
	s_xor_b64 exec, exec, s[6:7]
	s_cbranch_execz .LBB1_4022
; %bb.39863:
	s_getpc_b64 s[14:15]
.Lpost_getpc5595:
	s_add_u32 s14, s14, (.LBB1_18360-.Lpost_getpc5595)&4294967295
	s_addc_u32 s15, s15, (.LBB1_18360-.Lpost_getpc5595)>>32
	s_setpc_b64 s[14:15]
.LBB1_4022:
	s_or_b64 exec, exec, s[6:7]
	s_and_saveexec_b64 s[6:7], s[4:5]
	s_cbranch_execz .LBB1_4024
.LBB1_4023:
	v_bfe_u32 v6, v3, 16, 3
	v_ffbh_u32_e32 v14, v6
	v_min_u32_e32 v14, 32, v14
	v_lshrrev_b32_e32 v12, 19, v3
	v_subrev_u32_e32 v15, 28, v14
	v_and_b32_e32 v12, 15, v12
	v_lshlrev_b32_sdwa v15, v15, v3 dst_sel:DWORD dst_unused:UNUSED_PAD src0_sel:DWORD src1_sel:WORD_1
	v_bfe_u32 v13, v3, 19, 4
	v_sub_u32_e32 v14, 29, v14
	v_and_b32_e32 v15, 7, v15
	v_cmp_eq_u16_e32 vcc, 0, v12
	v_cndmask_b32_e32 v6, v6, v15, vcc
	v_cndmask_b32_e32 v12, v13, v14, vcc
	v_lshlrev_b32_e32 v13, 8, v3
	v_mov_b32_e32 v14, 0x3b800000
	v_lshlrev_b32_e32 v6, 20, v6
	v_and_b32_e32 v13, 0x80000000, v13
	v_lshl_add_u32 v12, v12, 23, v14
	v_or3_b32 v12, v13, v12, v6
.LBB1_4024:
	s_or_b64 exec, exec, s[6:7]
	s_nop 0
	v_mfma_f32_16x16x4f32 a[0:3], v2, v12, a[0:3]
	s_movk_i32 s4, 0x7f
	v_cmp_gt_i16_sdwa s[6:7], v7, s4 src0_sel:BYTE_3 src1_sel:DWORD
	s_mov_b64 s[4:5], 0
                                        ; implicit-def: $sgpr10
	s_and_saveexec_b64 s[8:9], s[6:7]
	s_xor_b64 s[6:7], exec, s[8:9]
	s_cbranch_execz .LBB1_4025
; %bb.39865:
	s_getpc_b64 s[14:15]
.Lpost_getpc5596:
	s_add_u32 s14, s14, (.LBB1_18361-.Lpost_getpc5596)&4294967295
	s_addc_u32 s15, s15, (.LBB1_18361-.Lpost_getpc5596)>>32
	s_setpc_b64 s[14:15]
.LBB1_4025:
	s_or_saveexec_b64 s[6:7], s[6:7]
	v_mov_b32_e32 v2, s10
	s_xor_b64 exec, exec, s[6:7]
	s_cbranch_execz .LBB1_4026
; %bb.39867:
	s_getpc_b64 s[14:15]
.Lpost_getpc5597:
	s_add_u32 s14, s14, (.LBB1_18364-.Lpost_getpc5597)&4294967295
	s_addc_u32 s15, s15, (.LBB1_18364-.Lpost_getpc5597)>>32
	s_setpc_b64 s[14:15]
.LBB1_4026:
	s_or_b64 exec, exec, s[6:7]
	s_and_saveexec_b64 s[6:7], s[4:5]
	s_cbranch_execz .LBB1_4028
.LBB1_4027:
	v_bfe_u32 v2, v7, 24, 3
	v_ffbh_u32_e32 v14, v2
	v_min_u32_e32 v14, 32, v14
	v_lshrrev_b32_e32 v12, 27, v7
	v_subrev_u32_e32 v15, 28, v14
	v_and_b32_e32 v6, 0x80000000, v7
	v_and_b32_e32 v12, 15, v12
	v_bfe_u32 v13, v7, 27, 4
	v_lshlrev_b32_sdwa v7, v15, v7 dst_sel:DWORD dst_unused:UNUSED_PAD src0_sel:DWORD src1_sel:BYTE_3
	v_sub_u32_e32 v14, 29, v14
	v_and_b32_e32 v7, 7, v7
	v_cmp_eq_u16_e32 vcc, 0, v12
	v_cndmask_b32_e32 v2, v2, v7, vcc
	v_cndmask_b32_e32 v7, v13, v14, vcc
	v_mov_b32_e32 v12, 0x3b800000
	v_lshlrev_b32_e32 v2, 20, v2
	v_lshl_add_u32 v7, v7, 23, v12
	v_or3_b32 v2, v6, v7, v2
.LBB1_4028:
	s_or_b64 exec, exec, s[6:7]
	s_movk_i32 s4, 0x7f
	v_cmp_gt_i16_sdwa s[6:7], v3, s4 src0_sel:BYTE_3 src1_sel:DWORD
	s_mov_b64 s[4:5], 0
                                        ; implicit-def: $sgpr10
	s_and_saveexec_b64 s[8:9], s[6:7]
	s_xor_b64 s[6:7], exec, s[8:9]
	s_cbranch_execz .LBB1_4029
; %bb.39869:
	s_getpc_b64 s[14:15]
.Lpost_getpc5598:
	s_add_u32 s14, s14, (.LBB1_18365-.Lpost_getpc5598)&4294967295
	s_addc_u32 s15, s15, (.LBB1_18365-.Lpost_getpc5598)>>32
	s_setpc_b64 s[14:15]
.LBB1_4029:
	s_or_saveexec_b64 s[6:7], s[6:7]
	v_mov_b32_e32 v6, s10
	s_xor_b64 exec, exec, s[6:7]
	s_cbranch_execz .LBB1_4030
; %bb.39871:
	s_getpc_b64 s[14:15]
.Lpost_getpc5599:
	s_add_u32 s14, s14, (.LBB1_18368-.Lpost_getpc5599)&4294967295
	s_addc_u32 s15, s15, (.LBB1_18368-.Lpost_getpc5599)>>32
	s_setpc_b64 s[14:15]
.LBB1_4030:
	s_or_b64 exec, exec, s[6:7]
	s_and_saveexec_b64 s[6:7], s[4:5]
	s_cbranch_execz .LBB1_4032
.LBB1_4031:
	v_bfe_u32 v6, v3, 24, 3
	v_ffbh_u32_e32 v14, v6
	v_min_u32_e32 v14, 32, v14
	v_lshrrev_b32_e32 v12, 27, v3
	v_subrev_u32_e32 v15, 28, v14
	v_and_b32_e32 v7, 0x80000000, v3
	v_and_b32_e32 v12, 15, v12
	v_bfe_u32 v13, v3, 27, 4
	v_lshlrev_b32_sdwa v3, v15, v3 dst_sel:DWORD dst_unused:UNUSED_PAD src0_sel:DWORD src1_sel:BYTE_3
	v_sub_u32_e32 v14, 29, v14
	v_and_b32_e32 v3, 7, v3
	v_cmp_eq_u16_e32 vcc, 0, v12
	v_cndmask_b32_e32 v3, v6, v3, vcc
	v_cndmask_b32_e32 v6, v13, v14, vcc
	v_mov_b32_e32 v12, 0x3b800000
	v_lshlrev_b32_e32 v3, 20, v3
	v_lshl_add_u32 v6, v6, 23, v12
	v_or3_b32 v6, v7, v6, v3
.LBB1_4032:
	s_or_b64 exec, exec, s[6:7]
	s_nop 0
	v_mfma_f32_16x16x4f32 a[0:3], v2, v6, a[0:3]
	s_movk_i32 s4, 0x7f
	v_cmp_gt_i16_sdwa s[6:7], v8, s4 src0_sel:BYTE_0 src1_sel:DWORD
	s_mov_b64 s[4:5], 0
                                        ; implicit-def: $sgpr10
	s_and_saveexec_b64 s[8:9], s[6:7]
	s_xor_b64 s[6:7], exec, s[8:9]
	s_cbranch_execz .LBB1_4033
; %bb.39873:
	s_getpc_b64 s[14:15]
.Lpost_getpc5600:
	s_add_u32 s14, s14, (.LBB1_18369-.Lpost_getpc5600)&4294967295
	s_addc_u32 s15, s15, (.LBB1_18369-.Lpost_getpc5600)>>32
	s_setpc_b64 s[14:15]
.LBB1_4033:
	s_or_saveexec_b64 s[6:7], s[6:7]
	v_mov_b32_e32 v2, s10
	s_xor_b64 exec, exec, s[6:7]
	s_cbranch_execz .LBB1_4034
; %bb.39875:
	s_getpc_b64 s[14:15]
.Lpost_getpc5601:
	s_add_u32 s14, s14, (.LBB1_18372-.Lpost_getpc5601)&4294967295
	s_addc_u32 s15, s15, (.LBB1_18372-.Lpost_getpc5601)>>32
	s_setpc_b64 s[14:15]
.LBB1_4034:
	s_or_b64 exec, exec, s[6:7]
	s_and_saveexec_b64 s[6:7], s[4:5]
	s_cbranch_execz .LBB1_4036
.LBB1_4035:
	v_and_b32_e32 v2, 7, v8
	v_ffbh_u32_e32 v6, v2
	v_min_u32_e32 v6, 32, v6
	v_lshrrev_b16_e32 v3, 3, v8
	v_subrev_u32_e32 v7, 28, v6
	v_and_b32_e32 v3, 15, v3
	v_lshlrev_b32_e32 v7, v7, v8
	v_sub_u32_e32 v6, 29, v6
	v_and_b32_e32 v7, 7, v7
	v_cmp_eq_u16_e32 vcc, 0, v3
	v_cndmask_b32_e32 v2, v2, v7, vcc
	v_cndmask_b32_e32 v3, v3, v6, vcc
	v_lshlrev_b32_e32 v6, 24, v8
	v_mov_b32_e32 v7, 0x3b800000
	v_lshlrev_b32_e32 v2, 20, v2
	v_and_b32_e32 v6, 0x80000000, v6
	v_lshl_add_u32 v3, v3, 23, v7
	v_or3_b32 v2, v6, v3, v2
.LBB1_4036:
	s_or_b64 exec, exec, s[6:7]
	s_movk_i32 s4, 0x7f
	v_cmp_gt_i16_sdwa s[6:7], v4, s4 src0_sel:BYTE_0 src1_sel:DWORD
	s_mov_b64 s[4:5], 0
                                        ; implicit-def: $sgpr10
	s_and_saveexec_b64 s[8:9], s[6:7]
	s_xor_b64 s[6:7], exec, s[8:9]
	s_cbranch_execz .LBB1_4037
; %bb.39877:
	s_getpc_b64 s[14:15]
.Lpost_getpc5602:
	s_add_u32 s14, s14, (.LBB1_18373-.Lpost_getpc5602)&4294967295
	s_addc_u32 s15, s15, (.LBB1_18373-.Lpost_getpc5602)>>32
	s_setpc_b64 s[14:15]
.LBB1_4037:
	s_or_saveexec_b64 s[6:7], s[6:7]
	v_mov_b32_e32 v3, s10
	s_xor_b64 exec, exec, s[6:7]
	s_cbranch_execz .LBB1_4038
; %bb.39879:
	s_getpc_b64 s[14:15]
.Lpost_getpc5603:
	s_add_u32 s14, s14, (.LBB1_18376-.Lpost_getpc5603)&4294967295
	s_addc_u32 s15, s15, (.LBB1_18376-.Lpost_getpc5603)>>32
	s_setpc_b64 s[14:15]
.LBB1_4038:
	s_or_b64 exec, exec, s[6:7]
	s_and_saveexec_b64 s[6:7], s[4:5]
	s_cbranch_execz .LBB1_4040
.LBB1_4039:
	v_and_b32_e32 v3, 7, v4
	v_ffbh_u32_e32 v7, v3
	v_min_u32_e32 v7, 32, v7
	v_lshrrev_b16_e32 v6, 3, v4
	v_subrev_u32_e32 v12, 28, v7
	v_and_b32_e32 v6, 15, v6
	v_lshlrev_b32_e32 v12, v12, v4
	v_sub_u32_e32 v7, 29, v7
	v_and_b32_e32 v12, 7, v12
	v_cmp_eq_u16_e32 vcc, 0, v6
	v_cndmask_b32_e32 v3, v3, v12, vcc
	v_cndmask_b32_e32 v6, v6, v7, vcc
	v_lshlrev_b32_e32 v7, 24, v4
	v_mov_b32_e32 v12, 0x3b800000
	v_lshlrev_b32_e32 v3, 20, v3
	v_and_b32_e32 v7, 0x80000000, v7
	v_lshl_add_u32 v6, v6, 23, v12
	v_or3_b32 v3, v7, v6, v3
.LBB1_4040:
	s_or_b64 exec, exec, s[6:7]
	s_nop 0
	v_mfma_f32_16x16x4f32 a[0:3], v2, v3, a[0:3]
	v_lshrrev_b32_e32 v3, 8, v8
	s_movk_i32 s4, 0x7f
	v_cmp_gt_i16_sdwa s[6:7], v3, s4 src0_sel:BYTE_0 src1_sel:DWORD
	s_mov_b64 s[4:5], 0
                                        ; implicit-def: $sgpr10
	s_and_saveexec_b64 s[8:9], s[6:7]
	s_xor_b64 s[6:7], exec, s[8:9]
	s_cbranch_execz .LBB1_4041
; %bb.39881:
	s_getpc_b64 s[14:15]
.Lpost_getpc5604:
	s_add_u32 s14, s14, (.LBB1_18377-.Lpost_getpc5604)&4294967295
	s_addc_u32 s15, s15, (.LBB1_18377-.Lpost_getpc5604)>>32
	s_setpc_b64 s[14:15]
.LBB1_4041:
	s_or_saveexec_b64 s[6:7], s[6:7]
	v_mov_b32_e32 v2, s10
	s_xor_b64 exec, exec, s[6:7]
	s_cbranch_execz .LBB1_4042
; %bb.39883:
	s_getpc_b64 s[14:15]
.Lpost_getpc5605:
	s_add_u32 s14, s14, (.LBB1_18380-.Lpost_getpc5605)&4294967295
	s_addc_u32 s15, s15, (.LBB1_18380-.Lpost_getpc5605)>>32
	s_setpc_b64 s[14:15]
.LBB1_4042:
	s_or_b64 exec, exec, s[6:7]
	s_and_saveexec_b64 s[6:7], s[4:5]
	s_cbranch_execz .LBB1_4044
.LBB1_4043:
	v_bfe_u32 v2, v8, 8, 3
	v_ffbh_u32_e32 v7, v2
	v_min_u32_e32 v7, 32, v7
	v_lshrrev_b16_e32 v6, 3, v3
	v_subrev_u32_e32 v12, 28, v7
	v_and_b32_e32 v6, 15, v6
	v_lshlrev_b32_e32 v3, v12, v3
	v_sub_u32_e32 v7, 29, v7
	v_and_b32_e32 v3, 7, v3
	v_cmp_eq_u16_e32 vcc, 0, v6
	v_cndmask_b32_e32 v2, v2, v3, vcc
	v_cndmask_b32_e32 v3, v6, v7, vcc
	v_lshlrev_b32_e32 v6, 16, v8
	v_mov_b32_e32 v7, 0x3b800000
	v_lshlrev_b32_e32 v2, 20, v2
	v_and_b32_e32 v6, 0x80000000, v6
	v_lshl_add_u32 v3, v3, 23, v7
	v_or3_b32 v2, v6, v3, v2
.LBB1_4044:
	s_or_b64 exec, exec, s[6:7]
	v_lshrrev_b32_e32 v3, 8, v4
	s_movk_i32 s4, 0x7f
	v_cmp_gt_i16_sdwa s[6:7], v3, s4 src0_sel:BYTE_0 src1_sel:DWORD
	s_mov_b64 s[4:5], 0
                                        ; implicit-def: $sgpr10
	s_and_saveexec_b64 s[8:9], s[6:7]
	s_xor_b64 s[6:7], exec, s[8:9]
	s_cbranch_execz .LBB1_4045
; %bb.39885:
	s_getpc_b64 s[14:15]
.Lpost_getpc5606:
	s_add_u32 s14, s14, (.LBB1_18381-.Lpost_getpc5606)&4294967295
	s_addc_u32 s15, s15, (.LBB1_18381-.Lpost_getpc5606)>>32
	s_setpc_b64 s[14:15]
.LBB1_4045:
	s_or_saveexec_b64 s[6:7], s[6:7]
	v_mov_b32_e32 v6, s10
	s_xor_b64 exec, exec, s[6:7]
	s_cbranch_execz .LBB1_4046
; %bb.39887:
	s_getpc_b64 s[14:15]
.Lpost_getpc5607:
	s_add_u32 s14, s14, (.LBB1_18384-.Lpost_getpc5607)&4294967295
	s_addc_u32 s15, s15, (.LBB1_18384-.Lpost_getpc5607)>>32
	s_setpc_b64 s[14:15]
.LBB1_4046:
	s_or_b64 exec, exec, s[6:7]
	s_and_saveexec_b64 s[6:7], s[4:5]
	s_cbranch_execz .LBB1_4048
.LBB1_4047:
	v_bfe_u32 v6, v4, 8, 3
	v_ffbh_u32_e32 v12, v6
	v_min_u32_e32 v12, 32, v12
	v_lshrrev_b16_e32 v7, 3, v3
	v_subrev_u32_e32 v13, 28, v12
	v_and_b32_e32 v7, 15, v7
	v_lshlrev_b32_e32 v3, v13, v3
	v_sub_u32_e32 v12, 29, v12
	v_and_b32_e32 v3, 7, v3
	v_cmp_eq_u16_e32 vcc, 0, v7
	v_cndmask_b32_e32 v3, v6, v3, vcc
	v_cndmask_b32_e32 v6, v7, v12, vcc
	v_lshlrev_b32_e32 v7, 16, v4
	v_mov_b32_e32 v12, 0x3b800000
	v_lshlrev_b32_e32 v3, 20, v3
	v_and_b32_e32 v7, 0x80000000, v7
	v_lshl_add_u32 v6, v6, 23, v12
	v_or3_b32 v6, v7, v6, v3
.LBB1_4048:
	s_or_b64 exec, exec, s[6:7]
	s_nop 0
	v_mfma_f32_16x16x4f32 a[0:3], v2, v6, a[0:3]
	s_movk_i32 s4, 0xff
	v_and_b32_sdwa v3, v8, s4 dst_sel:DWORD dst_unused:UNUSED_PAD src0_sel:WORD_1 src1_sel:DWORD
	s_movk_i32 s4, 0x7f
	v_cmp_lt_i16_e32 vcc, s4, v3
	s_mov_b64 s[4:5], 0
                                        ; implicit-def: $sgpr10
	s_and_saveexec_b64 s[6:7], vcc
	s_xor_b64 s[6:7], exec, s[6:7]
	s_cbranch_execz .LBB1_4049
; %bb.39889:
	s_getpc_b64 s[14:15]
.Lpost_getpc5608:
	s_add_u32 s14, s14, (.LBB1_18385-.Lpost_getpc5608)&4294967295
	s_addc_u32 s15, s15, (.LBB1_18385-.Lpost_getpc5608)>>32
	s_setpc_b64 s[14:15]
.LBB1_4049:
	s_or_saveexec_b64 s[6:7], s[6:7]
	v_mov_b32_e32 v2, s10
	s_xor_b64 exec, exec, s[6:7]
	s_cbranch_execz .LBB1_4050
; %bb.39891:
	s_getpc_b64 s[14:15]
.Lpost_getpc5609:
	s_add_u32 s14, s14, (.LBB1_18388-.Lpost_getpc5609)&4294967295
	s_addc_u32 s15, s15, (.LBB1_18388-.Lpost_getpc5609)>>32
	s_setpc_b64 s[14:15]
.LBB1_4050:
	s_or_b64 exec, exec, s[6:7]
	s_and_saveexec_b64 s[6:7], s[4:5]
	s_cbranch_execz .LBB1_4052
.LBB1_4051:
	v_bfe_u32 v2, v8, 16, 3
	v_ffbh_u32_e32 v7, v2
	v_min_u32_e32 v7, 32, v7
	v_lshrrev_b32_e32 v3, 19, v8
	v_subrev_u32_e32 v12, 28, v7
	v_and_b32_e32 v3, 15, v3
	v_lshlrev_b32_sdwa v12, v12, v8 dst_sel:DWORD dst_unused:UNUSED_PAD src0_sel:DWORD src1_sel:WORD_1
	v_bfe_u32 v6, v8, 19, 4
	v_sub_u32_e32 v7, 29, v7
	v_and_b32_e32 v12, 7, v12
	v_cmp_eq_u16_e32 vcc, 0, v3
	v_cndmask_b32_e32 v2, v2, v12, vcc
	v_cndmask_b32_e32 v3, v6, v7, vcc
	v_lshlrev_b32_e32 v6, 8, v8
	v_mov_b32_e32 v7, 0x3b800000
	v_lshlrev_b32_e32 v2, 20, v2
	v_and_b32_e32 v6, 0x80000000, v6
	v_lshl_add_u32 v3, v3, 23, v7
	v_or3_b32 v2, v6, v3, v2
.LBB1_4052:
	s_or_b64 exec, exec, s[6:7]
	s_movk_i32 s4, 0xff
	v_and_b32_sdwa v3, v4, s4 dst_sel:DWORD dst_unused:UNUSED_PAD src0_sel:WORD_1 src1_sel:DWORD
	s_movk_i32 s4, 0x7f
	v_cmp_lt_i16_e32 vcc, s4, v3
	s_mov_b64 s[4:5], 0
                                        ; implicit-def: $sgpr10
	s_and_saveexec_b64 s[6:7], vcc
	s_xor_b64 s[6:7], exec, s[6:7]
	s_cbranch_execz .LBB1_4053
; %bb.39893:
	s_getpc_b64 s[14:15]
.Lpost_getpc5610:
	s_add_u32 s14, s14, (.LBB1_18389-.Lpost_getpc5610)&4294967295
	s_addc_u32 s15, s15, (.LBB1_18389-.Lpost_getpc5610)>>32
	s_setpc_b64 s[14:15]
.LBB1_4053:
	s_or_saveexec_b64 s[6:7], s[6:7]
	v_mov_b32_e32 v6, s10
	s_xor_b64 exec, exec, s[6:7]
	s_cbranch_execz .LBB1_4054
; %bb.39895:
	s_getpc_b64 s[14:15]
.Lpost_getpc5611:
	s_add_u32 s14, s14, (.LBB1_18392-.Lpost_getpc5611)&4294967295
	s_addc_u32 s15, s15, (.LBB1_18392-.Lpost_getpc5611)>>32
	s_setpc_b64 s[14:15]
.LBB1_4054:
	s_or_b64 exec, exec, s[6:7]
	s_and_saveexec_b64 s[6:7], s[4:5]
	s_cbranch_execz .LBB1_4056
.LBB1_4055:
	v_bfe_u32 v3, v4, 16, 3
	v_ffbh_u32_e32 v12, v3
	v_min_u32_e32 v12, 32, v12
	v_lshrrev_b32_e32 v6, 19, v4
	v_subrev_u32_e32 v13, 28, v12
	v_and_b32_e32 v6, 15, v6
	v_lshlrev_b32_sdwa v13, v13, v4 dst_sel:DWORD dst_unused:UNUSED_PAD src0_sel:DWORD src1_sel:WORD_1
	v_bfe_u32 v7, v4, 19, 4
	v_sub_u32_e32 v12, 29, v12
	v_and_b32_e32 v13, 7, v13
	v_cmp_eq_u16_e32 vcc, 0, v6
	v_cndmask_b32_e32 v3, v3, v13, vcc
	v_cndmask_b32_e32 v6, v7, v12, vcc
	v_lshlrev_b32_e32 v7, 8, v4
	v_mov_b32_e32 v12, 0x3b800000
	v_lshlrev_b32_e32 v3, 20, v3
	v_and_b32_e32 v7, 0x80000000, v7
	v_lshl_add_u32 v6, v6, 23, v12
	v_or3_b32 v6, v7, v6, v3
.LBB1_4056:
	s_or_b64 exec, exec, s[6:7]
	s_nop 0
	v_mfma_f32_16x16x4f32 a[0:3], v2, v6, a[0:3]
	s_movk_i32 s4, 0x7f
	v_cmp_gt_i16_sdwa s[6:7], v8, s4 src0_sel:BYTE_3 src1_sel:DWORD
	s_mov_b64 s[4:5], 0
                                        ; implicit-def: $sgpr10
	s_and_saveexec_b64 s[8:9], s[6:7]
	s_xor_b64 s[6:7], exec, s[8:9]
	s_cbranch_execz .LBB1_4057
; %bb.39897:
	s_getpc_b64 s[14:15]
.Lpost_getpc5612:
	s_add_u32 s14, s14, (.LBB1_18393-.Lpost_getpc5612)&4294967295
	s_addc_u32 s15, s15, (.LBB1_18393-.Lpost_getpc5612)>>32
	s_setpc_b64 s[14:15]
.LBB1_4057:
	s_or_saveexec_b64 s[6:7], s[6:7]
	v_mov_b32_e32 v2, s10
	s_xor_b64 exec, exec, s[6:7]
	s_cbranch_execz .LBB1_4058
; %bb.39899:
	s_getpc_b64 s[14:15]
.Lpost_getpc5613:
	s_add_u32 s14, s14, (.LBB1_18396-.Lpost_getpc5613)&4294967295
	s_addc_u32 s15, s15, (.LBB1_18396-.Lpost_getpc5613)>>32
	s_setpc_b64 s[14:15]
.LBB1_4058:
	s_or_b64 exec, exec, s[6:7]
	s_and_saveexec_b64 s[6:7], s[4:5]
	s_cbranch_execz .LBB1_4060
.LBB1_4059:
	v_bfe_u32 v2, v8, 24, 3
	v_ffbh_u32_e32 v12, v2
	v_min_u32_e32 v12, 32, v12
	v_lshrrev_b32_e32 v6, 27, v8
	v_subrev_u32_e32 v13, 28, v12
	v_and_b32_e32 v3, 0x80000000, v8
	v_and_b32_e32 v6, 15, v6
	v_bfe_u32 v7, v8, 27, 4
	v_lshlrev_b32_sdwa v8, v13, v8 dst_sel:DWORD dst_unused:UNUSED_PAD src0_sel:DWORD src1_sel:BYTE_3
	v_sub_u32_e32 v12, 29, v12
	v_and_b32_e32 v8, 7, v8
	v_cmp_eq_u16_e32 vcc, 0, v6
	v_cndmask_b32_e32 v2, v2, v8, vcc
	v_cndmask_b32_e32 v6, v7, v12, vcc
	v_mov_b32_e32 v7, 0x3b800000
	v_lshlrev_b32_e32 v2, 20, v2
	v_lshl_add_u32 v6, v6, 23, v7
	v_or3_b32 v2, v3, v6, v2
.LBB1_4060:
	s_or_b64 exec, exec, s[6:7]
	s_movk_i32 s4, 0x7f
	v_cmp_gt_i16_sdwa s[6:7], v4, s4 src0_sel:BYTE_3 src1_sel:DWORD
	s_mov_b64 s[4:5], 0
                                        ; implicit-def: $sgpr10
	s_and_saveexec_b64 s[8:9], s[6:7]
	s_xor_b64 s[6:7], exec, s[8:9]
	s_cbranch_execz .LBB1_4061
; %bb.39901:
	s_getpc_b64 s[14:15]
.Lpost_getpc5614:
	s_add_u32 s14, s14, (.LBB1_18397-.Lpost_getpc5614)&4294967295
	s_addc_u32 s15, s15, (.LBB1_18397-.Lpost_getpc5614)>>32
	s_setpc_b64 s[14:15]
.LBB1_4061:
	s_or_saveexec_b64 s[6:7], s[6:7]
	v_mov_b32_e32 v3, s10
	s_xor_b64 exec, exec, s[6:7]
	s_cbranch_execz .LBB1_4062
; %bb.39903:
	s_getpc_b64 s[14:15]
.Lpost_getpc5615:
	s_add_u32 s14, s14, (.LBB1_18400-.Lpost_getpc5615)&4294967295
	s_addc_u32 s15, s15, (.LBB1_18400-.Lpost_getpc5615)>>32
	s_setpc_b64 s[14:15]
.LBB1_4062:
	s_or_b64 exec, exec, s[6:7]
	s_and_saveexec_b64 s[6:7], s[4:5]
	s_cbranch_execz .LBB1_4064
.LBB1_4063:
	v_bfe_u32 v3, v4, 24, 3
	v_ffbh_u32_e32 v12, v3
	v_min_u32_e32 v12, 32, v12
	v_lshrrev_b32_e32 v7, 27, v4
	v_subrev_u32_e32 v13, 28, v12
	v_and_b32_e32 v6, 0x80000000, v4
	v_and_b32_e32 v7, 15, v7
	v_bfe_u32 v8, v4, 27, 4
	v_lshlrev_b32_sdwa v4, v13, v4 dst_sel:DWORD dst_unused:UNUSED_PAD src0_sel:DWORD src1_sel:BYTE_3
	v_sub_u32_e32 v12, 29, v12
	v_and_b32_e32 v4, 7, v4
	v_cmp_eq_u16_e32 vcc, 0, v7
	v_cndmask_b32_e32 v3, v3, v4, vcc
	v_cndmask_b32_e32 v4, v8, v12, vcc
	v_mov_b32_e32 v7, 0x3b800000
	v_lshlrev_b32_e32 v3, 20, v3
	v_lshl_add_u32 v4, v4, 23, v7
	v_or3_b32 v3, v6, v4, v3
.LBB1_4064:
	s_or_b64 exec, exec, s[6:7]
	s_nop 0
	v_mfma_f32_16x16x4f32 a[0:3], v2, v3, a[0:3]
	s_movk_i32 s4, 0x7f
	v_cmp_gt_i16_sdwa s[6:7], v9, s4 src0_sel:BYTE_0 src1_sel:DWORD
	s_mov_b64 s[4:5], 0
                                        ; implicit-def: $sgpr10
	s_and_saveexec_b64 s[8:9], s[6:7]
	s_xor_b64 s[6:7], exec, s[8:9]
	s_cbranch_execz .LBB1_4065
; %bb.39905:
	s_getpc_b64 s[14:15]
.Lpost_getpc5616:
	s_add_u32 s14, s14, (.LBB1_18401-.Lpost_getpc5616)&4294967295
	s_addc_u32 s15, s15, (.LBB1_18401-.Lpost_getpc5616)>>32
	s_setpc_b64 s[14:15]
.LBB1_4065:
	s_or_saveexec_b64 s[6:7], s[6:7]
	v_mov_b32_e32 v2, s10
	s_xor_b64 exec, exec, s[6:7]
	s_cbranch_execz .LBB1_4066
; %bb.39907:
	s_getpc_b64 s[14:15]
.Lpost_getpc5617:
	s_add_u32 s14, s14, (.LBB1_18404-.Lpost_getpc5617)&4294967295
	s_addc_u32 s15, s15, (.LBB1_18404-.Lpost_getpc5617)>>32
	s_setpc_b64 s[14:15]
.LBB1_4066:
	s_or_b64 exec, exec, s[6:7]
	s_and_saveexec_b64 s[6:7], s[4:5]
	s_cbranch_execz .LBB1_4068
.LBB1_4067:
	v_mov_b32_e32 v2, 8
	v_and_b32_e32 v3, 7, v9
	v_lshrrev_b32_sdwa v2, v2, v9 dst_sel:BYTE_1 dst_unused:UNUSED_PAD src0_sel:DWORD src1_sel:DWORD
	v_ffbh_u32_e32 v4, v3
	v_or_b32_sdwa v2, v9, v2 dst_sel:DWORD dst_unused:UNUSED_PAD src0_sel:BYTE_0 src1_sel:DWORD
	v_min_u32_e32 v4, 32, v4
	v_lshrrev_b16_e32 v2, 3, v2
	v_subrev_u32_e32 v6, 28, v4
	v_and_b32_e32 v2, 15, v2
	v_lshlrev_b32_e32 v6, v6, v9
	v_sub_u32_e32 v4, 29, v4
	v_and_b32_e32 v6, 7, v6
	v_cmp_eq_u16_e32 vcc, 0, v2
	v_cndmask_b32_e32 v3, v3, v6, vcc
	v_cndmask_b32_e32 v2, v2, v4, vcc
	v_lshlrev_b32_e32 v4, 24, v9
	v_mov_b32_e32 v6, 0x3b800000
	v_lshlrev_b32_e32 v3, 20, v3
	v_and_b32_e32 v4, 0x80000000, v4
	v_lshl_add_u32 v2, v2, 23, v6
	v_or3_b32 v2, v4, v2, v3
.LBB1_4068:
	s_or_b64 exec, exec, s[6:7]
	s_movk_i32 s4, 0x7f
	v_cmp_gt_i16_sdwa s[6:7], v5, s4 src0_sel:BYTE_0 src1_sel:DWORD
	s_mov_b64 s[4:5], 0
                                        ; implicit-def: $sgpr10
	s_and_saveexec_b64 s[8:9], s[6:7]
	s_xor_b64 s[6:7], exec, s[8:9]
	s_cbranch_execz .LBB1_4069
; %bb.39909:
	s_getpc_b64 s[14:15]
.Lpost_getpc5618:
	s_add_u32 s14, s14, (.LBB1_18405-.Lpost_getpc5618)&4294967295
	s_addc_u32 s15, s15, (.LBB1_18405-.Lpost_getpc5618)>>32
	s_setpc_b64 s[14:15]
.LBB1_4069:
	s_or_saveexec_b64 s[6:7], s[6:7]
	v_mov_b32_e32 v3, s10
	s_xor_b64 exec, exec, s[6:7]
	s_cbranch_execz .LBB1_4070
; %bb.39911:
	s_getpc_b64 s[14:15]
.Lpost_getpc5619:
	s_add_u32 s14, s14, (.LBB1_18408-.Lpost_getpc5619)&4294967295
	s_addc_u32 s15, s15, (.LBB1_18408-.Lpost_getpc5619)>>32
	s_setpc_b64 s[14:15]
.LBB1_4070:
	s_or_b64 exec, exec, s[6:7]
	s_and_saveexec_b64 s[6:7], s[4:5]
	s_cbranch_execz .LBB1_4072
.LBB1_4071:
	v_mov_b32_e32 v3, 8
	v_and_b32_e32 v4, 7, v5
	v_lshrrev_b32_sdwa v3, v3, v5 dst_sel:BYTE_1 dst_unused:UNUSED_PAD src0_sel:DWORD src1_sel:DWORD
	v_ffbh_u32_e32 v6, v4
	v_or_b32_sdwa v3, v5, v3 dst_sel:DWORD dst_unused:UNUSED_PAD src0_sel:BYTE_0 src1_sel:DWORD
	v_min_u32_e32 v6, 32, v6
	v_lshrrev_b16_e32 v3, 3, v3
	v_subrev_u32_e32 v7, 28, v6
	v_and_b32_e32 v3, 15, v3
	v_lshlrev_b32_e32 v7, v7, v5
	v_sub_u32_e32 v6, 29, v6
	v_and_b32_e32 v7, 7, v7
	v_cmp_eq_u16_e32 vcc, 0, v3
	v_cndmask_b32_e32 v4, v4, v7, vcc
	v_cndmask_b32_e32 v3, v3, v6, vcc
	v_lshlrev_b32_e32 v6, 24, v5
	v_mov_b32_e32 v7, 0x3b800000
	v_lshlrev_b32_e32 v4, 20, v4
	v_and_b32_e32 v6, 0x80000000, v6
	v_lshl_add_u32 v3, v3, 23, v7
	v_or3_b32 v3, v6, v3, v4
.LBB1_4072:
	s_or_b64 exec, exec, s[6:7]
	s_nop 0
	v_mfma_f32_16x16x4f32 a[0:3], v2, v3, a[0:3]
	v_lshrrev_b32_e32 v3, 8, v9
	s_movk_i32 s4, 0x7f
	v_cmp_gt_i16_sdwa s[6:7], v3, s4 src0_sel:BYTE_0 src1_sel:DWORD
	s_mov_b64 s[4:5], 0
                                        ; implicit-def: $sgpr10
	s_and_saveexec_b64 s[8:9], s[6:7]
	s_xor_b64 s[6:7], exec, s[8:9]
	s_cbranch_execz .LBB1_4073
; %bb.39913:
	s_getpc_b64 s[14:15]
.Lpost_getpc5620:
	s_add_u32 s14, s14, (.LBB1_18409-.Lpost_getpc5620)&4294967295
	s_addc_u32 s15, s15, (.LBB1_18409-.Lpost_getpc5620)>>32
	s_setpc_b64 s[14:15]
.LBB1_4073:
	s_or_saveexec_b64 s[6:7], s[6:7]
	v_mov_b32_e32 v2, s10
	s_xor_b64 exec, exec, s[6:7]
	s_cbranch_execz .LBB1_4074
; %bb.39915:
	s_getpc_b64 s[14:15]
.Lpost_getpc5621:
	s_add_u32 s14, s14, (.LBB1_18412-.Lpost_getpc5621)&4294967295
	s_addc_u32 s15, s15, (.LBB1_18412-.Lpost_getpc5621)>>32
	s_setpc_b64 s[14:15]
.LBB1_4074:
	s_or_b64 exec, exec, s[6:7]
	s_and_saveexec_b64 s[6:7], s[4:5]
	s_cbranch_execz .LBB1_4076
.LBB1_4075:
	v_bfe_u32 v2, v9, 8, 3
	v_ffbh_u32_e32 v6, v2
	v_min_u32_e32 v6, 32, v6
	v_lshrrev_b16_e32 v4, 3, v3
	v_subrev_u32_e32 v7, 28, v6
	v_and_b32_e32 v4, 15, v4
	v_lshlrev_b32_e32 v3, v7, v3
	v_sub_u32_e32 v6, 29, v6
	v_and_b32_e32 v3, 7, v3
	v_cmp_eq_u16_e32 vcc, 0, v4
	v_cndmask_b32_e32 v2, v2, v3, vcc
	v_cndmask_b32_e32 v3, v4, v6, vcc
	v_lshlrev_b32_e32 v4, 16, v9
	v_mov_b32_e32 v6, 0x3b800000
	v_lshlrev_b32_e32 v2, 20, v2
	v_and_b32_e32 v4, 0x80000000, v4
	v_lshl_add_u32 v3, v3, 23, v6
	v_or3_b32 v2, v4, v3, v2
.LBB1_4076:
	s_or_b64 exec, exec, s[6:7]
	v_lshrrev_b32_e32 v3, 8, v5
	s_movk_i32 s4, 0x7f
	v_cmp_gt_i16_sdwa s[6:7], v3, s4 src0_sel:BYTE_0 src1_sel:DWORD
	s_mov_b64 s[4:5], 0
                                        ; implicit-def: $sgpr10
	s_and_saveexec_b64 s[8:9], s[6:7]
	s_xor_b64 s[6:7], exec, s[8:9]
	s_cbranch_execz .LBB1_4077
; %bb.39917:
	s_getpc_b64 s[14:15]
.Lpost_getpc5622:
	s_add_u32 s14, s14, (.LBB1_18413-.Lpost_getpc5622)&4294967295
	s_addc_u32 s15, s15, (.LBB1_18413-.Lpost_getpc5622)>>32
	s_setpc_b64 s[14:15]
.LBB1_4077:
	s_or_saveexec_b64 s[6:7], s[6:7]
	v_mov_b32_e32 v4, s10
	s_xor_b64 exec, exec, s[6:7]
	s_cbranch_execz .LBB1_4078
; %bb.39919:
	s_getpc_b64 s[14:15]
.Lpost_getpc5623:
	s_add_u32 s14, s14, (.LBB1_18416-.Lpost_getpc5623)&4294967295
	s_addc_u32 s15, s15, (.LBB1_18416-.Lpost_getpc5623)>>32
	s_setpc_b64 s[14:15]
.LBB1_4078:
	s_or_b64 exec, exec, s[6:7]
	s_and_saveexec_b64 s[6:7], s[4:5]
	s_cbranch_execz .LBB1_4080
.LBB1_4079:
	v_bfe_u32 v4, v5, 8, 3
	v_ffbh_u32_e32 v7, v4
	v_min_u32_e32 v7, 32, v7
	v_lshrrev_b16_e32 v6, 3, v3
	v_subrev_u32_e32 v8, 28, v7
	v_and_b32_e32 v6, 15, v6
	v_lshlrev_b32_e32 v3, v8, v3
	v_sub_u32_e32 v7, 29, v7
	v_and_b32_e32 v3, 7, v3
	v_cmp_eq_u16_e32 vcc, 0, v6
	v_cndmask_b32_e32 v3, v4, v3, vcc
	v_cndmask_b32_e32 v4, v6, v7, vcc
	v_lshlrev_b32_e32 v6, 16, v5
	v_mov_b32_e32 v7, 0x3b800000
	v_lshlrev_b32_e32 v3, 20, v3
	v_and_b32_e32 v6, 0x80000000, v6
	v_lshl_add_u32 v4, v4, 23, v7
	v_or3_b32 v4, v6, v4, v3
.LBB1_4080:
	s_or_b64 exec, exec, s[6:7]
	s_nop 0
	v_mfma_f32_16x16x4f32 a[0:3], v2, v4, a[0:3]
	s_movk_i32 s4, 0xff
	v_and_b32_sdwa v3, v9, s4 dst_sel:DWORD dst_unused:UNUSED_PAD src0_sel:WORD_1 src1_sel:DWORD
	s_movk_i32 s4, 0x7f
	v_cmp_lt_i16_e32 vcc, s4, v3
	s_mov_b64 s[4:5], 0
                                        ; implicit-def: $sgpr10
	s_and_saveexec_b64 s[6:7], vcc
	s_xor_b64 s[6:7], exec, s[6:7]
	s_cbranch_execz .LBB1_4081
; %bb.39921:
	s_getpc_b64 s[14:15]
.Lpost_getpc5624:
	s_add_u32 s14, s14, (.LBB1_18417-.Lpost_getpc5624)&4294967295
	s_addc_u32 s15, s15, (.LBB1_18417-.Lpost_getpc5624)>>32
	s_setpc_b64 s[14:15]
.LBB1_4081:
	s_or_saveexec_b64 s[6:7], s[6:7]
	v_mov_b32_e32 v2, s10
	s_xor_b64 exec, exec, s[6:7]
	s_cbranch_execz .LBB1_4082
; %bb.39923:
	s_getpc_b64 s[14:15]
.Lpost_getpc5625:
	s_add_u32 s14, s14, (.LBB1_18420-.Lpost_getpc5625)&4294967295
	s_addc_u32 s15, s15, (.LBB1_18420-.Lpost_getpc5625)>>32
	s_setpc_b64 s[14:15]
.LBB1_4082:
	s_or_b64 exec, exec, s[6:7]
	s_and_saveexec_b64 s[6:7], s[4:5]
	s_cbranch_execz .LBB1_4084
.LBB1_4083:
	v_bfe_u32 v2, v9, 16, 3
	v_ffbh_u32_e32 v6, v2
	v_min_u32_e32 v6, 32, v6
	v_lshrrev_b32_e32 v3, 19, v9
	v_subrev_u32_e32 v7, 28, v6
	v_and_b32_e32 v3, 15, v3
	v_lshlrev_b32_sdwa v7, v7, v9 dst_sel:DWORD dst_unused:UNUSED_PAD src0_sel:DWORD src1_sel:WORD_1
	v_bfe_u32 v4, v9, 19, 4
	v_sub_u32_e32 v6, 29, v6
	v_and_b32_e32 v7, 7, v7
	v_cmp_eq_u16_e32 vcc, 0, v3
	v_cndmask_b32_e32 v2, v2, v7, vcc
	v_cndmask_b32_e32 v3, v4, v6, vcc
	v_lshlrev_b32_e32 v4, 8, v9
	v_mov_b32_e32 v6, 0x3b800000
	v_lshlrev_b32_e32 v2, 20, v2
	v_and_b32_e32 v4, 0x80000000, v4
	v_lshl_add_u32 v3, v3, 23, v6
	v_or3_b32 v2, v4, v3, v2
.LBB1_4084:
	s_or_b64 exec, exec, s[6:7]
	s_movk_i32 s4, 0xff
	v_and_b32_sdwa v3, v5, s4 dst_sel:DWORD dst_unused:UNUSED_PAD src0_sel:WORD_1 src1_sel:DWORD
	s_movk_i32 s4, 0x7f
	v_cmp_lt_i16_e32 vcc, s4, v3
	s_mov_b64 s[4:5], 0
                                        ; implicit-def: $sgpr10
	s_and_saveexec_b64 s[6:7], vcc
	s_xor_b64 s[6:7], exec, s[6:7]
	s_cbranch_execz .LBB1_4085
; %bb.39925:
	s_getpc_b64 s[14:15]
.Lpost_getpc5626:
	s_add_u32 s14, s14, (.LBB1_18421-.Lpost_getpc5626)&4294967295
	s_addc_u32 s15, s15, (.LBB1_18421-.Lpost_getpc5626)>>32
	s_setpc_b64 s[14:15]
.LBB1_4085:
	s_or_saveexec_b64 s[6:7], s[6:7]
	v_mov_b32_e32 v4, s10
	s_xor_b64 exec, exec, s[6:7]
	s_cbranch_execz .LBB1_4086
; %bb.39927:
	s_getpc_b64 s[14:15]
.Lpost_getpc5627:
	s_add_u32 s14, s14, (.LBB1_18424-.Lpost_getpc5627)&4294967295
	s_addc_u32 s15, s15, (.LBB1_18424-.Lpost_getpc5627)>>32
	s_setpc_b64 s[14:15]
.LBB1_4086:
	s_or_b64 exec, exec, s[6:7]
	s_and_saveexec_b64 s[6:7], s[4:5]
	s_cbranch_execz .LBB1_4088
.LBB1_4087:
	v_bfe_u32 v3, v5, 16, 3
	v_ffbh_u32_e32 v7, v3
	v_min_u32_e32 v7, 32, v7
	v_lshrrev_b32_e32 v4, 19, v5
	v_subrev_u32_e32 v8, 28, v7
	v_and_b32_e32 v4, 15, v4
	v_lshlrev_b32_sdwa v8, v8, v5 dst_sel:DWORD dst_unused:UNUSED_PAD src0_sel:DWORD src1_sel:WORD_1
	v_bfe_u32 v6, v5, 19, 4
	v_sub_u32_e32 v7, 29, v7
	v_and_b32_e32 v8, 7, v8
	v_cmp_eq_u16_e32 vcc, 0, v4
	v_cndmask_b32_e32 v3, v3, v8, vcc
	v_cndmask_b32_e32 v4, v6, v7, vcc
	v_lshlrev_b32_e32 v6, 8, v5
	v_mov_b32_e32 v7, 0x3b800000
	v_lshlrev_b32_e32 v3, 20, v3
	v_and_b32_e32 v6, 0x80000000, v6
	v_lshl_add_u32 v4, v4, 23, v7
	v_or3_b32 v4, v6, v4, v3
.LBB1_4088:
	s_or_b64 exec, exec, s[6:7]
	s_nop 0
	v_mfma_f32_16x16x4f32 a[0:3], v2, v4, a[0:3]
	s_movk_i32 s4, 0x7f
	v_cmp_gt_i16_sdwa s[6:7], v9, s4 src0_sel:BYTE_3 src1_sel:DWORD
	s_mov_b64 s[4:5], 0
                                        ; implicit-def: $sgpr10
	s_and_saveexec_b64 s[8:9], s[6:7]
	s_xor_b64 s[6:7], exec, s[8:9]
	s_cbranch_execz .LBB1_4089
; %bb.39929:
	s_getpc_b64 s[14:15]
.Lpost_getpc5628:
	s_add_u32 s14, s14, (.LBB1_18425-.Lpost_getpc5628)&4294967295
	s_addc_u32 s15, s15, (.LBB1_18425-.Lpost_getpc5628)>>32
	s_setpc_b64 s[14:15]
.LBB1_4089:
	s_or_saveexec_b64 s[6:7], s[6:7]
	v_mov_b32_e32 v2, s10
	s_xor_b64 exec, exec, s[6:7]
	s_cbranch_execz .LBB1_4090
; %bb.39931:
	s_getpc_b64 s[14:15]
.Lpost_getpc5629:
	s_add_u32 s14, s14, (.LBB1_18428-.Lpost_getpc5629)&4294967295
	s_addc_u32 s15, s15, (.LBB1_18428-.Lpost_getpc5629)>>32
	s_setpc_b64 s[14:15]
.LBB1_4090:
	s_or_b64 exec, exec, s[6:7]
	s_and_saveexec_b64 s[6:7], s[4:5]
	s_cbranch_execz .LBB1_4092
.LBB1_4091:
	v_bfe_u32 v2, v9, 24, 3
	v_ffbh_u32_e32 v7, v2
	v_min_u32_e32 v7, 32, v7
	v_lshrrev_b32_e32 v4, 27, v9
	v_subrev_u32_e32 v8, 28, v7
	v_and_b32_e32 v4, 15, v4
	v_lshlrev_b32_sdwa v8, v8, v9 dst_sel:DWORD dst_unused:UNUSED_PAD src0_sel:DWORD src1_sel:BYTE_3
	v_bfe_u32 v6, v9, 27, 4
	v_sub_u32_e32 v7, 29, v7
	v_and_b32_e32 v8, 7, v8
	v_cmp_eq_u16_e32 vcc, 0, v4
	v_cndmask_b32_e32 v2, v2, v8, vcc
	v_cndmask_b32_e32 v4, v6, v7, vcc
	v_mov_b32_e32 v6, 0x3b800000
	v_and_b32_e32 v3, 0x80000000, v9
	v_lshlrev_b32_e32 v2, 20, v2
	v_lshl_add_u32 v4, v4, 23, v6
	v_or3_b32 v2, v3, v4, v2
.LBB1_4092:
	s_or_b64 exec, exec, s[6:7]
	s_movk_i32 s4, 0x7f
	v_cmp_gt_i16_sdwa s[6:7], v5, s4 src0_sel:BYTE_3 src1_sel:DWORD
	s_mov_b64 s[4:5], 0
                                        ; implicit-def: $sgpr10
	s_and_saveexec_b64 s[8:9], s[6:7]
	s_xor_b64 s[6:7], exec, s[8:9]
	s_cbranch_execz .LBB1_4093
; %bb.39933:
	s_getpc_b64 s[14:15]
.Lpost_getpc5630:
	s_add_u32 s14, s14, (.LBB1_18429-.Lpost_getpc5630)&4294967295
	s_addc_u32 s15, s15, (.LBB1_18429-.Lpost_getpc5630)>>32
	s_setpc_b64 s[14:15]
.LBB1_4093:
	s_or_saveexec_b64 s[6:7], s[6:7]
	v_mov_b32_e32 v3, s10
	s_xor_b64 exec, exec, s[6:7]
	s_cbranch_execz .LBB1_4094
; %bb.39935:
	s_getpc_b64 s[14:15]
.Lpost_getpc5631:
	s_add_u32 s14, s14, (.LBB1_18432-.Lpost_getpc5631)&4294967295
	s_addc_u32 s15, s15, (.LBB1_18432-.Lpost_getpc5631)>>32
	s_setpc_b64 s[14:15]
.LBB1_4094:
	s_or_b64 exec, exec, s[6:7]
	s_and_saveexec_b64 s[6:7], s[4:5]
	s_cbranch_execz .LBB1_4096
.LBB1_4095:
	v_bfe_u32 v3, v5, 24, 3
	v_ffbh_u32_e32 v8, v3
	v_min_u32_e32 v8, 32, v8
	v_lshrrev_b32_e32 v6, 27, v5
	v_subrev_u32_e32 v9, 28, v8
	v_and_b32_e32 v4, 0x80000000, v5
	v_and_b32_e32 v6, 15, v6
	v_bfe_u32 v7, v5, 27, 4
	v_lshlrev_b32_sdwa v5, v9, v5 dst_sel:DWORD dst_unused:UNUSED_PAD src0_sel:DWORD src1_sel:BYTE_3
	v_sub_u32_e32 v8, 29, v8
	v_and_b32_e32 v5, 7, v5
	v_cmp_eq_u16_e32 vcc, 0, v6
	v_cndmask_b32_e32 v3, v3, v5, vcc
	v_cndmask_b32_e32 v5, v7, v8, vcc
	v_mov_b32_e32 v6, 0x3b800000
	v_lshlrev_b32_e32 v3, 20, v3
	v_lshl_add_u32 v5, v5, 23, v6
	v_or3_b32 v3, v4, v5, v3
.LBB1_4096:
	s_or_b64 exec, exec, s[6:7]
	s_nop 0
	v_mfma_f32_16x16x4f32 a[0:3], v2, v3, a[0:3]
	s_movk_i32 s4, 0x7f
                                        ; implicit-def: $sgpr10
	s_nop 7
	s_nop 1
	flat_store_dwordx4 v[10:11], a[0:3] offset:496
	flat_load_dwordx4 v[12:15], v[0:1]
	s_nop 0
	flat_load_dwordx2 v[10:11], v[0:1] offset:16
	s_waitcnt vmcnt(0) lgkmcnt(0)
	flat_load_dwordx4 v[6:9], v[12:13] offset:64
	flat_load_dwordx4 v[2:5], v[14:15]
	s_waitcnt vmcnt(0) lgkmcnt(0)
	v_cmp_gt_i16_sdwa s[6:7], v6, s4 src0_sel:BYTE_0 src1_sel:DWORD
	s_mov_b64 s[4:5], 0
	s_and_saveexec_b64 s[8:9], s[6:7]
	s_xor_b64 s[6:7], exec, s[8:9]
	s_cbranch_execz .LBB1_4097
; %bb.39937:
	s_getpc_b64 s[14:15]
.Lpost_getpc5632:
	s_add_u32 s14, s14, (.LBB1_18433-.Lpost_getpc5632)&4294967295
	s_addc_u32 s15, s15, (.LBB1_18433-.Lpost_getpc5632)>>32
	s_setpc_b64 s[14:15]
.LBB1_4097:
	s_or_saveexec_b64 s[6:7], s[6:7]
	v_mov_b32_e32 v12, s10
	s_xor_b64 exec, exec, s[6:7]
	s_cbranch_execz .LBB1_4098
; %bb.39939:
	s_getpc_b64 s[14:15]
.Lpost_getpc5633:
	s_add_u32 s14, s14, (.LBB1_18436-.Lpost_getpc5633)&4294967295
	s_addc_u32 s15, s15, (.LBB1_18436-.Lpost_getpc5633)>>32
	s_setpc_b64 s[14:15]
.LBB1_4098:
	s_or_b64 exec, exec, s[6:7]
	s_and_saveexec_b64 s[6:7], s[4:5]
	s_cbranch_execz .LBB1_4100
.LBB1_4099:
	v_and_b32_e32 v12, 7, v6
	v_ffbh_u32_e32 v14, v12
	v_min_u32_e32 v14, 32, v14
	v_lshrrev_b16_e32 v13, 3, v6
	v_subrev_u32_e32 v15, 28, v14
	v_and_b32_e32 v13, 15, v13
	v_lshlrev_b32_e32 v15, v15, v6
	v_sub_u32_e32 v14, 29, v14
	v_and_b32_e32 v15, 7, v15
	v_cmp_eq_u16_e32 vcc, 0, v13
	v_cndmask_b32_e32 v12, v12, v15, vcc
	v_cndmask_b32_e32 v13, v13, v14, vcc
	v_lshlrev_b32_e32 v14, 24, v6
	v_mov_b32_e32 v15, 0x3b800000
	v_lshlrev_b32_e32 v12, 20, v12
	v_and_b32_e32 v14, 0x80000000, v14
	v_lshl_add_u32 v13, v13, 23, v15
	v_or3_b32 v12, v14, v13, v12
.LBB1_4100:
	s_or_b64 exec, exec, s[6:7]
	s_movk_i32 s4, 0x7f
	v_cmp_gt_i16_sdwa s[6:7], v2, s4 src0_sel:BYTE_0 src1_sel:DWORD
	s_mov_b64 s[4:5], 0
                                        ; implicit-def: $sgpr10
	s_and_saveexec_b64 s[8:9], s[6:7]
	s_xor_b64 s[6:7], exec, s[8:9]
	s_cbranch_execz .LBB1_4101
; %bb.39941:
	s_getpc_b64 s[14:15]
.Lpost_getpc5634:
	s_add_u32 s14, s14, (.LBB1_18437-.Lpost_getpc5634)&4294967295
	s_addc_u32 s15, s15, (.LBB1_18437-.Lpost_getpc5634)>>32
	s_setpc_b64 s[14:15]
.LBB1_4101:
	s_or_saveexec_b64 s[6:7], s[6:7]
	v_mov_b32_e32 v13, s10
	s_xor_b64 exec, exec, s[6:7]
	s_cbranch_execz .LBB1_4102
; %bb.39943:
	s_getpc_b64 s[14:15]
.Lpost_getpc5635:
	s_add_u32 s14, s14, (.LBB1_18440-.Lpost_getpc5635)&4294967295
	s_addc_u32 s15, s15, (.LBB1_18440-.Lpost_getpc5635)>>32
	s_setpc_b64 s[14:15]
.LBB1_4102:
	s_or_b64 exec, exec, s[6:7]
	s_and_saveexec_b64 s[6:7], s[4:5]
	s_cbranch_execz .LBB1_4104
.LBB1_4103:
	v_and_b32_e32 v13, 7, v2
	v_ffbh_u32_e32 v15, v13
	v_min_u32_e32 v15, 32, v15
	v_lshrrev_b16_e32 v14, 3, v2
	v_subrev_u32_e32 v16, 28, v15
	v_and_b32_e32 v14, 15, v14
	v_lshlrev_b32_e32 v16, v16, v2
	v_sub_u32_e32 v15, 29, v15
	v_and_b32_e32 v16, 7, v16
	v_cmp_eq_u16_e32 vcc, 0, v14
	v_cndmask_b32_e32 v13, v13, v16, vcc
	v_cndmask_b32_e32 v14, v14, v15, vcc
	v_lshlrev_b32_e32 v15, 24, v2
	v_mov_b32_e32 v16, 0x3b800000
	v_lshlrev_b32_e32 v13, 20, v13
	v_and_b32_e32 v15, 0x80000000, v15
	v_lshl_add_u32 v14, v14, 23, v16
	v_or3_b32 v13, v15, v14, v13
.LBB1_4104:
	s_or_b64 exec, exec, s[6:7]
	flat_load_dwordx4 a[0:3], v[10:11] offset:512
	s_movk_i32 s4, 0x7f
                                        ; implicit-def: $sgpr10
	s_waitcnt vmcnt(0) lgkmcnt(0)
	v_mfma_f32_16x16x4f32 a[0:3], v12, v13, a[0:3]
	v_lshrrev_b32_e32 v13, 8, v6
	v_cmp_gt_i16_sdwa s[6:7], v13, s4 src0_sel:BYTE_0 src1_sel:DWORD
	s_mov_b64 s[4:5], 0
	s_and_saveexec_b64 s[8:9], s[6:7]
	s_xor_b64 s[6:7], exec, s[8:9]
	s_cbranch_execz .LBB1_4105
; %bb.39945:
	s_getpc_b64 s[14:15]
.Lpost_getpc5636:
	s_add_u32 s14, s14, (.LBB1_18441-.Lpost_getpc5636)&4294967295
	s_addc_u32 s15, s15, (.LBB1_18441-.Lpost_getpc5636)>>32
	s_setpc_b64 s[14:15]
.LBB1_4105:
	s_or_saveexec_b64 s[6:7], s[6:7]
	v_mov_b32_e32 v12, s10
	s_xor_b64 exec, exec, s[6:7]
	s_cbranch_execz .LBB1_4106
; %bb.39947:
	s_getpc_b64 s[14:15]
.Lpost_getpc5637:
	s_add_u32 s14, s14, (.LBB1_18444-.Lpost_getpc5637)&4294967295
	s_addc_u32 s15, s15, (.LBB1_18444-.Lpost_getpc5637)>>32
	s_setpc_b64 s[14:15]
.LBB1_4106:
	s_or_b64 exec, exec, s[6:7]
	s_and_saveexec_b64 s[6:7], s[4:5]
	s_cbranch_execz .LBB1_4108
.LBB1_4107:
	v_bfe_u32 v12, v6, 8, 3
	v_ffbh_u32_e32 v15, v12
	v_min_u32_e32 v15, 32, v15
	v_lshrrev_b16_e32 v14, 3, v13
	v_subrev_u32_e32 v16, 28, v15
	v_and_b32_e32 v14, 15, v14
	v_lshlrev_b32_e32 v13, v16, v13
	v_sub_u32_e32 v15, 29, v15
	v_and_b32_e32 v13, 7, v13
	v_cmp_eq_u16_e32 vcc, 0, v14
	v_cndmask_b32_e32 v12, v12, v13, vcc
	v_cndmask_b32_e32 v13, v14, v15, vcc
	v_lshlrev_b32_e32 v14, 16, v6
	v_mov_b32_e32 v15, 0x3b800000
	v_lshlrev_b32_e32 v12, 20, v12
	v_and_b32_e32 v14, 0x80000000, v14
	v_lshl_add_u32 v13, v13, 23, v15
	v_or3_b32 v12, v14, v13, v12
.LBB1_4108:
	s_or_b64 exec, exec, s[6:7]
	v_lshrrev_b32_e32 v13, 8, v2
	s_movk_i32 s4, 0x7f
	v_cmp_gt_i16_sdwa s[6:7], v13, s4 src0_sel:BYTE_0 src1_sel:DWORD
	s_mov_b64 s[4:5], 0
                                        ; implicit-def: $sgpr10
	s_and_saveexec_b64 s[8:9], s[6:7]
	s_xor_b64 s[6:7], exec, s[8:9]
	s_cbranch_execz .LBB1_4109
; %bb.39949:
	s_getpc_b64 s[14:15]
.Lpost_getpc5638:
	s_add_u32 s14, s14, (.LBB1_18445-.Lpost_getpc5638)&4294967295
	s_addc_u32 s15, s15, (.LBB1_18445-.Lpost_getpc5638)>>32
	s_setpc_b64 s[14:15]
.LBB1_4109:
	s_or_saveexec_b64 s[6:7], s[6:7]
	v_mov_b32_e32 v14, s10
	s_xor_b64 exec, exec, s[6:7]
	s_cbranch_execz .LBB1_4110
; %bb.39951:
	s_getpc_b64 s[14:15]
.Lpost_getpc5639:
	s_add_u32 s14, s14, (.LBB1_18448-.Lpost_getpc5639)&4294967295
	s_addc_u32 s15, s15, (.LBB1_18448-.Lpost_getpc5639)>>32
	s_setpc_b64 s[14:15]
.LBB1_4110:
	s_or_b64 exec, exec, s[6:7]
	s_and_saveexec_b64 s[6:7], s[4:5]
	s_cbranch_execz .LBB1_4112
.LBB1_4111:
	v_bfe_u32 v14, v2, 8, 3
	v_ffbh_u32_e32 v16, v14
	v_min_u32_e32 v16, 32, v16
	v_lshrrev_b16_e32 v15, 3, v13
	v_subrev_u32_e32 v17, 28, v16
	v_and_b32_e32 v15, 15, v15
	v_lshlrev_b32_e32 v13, v17, v13
	v_sub_u32_e32 v16, 29, v16
	v_and_b32_e32 v13, 7, v13
	v_cmp_eq_u16_e32 vcc, 0, v15
	v_cndmask_b32_e32 v13, v14, v13, vcc
	v_cndmask_b32_e32 v14, v15, v16, vcc
	v_lshlrev_b32_e32 v15, 16, v2
	v_mov_b32_e32 v16, 0x3b800000
	v_lshlrev_b32_e32 v13, 20, v13
	v_and_b32_e32 v15, 0x80000000, v15
	v_lshl_add_u32 v14, v14, 23, v16
	v_or3_b32 v14, v15, v14, v13
.LBB1_4112:
	s_or_b64 exec, exec, s[6:7]
	s_nop 0
	v_mfma_f32_16x16x4f32 a[0:3], v12, v14, a[0:3]
	s_movk_i32 s4, 0xff
	v_and_b32_sdwa v13, v6, s4 dst_sel:DWORD dst_unused:UNUSED_PAD src0_sel:WORD_1 src1_sel:DWORD
	s_movk_i32 s4, 0x7f
	v_cmp_lt_i16_e32 vcc, s4, v13
	s_mov_b64 s[4:5], 0
                                        ; implicit-def: $sgpr10
	s_and_saveexec_b64 s[6:7], vcc
	s_xor_b64 s[6:7], exec, s[6:7]
	s_cbranch_execz .LBB1_4113
; %bb.39953:
	s_getpc_b64 s[14:15]
.Lpost_getpc5640:
	s_add_u32 s14, s14, (.LBB1_18449-.Lpost_getpc5640)&4294967295
	s_addc_u32 s15, s15, (.LBB1_18449-.Lpost_getpc5640)>>32
	s_setpc_b64 s[14:15]
.LBB1_4113:
	s_or_saveexec_b64 s[6:7], s[6:7]
	v_mov_b32_e32 v12, s10
	s_xor_b64 exec, exec, s[6:7]
	s_cbranch_execz .LBB1_4114
; %bb.39955:
	s_getpc_b64 s[14:15]
.Lpost_getpc5641:
	s_add_u32 s14, s14, (.LBB1_18452-.Lpost_getpc5641)&4294967295
	s_addc_u32 s15, s15, (.LBB1_18452-.Lpost_getpc5641)>>32
	s_setpc_b64 s[14:15]
.LBB1_4114:
	s_or_b64 exec, exec, s[6:7]
	s_and_saveexec_b64 s[6:7], s[4:5]
	s_cbranch_execz .LBB1_4116
.LBB1_4115:
	v_bfe_u32 v12, v6, 16, 3
	v_ffbh_u32_e32 v15, v12
	v_min_u32_e32 v15, 32, v15
	v_lshrrev_b32_e32 v13, 19, v6
	v_subrev_u32_e32 v16, 28, v15
	v_and_b32_e32 v13, 15, v13
	v_lshlrev_b32_sdwa v16, v16, v6 dst_sel:DWORD dst_unused:UNUSED_PAD src0_sel:DWORD src1_sel:WORD_1
	v_bfe_u32 v14, v6, 19, 4
	v_sub_u32_e32 v15, 29, v15
	v_and_b32_e32 v16, 7, v16
	v_cmp_eq_u16_e32 vcc, 0, v13
	v_cndmask_b32_e32 v12, v12, v16, vcc
	v_cndmask_b32_e32 v13, v14, v15, vcc
	v_lshlrev_b32_e32 v14, 8, v6
	v_mov_b32_e32 v15, 0x3b800000
	v_lshlrev_b32_e32 v12, 20, v12
	v_and_b32_e32 v14, 0x80000000, v14
	v_lshl_add_u32 v13, v13, 23, v15
	v_or3_b32 v12, v14, v13, v12
.LBB1_4116:
	s_or_b64 exec, exec, s[6:7]
	s_movk_i32 s4, 0xff
	v_and_b32_sdwa v13, v2, s4 dst_sel:DWORD dst_unused:UNUSED_PAD src0_sel:WORD_1 src1_sel:DWORD
	s_movk_i32 s4, 0x7f
	v_cmp_lt_i16_e32 vcc, s4, v13
	s_mov_b64 s[4:5], 0
                                        ; implicit-def: $sgpr10
	s_and_saveexec_b64 s[6:7], vcc
	s_xor_b64 s[6:7], exec, s[6:7]
	s_cbranch_execz .LBB1_4117
; %bb.39957:
	s_getpc_b64 s[14:15]
.Lpost_getpc5642:
	s_add_u32 s14, s14, (.LBB1_18453-.Lpost_getpc5642)&4294967295
	s_addc_u32 s15, s15, (.LBB1_18453-.Lpost_getpc5642)>>32
	s_setpc_b64 s[14:15]
.LBB1_4117:
	s_or_saveexec_b64 s[6:7], s[6:7]
	v_mov_b32_e32 v14, s10
	s_xor_b64 exec, exec, s[6:7]
	s_cbranch_execz .LBB1_4118
; %bb.39959:
	s_getpc_b64 s[14:15]
.Lpost_getpc5643:
	s_add_u32 s14, s14, (.LBB1_18456-.Lpost_getpc5643)&4294967295
	s_addc_u32 s15, s15, (.LBB1_18456-.Lpost_getpc5643)>>32
	s_setpc_b64 s[14:15]
.LBB1_4118:
	s_or_b64 exec, exec, s[6:7]
	s_and_saveexec_b64 s[6:7], s[4:5]
	s_cbranch_execz .LBB1_4120
.LBB1_4119:
	v_bfe_u32 v13, v2, 16, 3
	v_ffbh_u32_e32 v16, v13
	v_min_u32_e32 v16, 32, v16
	v_lshrrev_b32_e32 v14, 19, v2
	v_subrev_u32_e32 v17, 28, v16
	v_and_b32_e32 v14, 15, v14
	v_lshlrev_b32_sdwa v17, v17, v2 dst_sel:DWORD dst_unused:UNUSED_PAD src0_sel:DWORD src1_sel:WORD_1
	v_bfe_u32 v15, v2, 19, 4
	v_sub_u32_e32 v16, 29, v16
	v_and_b32_e32 v17, 7, v17
	v_cmp_eq_u16_e32 vcc, 0, v14
	v_cndmask_b32_e32 v13, v13, v17, vcc
	v_cndmask_b32_e32 v14, v15, v16, vcc
	v_lshlrev_b32_e32 v15, 8, v2
	v_mov_b32_e32 v16, 0x3b800000
	v_lshlrev_b32_e32 v13, 20, v13
	v_and_b32_e32 v15, 0x80000000, v15
	v_lshl_add_u32 v14, v14, 23, v16
	v_or3_b32 v14, v15, v14, v13
.LBB1_4120:
	s_or_b64 exec, exec, s[6:7]
	s_nop 0
	v_mfma_f32_16x16x4f32 a[0:3], v12, v14, a[0:3]
	s_movk_i32 s4, 0x7f
	v_cmp_gt_i16_sdwa s[6:7], v6, s4 src0_sel:BYTE_3 src1_sel:DWORD
	s_mov_b64 s[4:5], 0
                                        ; implicit-def: $sgpr10
	s_and_saveexec_b64 s[8:9], s[6:7]
	s_xor_b64 s[6:7], exec, s[8:9]
	s_cbranch_execz .LBB1_4121
; %bb.39961:
	s_getpc_b64 s[14:15]
.Lpost_getpc5644:
	s_add_u32 s14, s14, (.LBB1_18457-.Lpost_getpc5644)&4294967295
	s_addc_u32 s15, s15, (.LBB1_18457-.Lpost_getpc5644)>>32
	s_setpc_b64 s[14:15]
.LBB1_4121:
	s_or_saveexec_b64 s[6:7], s[6:7]
	v_mov_b32_e32 v12, s10
	s_xor_b64 exec, exec, s[6:7]
	s_cbranch_execz .LBB1_4122
; %bb.39963:
	s_getpc_b64 s[14:15]
.Lpost_getpc5645:
	s_add_u32 s14, s14, (.LBB1_18460-.Lpost_getpc5645)&4294967295
	s_addc_u32 s15, s15, (.LBB1_18460-.Lpost_getpc5645)>>32
	s_setpc_b64 s[14:15]
.LBB1_4122:
	s_or_b64 exec, exec, s[6:7]
	s_and_saveexec_b64 s[6:7], s[4:5]
	s_cbranch_execz .LBB1_4124
.LBB1_4123:
	v_bfe_u32 v12, v6, 24, 3
	v_ffbh_u32_e32 v16, v12
	v_min_u32_e32 v16, 32, v16
	v_lshrrev_b32_e32 v14, 27, v6
	v_subrev_u32_e32 v17, 28, v16
	v_and_b32_e32 v13, 0x80000000, v6
	v_and_b32_e32 v14, 15, v14
	v_bfe_u32 v15, v6, 27, 4
	v_lshlrev_b32_sdwa v6, v17, v6 dst_sel:DWORD dst_unused:UNUSED_PAD src0_sel:DWORD src1_sel:BYTE_3
	v_sub_u32_e32 v16, 29, v16
	v_and_b32_e32 v6, 7, v6
	v_cmp_eq_u16_e32 vcc, 0, v14
	v_cndmask_b32_e32 v6, v12, v6, vcc
	v_cndmask_b32_e32 v12, v15, v16, vcc
	v_mov_b32_e32 v14, 0x3b800000
	v_lshlrev_b32_e32 v6, 20, v6
	v_lshl_add_u32 v12, v12, 23, v14
	v_or3_b32 v12, v13, v12, v6
.LBB1_4124:
	s_or_b64 exec, exec, s[6:7]
	s_movk_i32 s4, 0x7f
	v_cmp_gt_i16_sdwa s[6:7], v2, s4 src0_sel:BYTE_3 src1_sel:DWORD
	s_mov_b64 s[4:5], 0
                                        ; implicit-def: $sgpr10
	s_and_saveexec_b64 s[8:9], s[6:7]
	s_xor_b64 s[6:7], exec, s[8:9]
	s_cbranch_execz .LBB1_4125
; %bb.39965:
	s_getpc_b64 s[14:15]
.Lpost_getpc5646:
	s_add_u32 s14, s14, (.LBB1_18461-.Lpost_getpc5646)&4294967295
	s_addc_u32 s15, s15, (.LBB1_18461-.Lpost_getpc5646)>>32
	s_setpc_b64 s[14:15]
.LBB1_4125:
	s_or_saveexec_b64 s[6:7], s[6:7]
	v_mov_b32_e32 v6, s10
	s_xor_b64 exec, exec, s[6:7]
	s_cbranch_execz .LBB1_4126
; %bb.39967:
	s_getpc_b64 s[14:15]
.Lpost_getpc5647:
	s_add_u32 s14, s14, (.LBB1_18464-.Lpost_getpc5647)&4294967295
	s_addc_u32 s15, s15, (.LBB1_18464-.Lpost_getpc5647)>>32
	s_setpc_b64 s[14:15]
.LBB1_4126:
	s_or_b64 exec, exec, s[6:7]
	s_and_saveexec_b64 s[6:7], s[4:5]
	s_cbranch_execz .LBB1_4128
.LBB1_4127:
	v_bfe_u32 v6, v2, 24, 3
	v_ffbh_u32_e32 v16, v6
	v_min_u32_e32 v16, 32, v16
	v_lshrrev_b32_e32 v14, 27, v2
	v_subrev_u32_e32 v17, 28, v16
	v_and_b32_e32 v13, 0x80000000, v2
	v_and_b32_e32 v14, 15, v14
	v_bfe_u32 v15, v2, 27, 4
	v_lshlrev_b32_sdwa v2, v17, v2 dst_sel:DWORD dst_unused:UNUSED_PAD src0_sel:DWORD src1_sel:BYTE_3
	v_sub_u32_e32 v16, 29, v16
	v_and_b32_e32 v2, 7, v2
	v_cmp_eq_u16_e32 vcc, 0, v14
	v_cndmask_b32_e32 v2, v6, v2, vcc
	v_cndmask_b32_e32 v6, v15, v16, vcc
	v_mov_b32_e32 v14, 0x3b800000
	v_lshlrev_b32_e32 v2, 20, v2
	v_lshl_add_u32 v6, v6, 23, v14
	v_or3_b32 v6, v13, v6, v2
.LBB1_4128:
	s_or_b64 exec, exec, s[6:7]
	s_nop 0
	v_mfma_f32_16x16x4f32 a[0:3], v12, v6, a[0:3]
	s_movk_i32 s4, 0x7f
	v_cmp_gt_i16_sdwa s[6:7], v7, s4 src0_sel:BYTE_0 src1_sel:DWORD
	s_mov_b64 s[4:5], 0
                                        ; implicit-def: $sgpr10
	s_and_saveexec_b64 s[8:9], s[6:7]
	s_xor_b64 s[6:7], exec, s[8:9]
	s_cbranch_execz .LBB1_4129
; %bb.39969:
	s_getpc_b64 s[14:15]
.Lpost_getpc5648:
	s_add_u32 s14, s14, (.LBB1_18465-.Lpost_getpc5648)&4294967295
	s_addc_u32 s15, s15, (.LBB1_18465-.Lpost_getpc5648)>>32
	s_setpc_b64 s[14:15]
.LBB1_4129:
	s_or_saveexec_b64 s[6:7], s[6:7]
	v_mov_b32_e32 v2, s10
	s_xor_b64 exec, exec, s[6:7]
	s_cbranch_execz .LBB1_4130
; %bb.39971:
	s_getpc_b64 s[14:15]
.Lpost_getpc5649:
	s_add_u32 s14, s14, (.LBB1_18468-.Lpost_getpc5649)&4294967295
	s_addc_u32 s15, s15, (.LBB1_18468-.Lpost_getpc5649)>>32
	s_setpc_b64 s[14:15]
.LBB1_4130:
	s_or_b64 exec, exec, s[6:7]
	s_and_saveexec_b64 s[6:7], s[4:5]
	s_cbranch_execz .LBB1_4132
.LBB1_4131:
	v_and_b32_e32 v2, 7, v7
	v_ffbh_u32_e32 v12, v2
	v_min_u32_e32 v12, 32, v12
	v_lshrrev_b16_e32 v6, 3, v7
	v_subrev_u32_e32 v13, 28, v12
	v_and_b32_e32 v6, 15, v6
	v_lshlrev_b32_e32 v13, v13, v7
	v_sub_u32_e32 v12, 29, v12
	v_and_b32_e32 v13, 7, v13
	v_cmp_eq_u16_e32 vcc, 0, v6
	v_cndmask_b32_e32 v2, v2, v13, vcc
	v_cndmask_b32_e32 v6, v6, v12, vcc
	v_lshlrev_b32_e32 v12, 24, v7
	v_mov_b32_e32 v13, 0x3b800000
	v_lshlrev_b32_e32 v2, 20, v2
	v_and_b32_e32 v12, 0x80000000, v12
	v_lshl_add_u32 v6, v6, 23, v13
	v_or3_b32 v2, v12, v6, v2
.LBB1_4132:
	s_or_b64 exec, exec, s[6:7]
	s_movk_i32 s4, 0x7f
	v_cmp_gt_i16_sdwa s[6:7], v3, s4 src0_sel:BYTE_0 src1_sel:DWORD
	s_mov_b64 s[4:5], 0
                                        ; implicit-def: $sgpr10
	s_and_saveexec_b64 s[8:9], s[6:7]
	s_xor_b64 s[6:7], exec, s[8:9]
	s_cbranch_execz .LBB1_4133
; %bb.39973:
	s_getpc_b64 s[14:15]
.Lpost_getpc5650:
	s_add_u32 s14, s14, (.LBB1_18469-.Lpost_getpc5650)&4294967295
	s_addc_u32 s15, s15, (.LBB1_18469-.Lpost_getpc5650)>>32
	s_setpc_b64 s[14:15]
.LBB1_4133:
	s_or_saveexec_b64 s[6:7], s[6:7]
	v_mov_b32_e32 v6, s10
	s_xor_b64 exec, exec, s[6:7]
	s_cbranch_execz .LBB1_4134
; %bb.39975:
	s_getpc_b64 s[14:15]
.Lpost_getpc5651:
	s_add_u32 s14, s14, (.LBB1_18472-.Lpost_getpc5651)&4294967295
	s_addc_u32 s15, s15, (.LBB1_18472-.Lpost_getpc5651)>>32
	s_setpc_b64 s[14:15]
.LBB1_4134:
	s_or_b64 exec, exec, s[6:7]
	s_and_saveexec_b64 s[6:7], s[4:5]
	s_cbranch_execz .LBB1_4136
.LBB1_4135:
	v_and_b32_e32 v6, 7, v3
	v_ffbh_u32_e32 v13, v6
	v_min_u32_e32 v13, 32, v13
	v_lshrrev_b16_e32 v12, 3, v3
	v_subrev_u32_e32 v14, 28, v13
	v_and_b32_e32 v12, 15, v12
	v_lshlrev_b32_e32 v14, v14, v3
	v_sub_u32_e32 v13, 29, v13
	v_and_b32_e32 v14, 7, v14
	v_cmp_eq_u16_e32 vcc, 0, v12
	v_cndmask_b32_e32 v6, v6, v14, vcc
	v_cndmask_b32_e32 v12, v12, v13, vcc
	v_lshlrev_b32_e32 v13, 24, v3
	v_mov_b32_e32 v14, 0x3b800000
	v_lshlrev_b32_e32 v6, 20, v6
	v_and_b32_e32 v13, 0x80000000, v13
	v_lshl_add_u32 v12, v12, 23, v14
	v_or3_b32 v6, v13, v12, v6
.LBB1_4136:
	s_or_b64 exec, exec, s[6:7]
	s_nop 0
	v_mfma_f32_16x16x4f32 a[0:3], v2, v6, a[0:3]
	v_lshrrev_b32_e32 v6, 8, v7
	s_movk_i32 s4, 0x7f
	v_cmp_gt_i16_sdwa s[6:7], v6, s4 src0_sel:BYTE_0 src1_sel:DWORD
	s_mov_b64 s[4:5], 0
                                        ; implicit-def: $sgpr10
	s_and_saveexec_b64 s[8:9], s[6:7]
	s_xor_b64 s[6:7], exec, s[8:9]
	s_cbranch_execz .LBB1_4137
; %bb.39977:
	s_getpc_b64 s[14:15]
.Lpost_getpc5652:
	s_add_u32 s14, s14, (.LBB1_18473-.Lpost_getpc5652)&4294967295
	s_addc_u32 s15, s15, (.LBB1_18473-.Lpost_getpc5652)>>32
	s_setpc_b64 s[14:15]
.LBB1_4137:
	s_or_saveexec_b64 s[6:7], s[6:7]
	v_mov_b32_e32 v2, s10
	s_xor_b64 exec, exec, s[6:7]
	s_cbranch_execz .LBB1_4138
; %bb.39979:
	s_getpc_b64 s[14:15]
.Lpost_getpc5653:
	s_add_u32 s14, s14, (.LBB1_18476-.Lpost_getpc5653)&4294967295
	s_addc_u32 s15, s15, (.LBB1_18476-.Lpost_getpc5653)>>32
	s_setpc_b64 s[14:15]
.LBB1_4138:
	s_or_b64 exec, exec, s[6:7]
	s_and_saveexec_b64 s[6:7], s[4:5]
	s_cbranch_execz .LBB1_4140
.LBB1_4139:
	v_bfe_u32 v2, v7, 8, 3
	v_ffbh_u32_e32 v13, v2
	v_min_u32_e32 v13, 32, v13
	v_lshrrev_b16_e32 v12, 3, v6
	v_subrev_u32_e32 v14, 28, v13
	v_and_b32_e32 v12, 15, v12
	v_lshlrev_b32_e32 v6, v14, v6
	v_sub_u32_e32 v13, 29, v13
	v_and_b32_e32 v6, 7, v6
	v_cmp_eq_u16_e32 vcc, 0, v12
	v_cndmask_b32_e32 v2, v2, v6, vcc
	v_cndmask_b32_e32 v6, v12, v13, vcc
	v_lshlrev_b32_e32 v12, 16, v7
	v_mov_b32_e32 v13, 0x3b800000
	v_lshlrev_b32_e32 v2, 20, v2
	v_and_b32_e32 v12, 0x80000000, v12
	v_lshl_add_u32 v6, v6, 23, v13
	v_or3_b32 v2, v12, v6, v2
.LBB1_4140:
	s_or_b64 exec, exec, s[6:7]
	v_lshrrev_b32_e32 v6, 8, v3
	s_movk_i32 s4, 0x7f
	v_cmp_gt_i16_sdwa s[6:7], v6, s4 src0_sel:BYTE_0 src1_sel:DWORD
	s_mov_b64 s[4:5], 0
                                        ; implicit-def: $sgpr10
	s_and_saveexec_b64 s[8:9], s[6:7]
	s_xor_b64 s[6:7], exec, s[8:9]
	s_cbranch_execz .LBB1_4141
; %bb.39981:
	s_getpc_b64 s[14:15]
.Lpost_getpc5654:
	s_add_u32 s14, s14, (.LBB1_18477-.Lpost_getpc5654)&4294967295
	s_addc_u32 s15, s15, (.LBB1_18477-.Lpost_getpc5654)>>32
	s_setpc_b64 s[14:15]
.LBB1_4141:
	s_or_saveexec_b64 s[6:7], s[6:7]
	v_mov_b32_e32 v12, s10
	s_xor_b64 exec, exec, s[6:7]
	s_cbranch_execz .LBB1_4142
; %bb.39983:
	s_getpc_b64 s[14:15]
.Lpost_getpc5655:
	s_add_u32 s14, s14, (.LBB1_18480-.Lpost_getpc5655)&4294967295
	s_addc_u32 s15, s15, (.LBB1_18480-.Lpost_getpc5655)>>32
	s_setpc_b64 s[14:15]
.LBB1_4142:
	s_or_b64 exec, exec, s[6:7]
	s_and_saveexec_b64 s[6:7], s[4:5]
	s_cbranch_execz .LBB1_4144
.LBB1_4143:
	v_bfe_u32 v12, v3, 8, 3
	v_ffbh_u32_e32 v14, v12
	v_min_u32_e32 v14, 32, v14
	v_lshrrev_b16_e32 v13, 3, v6
	v_subrev_u32_e32 v15, 28, v14
	v_and_b32_e32 v13, 15, v13
	v_lshlrev_b32_e32 v6, v15, v6
	v_sub_u32_e32 v14, 29, v14
	v_and_b32_e32 v6, 7, v6
	v_cmp_eq_u16_e32 vcc, 0, v13
	v_cndmask_b32_e32 v6, v12, v6, vcc
	v_cndmask_b32_e32 v12, v13, v14, vcc
	v_lshlrev_b32_e32 v13, 16, v3
	v_mov_b32_e32 v14, 0x3b800000
	v_lshlrev_b32_e32 v6, 20, v6
	v_and_b32_e32 v13, 0x80000000, v13
	v_lshl_add_u32 v12, v12, 23, v14
	v_or3_b32 v12, v13, v12, v6
.LBB1_4144:
	s_or_b64 exec, exec, s[6:7]
	s_nop 0
	v_mfma_f32_16x16x4f32 a[0:3], v2, v12, a[0:3]
	s_movk_i32 s4, 0xff
	v_and_b32_sdwa v6, v7, s4 dst_sel:DWORD dst_unused:UNUSED_PAD src0_sel:WORD_1 src1_sel:DWORD
	s_movk_i32 s4, 0x7f
	v_cmp_lt_i16_e32 vcc, s4, v6
	s_mov_b64 s[4:5], 0
                                        ; implicit-def: $sgpr10
	s_and_saveexec_b64 s[6:7], vcc
	s_xor_b64 s[6:7], exec, s[6:7]
	s_cbranch_execz .LBB1_4145
; %bb.39985:
	s_getpc_b64 s[14:15]
.Lpost_getpc5656:
	s_add_u32 s14, s14, (.LBB1_18481-.Lpost_getpc5656)&4294967295
	s_addc_u32 s15, s15, (.LBB1_18481-.Lpost_getpc5656)>>32
	s_setpc_b64 s[14:15]
.LBB1_4145:
	s_or_saveexec_b64 s[6:7], s[6:7]
	v_mov_b32_e32 v2, s10
	s_xor_b64 exec, exec, s[6:7]
	s_cbranch_execz .LBB1_4146
; %bb.39987:
	s_getpc_b64 s[14:15]
.Lpost_getpc5657:
	s_add_u32 s14, s14, (.LBB1_18484-.Lpost_getpc5657)&4294967295
	s_addc_u32 s15, s15, (.LBB1_18484-.Lpost_getpc5657)>>32
	s_setpc_b64 s[14:15]
.LBB1_4146:
	s_or_b64 exec, exec, s[6:7]
	s_and_saveexec_b64 s[6:7], s[4:5]
	s_cbranch_execz .LBB1_4148
.LBB1_4147:
	v_bfe_u32 v2, v7, 16, 3
	v_ffbh_u32_e32 v13, v2
	v_min_u32_e32 v13, 32, v13
	v_lshrrev_b32_e32 v6, 19, v7
	v_subrev_u32_e32 v14, 28, v13
	v_and_b32_e32 v6, 15, v6
	v_lshlrev_b32_sdwa v14, v14, v7 dst_sel:DWORD dst_unused:UNUSED_PAD src0_sel:DWORD src1_sel:WORD_1
	v_bfe_u32 v12, v7, 19, 4
	v_sub_u32_e32 v13, 29, v13
	v_and_b32_e32 v14, 7, v14
	v_cmp_eq_u16_e32 vcc, 0, v6
	v_cndmask_b32_e32 v2, v2, v14, vcc
	v_cndmask_b32_e32 v6, v12, v13, vcc
	v_lshlrev_b32_e32 v12, 8, v7
	v_mov_b32_e32 v13, 0x3b800000
	v_lshlrev_b32_e32 v2, 20, v2
	v_and_b32_e32 v12, 0x80000000, v12
	v_lshl_add_u32 v6, v6, 23, v13
	v_or3_b32 v2, v12, v6, v2
.LBB1_4148:
	s_or_b64 exec, exec, s[6:7]
	s_movk_i32 s4, 0xff
	v_and_b32_sdwa v6, v3, s4 dst_sel:DWORD dst_unused:UNUSED_PAD src0_sel:WORD_1 src1_sel:DWORD
	s_movk_i32 s4, 0x7f
	v_cmp_lt_i16_e32 vcc, s4, v6
	s_mov_b64 s[4:5], 0
                                        ; implicit-def: $sgpr10
	s_and_saveexec_b64 s[6:7], vcc
	s_xor_b64 s[6:7], exec, s[6:7]
	s_cbranch_execz .LBB1_4149
; %bb.39989:
	s_getpc_b64 s[14:15]
.Lpost_getpc5658:
	s_add_u32 s14, s14, (.LBB1_18485-.Lpost_getpc5658)&4294967295
	s_addc_u32 s15, s15, (.LBB1_18485-.Lpost_getpc5658)>>32
	s_setpc_b64 s[14:15]
.LBB1_4149:
	s_or_saveexec_b64 s[6:7], s[6:7]
	v_mov_b32_e32 v12, s10
	s_xor_b64 exec, exec, s[6:7]
	s_cbranch_execz .LBB1_4150
; %bb.39991:
	s_getpc_b64 s[14:15]
.Lpost_getpc5659:
	s_add_u32 s14, s14, (.LBB1_18488-.Lpost_getpc5659)&4294967295
	s_addc_u32 s15, s15, (.LBB1_18488-.Lpost_getpc5659)>>32
	s_setpc_b64 s[14:15]
.LBB1_4150:
	s_or_b64 exec, exec, s[6:7]
	s_and_saveexec_b64 s[6:7], s[4:5]
	s_cbranch_execz .LBB1_4152
.LBB1_4151:
	v_bfe_u32 v6, v3, 16, 3
	v_ffbh_u32_e32 v14, v6
	v_min_u32_e32 v14, 32, v14
	v_lshrrev_b32_e32 v12, 19, v3
	v_subrev_u32_e32 v15, 28, v14
	v_and_b32_e32 v12, 15, v12
	v_lshlrev_b32_sdwa v15, v15, v3 dst_sel:DWORD dst_unused:UNUSED_PAD src0_sel:DWORD src1_sel:WORD_1
	v_bfe_u32 v13, v3, 19, 4
	v_sub_u32_e32 v14, 29, v14
	v_and_b32_e32 v15, 7, v15
	v_cmp_eq_u16_e32 vcc, 0, v12
	v_cndmask_b32_e32 v6, v6, v15, vcc
	v_cndmask_b32_e32 v12, v13, v14, vcc
	v_lshlrev_b32_e32 v13, 8, v3
	v_mov_b32_e32 v14, 0x3b800000
	v_lshlrev_b32_e32 v6, 20, v6
	v_and_b32_e32 v13, 0x80000000, v13
	v_lshl_add_u32 v12, v12, 23, v14
	v_or3_b32 v12, v13, v12, v6
.LBB1_4152:
	s_or_b64 exec, exec, s[6:7]
	s_nop 0
	v_mfma_f32_16x16x4f32 a[0:3], v2, v12, a[0:3]
	s_movk_i32 s4, 0x7f
	v_cmp_gt_i16_sdwa s[6:7], v7, s4 src0_sel:BYTE_3 src1_sel:DWORD
	s_mov_b64 s[4:5], 0
                                        ; implicit-def: $sgpr10
	s_and_saveexec_b64 s[8:9], s[6:7]
	s_xor_b64 s[6:7], exec, s[8:9]
	s_cbranch_execz .LBB1_4153
; %bb.39993:
	s_getpc_b64 s[14:15]
.Lpost_getpc5660:
	s_add_u32 s14, s14, (.LBB1_18489-.Lpost_getpc5660)&4294967295
	s_addc_u32 s15, s15, (.LBB1_18489-.Lpost_getpc5660)>>32
	s_setpc_b64 s[14:15]
.LBB1_4153:
	s_or_saveexec_b64 s[6:7], s[6:7]
	v_mov_b32_e32 v2, s10
	s_xor_b64 exec, exec, s[6:7]
	s_cbranch_execz .LBB1_4154
; %bb.39995:
	s_getpc_b64 s[14:15]
.Lpost_getpc5661:
	s_add_u32 s14, s14, (.LBB1_18492-.Lpost_getpc5661)&4294967295
	s_addc_u32 s15, s15, (.LBB1_18492-.Lpost_getpc5661)>>32
	s_setpc_b64 s[14:15]
.LBB1_4154:
	s_or_b64 exec, exec, s[6:7]
	s_and_saveexec_b64 s[6:7], s[4:5]
	s_cbranch_execz .LBB1_4156
.LBB1_4155:
	v_bfe_u32 v2, v7, 24, 3
	v_ffbh_u32_e32 v14, v2
	v_min_u32_e32 v14, 32, v14
	v_lshrrev_b32_e32 v12, 27, v7
	v_subrev_u32_e32 v15, 28, v14
	v_and_b32_e32 v6, 0x80000000, v7
	v_and_b32_e32 v12, 15, v12
	v_bfe_u32 v13, v7, 27, 4
	v_lshlrev_b32_sdwa v7, v15, v7 dst_sel:DWORD dst_unused:UNUSED_PAD src0_sel:DWORD src1_sel:BYTE_3
	v_sub_u32_e32 v14, 29, v14
	v_and_b32_e32 v7, 7, v7
	v_cmp_eq_u16_e32 vcc, 0, v12
	v_cndmask_b32_e32 v2, v2, v7, vcc
	v_cndmask_b32_e32 v7, v13, v14, vcc
	v_mov_b32_e32 v12, 0x3b800000
	v_lshlrev_b32_e32 v2, 20, v2
	v_lshl_add_u32 v7, v7, 23, v12
	v_or3_b32 v2, v6, v7, v2
.LBB1_4156:
	s_or_b64 exec, exec, s[6:7]
	s_movk_i32 s4, 0x7f
	v_cmp_gt_i16_sdwa s[6:7], v3, s4 src0_sel:BYTE_3 src1_sel:DWORD
	s_mov_b64 s[4:5], 0
                                        ; implicit-def: $sgpr10
	s_and_saveexec_b64 s[8:9], s[6:7]
	s_xor_b64 s[6:7], exec, s[8:9]
	s_cbranch_execz .LBB1_4157
; %bb.39997:
	s_getpc_b64 s[14:15]
.Lpost_getpc5662:
	s_add_u32 s14, s14, (.LBB1_18493-.Lpost_getpc5662)&4294967295
	s_addc_u32 s15, s15, (.LBB1_18493-.Lpost_getpc5662)>>32
	s_setpc_b64 s[14:15]
.LBB1_4157:
	s_or_saveexec_b64 s[6:7], s[6:7]
	v_mov_b32_e32 v6, s10
	s_xor_b64 exec, exec, s[6:7]
	s_cbranch_execz .LBB1_4158
; %bb.39999:
	s_getpc_b64 s[14:15]
.Lpost_getpc5663:
	s_add_u32 s14, s14, (.LBB1_18496-.Lpost_getpc5663)&4294967295
	s_addc_u32 s15, s15, (.LBB1_18496-.Lpost_getpc5663)>>32
	s_setpc_b64 s[14:15]
.LBB1_4158:
	s_or_b64 exec, exec, s[6:7]
	s_and_saveexec_b64 s[6:7], s[4:5]
	s_cbranch_execz .LBB1_4160
.LBB1_4159:
	v_bfe_u32 v6, v3, 24, 3
	v_ffbh_u32_e32 v14, v6
	v_min_u32_e32 v14, 32, v14
	v_lshrrev_b32_e32 v12, 27, v3
	v_subrev_u32_e32 v15, 28, v14
	v_and_b32_e32 v7, 0x80000000, v3
	v_and_b32_e32 v12, 15, v12
	v_bfe_u32 v13, v3, 27, 4
	v_lshlrev_b32_sdwa v3, v15, v3 dst_sel:DWORD dst_unused:UNUSED_PAD src0_sel:DWORD src1_sel:BYTE_3
	v_sub_u32_e32 v14, 29, v14
	v_and_b32_e32 v3, 7, v3
	v_cmp_eq_u16_e32 vcc, 0, v12
	v_cndmask_b32_e32 v3, v6, v3, vcc
	v_cndmask_b32_e32 v6, v13, v14, vcc
	v_mov_b32_e32 v12, 0x3b800000
	v_lshlrev_b32_e32 v3, 20, v3
	v_lshl_add_u32 v6, v6, 23, v12
	v_or3_b32 v6, v7, v6, v3
.LBB1_4160:
	s_or_b64 exec, exec, s[6:7]
	s_nop 0
	v_mfma_f32_16x16x4f32 a[0:3], v2, v6, a[0:3]
	s_movk_i32 s4, 0x7f
	v_cmp_gt_i16_sdwa s[6:7], v8, s4 src0_sel:BYTE_0 src1_sel:DWORD
	s_mov_b64 s[4:5], 0
                                        ; implicit-def: $sgpr10
	s_and_saveexec_b64 s[8:9], s[6:7]
	s_xor_b64 s[6:7], exec, s[8:9]
	s_cbranch_execz .LBB1_4161
; %bb.40001:
	s_getpc_b64 s[14:15]
.Lpost_getpc5664:
	s_add_u32 s14, s14, (.LBB1_18497-.Lpost_getpc5664)&4294967295
	s_addc_u32 s15, s15, (.LBB1_18497-.Lpost_getpc5664)>>32
	s_setpc_b64 s[14:15]
.LBB1_4161:
	s_or_saveexec_b64 s[6:7], s[6:7]
	v_mov_b32_e32 v2, s10
	s_xor_b64 exec, exec, s[6:7]
	s_cbranch_execz .LBB1_4162
; %bb.40003:
	s_getpc_b64 s[14:15]
.Lpost_getpc5665:
	s_add_u32 s14, s14, (.LBB1_18500-.Lpost_getpc5665)&4294967295
	s_addc_u32 s15, s15, (.LBB1_18500-.Lpost_getpc5665)>>32
	s_setpc_b64 s[14:15]
.LBB1_4162:
	s_or_b64 exec, exec, s[6:7]
	s_and_saveexec_b64 s[6:7], s[4:5]
	s_cbranch_execz .LBB1_4164
.LBB1_4163:
	v_and_b32_e32 v2, 7, v8
	v_ffbh_u32_e32 v6, v2
	v_min_u32_e32 v6, 32, v6
	v_lshrrev_b16_e32 v3, 3, v8
	v_subrev_u32_e32 v7, 28, v6
	v_and_b32_e32 v3, 15, v3
	v_lshlrev_b32_e32 v7, v7, v8
	v_sub_u32_e32 v6, 29, v6
	v_and_b32_e32 v7, 7, v7
	v_cmp_eq_u16_e32 vcc, 0, v3
	v_cndmask_b32_e32 v2, v2, v7, vcc
	v_cndmask_b32_e32 v3, v3, v6, vcc
	v_lshlrev_b32_e32 v6, 24, v8
	v_mov_b32_e32 v7, 0x3b800000
	v_lshlrev_b32_e32 v2, 20, v2
	v_and_b32_e32 v6, 0x80000000, v6
	v_lshl_add_u32 v3, v3, 23, v7
	v_or3_b32 v2, v6, v3, v2
.LBB1_4164:
	s_or_b64 exec, exec, s[6:7]
	s_movk_i32 s4, 0x7f
	v_cmp_gt_i16_sdwa s[6:7], v4, s4 src0_sel:BYTE_0 src1_sel:DWORD
	s_mov_b64 s[4:5], 0
                                        ; implicit-def: $sgpr10
	s_and_saveexec_b64 s[8:9], s[6:7]
	s_xor_b64 s[6:7], exec, s[8:9]
	s_cbranch_execz .LBB1_4165
; %bb.40005:
	s_getpc_b64 s[14:15]
.Lpost_getpc5666:
	s_add_u32 s14, s14, (.LBB1_18501-.Lpost_getpc5666)&4294967295
	s_addc_u32 s15, s15, (.LBB1_18501-.Lpost_getpc5666)>>32
	s_setpc_b64 s[14:15]
.LBB1_4165:
	s_or_saveexec_b64 s[6:7], s[6:7]
	v_mov_b32_e32 v3, s10
	s_xor_b64 exec, exec, s[6:7]
	s_cbranch_execz .LBB1_4166
; %bb.40007:
	s_getpc_b64 s[14:15]
.Lpost_getpc5667:
	s_add_u32 s14, s14, (.LBB1_18504-.Lpost_getpc5667)&4294967295
	s_addc_u32 s15, s15, (.LBB1_18504-.Lpost_getpc5667)>>32
	s_setpc_b64 s[14:15]
.LBB1_4166:
	s_or_b64 exec, exec, s[6:7]
	s_and_saveexec_b64 s[6:7], s[4:5]
	s_cbranch_execz .LBB1_4168
.LBB1_4167:
	v_and_b32_e32 v3, 7, v4
	v_ffbh_u32_e32 v7, v3
	v_min_u32_e32 v7, 32, v7
	v_lshrrev_b16_e32 v6, 3, v4
	v_subrev_u32_e32 v12, 28, v7
	v_and_b32_e32 v6, 15, v6
	v_lshlrev_b32_e32 v12, v12, v4
	v_sub_u32_e32 v7, 29, v7
	v_and_b32_e32 v12, 7, v12
	v_cmp_eq_u16_e32 vcc, 0, v6
	v_cndmask_b32_e32 v3, v3, v12, vcc
	v_cndmask_b32_e32 v6, v6, v7, vcc
	v_lshlrev_b32_e32 v7, 24, v4
	v_mov_b32_e32 v12, 0x3b800000
	v_lshlrev_b32_e32 v3, 20, v3
	v_and_b32_e32 v7, 0x80000000, v7
	v_lshl_add_u32 v6, v6, 23, v12
	v_or3_b32 v3, v7, v6, v3
.LBB1_4168:
	s_or_b64 exec, exec, s[6:7]
	s_nop 0
	v_mfma_f32_16x16x4f32 a[0:3], v2, v3, a[0:3]
	v_lshrrev_b32_e32 v3, 8, v8
	s_movk_i32 s4, 0x7f
	v_cmp_gt_i16_sdwa s[6:7], v3, s4 src0_sel:BYTE_0 src1_sel:DWORD
	s_mov_b64 s[4:5], 0
                                        ; implicit-def: $sgpr10
	s_and_saveexec_b64 s[8:9], s[6:7]
	s_xor_b64 s[6:7], exec, s[8:9]
	s_cbranch_execz .LBB1_4169
; %bb.40009:
	s_getpc_b64 s[14:15]
.Lpost_getpc5668:
	s_add_u32 s14, s14, (.LBB1_18505-.Lpost_getpc5668)&4294967295
	s_addc_u32 s15, s15, (.LBB1_18505-.Lpost_getpc5668)>>32
	s_setpc_b64 s[14:15]
.LBB1_4169:
	s_or_saveexec_b64 s[6:7], s[6:7]
	v_mov_b32_e32 v2, s10
	s_xor_b64 exec, exec, s[6:7]
	s_cbranch_execz .LBB1_4170
; %bb.40011:
	s_getpc_b64 s[14:15]
.Lpost_getpc5669:
	s_add_u32 s14, s14, (.LBB1_18508-.Lpost_getpc5669)&4294967295
	s_addc_u32 s15, s15, (.LBB1_18508-.Lpost_getpc5669)>>32
	s_setpc_b64 s[14:15]
.LBB1_4170:
	s_or_b64 exec, exec, s[6:7]
	s_and_saveexec_b64 s[6:7], s[4:5]
	s_cbranch_execz .LBB1_4172
.LBB1_4171:
	v_bfe_u32 v2, v8, 8, 3
	v_ffbh_u32_e32 v7, v2
	v_min_u32_e32 v7, 32, v7
	v_lshrrev_b16_e32 v6, 3, v3
	v_subrev_u32_e32 v12, 28, v7
	v_and_b32_e32 v6, 15, v6
	v_lshlrev_b32_e32 v3, v12, v3
	v_sub_u32_e32 v7, 29, v7
	v_and_b32_e32 v3, 7, v3
	v_cmp_eq_u16_e32 vcc, 0, v6
	v_cndmask_b32_e32 v2, v2, v3, vcc
	v_cndmask_b32_e32 v3, v6, v7, vcc
	v_lshlrev_b32_e32 v6, 16, v8
	v_mov_b32_e32 v7, 0x3b800000
	v_lshlrev_b32_e32 v2, 20, v2
	v_and_b32_e32 v6, 0x80000000, v6
	v_lshl_add_u32 v3, v3, 23, v7
	v_or3_b32 v2, v6, v3, v2
.LBB1_4172:
	s_or_b64 exec, exec, s[6:7]
	v_lshrrev_b32_e32 v3, 8, v4
	s_movk_i32 s4, 0x7f
	v_cmp_gt_i16_sdwa s[6:7], v3, s4 src0_sel:BYTE_0 src1_sel:DWORD
	s_mov_b64 s[4:5], 0
                                        ; implicit-def: $sgpr10
	s_and_saveexec_b64 s[8:9], s[6:7]
	s_xor_b64 s[6:7], exec, s[8:9]
	s_cbranch_execz .LBB1_4173
; %bb.40013:
	s_getpc_b64 s[14:15]
.Lpost_getpc5670:
	s_add_u32 s14, s14, (.LBB1_18509-.Lpost_getpc5670)&4294967295
	s_addc_u32 s15, s15, (.LBB1_18509-.Lpost_getpc5670)>>32
	s_setpc_b64 s[14:15]
.LBB1_4173:
	s_or_saveexec_b64 s[6:7], s[6:7]
	v_mov_b32_e32 v6, s10
	s_xor_b64 exec, exec, s[6:7]
	s_cbranch_execz .LBB1_4174
; %bb.40015:
	s_getpc_b64 s[14:15]
.Lpost_getpc5671:
	s_add_u32 s14, s14, (.LBB1_18512-.Lpost_getpc5671)&4294967295
	s_addc_u32 s15, s15, (.LBB1_18512-.Lpost_getpc5671)>>32
	s_setpc_b64 s[14:15]
.LBB1_4174:
	s_or_b64 exec, exec, s[6:7]
	s_and_saveexec_b64 s[6:7], s[4:5]
	s_cbranch_execz .LBB1_4176
.LBB1_4175:
	v_bfe_u32 v6, v4, 8, 3
	v_ffbh_u32_e32 v12, v6
	v_min_u32_e32 v12, 32, v12
	v_lshrrev_b16_e32 v7, 3, v3
	v_subrev_u32_e32 v13, 28, v12
	v_and_b32_e32 v7, 15, v7
	v_lshlrev_b32_e32 v3, v13, v3
	v_sub_u32_e32 v12, 29, v12
	v_and_b32_e32 v3, 7, v3
	v_cmp_eq_u16_e32 vcc, 0, v7
	v_cndmask_b32_e32 v3, v6, v3, vcc
	v_cndmask_b32_e32 v6, v7, v12, vcc
	v_lshlrev_b32_e32 v7, 16, v4
	v_mov_b32_e32 v12, 0x3b800000
	v_lshlrev_b32_e32 v3, 20, v3
	v_and_b32_e32 v7, 0x80000000, v7
	v_lshl_add_u32 v6, v6, 23, v12
	v_or3_b32 v6, v7, v6, v3
.LBB1_4176:
	s_or_b64 exec, exec, s[6:7]
	s_nop 0
	v_mfma_f32_16x16x4f32 a[0:3], v2, v6, a[0:3]
	s_movk_i32 s4, 0xff
	v_and_b32_sdwa v3, v8, s4 dst_sel:DWORD dst_unused:UNUSED_PAD src0_sel:WORD_1 src1_sel:DWORD
	s_movk_i32 s4, 0x7f
	v_cmp_lt_i16_e32 vcc, s4, v3
	s_mov_b64 s[4:5], 0
                                        ; implicit-def: $sgpr10
	s_and_saveexec_b64 s[6:7], vcc
	s_xor_b64 s[6:7], exec, s[6:7]
	s_cbranch_execz .LBB1_4177
; %bb.40017:
	s_getpc_b64 s[14:15]
.Lpost_getpc5672:
	s_add_u32 s14, s14, (.LBB1_18513-.Lpost_getpc5672)&4294967295
	s_addc_u32 s15, s15, (.LBB1_18513-.Lpost_getpc5672)>>32
	s_setpc_b64 s[14:15]
.LBB1_4177:
	s_or_saveexec_b64 s[6:7], s[6:7]
	v_mov_b32_e32 v2, s10
	s_xor_b64 exec, exec, s[6:7]
	s_cbranch_execz .LBB1_4178
; %bb.40019:
	s_getpc_b64 s[14:15]
.Lpost_getpc5673:
	s_add_u32 s14, s14, (.LBB1_18516-.Lpost_getpc5673)&4294967295
	s_addc_u32 s15, s15, (.LBB1_18516-.Lpost_getpc5673)>>32
	s_setpc_b64 s[14:15]
.LBB1_4178:
	s_or_b64 exec, exec, s[6:7]
	s_and_saveexec_b64 s[6:7], s[4:5]
	s_cbranch_execz .LBB1_4180
.LBB1_4179:
	v_bfe_u32 v2, v8, 16, 3
	v_ffbh_u32_e32 v7, v2
	v_min_u32_e32 v7, 32, v7
	v_lshrrev_b32_e32 v3, 19, v8
	v_subrev_u32_e32 v12, 28, v7
	v_and_b32_e32 v3, 15, v3
	v_lshlrev_b32_sdwa v12, v12, v8 dst_sel:DWORD dst_unused:UNUSED_PAD src0_sel:DWORD src1_sel:WORD_1
	v_bfe_u32 v6, v8, 19, 4
	v_sub_u32_e32 v7, 29, v7
	v_and_b32_e32 v12, 7, v12
	v_cmp_eq_u16_e32 vcc, 0, v3
	v_cndmask_b32_e32 v2, v2, v12, vcc
	v_cndmask_b32_e32 v3, v6, v7, vcc
	v_lshlrev_b32_e32 v6, 8, v8
	v_mov_b32_e32 v7, 0x3b800000
	v_lshlrev_b32_e32 v2, 20, v2
	v_and_b32_e32 v6, 0x80000000, v6
	v_lshl_add_u32 v3, v3, 23, v7
	v_or3_b32 v2, v6, v3, v2
.LBB1_4180:
	s_or_b64 exec, exec, s[6:7]
	s_movk_i32 s4, 0xff
	v_and_b32_sdwa v3, v4, s4 dst_sel:DWORD dst_unused:UNUSED_PAD src0_sel:WORD_1 src1_sel:DWORD
	s_movk_i32 s4, 0x7f
	v_cmp_lt_i16_e32 vcc, s4, v3
	s_mov_b64 s[4:5], 0
                                        ; implicit-def: $sgpr10
	s_and_saveexec_b64 s[6:7], vcc
	s_xor_b64 s[6:7], exec, s[6:7]
	s_cbranch_execz .LBB1_4181
; %bb.40021:
	s_getpc_b64 s[14:15]
.Lpost_getpc5674:
	s_add_u32 s14, s14, (.LBB1_18517-.Lpost_getpc5674)&4294967295
	s_addc_u32 s15, s15, (.LBB1_18517-.Lpost_getpc5674)>>32
	s_setpc_b64 s[14:15]
.LBB1_4181:
	s_or_saveexec_b64 s[6:7], s[6:7]
	v_mov_b32_e32 v6, s10
	s_xor_b64 exec, exec, s[6:7]
	s_cbranch_execz .LBB1_4182
; %bb.40023:
	s_getpc_b64 s[14:15]
.Lpost_getpc5675:
	s_add_u32 s14, s14, (.LBB1_18520-.Lpost_getpc5675)&4294967295
	s_addc_u32 s15, s15, (.LBB1_18520-.Lpost_getpc5675)>>32
	s_setpc_b64 s[14:15]
.LBB1_4182:
	s_or_b64 exec, exec, s[6:7]
	s_and_saveexec_b64 s[6:7], s[4:5]
	s_cbranch_execz .LBB1_4184
.LBB1_4183:
	v_bfe_u32 v3, v4, 16, 3
	v_ffbh_u32_e32 v12, v3
	v_min_u32_e32 v12, 32, v12
	v_lshrrev_b32_e32 v6, 19, v4
	v_subrev_u32_e32 v13, 28, v12
	v_and_b32_e32 v6, 15, v6
	v_lshlrev_b32_sdwa v13, v13, v4 dst_sel:DWORD dst_unused:UNUSED_PAD src0_sel:DWORD src1_sel:WORD_1
	v_bfe_u32 v7, v4, 19, 4
	v_sub_u32_e32 v12, 29, v12
	v_and_b32_e32 v13, 7, v13
	v_cmp_eq_u16_e32 vcc, 0, v6
	v_cndmask_b32_e32 v3, v3, v13, vcc
	v_cndmask_b32_e32 v6, v7, v12, vcc
	v_lshlrev_b32_e32 v7, 8, v4
	v_mov_b32_e32 v12, 0x3b800000
	v_lshlrev_b32_e32 v3, 20, v3
	v_and_b32_e32 v7, 0x80000000, v7
	v_lshl_add_u32 v6, v6, 23, v12
	v_or3_b32 v6, v7, v6, v3
.LBB1_4184:
	s_or_b64 exec, exec, s[6:7]
	s_nop 0
	v_mfma_f32_16x16x4f32 a[0:3], v2, v6, a[0:3]
	s_movk_i32 s4, 0x7f
	v_cmp_gt_i16_sdwa s[6:7], v8, s4 src0_sel:BYTE_3 src1_sel:DWORD
	s_mov_b64 s[4:5], 0
                                        ; implicit-def: $sgpr10
	s_and_saveexec_b64 s[8:9], s[6:7]
	s_xor_b64 s[6:7], exec, s[8:9]
	s_cbranch_execz .LBB1_4185
; %bb.40025:
	s_getpc_b64 s[14:15]
.Lpost_getpc5676:
	s_add_u32 s14, s14, (.LBB1_18521-.Lpost_getpc5676)&4294967295
	s_addc_u32 s15, s15, (.LBB1_18521-.Lpost_getpc5676)>>32
	s_setpc_b64 s[14:15]
.LBB1_4185:
	s_or_saveexec_b64 s[6:7], s[6:7]
	v_mov_b32_e32 v2, s10
	s_xor_b64 exec, exec, s[6:7]
	s_cbranch_execz .LBB1_4186
; %bb.40027:
	s_getpc_b64 s[14:15]
.Lpost_getpc5677:
	s_add_u32 s14, s14, (.LBB1_18524-.Lpost_getpc5677)&4294967295
	s_addc_u32 s15, s15, (.LBB1_18524-.Lpost_getpc5677)>>32
	s_setpc_b64 s[14:15]
.LBB1_4186:
	s_or_b64 exec, exec, s[6:7]
	s_and_saveexec_b64 s[6:7], s[4:5]
	s_cbranch_execz .LBB1_4188
.LBB1_4187:
	v_bfe_u32 v2, v8, 24, 3
	v_ffbh_u32_e32 v12, v2
	v_min_u32_e32 v12, 32, v12
	v_lshrrev_b32_e32 v6, 27, v8
	v_subrev_u32_e32 v13, 28, v12
	v_and_b32_e32 v3, 0x80000000, v8
	v_and_b32_e32 v6, 15, v6
	v_bfe_u32 v7, v8, 27, 4
	v_lshlrev_b32_sdwa v8, v13, v8 dst_sel:DWORD dst_unused:UNUSED_PAD src0_sel:DWORD src1_sel:BYTE_3
	v_sub_u32_e32 v12, 29, v12
	v_and_b32_e32 v8, 7, v8
	v_cmp_eq_u16_e32 vcc, 0, v6
	v_cndmask_b32_e32 v2, v2, v8, vcc
	v_cndmask_b32_e32 v6, v7, v12, vcc
	v_mov_b32_e32 v7, 0x3b800000
	v_lshlrev_b32_e32 v2, 20, v2
	v_lshl_add_u32 v6, v6, 23, v7
	v_or3_b32 v2, v3, v6, v2
.LBB1_4188:
	s_or_b64 exec, exec, s[6:7]
	s_movk_i32 s4, 0x7f
	v_cmp_gt_i16_sdwa s[6:7], v4, s4 src0_sel:BYTE_3 src1_sel:DWORD
	s_mov_b64 s[4:5], 0
                                        ; implicit-def: $sgpr10
	s_and_saveexec_b64 s[8:9], s[6:7]
	s_xor_b64 s[6:7], exec, s[8:9]
	s_cbranch_execz .LBB1_4189
; %bb.40029:
	s_getpc_b64 s[14:15]
.Lpost_getpc5678:
	s_add_u32 s14, s14, (.LBB1_18525-.Lpost_getpc5678)&4294967295
	s_addc_u32 s15, s15, (.LBB1_18525-.Lpost_getpc5678)>>32
	s_setpc_b64 s[14:15]
.LBB1_4189:
	s_or_saveexec_b64 s[6:7], s[6:7]
	v_mov_b32_e32 v3, s10
	s_xor_b64 exec, exec, s[6:7]
	s_cbranch_execz .LBB1_4190
; %bb.40031:
	s_getpc_b64 s[14:15]
.Lpost_getpc5679:
	s_add_u32 s14, s14, (.LBB1_18528-.Lpost_getpc5679)&4294967295
	s_addc_u32 s15, s15, (.LBB1_18528-.Lpost_getpc5679)>>32
	s_setpc_b64 s[14:15]
.LBB1_4190:
	s_or_b64 exec, exec, s[6:7]
	s_and_saveexec_b64 s[6:7], s[4:5]
	s_cbranch_execz .LBB1_4192
.LBB1_4191:
	v_bfe_u32 v3, v4, 24, 3
	v_ffbh_u32_e32 v12, v3
	v_min_u32_e32 v12, 32, v12
	v_lshrrev_b32_e32 v7, 27, v4
	v_subrev_u32_e32 v13, 28, v12
	v_and_b32_e32 v6, 0x80000000, v4
	v_and_b32_e32 v7, 15, v7
	v_bfe_u32 v8, v4, 27, 4
	v_lshlrev_b32_sdwa v4, v13, v4 dst_sel:DWORD dst_unused:UNUSED_PAD src0_sel:DWORD src1_sel:BYTE_3
	v_sub_u32_e32 v12, 29, v12
	v_and_b32_e32 v4, 7, v4
	v_cmp_eq_u16_e32 vcc, 0, v7
	v_cndmask_b32_e32 v3, v3, v4, vcc
	v_cndmask_b32_e32 v4, v8, v12, vcc
	v_mov_b32_e32 v7, 0x3b800000
	v_lshlrev_b32_e32 v3, 20, v3
	v_lshl_add_u32 v4, v4, 23, v7
	v_or3_b32 v3, v6, v4, v3
.LBB1_4192:
	s_or_b64 exec, exec, s[6:7]
	s_nop 0
	v_mfma_f32_16x16x4f32 a[0:3], v2, v3, a[0:3]
	s_movk_i32 s4, 0x7f
	v_cmp_gt_i16_sdwa s[6:7], v9, s4 src0_sel:BYTE_0 src1_sel:DWORD
	s_mov_b64 s[4:5], 0
                                        ; implicit-def: $sgpr10
	s_and_saveexec_b64 s[8:9], s[6:7]
	s_xor_b64 s[6:7], exec, s[8:9]
	s_cbranch_execz .LBB1_4193
; %bb.40033:
	s_getpc_b64 s[14:15]
.Lpost_getpc5680:
	s_add_u32 s14, s14, (.LBB1_18529-.Lpost_getpc5680)&4294967295
	s_addc_u32 s15, s15, (.LBB1_18529-.Lpost_getpc5680)>>32
	s_setpc_b64 s[14:15]
.LBB1_4193:
	s_or_saveexec_b64 s[6:7], s[6:7]
	v_mov_b32_e32 v2, s10
	s_xor_b64 exec, exec, s[6:7]
	s_cbranch_execz .LBB1_4194
; %bb.40035:
	s_getpc_b64 s[14:15]
.Lpost_getpc5681:
	s_add_u32 s14, s14, (.LBB1_18532-.Lpost_getpc5681)&4294967295
	s_addc_u32 s15, s15, (.LBB1_18532-.Lpost_getpc5681)>>32
	s_setpc_b64 s[14:15]
.LBB1_4194:
	s_or_b64 exec, exec, s[6:7]
	s_and_saveexec_b64 s[6:7], s[4:5]
	s_cbranch_execz .LBB1_4196
.LBB1_4195:
	v_mov_b32_e32 v2, 8
	v_and_b32_e32 v3, 7, v9
	v_lshrrev_b32_sdwa v2, v2, v9 dst_sel:BYTE_1 dst_unused:UNUSED_PAD src0_sel:DWORD src1_sel:DWORD
	v_ffbh_u32_e32 v4, v3
	v_or_b32_sdwa v2, v9, v2 dst_sel:DWORD dst_unused:UNUSED_PAD src0_sel:BYTE_0 src1_sel:DWORD
	v_min_u32_e32 v4, 32, v4
	v_lshrrev_b16_e32 v2, 3, v2
	v_subrev_u32_e32 v6, 28, v4
	v_and_b32_e32 v2, 15, v2
	v_lshlrev_b32_e32 v6, v6, v9
	v_sub_u32_e32 v4, 29, v4
	v_and_b32_e32 v6, 7, v6
	v_cmp_eq_u16_e32 vcc, 0, v2
	v_cndmask_b32_e32 v3, v3, v6, vcc
	v_cndmask_b32_e32 v2, v2, v4, vcc
	v_lshlrev_b32_e32 v4, 24, v9
	v_mov_b32_e32 v6, 0x3b800000
	v_lshlrev_b32_e32 v3, 20, v3
	v_and_b32_e32 v4, 0x80000000, v4
	v_lshl_add_u32 v2, v2, 23, v6
	v_or3_b32 v2, v4, v2, v3
.LBB1_4196:
	s_or_b64 exec, exec, s[6:7]
	s_movk_i32 s4, 0x7f
	v_cmp_gt_i16_sdwa s[6:7], v5, s4 src0_sel:BYTE_0 src1_sel:DWORD
	s_mov_b64 s[4:5], 0
                                        ; implicit-def: $sgpr10
	s_and_saveexec_b64 s[8:9], s[6:7]
	s_xor_b64 s[6:7], exec, s[8:9]
	s_cbranch_execz .LBB1_4197
; %bb.40037:
	s_getpc_b64 s[14:15]
.Lpost_getpc5682:
	s_add_u32 s14, s14, (.LBB1_18533-.Lpost_getpc5682)&4294967295
	s_addc_u32 s15, s15, (.LBB1_18533-.Lpost_getpc5682)>>32
	s_setpc_b64 s[14:15]
.LBB1_4197:
	s_or_saveexec_b64 s[6:7], s[6:7]
	v_mov_b32_e32 v3, s10
	s_xor_b64 exec, exec, s[6:7]
	s_cbranch_execz .LBB1_4198
; %bb.40039:
	s_getpc_b64 s[14:15]
.Lpost_getpc5683:
	s_add_u32 s14, s14, (.LBB1_18536-.Lpost_getpc5683)&4294967295
	s_addc_u32 s15, s15, (.LBB1_18536-.Lpost_getpc5683)>>32
	s_setpc_b64 s[14:15]
.LBB1_4198:
	s_or_b64 exec, exec, s[6:7]
	s_and_saveexec_b64 s[6:7], s[4:5]
	s_cbranch_execz .LBB1_4200
.LBB1_4199:
	v_mov_b32_e32 v3, 8
	v_and_b32_e32 v4, 7, v5
	v_lshrrev_b32_sdwa v3, v3, v5 dst_sel:BYTE_1 dst_unused:UNUSED_PAD src0_sel:DWORD src1_sel:DWORD
	v_ffbh_u32_e32 v6, v4
	v_or_b32_sdwa v3, v5, v3 dst_sel:DWORD dst_unused:UNUSED_PAD src0_sel:BYTE_0 src1_sel:DWORD
	v_min_u32_e32 v6, 32, v6
	v_lshrrev_b16_e32 v3, 3, v3
	v_subrev_u32_e32 v7, 28, v6
	v_and_b32_e32 v3, 15, v3
	v_lshlrev_b32_e32 v7, v7, v5
	v_sub_u32_e32 v6, 29, v6
	v_and_b32_e32 v7, 7, v7
	v_cmp_eq_u16_e32 vcc, 0, v3
	v_cndmask_b32_e32 v4, v4, v7, vcc
	v_cndmask_b32_e32 v3, v3, v6, vcc
	v_lshlrev_b32_e32 v6, 24, v5
	v_mov_b32_e32 v7, 0x3b800000
	v_lshlrev_b32_e32 v4, 20, v4
	v_and_b32_e32 v6, 0x80000000, v6
	v_lshl_add_u32 v3, v3, 23, v7
	v_or3_b32 v3, v6, v3, v4
.LBB1_4200:
	s_or_b64 exec, exec, s[6:7]
	s_nop 0
	v_mfma_f32_16x16x4f32 a[0:3], v2, v3, a[0:3]
	v_lshrrev_b32_e32 v3, 8, v9
	s_movk_i32 s4, 0x7f
	v_cmp_gt_i16_sdwa s[6:7], v3, s4 src0_sel:BYTE_0 src1_sel:DWORD
	s_mov_b64 s[4:5], 0
                                        ; implicit-def: $sgpr10
	s_and_saveexec_b64 s[8:9], s[6:7]
	s_xor_b64 s[6:7], exec, s[8:9]
	s_cbranch_execz .LBB1_4201
; %bb.40041:
	s_getpc_b64 s[14:15]
.Lpost_getpc5684:
	s_add_u32 s14, s14, (.LBB1_18537-.Lpost_getpc5684)&4294967295
	s_addc_u32 s15, s15, (.LBB1_18537-.Lpost_getpc5684)>>32
	s_setpc_b64 s[14:15]
.LBB1_4201:
	s_or_saveexec_b64 s[6:7], s[6:7]
	v_mov_b32_e32 v2, s10
	s_xor_b64 exec, exec, s[6:7]
	s_cbranch_execz .LBB1_4202
; %bb.40043:
	s_getpc_b64 s[14:15]
.Lpost_getpc5685:
	s_add_u32 s14, s14, (.LBB1_18540-.Lpost_getpc5685)&4294967295
	s_addc_u32 s15, s15, (.LBB1_18540-.Lpost_getpc5685)>>32
	s_setpc_b64 s[14:15]
.LBB1_4202:
	s_or_b64 exec, exec, s[6:7]
	s_and_saveexec_b64 s[6:7], s[4:5]
	s_cbranch_execz .LBB1_4204
.LBB1_4203:
	v_bfe_u32 v2, v9, 8, 3
	v_ffbh_u32_e32 v6, v2
	v_min_u32_e32 v6, 32, v6
	v_lshrrev_b16_e32 v4, 3, v3
	v_subrev_u32_e32 v7, 28, v6
	v_and_b32_e32 v4, 15, v4
	v_lshlrev_b32_e32 v3, v7, v3
	v_sub_u32_e32 v6, 29, v6
	v_and_b32_e32 v3, 7, v3
	v_cmp_eq_u16_e32 vcc, 0, v4
	v_cndmask_b32_e32 v2, v2, v3, vcc
	v_cndmask_b32_e32 v3, v4, v6, vcc
	v_lshlrev_b32_e32 v4, 16, v9
	v_mov_b32_e32 v6, 0x3b800000
	v_lshlrev_b32_e32 v2, 20, v2
	v_and_b32_e32 v4, 0x80000000, v4
	v_lshl_add_u32 v3, v3, 23, v6
	v_or3_b32 v2, v4, v3, v2
.LBB1_4204:
	s_or_b64 exec, exec, s[6:7]
	v_lshrrev_b32_e32 v3, 8, v5
	s_movk_i32 s4, 0x7f
	v_cmp_gt_i16_sdwa s[6:7], v3, s4 src0_sel:BYTE_0 src1_sel:DWORD
	s_mov_b64 s[4:5], 0
                                        ; implicit-def: $sgpr10
	s_and_saveexec_b64 s[8:9], s[6:7]
	s_xor_b64 s[6:7], exec, s[8:9]
	s_cbranch_execz .LBB1_4205
; %bb.40045:
	s_getpc_b64 s[14:15]
.Lpost_getpc5686:
	s_add_u32 s14, s14, (.LBB1_18541-.Lpost_getpc5686)&4294967295
	s_addc_u32 s15, s15, (.LBB1_18541-.Lpost_getpc5686)>>32
	s_setpc_b64 s[14:15]
.LBB1_4205:
	s_or_saveexec_b64 s[6:7], s[6:7]
	v_mov_b32_e32 v4, s10
	s_xor_b64 exec, exec, s[6:7]
	s_cbranch_execz .LBB1_4206
; %bb.40047:
	s_getpc_b64 s[14:15]
.Lpost_getpc5687:
	s_add_u32 s14, s14, (.LBB1_18544-.Lpost_getpc5687)&4294967295
	s_addc_u32 s15, s15, (.LBB1_18544-.Lpost_getpc5687)>>32
	s_setpc_b64 s[14:15]
.LBB1_4206:
	s_or_b64 exec, exec, s[6:7]
	s_and_saveexec_b64 s[6:7], s[4:5]
	s_cbranch_execz .LBB1_4208
.LBB1_4207:
	v_bfe_u32 v4, v5, 8, 3
	v_ffbh_u32_e32 v7, v4
	v_min_u32_e32 v7, 32, v7
	v_lshrrev_b16_e32 v6, 3, v3
	v_subrev_u32_e32 v8, 28, v7
	v_and_b32_e32 v6, 15, v6
	v_lshlrev_b32_e32 v3, v8, v3
	v_sub_u32_e32 v7, 29, v7
	v_and_b32_e32 v3, 7, v3
	v_cmp_eq_u16_e32 vcc, 0, v6
	v_cndmask_b32_e32 v3, v4, v3, vcc
	v_cndmask_b32_e32 v4, v6, v7, vcc
	v_lshlrev_b32_e32 v6, 16, v5
	v_mov_b32_e32 v7, 0x3b800000
	v_lshlrev_b32_e32 v3, 20, v3
	v_and_b32_e32 v6, 0x80000000, v6
	v_lshl_add_u32 v4, v4, 23, v7
	v_or3_b32 v4, v6, v4, v3
.LBB1_4208:
	s_or_b64 exec, exec, s[6:7]
	s_nop 0
	v_mfma_f32_16x16x4f32 a[0:3], v2, v4, a[0:3]
	s_movk_i32 s4, 0xff
	v_and_b32_sdwa v3, v9, s4 dst_sel:DWORD dst_unused:UNUSED_PAD src0_sel:WORD_1 src1_sel:DWORD
	s_movk_i32 s4, 0x7f
	v_cmp_lt_i16_e32 vcc, s4, v3
	s_mov_b64 s[4:5], 0
                                        ; implicit-def: $sgpr10
	s_and_saveexec_b64 s[6:7], vcc
	s_xor_b64 s[6:7], exec, s[6:7]
	s_cbranch_execz .LBB1_4209
; %bb.40049:
	s_getpc_b64 s[14:15]
.Lpost_getpc5688:
	s_add_u32 s14, s14, (.LBB1_18545-.Lpost_getpc5688)&4294967295
	s_addc_u32 s15, s15, (.LBB1_18545-.Lpost_getpc5688)>>32
	s_setpc_b64 s[14:15]
.LBB1_4209:
	s_or_saveexec_b64 s[6:7], s[6:7]
	v_mov_b32_e32 v2, s10
	s_xor_b64 exec, exec, s[6:7]
	s_cbranch_execz .LBB1_4210
; %bb.40051:
	s_getpc_b64 s[14:15]
.Lpost_getpc5689:
	s_add_u32 s14, s14, (.LBB1_18548-.Lpost_getpc5689)&4294967295
	s_addc_u32 s15, s15, (.LBB1_18548-.Lpost_getpc5689)>>32
	s_setpc_b64 s[14:15]
.LBB1_4210:
	s_or_b64 exec, exec, s[6:7]
	s_and_saveexec_b64 s[6:7], s[4:5]
	s_cbranch_execz .LBB1_4212
.LBB1_4211:
	v_bfe_u32 v2, v9, 16, 3
	v_ffbh_u32_e32 v6, v2
	v_min_u32_e32 v6, 32, v6
	v_lshrrev_b32_e32 v3, 19, v9
	v_subrev_u32_e32 v7, 28, v6
	v_and_b32_e32 v3, 15, v3
	v_lshlrev_b32_sdwa v7, v7, v9 dst_sel:DWORD dst_unused:UNUSED_PAD src0_sel:DWORD src1_sel:WORD_1
	v_bfe_u32 v4, v9, 19, 4
	v_sub_u32_e32 v6, 29, v6
	v_and_b32_e32 v7, 7, v7
	v_cmp_eq_u16_e32 vcc, 0, v3
	v_cndmask_b32_e32 v2, v2, v7, vcc
	v_cndmask_b32_e32 v3, v4, v6, vcc
	v_lshlrev_b32_e32 v4, 8, v9
	v_mov_b32_e32 v6, 0x3b800000
	v_lshlrev_b32_e32 v2, 20, v2
	v_and_b32_e32 v4, 0x80000000, v4
	v_lshl_add_u32 v3, v3, 23, v6
	v_or3_b32 v2, v4, v3, v2
.LBB1_4212:
	s_or_b64 exec, exec, s[6:7]
	s_movk_i32 s4, 0xff
	v_and_b32_sdwa v3, v5, s4 dst_sel:DWORD dst_unused:UNUSED_PAD src0_sel:WORD_1 src1_sel:DWORD
	s_movk_i32 s4, 0x7f
	v_cmp_lt_i16_e32 vcc, s4, v3
	s_mov_b64 s[4:5], 0
                                        ; implicit-def: $sgpr10
	s_and_saveexec_b64 s[6:7], vcc
	s_xor_b64 s[6:7], exec, s[6:7]
	s_cbranch_execz .LBB1_4213
; %bb.40053:
	s_getpc_b64 s[14:15]
.Lpost_getpc5690:
	s_add_u32 s14, s14, (.LBB1_18549-.Lpost_getpc5690)&4294967295
	s_addc_u32 s15, s15, (.LBB1_18549-.Lpost_getpc5690)>>32
	s_setpc_b64 s[14:15]
.LBB1_4213:
	s_or_saveexec_b64 s[6:7], s[6:7]
	v_mov_b32_e32 v4, s10
	s_xor_b64 exec, exec, s[6:7]
	s_cbranch_execz .LBB1_4214
; %bb.40055:
	s_getpc_b64 s[14:15]
.Lpost_getpc5691:
	s_add_u32 s14, s14, (.LBB1_18552-.Lpost_getpc5691)&4294967295
	s_addc_u32 s15, s15, (.LBB1_18552-.Lpost_getpc5691)>>32
	s_setpc_b64 s[14:15]
.LBB1_4214:
	s_or_b64 exec, exec, s[6:7]
	s_and_saveexec_b64 s[6:7], s[4:5]
	s_cbranch_execz .LBB1_4216
.LBB1_4215:
	v_bfe_u32 v3, v5, 16, 3
	v_ffbh_u32_e32 v7, v3
	v_min_u32_e32 v7, 32, v7
	v_lshrrev_b32_e32 v4, 19, v5
	v_subrev_u32_e32 v8, 28, v7
	v_and_b32_e32 v4, 15, v4
	v_lshlrev_b32_sdwa v8, v8, v5 dst_sel:DWORD dst_unused:UNUSED_PAD src0_sel:DWORD src1_sel:WORD_1
	v_bfe_u32 v6, v5, 19, 4
	v_sub_u32_e32 v7, 29, v7
	v_and_b32_e32 v8, 7, v8
	v_cmp_eq_u16_e32 vcc, 0, v4
	v_cndmask_b32_e32 v3, v3, v8, vcc
	v_cndmask_b32_e32 v4, v6, v7, vcc
	v_lshlrev_b32_e32 v6, 8, v5
	v_mov_b32_e32 v7, 0x3b800000
	v_lshlrev_b32_e32 v3, 20, v3
	v_and_b32_e32 v6, 0x80000000, v6
	v_lshl_add_u32 v4, v4, 23, v7
	v_or3_b32 v4, v6, v4, v3
.LBB1_4216:
	s_or_b64 exec, exec, s[6:7]
	s_nop 0
	v_mfma_f32_16x16x4f32 a[0:3], v2, v4, a[0:3]
	s_movk_i32 s4, 0x7f
	v_cmp_gt_i16_sdwa s[6:7], v9, s4 src0_sel:BYTE_3 src1_sel:DWORD
	s_mov_b64 s[4:5], 0
                                        ; implicit-def: $sgpr10
	s_and_saveexec_b64 s[8:9], s[6:7]
	s_xor_b64 s[6:7], exec, s[8:9]
	s_cbranch_execz .LBB1_4217
; %bb.40057:
	s_getpc_b64 s[14:15]
.Lpost_getpc5692:
	s_add_u32 s14, s14, (.LBB1_18553-.Lpost_getpc5692)&4294967295
	s_addc_u32 s15, s15, (.LBB1_18553-.Lpost_getpc5692)>>32
	s_setpc_b64 s[14:15]
.LBB1_4217:
	s_or_saveexec_b64 s[6:7], s[6:7]
	v_mov_b32_e32 v2, s10
	s_xor_b64 exec, exec, s[6:7]
	s_cbranch_execz .LBB1_4218
; %bb.40059:
	s_getpc_b64 s[14:15]
.Lpost_getpc5693:
	s_add_u32 s14, s14, (.LBB1_18556-.Lpost_getpc5693)&4294967295
	s_addc_u32 s15, s15, (.LBB1_18556-.Lpost_getpc5693)>>32
	s_setpc_b64 s[14:15]
.LBB1_4218:
	s_or_b64 exec, exec, s[6:7]
	s_and_saveexec_b64 s[6:7], s[4:5]
	s_cbranch_execz .LBB1_4220
.LBB1_4219:
	v_bfe_u32 v2, v9, 24, 3
	v_ffbh_u32_e32 v7, v2
	v_min_u32_e32 v7, 32, v7
	v_lshrrev_b32_e32 v4, 27, v9
	v_subrev_u32_e32 v8, 28, v7
	v_and_b32_e32 v4, 15, v4
	v_lshlrev_b32_sdwa v8, v8, v9 dst_sel:DWORD dst_unused:UNUSED_PAD src0_sel:DWORD src1_sel:BYTE_3
	v_bfe_u32 v6, v9, 27, 4
	v_sub_u32_e32 v7, 29, v7
	v_and_b32_e32 v8, 7, v8
	v_cmp_eq_u16_e32 vcc, 0, v4
	v_cndmask_b32_e32 v2, v2, v8, vcc
	v_cndmask_b32_e32 v4, v6, v7, vcc
	v_mov_b32_e32 v6, 0x3b800000
	v_and_b32_e32 v3, 0x80000000, v9
	v_lshlrev_b32_e32 v2, 20, v2
	v_lshl_add_u32 v4, v4, 23, v6
	v_or3_b32 v2, v3, v4, v2
.LBB1_4220:
	s_or_b64 exec, exec, s[6:7]
	s_movk_i32 s4, 0x7f
	v_cmp_gt_i16_sdwa s[6:7], v5, s4 src0_sel:BYTE_3 src1_sel:DWORD
	s_mov_b64 s[4:5], 0
                                        ; implicit-def: $sgpr10
	s_and_saveexec_b64 s[8:9], s[6:7]
	s_xor_b64 s[6:7], exec, s[8:9]
	s_cbranch_execz .LBB1_4221
; %bb.40061:
	s_getpc_b64 s[14:15]
.Lpost_getpc5694:
	s_add_u32 s14, s14, (.LBB1_18557-.Lpost_getpc5694)&4294967295
	s_addc_u32 s15, s15, (.LBB1_18557-.Lpost_getpc5694)>>32
	s_setpc_b64 s[14:15]
.LBB1_4221:
	s_or_saveexec_b64 s[6:7], s[6:7]
	v_mov_b32_e32 v3, s10
	s_xor_b64 exec, exec, s[6:7]
	s_cbranch_execz .LBB1_4222
; %bb.40063:
	s_getpc_b64 s[14:15]
.Lpost_getpc5695:
	s_add_u32 s14, s14, (.LBB1_18560-.Lpost_getpc5695)&4294967295
	s_addc_u32 s15, s15, (.LBB1_18560-.Lpost_getpc5695)>>32
	s_setpc_b64 s[14:15]
.LBB1_4222:
	s_or_b64 exec, exec, s[6:7]
	s_and_saveexec_b64 s[6:7], s[4:5]
	s_cbranch_execz .LBB1_4224
.LBB1_4223:
	v_bfe_u32 v3, v5, 24, 3
	v_ffbh_u32_e32 v8, v3
	v_min_u32_e32 v8, 32, v8
	v_lshrrev_b32_e32 v6, 27, v5
	v_subrev_u32_e32 v9, 28, v8
	v_and_b32_e32 v4, 0x80000000, v5
	v_and_b32_e32 v6, 15, v6
	v_bfe_u32 v7, v5, 27, 4
	v_lshlrev_b32_sdwa v5, v9, v5 dst_sel:DWORD dst_unused:UNUSED_PAD src0_sel:DWORD src1_sel:BYTE_3
	v_sub_u32_e32 v8, 29, v8
	v_and_b32_e32 v5, 7, v5
	v_cmp_eq_u16_e32 vcc, 0, v6
	v_cndmask_b32_e32 v3, v3, v5, vcc
	v_cndmask_b32_e32 v5, v7, v8, vcc
	v_mov_b32_e32 v6, 0x3b800000
	v_lshlrev_b32_e32 v3, 20, v3
	v_lshl_add_u32 v5, v5, 23, v6
	v_or3_b32 v3, v4, v5, v3
.LBB1_4224:
	s_or_b64 exec, exec, s[6:7]
	s_nop 0
	v_mfma_f32_16x16x4f32 a[0:3], v2, v3, a[0:3]
	s_movk_i32 s4, 0x7f
                                        ; implicit-def: $sgpr10
	s_nop 7
	s_nop 1
	flat_store_dwordx4 v[10:11], a[0:3] offset:512
	flat_load_dwordx4 v[12:15], v[0:1]
	s_nop 0
	flat_load_dwordx2 v[10:11], v[0:1] offset:16
	s_waitcnt vmcnt(0) lgkmcnt(0)
	flat_load_dwordx4 v[6:9], v[12:13] offset:64
	flat_load_dwordx4 v[2:5], v[14:15] offset:16
	s_waitcnt vmcnt(0) lgkmcnt(0)
	v_cmp_gt_i16_sdwa s[6:7], v6, s4 src0_sel:BYTE_0 src1_sel:DWORD
	s_mov_b64 s[4:5], 0
	s_and_saveexec_b64 s[8:9], s[6:7]
	s_xor_b64 s[6:7], exec, s[8:9]
	s_cbranch_execz .LBB1_4225
; %bb.40065:
	s_getpc_b64 s[14:15]
.Lpost_getpc5696:
	s_add_u32 s14, s14, (.LBB1_18561-.Lpost_getpc5696)&4294967295
	s_addc_u32 s15, s15, (.LBB1_18561-.Lpost_getpc5696)>>32
	s_setpc_b64 s[14:15]
.LBB1_4225:
	s_or_saveexec_b64 s[6:7], s[6:7]
	v_mov_b32_e32 v12, s10
	s_xor_b64 exec, exec, s[6:7]
	s_cbranch_execz .LBB1_4226
; %bb.40067:
	s_getpc_b64 s[14:15]
.Lpost_getpc5697:
	s_add_u32 s14, s14, (.LBB1_18564-.Lpost_getpc5697)&4294967295
	s_addc_u32 s15, s15, (.LBB1_18564-.Lpost_getpc5697)>>32
	s_setpc_b64 s[14:15]
.LBB1_4226:
	s_or_b64 exec, exec, s[6:7]
	s_and_saveexec_b64 s[6:7], s[4:5]
	s_cbranch_execz .LBB1_4228
.LBB1_4227:
	v_and_b32_e32 v12, 7, v6
	v_ffbh_u32_e32 v14, v12
	v_min_u32_e32 v14, 32, v14
	v_lshrrev_b16_e32 v13, 3, v6
	v_subrev_u32_e32 v15, 28, v14
	v_and_b32_e32 v13, 15, v13
	v_lshlrev_b32_e32 v15, v15, v6
	v_sub_u32_e32 v14, 29, v14
	v_and_b32_e32 v15, 7, v15
	v_cmp_eq_u16_e32 vcc, 0, v13
	v_cndmask_b32_e32 v12, v12, v15, vcc
	v_cndmask_b32_e32 v13, v13, v14, vcc
	v_lshlrev_b32_e32 v14, 24, v6
	v_mov_b32_e32 v15, 0x3b800000
	v_lshlrev_b32_e32 v12, 20, v12
	v_and_b32_e32 v14, 0x80000000, v14
	v_lshl_add_u32 v13, v13, 23, v15
	v_or3_b32 v12, v14, v13, v12
.LBB1_4228:
	s_or_b64 exec, exec, s[6:7]
	s_movk_i32 s4, 0x7f
	v_cmp_gt_i16_sdwa s[6:7], v2, s4 src0_sel:BYTE_0 src1_sel:DWORD
	s_mov_b64 s[4:5], 0
                                        ; implicit-def: $sgpr10
	s_and_saveexec_b64 s[8:9], s[6:7]
	s_xor_b64 s[6:7], exec, s[8:9]
	s_cbranch_execz .LBB1_4229
; %bb.40069:
	s_getpc_b64 s[14:15]
.Lpost_getpc5698:
	s_add_u32 s14, s14, (.LBB1_18565-.Lpost_getpc5698)&4294967295
	s_addc_u32 s15, s15, (.LBB1_18565-.Lpost_getpc5698)>>32
	s_setpc_b64 s[14:15]
.LBB1_4229:
	s_or_saveexec_b64 s[6:7], s[6:7]
	v_mov_b32_e32 v13, s10
	s_xor_b64 exec, exec, s[6:7]
	s_cbranch_execz .LBB1_4230
; %bb.40071:
	s_getpc_b64 s[14:15]
.Lpost_getpc5699:
	s_add_u32 s14, s14, (.LBB1_18568-.Lpost_getpc5699)&4294967295
	s_addc_u32 s15, s15, (.LBB1_18568-.Lpost_getpc5699)>>32
	s_setpc_b64 s[14:15]
.LBB1_4230:
	s_or_b64 exec, exec, s[6:7]
	s_and_saveexec_b64 s[6:7], s[4:5]
	s_cbranch_execz .LBB1_4232
.LBB1_4231:
	v_and_b32_e32 v13, 7, v2
	v_ffbh_u32_e32 v15, v13
	v_min_u32_e32 v15, 32, v15
	v_lshrrev_b16_e32 v14, 3, v2
	v_subrev_u32_e32 v16, 28, v15
	v_and_b32_e32 v14, 15, v14
	v_lshlrev_b32_e32 v16, v16, v2
	v_sub_u32_e32 v15, 29, v15
	v_and_b32_e32 v16, 7, v16
	v_cmp_eq_u16_e32 vcc, 0, v14
	v_cndmask_b32_e32 v13, v13, v16, vcc
	v_cndmask_b32_e32 v14, v14, v15, vcc
	v_lshlrev_b32_e32 v15, 24, v2
	v_mov_b32_e32 v16, 0x3b800000
	v_lshlrev_b32_e32 v13, 20, v13
	v_and_b32_e32 v15, 0x80000000, v15
	v_lshl_add_u32 v14, v14, 23, v16
	v_or3_b32 v13, v15, v14, v13
.LBB1_4232:
	s_or_b64 exec, exec, s[6:7]
	flat_load_dwordx4 a[0:3], v[10:11] offset:528
	s_movk_i32 s4, 0x7f
                                        ; implicit-def: $sgpr10
	s_waitcnt vmcnt(0) lgkmcnt(0)
	v_mfma_f32_16x16x4f32 a[0:3], v12, v13, a[0:3]
	v_lshrrev_b32_e32 v13, 8, v6
	v_cmp_gt_i16_sdwa s[6:7], v13, s4 src0_sel:BYTE_0 src1_sel:DWORD
	s_mov_b64 s[4:5], 0
	s_and_saveexec_b64 s[8:9], s[6:7]
	s_xor_b64 s[6:7], exec, s[8:9]
	s_cbranch_execz .LBB1_4233
; %bb.40073:
	s_getpc_b64 s[14:15]
.Lpost_getpc5700:
	s_add_u32 s14, s14, (.LBB1_18569-.Lpost_getpc5700)&4294967295
	s_addc_u32 s15, s15, (.LBB1_18569-.Lpost_getpc5700)>>32
	s_setpc_b64 s[14:15]
.LBB1_4233:
	s_or_saveexec_b64 s[6:7], s[6:7]
	v_mov_b32_e32 v12, s10
	s_xor_b64 exec, exec, s[6:7]
	s_cbranch_execz .LBB1_4234
; %bb.40075:
	s_getpc_b64 s[14:15]
.Lpost_getpc5701:
	s_add_u32 s14, s14, (.LBB1_18572-.Lpost_getpc5701)&4294967295
	s_addc_u32 s15, s15, (.LBB1_18572-.Lpost_getpc5701)>>32
	s_setpc_b64 s[14:15]
.LBB1_4234:
	s_or_b64 exec, exec, s[6:7]
	s_and_saveexec_b64 s[6:7], s[4:5]
	s_cbranch_execz .LBB1_4236
.LBB1_4235:
	v_bfe_u32 v12, v6, 8, 3
	v_ffbh_u32_e32 v15, v12
	v_min_u32_e32 v15, 32, v15
	v_lshrrev_b16_e32 v14, 3, v13
	v_subrev_u32_e32 v16, 28, v15
	v_and_b32_e32 v14, 15, v14
	v_lshlrev_b32_e32 v13, v16, v13
	v_sub_u32_e32 v15, 29, v15
	v_and_b32_e32 v13, 7, v13
	v_cmp_eq_u16_e32 vcc, 0, v14
	v_cndmask_b32_e32 v12, v12, v13, vcc
	v_cndmask_b32_e32 v13, v14, v15, vcc
	v_lshlrev_b32_e32 v14, 16, v6
	v_mov_b32_e32 v15, 0x3b800000
	v_lshlrev_b32_e32 v12, 20, v12
	v_and_b32_e32 v14, 0x80000000, v14
	v_lshl_add_u32 v13, v13, 23, v15
	v_or3_b32 v12, v14, v13, v12
.LBB1_4236:
	s_or_b64 exec, exec, s[6:7]
	v_lshrrev_b32_e32 v13, 8, v2
	s_movk_i32 s4, 0x7f
	v_cmp_gt_i16_sdwa s[6:7], v13, s4 src0_sel:BYTE_0 src1_sel:DWORD
	s_mov_b64 s[4:5], 0
                                        ; implicit-def: $sgpr10
	s_and_saveexec_b64 s[8:9], s[6:7]
	s_xor_b64 s[6:7], exec, s[8:9]
	s_cbranch_execz .LBB1_4237
; %bb.40077:
	s_getpc_b64 s[14:15]
.Lpost_getpc5702:
	s_add_u32 s14, s14, (.LBB1_18573-.Lpost_getpc5702)&4294967295
	s_addc_u32 s15, s15, (.LBB1_18573-.Lpost_getpc5702)>>32
	s_setpc_b64 s[14:15]
.LBB1_4237:
	s_or_saveexec_b64 s[6:7], s[6:7]
	v_mov_b32_e32 v14, s10
	s_xor_b64 exec, exec, s[6:7]
	s_cbranch_execz .LBB1_4238
; %bb.40079:
	s_getpc_b64 s[14:15]
.Lpost_getpc5703:
	s_add_u32 s14, s14, (.LBB1_18576-.Lpost_getpc5703)&4294967295
	s_addc_u32 s15, s15, (.LBB1_18576-.Lpost_getpc5703)>>32
	s_setpc_b64 s[14:15]
.LBB1_4238:
	s_or_b64 exec, exec, s[6:7]
	s_and_saveexec_b64 s[6:7], s[4:5]
	s_cbranch_execz .LBB1_4240
.LBB1_4239:
	v_bfe_u32 v14, v2, 8, 3
	v_ffbh_u32_e32 v16, v14
	v_min_u32_e32 v16, 32, v16
	v_lshrrev_b16_e32 v15, 3, v13
	v_subrev_u32_e32 v17, 28, v16
	v_and_b32_e32 v15, 15, v15
	v_lshlrev_b32_e32 v13, v17, v13
	v_sub_u32_e32 v16, 29, v16
	v_and_b32_e32 v13, 7, v13
	v_cmp_eq_u16_e32 vcc, 0, v15
	v_cndmask_b32_e32 v13, v14, v13, vcc
	v_cndmask_b32_e32 v14, v15, v16, vcc
	v_lshlrev_b32_e32 v15, 16, v2
	v_mov_b32_e32 v16, 0x3b800000
	v_lshlrev_b32_e32 v13, 20, v13
	v_and_b32_e32 v15, 0x80000000, v15
	v_lshl_add_u32 v14, v14, 23, v16
	v_or3_b32 v14, v15, v14, v13
.LBB1_4240:
	s_or_b64 exec, exec, s[6:7]
	s_nop 0
	v_mfma_f32_16x16x4f32 a[0:3], v12, v14, a[0:3]
	s_movk_i32 s4, 0xff
	v_and_b32_sdwa v13, v6, s4 dst_sel:DWORD dst_unused:UNUSED_PAD src0_sel:WORD_1 src1_sel:DWORD
	s_movk_i32 s4, 0x7f
	v_cmp_lt_i16_e32 vcc, s4, v13
	s_mov_b64 s[4:5], 0
                                        ; implicit-def: $sgpr10
	s_and_saveexec_b64 s[6:7], vcc
	s_xor_b64 s[6:7], exec, s[6:7]
	s_cbranch_execz .LBB1_4241
; %bb.40081:
	s_getpc_b64 s[14:15]
.Lpost_getpc5704:
	s_add_u32 s14, s14, (.LBB1_18577-.Lpost_getpc5704)&4294967295
	s_addc_u32 s15, s15, (.LBB1_18577-.Lpost_getpc5704)>>32
	s_setpc_b64 s[14:15]
.LBB1_4241:
	s_or_saveexec_b64 s[6:7], s[6:7]
	v_mov_b32_e32 v12, s10
	s_xor_b64 exec, exec, s[6:7]
	s_cbranch_execz .LBB1_4242
; %bb.40083:
	s_getpc_b64 s[14:15]
.Lpost_getpc5705:
	s_add_u32 s14, s14, (.LBB1_18580-.Lpost_getpc5705)&4294967295
	s_addc_u32 s15, s15, (.LBB1_18580-.Lpost_getpc5705)>>32
	s_setpc_b64 s[14:15]
.LBB1_4242:
	s_or_b64 exec, exec, s[6:7]
	s_and_saveexec_b64 s[6:7], s[4:5]
	s_cbranch_execz .LBB1_4244
.LBB1_4243:
	v_bfe_u32 v12, v6, 16, 3
	v_ffbh_u32_e32 v15, v12
	v_min_u32_e32 v15, 32, v15
	v_lshrrev_b32_e32 v13, 19, v6
	v_subrev_u32_e32 v16, 28, v15
	v_and_b32_e32 v13, 15, v13
	v_lshlrev_b32_sdwa v16, v16, v6 dst_sel:DWORD dst_unused:UNUSED_PAD src0_sel:DWORD src1_sel:WORD_1
	v_bfe_u32 v14, v6, 19, 4
	v_sub_u32_e32 v15, 29, v15
	v_and_b32_e32 v16, 7, v16
	v_cmp_eq_u16_e32 vcc, 0, v13
	v_cndmask_b32_e32 v12, v12, v16, vcc
	v_cndmask_b32_e32 v13, v14, v15, vcc
	v_lshlrev_b32_e32 v14, 8, v6
	v_mov_b32_e32 v15, 0x3b800000
	v_lshlrev_b32_e32 v12, 20, v12
	v_and_b32_e32 v14, 0x80000000, v14
	v_lshl_add_u32 v13, v13, 23, v15
	v_or3_b32 v12, v14, v13, v12
.LBB1_4244:
	s_or_b64 exec, exec, s[6:7]
	s_movk_i32 s4, 0xff
	v_and_b32_sdwa v13, v2, s4 dst_sel:DWORD dst_unused:UNUSED_PAD src0_sel:WORD_1 src1_sel:DWORD
	s_movk_i32 s4, 0x7f
	v_cmp_lt_i16_e32 vcc, s4, v13
	s_mov_b64 s[4:5], 0
                                        ; implicit-def: $sgpr10
	s_and_saveexec_b64 s[6:7], vcc
	s_xor_b64 s[6:7], exec, s[6:7]
	s_cbranch_execz .LBB1_4245
; %bb.40085:
	s_getpc_b64 s[14:15]
.Lpost_getpc5706:
	s_add_u32 s14, s14, (.LBB1_18581-.Lpost_getpc5706)&4294967295
	s_addc_u32 s15, s15, (.LBB1_18581-.Lpost_getpc5706)>>32
	s_setpc_b64 s[14:15]
.LBB1_4245:
	s_or_saveexec_b64 s[6:7], s[6:7]
	v_mov_b32_e32 v14, s10
	s_xor_b64 exec, exec, s[6:7]
	s_cbranch_execz .LBB1_4246
; %bb.40087:
	s_getpc_b64 s[14:15]
.Lpost_getpc5707:
	s_add_u32 s14, s14, (.LBB1_18584-.Lpost_getpc5707)&4294967295
	s_addc_u32 s15, s15, (.LBB1_18584-.Lpost_getpc5707)>>32
	s_setpc_b64 s[14:15]
.LBB1_4246:
	s_or_b64 exec, exec, s[6:7]
	s_and_saveexec_b64 s[6:7], s[4:5]
	s_cbranch_execz .LBB1_4248
.LBB1_4247:
	v_bfe_u32 v13, v2, 16, 3
	v_ffbh_u32_e32 v16, v13
	v_min_u32_e32 v16, 32, v16
	v_lshrrev_b32_e32 v14, 19, v2
	v_subrev_u32_e32 v17, 28, v16
	v_and_b32_e32 v14, 15, v14
	v_lshlrev_b32_sdwa v17, v17, v2 dst_sel:DWORD dst_unused:UNUSED_PAD src0_sel:DWORD src1_sel:WORD_1
	v_bfe_u32 v15, v2, 19, 4
	v_sub_u32_e32 v16, 29, v16
	v_and_b32_e32 v17, 7, v17
	v_cmp_eq_u16_e32 vcc, 0, v14
	v_cndmask_b32_e32 v13, v13, v17, vcc
	v_cndmask_b32_e32 v14, v15, v16, vcc
	v_lshlrev_b32_e32 v15, 8, v2
	v_mov_b32_e32 v16, 0x3b800000
	v_lshlrev_b32_e32 v13, 20, v13
	v_and_b32_e32 v15, 0x80000000, v15
	v_lshl_add_u32 v14, v14, 23, v16
	v_or3_b32 v14, v15, v14, v13
.LBB1_4248:
	s_or_b64 exec, exec, s[6:7]
	s_nop 0
	v_mfma_f32_16x16x4f32 a[0:3], v12, v14, a[0:3]
	s_movk_i32 s4, 0x7f
	v_cmp_gt_i16_sdwa s[6:7], v6, s4 src0_sel:BYTE_3 src1_sel:DWORD
	s_mov_b64 s[4:5], 0
                                        ; implicit-def: $sgpr10
	s_and_saveexec_b64 s[8:9], s[6:7]
	s_xor_b64 s[6:7], exec, s[8:9]
	s_cbranch_execz .LBB1_4249
; %bb.40089:
	s_getpc_b64 s[14:15]
.Lpost_getpc5708:
	s_add_u32 s14, s14, (.LBB1_18585-.Lpost_getpc5708)&4294967295
	s_addc_u32 s15, s15, (.LBB1_18585-.Lpost_getpc5708)>>32
	s_setpc_b64 s[14:15]
.LBB1_4249:
	s_or_saveexec_b64 s[6:7], s[6:7]
	v_mov_b32_e32 v12, s10
	s_xor_b64 exec, exec, s[6:7]
	s_cbranch_execz .LBB1_4250
; %bb.40091:
	s_getpc_b64 s[14:15]
.Lpost_getpc5709:
	s_add_u32 s14, s14, (.LBB1_18588-.Lpost_getpc5709)&4294967295
	s_addc_u32 s15, s15, (.LBB1_18588-.Lpost_getpc5709)>>32
	s_setpc_b64 s[14:15]
.LBB1_4250:
	s_or_b64 exec, exec, s[6:7]
	s_and_saveexec_b64 s[6:7], s[4:5]
	s_cbranch_execz .LBB1_4252
.LBB1_4251:
	v_bfe_u32 v12, v6, 24, 3
	v_ffbh_u32_e32 v16, v12
	v_min_u32_e32 v16, 32, v16
	v_lshrrev_b32_e32 v14, 27, v6
	v_subrev_u32_e32 v17, 28, v16
	v_and_b32_e32 v13, 0x80000000, v6
	v_and_b32_e32 v14, 15, v14
	v_bfe_u32 v15, v6, 27, 4
	v_lshlrev_b32_sdwa v6, v17, v6 dst_sel:DWORD dst_unused:UNUSED_PAD src0_sel:DWORD src1_sel:BYTE_3
	v_sub_u32_e32 v16, 29, v16
	v_and_b32_e32 v6, 7, v6
	v_cmp_eq_u16_e32 vcc, 0, v14
	v_cndmask_b32_e32 v6, v12, v6, vcc
	v_cndmask_b32_e32 v12, v15, v16, vcc
	v_mov_b32_e32 v14, 0x3b800000
	v_lshlrev_b32_e32 v6, 20, v6
	v_lshl_add_u32 v12, v12, 23, v14
	v_or3_b32 v12, v13, v12, v6
.LBB1_4252:
	s_or_b64 exec, exec, s[6:7]
	s_movk_i32 s4, 0x7f
	v_cmp_gt_i16_sdwa s[6:7], v2, s4 src0_sel:BYTE_3 src1_sel:DWORD
	s_mov_b64 s[4:5], 0
                                        ; implicit-def: $sgpr10
	s_and_saveexec_b64 s[8:9], s[6:7]
	s_xor_b64 s[6:7], exec, s[8:9]
	s_cbranch_execz .LBB1_4253
; %bb.40093:
	s_getpc_b64 s[14:15]
.Lpost_getpc5710:
	s_add_u32 s14, s14, (.LBB1_18589-.Lpost_getpc5710)&4294967295
	s_addc_u32 s15, s15, (.LBB1_18589-.Lpost_getpc5710)>>32
	s_setpc_b64 s[14:15]
.LBB1_4253:
	s_or_saveexec_b64 s[6:7], s[6:7]
	v_mov_b32_e32 v6, s10
	s_xor_b64 exec, exec, s[6:7]
	s_cbranch_execz .LBB1_4254
; %bb.40095:
	s_getpc_b64 s[14:15]
.Lpost_getpc5711:
	s_add_u32 s14, s14, (.LBB1_18592-.Lpost_getpc5711)&4294967295
	s_addc_u32 s15, s15, (.LBB1_18592-.Lpost_getpc5711)>>32
	s_setpc_b64 s[14:15]
.LBB1_4254:
	s_or_b64 exec, exec, s[6:7]
	s_and_saveexec_b64 s[6:7], s[4:5]
	s_cbranch_execz .LBB1_4256
.LBB1_4255:
	v_bfe_u32 v6, v2, 24, 3
	v_ffbh_u32_e32 v16, v6
	v_min_u32_e32 v16, 32, v16
	v_lshrrev_b32_e32 v14, 27, v2
	v_subrev_u32_e32 v17, 28, v16
	v_and_b32_e32 v13, 0x80000000, v2
	v_and_b32_e32 v14, 15, v14
	v_bfe_u32 v15, v2, 27, 4
	v_lshlrev_b32_sdwa v2, v17, v2 dst_sel:DWORD dst_unused:UNUSED_PAD src0_sel:DWORD src1_sel:BYTE_3
	v_sub_u32_e32 v16, 29, v16
	v_and_b32_e32 v2, 7, v2
	v_cmp_eq_u16_e32 vcc, 0, v14
	v_cndmask_b32_e32 v2, v6, v2, vcc
	v_cndmask_b32_e32 v6, v15, v16, vcc
	v_mov_b32_e32 v14, 0x3b800000
	v_lshlrev_b32_e32 v2, 20, v2
	v_lshl_add_u32 v6, v6, 23, v14
	v_or3_b32 v6, v13, v6, v2
.LBB1_4256:
	s_or_b64 exec, exec, s[6:7]
	s_nop 0
	v_mfma_f32_16x16x4f32 a[0:3], v12, v6, a[0:3]
	s_movk_i32 s4, 0x7f
	v_cmp_gt_i16_sdwa s[6:7], v7, s4 src0_sel:BYTE_0 src1_sel:DWORD
	s_mov_b64 s[4:5], 0
                                        ; implicit-def: $sgpr10
	s_and_saveexec_b64 s[8:9], s[6:7]
	s_xor_b64 s[6:7], exec, s[8:9]
	s_cbranch_execz .LBB1_4257
; %bb.40097:
	s_getpc_b64 s[14:15]
.Lpost_getpc5712:
	s_add_u32 s14, s14, (.LBB1_18593-.Lpost_getpc5712)&4294967295
	s_addc_u32 s15, s15, (.LBB1_18593-.Lpost_getpc5712)>>32
	s_setpc_b64 s[14:15]
.LBB1_4257:
	s_or_saveexec_b64 s[6:7], s[6:7]
	v_mov_b32_e32 v2, s10
	s_xor_b64 exec, exec, s[6:7]
	s_cbranch_execz .LBB1_4258
; %bb.40099:
	s_getpc_b64 s[14:15]
.Lpost_getpc5713:
	s_add_u32 s14, s14, (.LBB1_18596-.Lpost_getpc5713)&4294967295
	s_addc_u32 s15, s15, (.LBB1_18596-.Lpost_getpc5713)>>32
	s_setpc_b64 s[14:15]
.LBB1_4258:
	s_or_b64 exec, exec, s[6:7]
	s_and_saveexec_b64 s[6:7], s[4:5]
	s_cbranch_execz .LBB1_4260
.LBB1_4259:
	v_and_b32_e32 v2, 7, v7
	v_ffbh_u32_e32 v12, v2
	v_min_u32_e32 v12, 32, v12
	v_lshrrev_b16_e32 v6, 3, v7
	v_subrev_u32_e32 v13, 28, v12
	v_and_b32_e32 v6, 15, v6
	v_lshlrev_b32_e32 v13, v13, v7
	v_sub_u32_e32 v12, 29, v12
	v_and_b32_e32 v13, 7, v13
	v_cmp_eq_u16_e32 vcc, 0, v6
	v_cndmask_b32_e32 v2, v2, v13, vcc
	v_cndmask_b32_e32 v6, v6, v12, vcc
	v_lshlrev_b32_e32 v12, 24, v7
	v_mov_b32_e32 v13, 0x3b800000
	v_lshlrev_b32_e32 v2, 20, v2
	v_and_b32_e32 v12, 0x80000000, v12
	v_lshl_add_u32 v6, v6, 23, v13
	v_or3_b32 v2, v12, v6, v2
.LBB1_4260:
	s_or_b64 exec, exec, s[6:7]
	s_movk_i32 s4, 0x7f
	v_cmp_gt_i16_sdwa s[6:7], v3, s4 src0_sel:BYTE_0 src1_sel:DWORD
	s_mov_b64 s[4:5], 0
                                        ; implicit-def: $sgpr10
	s_and_saveexec_b64 s[8:9], s[6:7]
	s_xor_b64 s[6:7], exec, s[8:9]
	s_cbranch_execz .LBB1_4261
; %bb.40101:
	s_getpc_b64 s[14:15]
.Lpost_getpc5714:
	s_add_u32 s14, s14, (.LBB1_18597-.Lpost_getpc5714)&4294967295
	s_addc_u32 s15, s15, (.LBB1_18597-.Lpost_getpc5714)>>32
	s_setpc_b64 s[14:15]
.LBB1_4261:
	s_or_saveexec_b64 s[6:7], s[6:7]
	v_mov_b32_e32 v6, s10
	s_xor_b64 exec, exec, s[6:7]
	s_cbranch_execz .LBB1_4262
; %bb.40103:
	s_getpc_b64 s[14:15]
.Lpost_getpc5715:
	s_add_u32 s14, s14, (.LBB1_18600-.Lpost_getpc5715)&4294967295
	s_addc_u32 s15, s15, (.LBB1_18600-.Lpost_getpc5715)>>32
	s_setpc_b64 s[14:15]
.LBB1_4262:
	s_or_b64 exec, exec, s[6:7]
	s_and_saveexec_b64 s[6:7], s[4:5]
	s_cbranch_execz .LBB1_4264
.LBB1_4263:
	v_and_b32_e32 v6, 7, v3
	v_ffbh_u32_e32 v13, v6
	v_min_u32_e32 v13, 32, v13
	v_lshrrev_b16_e32 v12, 3, v3
	v_subrev_u32_e32 v14, 28, v13
	v_and_b32_e32 v12, 15, v12
	v_lshlrev_b32_e32 v14, v14, v3
	v_sub_u32_e32 v13, 29, v13
	v_and_b32_e32 v14, 7, v14
	v_cmp_eq_u16_e32 vcc, 0, v12
	v_cndmask_b32_e32 v6, v6, v14, vcc
	v_cndmask_b32_e32 v12, v12, v13, vcc
	v_lshlrev_b32_e32 v13, 24, v3
	v_mov_b32_e32 v14, 0x3b800000
	v_lshlrev_b32_e32 v6, 20, v6
	v_and_b32_e32 v13, 0x80000000, v13
	v_lshl_add_u32 v12, v12, 23, v14
	v_or3_b32 v6, v13, v12, v6
.LBB1_4264:
	s_or_b64 exec, exec, s[6:7]
	s_nop 0
	v_mfma_f32_16x16x4f32 a[0:3], v2, v6, a[0:3]
	v_lshrrev_b32_e32 v6, 8, v7
	s_movk_i32 s4, 0x7f
	v_cmp_gt_i16_sdwa s[6:7], v6, s4 src0_sel:BYTE_0 src1_sel:DWORD
	s_mov_b64 s[4:5], 0
                                        ; implicit-def: $sgpr10
	s_and_saveexec_b64 s[8:9], s[6:7]
	s_xor_b64 s[6:7], exec, s[8:9]
	s_cbranch_execz .LBB1_4265
; %bb.40105:
	s_getpc_b64 s[14:15]
.Lpost_getpc5716:
	s_add_u32 s14, s14, (.LBB1_18601-.Lpost_getpc5716)&4294967295
	s_addc_u32 s15, s15, (.LBB1_18601-.Lpost_getpc5716)>>32
	s_setpc_b64 s[14:15]
.LBB1_4265:
	s_or_saveexec_b64 s[6:7], s[6:7]
	v_mov_b32_e32 v2, s10
	s_xor_b64 exec, exec, s[6:7]
	s_cbranch_execz .LBB1_4266
; %bb.40107:
	s_getpc_b64 s[14:15]
.Lpost_getpc5717:
	s_add_u32 s14, s14, (.LBB1_18604-.Lpost_getpc5717)&4294967295
	s_addc_u32 s15, s15, (.LBB1_18604-.Lpost_getpc5717)>>32
	s_setpc_b64 s[14:15]
.LBB1_4266:
	s_or_b64 exec, exec, s[6:7]
	s_and_saveexec_b64 s[6:7], s[4:5]
	s_cbranch_execz .LBB1_4268
.LBB1_4267:
	v_bfe_u32 v2, v7, 8, 3
	v_ffbh_u32_e32 v13, v2
	v_min_u32_e32 v13, 32, v13
	v_lshrrev_b16_e32 v12, 3, v6
	v_subrev_u32_e32 v14, 28, v13
	v_and_b32_e32 v12, 15, v12
	v_lshlrev_b32_e32 v6, v14, v6
	v_sub_u32_e32 v13, 29, v13
	v_and_b32_e32 v6, 7, v6
	v_cmp_eq_u16_e32 vcc, 0, v12
	v_cndmask_b32_e32 v2, v2, v6, vcc
	v_cndmask_b32_e32 v6, v12, v13, vcc
	v_lshlrev_b32_e32 v12, 16, v7
	v_mov_b32_e32 v13, 0x3b800000
	v_lshlrev_b32_e32 v2, 20, v2
	v_and_b32_e32 v12, 0x80000000, v12
	v_lshl_add_u32 v6, v6, 23, v13
	v_or3_b32 v2, v12, v6, v2
.LBB1_4268:
	s_or_b64 exec, exec, s[6:7]
	v_lshrrev_b32_e32 v6, 8, v3
	s_movk_i32 s4, 0x7f
	v_cmp_gt_i16_sdwa s[6:7], v6, s4 src0_sel:BYTE_0 src1_sel:DWORD
	s_mov_b64 s[4:5], 0
                                        ; implicit-def: $sgpr10
	s_and_saveexec_b64 s[8:9], s[6:7]
	s_xor_b64 s[6:7], exec, s[8:9]
	s_cbranch_execz .LBB1_4269
; %bb.40109:
	s_getpc_b64 s[14:15]
.Lpost_getpc5718:
	s_add_u32 s14, s14, (.LBB1_18605-.Lpost_getpc5718)&4294967295
	s_addc_u32 s15, s15, (.LBB1_18605-.Lpost_getpc5718)>>32
	s_setpc_b64 s[14:15]
.LBB1_4269:
	s_or_saveexec_b64 s[6:7], s[6:7]
	v_mov_b32_e32 v12, s10
	s_xor_b64 exec, exec, s[6:7]
	s_cbranch_execz .LBB1_4270
; %bb.40111:
	s_getpc_b64 s[14:15]
.Lpost_getpc5719:
	s_add_u32 s14, s14, (.LBB1_18608-.Lpost_getpc5719)&4294967295
	s_addc_u32 s15, s15, (.LBB1_18608-.Lpost_getpc5719)>>32
	s_setpc_b64 s[14:15]
.LBB1_4270:
	s_or_b64 exec, exec, s[6:7]
	s_and_saveexec_b64 s[6:7], s[4:5]
	s_cbranch_execz .LBB1_4272
.LBB1_4271:
	v_bfe_u32 v12, v3, 8, 3
	v_ffbh_u32_e32 v14, v12
	v_min_u32_e32 v14, 32, v14
	v_lshrrev_b16_e32 v13, 3, v6
	v_subrev_u32_e32 v15, 28, v14
	v_and_b32_e32 v13, 15, v13
	v_lshlrev_b32_e32 v6, v15, v6
	v_sub_u32_e32 v14, 29, v14
	v_and_b32_e32 v6, 7, v6
	v_cmp_eq_u16_e32 vcc, 0, v13
	v_cndmask_b32_e32 v6, v12, v6, vcc
	v_cndmask_b32_e32 v12, v13, v14, vcc
	v_lshlrev_b32_e32 v13, 16, v3
	v_mov_b32_e32 v14, 0x3b800000
	v_lshlrev_b32_e32 v6, 20, v6
	v_and_b32_e32 v13, 0x80000000, v13
	v_lshl_add_u32 v12, v12, 23, v14
	v_or3_b32 v12, v13, v12, v6
.LBB1_4272:
	s_or_b64 exec, exec, s[6:7]
	s_nop 0
	v_mfma_f32_16x16x4f32 a[0:3], v2, v12, a[0:3]
	s_movk_i32 s4, 0xff
	v_and_b32_sdwa v6, v7, s4 dst_sel:DWORD dst_unused:UNUSED_PAD src0_sel:WORD_1 src1_sel:DWORD
	s_movk_i32 s4, 0x7f
	v_cmp_lt_i16_e32 vcc, s4, v6
	s_mov_b64 s[4:5], 0
                                        ; implicit-def: $sgpr10
	s_and_saveexec_b64 s[6:7], vcc
	s_xor_b64 s[6:7], exec, s[6:7]
	s_cbranch_execz .LBB1_4273
; %bb.40113:
	s_getpc_b64 s[14:15]
.Lpost_getpc5720:
	s_add_u32 s14, s14, (.LBB1_18609-.Lpost_getpc5720)&4294967295
	s_addc_u32 s15, s15, (.LBB1_18609-.Lpost_getpc5720)>>32
	s_setpc_b64 s[14:15]
.LBB1_4273:
	s_or_saveexec_b64 s[6:7], s[6:7]
	v_mov_b32_e32 v2, s10
	s_xor_b64 exec, exec, s[6:7]
	s_cbranch_execz .LBB1_4274
; %bb.40115:
	s_getpc_b64 s[14:15]
.Lpost_getpc5721:
	s_add_u32 s14, s14, (.LBB1_18612-.Lpost_getpc5721)&4294967295
	s_addc_u32 s15, s15, (.LBB1_18612-.Lpost_getpc5721)>>32
	s_setpc_b64 s[14:15]
.LBB1_4274:
	s_or_b64 exec, exec, s[6:7]
	s_and_saveexec_b64 s[6:7], s[4:5]
	s_cbranch_execz .LBB1_4276
.LBB1_4275:
	v_bfe_u32 v2, v7, 16, 3
	v_ffbh_u32_e32 v13, v2
	v_min_u32_e32 v13, 32, v13
	v_lshrrev_b32_e32 v6, 19, v7
	v_subrev_u32_e32 v14, 28, v13
	v_and_b32_e32 v6, 15, v6
	v_lshlrev_b32_sdwa v14, v14, v7 dst_sel:DWORD dst_unused:UNUSED_PAD src0_sel:DWORD src1_sel:WORD_1
	v_bfe_u32 v12, v7, 19, 4
	v_sub_u32_e32 v13, 29, v13
	v_and_b32_e32 v14, 7, v14
	v_cmp_eq_u16_e32 vcc, 0, v6
	v_cndmask_b32_e32 v2, v2, v14, vcc
	v_cndmask_b32_e32 v6, v12, v13, vcc
	v_lshlrev_b32_e32 v12, 8, v7
	v_mov_b32_e32 v13, 0x3b800000
	v_lshlrev_b32_e32 v2, 20, v2
	v_and_b32_e32 v12, 0x80000000, v12
	v_lshl_add_u32 v6, v6, 23, v13
	v_or3_b32 v2, v12, v6, v2
.LBB1_4276:
	s_or_b64 exec, exec, s[6:7]
	s_movk_i32 s4, 0xff
	v_and_b32_sdwa v6, v3, s4 dst_sel:DWORD dst_unused:UNUSED_PAD src0_sel:WORD_1 src1_sel:DWORD
	s_movk_i32 s4, 0x7f
	v_cmp_lt_i16_e32 vcc, s4, v6
	s_mov_b64 s[4:5], 0
                                        ; implicit-def: $sgpr10
	s_and_saveexec_b64 s[6:7], vcc
	s_xor_b64 s[6:7], exec, s[6:7]
	s_cbranch_execz .LBB1_4277
; %bb.40117:
	s_getpc_b64 s[14:15]
.Lpost_getpc5722:
	s_add_u32 s14, s14, (.LBB1_18613-.Lpost_getpc5722)&4294967295
	s_addc_u32 s15, s15, (.LBB1_18613-.Lpost_getpc5722)>>32
	s_setpc_b64 s[14:15]
.LBB1_4277:
	s_or_saveexec_b64 s[6:7], s[6:7]
	v_mov_b32_e32 v12, s10
	s_xor_b64 exec, exec, s[6:7]
	s_cbranch_execz .LBB1_4278
; %bb.40119:
	s_getpc_b64 s[14:15]
.Lpost_getpc5723:
	s_add_u32 s14, s14, (.LBB1_18616-.Lpost_getpc5723)&4294967295
	s_addc_u32 s15, s15, (.LBB1_18616-.Lpost_getpc5723)>>32
	s_setpc_b64 s[14:15]
.LBB1_4278:
	s_or_b64 exec, exec, s[6:7]
	s_and_saveexec_b64 s[6:7], s[4:5]
	s_cbranch_execz .LBB1_4280
.LBB1_4279:
	v_bfe_u32 v6, v3, 16, 3
	v_ffbh_u32_e32 v14, v6
	v_min_u32_e32 v14, 32, v14
	v_lshrrev_b32_e32 v12, 19, v3
	v_subrev_u32_e32 v15, 28, v14
	v_and_b32_e32 v12, 15, v12
	v_lshlrev_b32_sdwa v15, v15, v3 dst_sel:DWORD dst_unused:UNUSED_PAD src0_sel:DWORD src1_sel:WORD_1
	v_bfe_u32 v13, v3, 19, 4
	v_sub_u32_e32 v14, 29, v14
	v_and_b32_e32 v15, 7, v15
	v_cmp_eq_u16_e32 vcc, 0, v12
	v_cndmask_b32_e32 v6, v6, v15, vcc
	v_cndmask_b32_e32 v12, v13, v14, vcc
	v_lshlrev_b32_e32 v13, 8, v3
	v_mov_b32_e32 v14, 0x3b800000
	v_lshlrev_b32_e32 v6, 20, v6
	v_and_b32_e32 v13, 0x80000000, v13
	v_lshl_add_u32 v12, v12, 23, v14
	v_or3_b32 v12, v13, v12, v6
.LBB1_4280:
	s_or_b64 exec, exec, s[6:7]
	s_nop 0
	v_mfma_f32_16x16x4f32 a[0:3], v2, v12, a[0:3]
	s_movk_i32 s4, 0x7f
	v_cmp_gt_i16_sdwa s[6:7], v7, s4 src0_sel:BYTE_3 src1_sel:DWORD
	s_mov_b64 s[4:5], 0
                                        ; implicit-def: $sgpr10
	s_and_saveexec_b64 s[8:9], s[6:7]
	s_xor_b64 s[6:7], exec, s[8:9]
	s_cbranch_execz .LBB1_4281
; %bb.40121:
	s_getpc_b64 s[14:15]
.Lpost_getpc5724:
	s_add_u32 s14, s14, (.LBB1_18617-.Lpost_getpc5724)&4294967295
	s_addc_u32 s15, s15, (.LBB1_18617-.Lpost_getpc5724)>>32
	s_setpc_b64 s[14:15]
.LBB1_4281:
	s_or_saveexec_b64 s[6:7], s[6:7]
	v_mov_b32_e32 v2, s10
	s_xor_b64 exec, exec, s[6:7]
	s_cbranch_execz .LBB1_4282
; %bb.40123:
	s_getpc_b64 s[14:15]
.Lpost_getpc5725:
	s_add_u32 s14, s14, (.LBB1_18620-.Lpost_getpc5725)&4294967295
	s_addc_u32 s15, s15, (.LBB1_18620-.Lpost_getpc5725)>>32
	s_setpc_b64 s[14:15]
.LBB1_4282:
	s_or_b64 exec, exec, s[6:7]
	s_and_saveexec_b64 s[6:7], s[4:5]
	s_cbranch_execz .LBB1_4284
.LBB1_4283:
	v_bfe_u32 v2, v7, 24, 3
	v_ffbh_u32_e32 v14, v2
	v_min_u32_e32 v14, 32, v14
	v_lshrrev_b32_e32 v12, 27, v7
	v_subrev_u32_e32 v15, 28, v14
	v_and_b32_e32 v6, 0x80000000, v7
	v_and_b32_e32 v12, 15, v12
	v_bfe_u32 v13, v7, 27, 4
	v_lshlrev_b32_sdwa v7, v15, v7 dst_sel:DWORD dst_unused:UNUSED_PAD src0_sel:DWORD src1_sel:BYTE_3
	v_sub_u32_e32 v14, 29, v14
	v_and_b32_e32 v7, 7, v7
	v_cmp_eq_u16_e32 vcc, 0, v12
	v_cndmask_b32_e32 v2, v2, v7, vcc
	v_cndmask_b32_e32 v7, v13, v14, vcc
	v_mov_b32_e32 v12, 0x3b800000
	v_lshlrev_b32_e32 v2, 20, v2
	v_lshl_add_u32 v7, v7, 23, v12
	v_or3_b32 v2, v6, v7, v2
.LBB1_4284:
	s_or_b64 exec, exec, s[6:7]
	s_movk_i32 s4, 0x7f
	v_cmp_gt_i16_sdwa s[6:7], v3, s4 src0_sel:BYTE_3 src1_sel:DWORD
	s_mov_b64 s[4:5], 0
                                        ; implicit-def: $sgpr10
	s_and_saveexec_b64 s[8:9], s[6:7]
	s_xor_b64 s[6:7], exec, s[8:9]
	s_cbranch_execz .LBB1_4285
; %bb.40125:
	s_getpc_b64 s[14:15]
.Lpost_getpc5726:
	s_add_u32 s14, s14, (.LBB1_18621-.Lpost_getpc5726)&4294967295
	s_addc_u32 s15, s15, (.LBB1_18621-.Lpost_getpc5726)>>32
	s_setpc_b64 s[14:15]
.LBB1_4285:
	s_or_saveexec_b64 s[6:7], s[6:7]
	v_mov_b32_e32 v6, s10
	s_xor_b64 exec, exec, s[6:7]
	s_cbranch_execz .LBB1_4286
; %bb.40127:
	s_getpc_b64 s[14:15]
.Lpost_getpc5727:
	s_add_u32 s14, s14, (.LBB1_18624-.Lpost_getpc5727)&4294967295
	s_addc_u32 s15, s15, (.LBB1_18624-.Lpost_getpc5727)>>32
	s_setpc_b64 s[14:15]
.LBB1_4286:
	s_or_b64 exec, exec, s[6:7]
	s_and_saveexec_b64 s[6:7], s[4:5]
	s_cbranch_execz .LBB1_4288
.LBB1_4287:
	v_bfe_u32 v6, v3, 24, 3
	v_ffbh_u32_e32 v14, v6
	v_min_u32_e32 v14, 32, v14
	v_lshrrev_b32_e32 v12, 27, v3
	v_subrev_u32_e32 v15, 28, v14
	v_and_b32_e32 v7, 0x80000000, v3
	v_and_b32_e32 v12, 15, v12
	v_bfe_u32 v13, v3, 27, 4
	v_lshlrev_b32_sdwa v3, v15, v3 dst_sel:DWORD dst_unused:UNUSED_PAD src0_sel:DWORD src1_sel:BYTE_3
	v_sub_u32_e32 v14, 29, v14
	v_and_b32_e32 v3, 7, v3
	v_cmp_eq_u16_e32 vcc, 0, v12
	v_cndmask_b32_e32 v3, v6, v3, vcc
	v_cndmask_b32_e32 v6, v13, v14, vcc
	v_mov_b32_e32 v12, 0x3b800000
	v_lshlrev_b32_e32 v3, 20, v3
	v_lshl_add_u32 v6, v6, 23, v12
	v_or3_b32 v6, v7, v6, v3
.LBB1_4288:
	s_or_b64 exec, exec, s[6:7]
	s_nop 0
	v_mfma_f32_16x16x4f32 a[0:3], v2, v6, a[0:3]
	s_movk_i32 s4, 0x7f
	v_cmp_gt_i16_sdwa s[6:7], v8, s4 src0_sel:BYTE_0 src1_sel:DWORD
	s_mov_b64 s[4:5], 0
                                        ; implicit-def: $sgpr10
	s_and_saveexec_b64 s[8:9], s[6:7]
	s_xor_b64 s[6:7], exec, s[8:9]
	s_cbranch_execz .LBB1_4289
; %bb.40129:
	s_getpc_b64 s[14:15]
.Lpost_getpc5728:
	s_add_u32 s14, s14, (.LBB1_18625-.Lpost_getpc5728)&4294967295
	s_addc_u32 s15, s15, (.LBB1_18625-.Lpost_getpc5728)>>32
	s_setpc_b64 s[14:15]
.LBB1_4289:
	s_or_saveexec_b64 s[6:7], s[6:7]
	v_mov_b32_e32 v2, s10
	s_xor_b64 exec, exec, s[6:7]
	s_cbranch_execz .LBB1_4290
; %bb.40131:
	s_getpc_b64 s[14:15]
.Lpost_getpc5729:
	s_add_u32 s14, s14, (.LBB1_18628-.Lpost_getpc5729)&4294967295
	s_addc_u32 s15, s15, (.LBB1_18628-.Lpost_getpc5729)>>32
	s_setpc_b64 s[14:15]
.LBB1_4290:
	s_or_b64 exec, exec, s[6:7]
	s_and_saveexec_b64 s[6:7], s[4:5]
	s_cbranch_execz .LBB1_4292
.LBB1_4291:
	v_and_b32_e32 v2, 7, v8
	v_ffbh_u32_e32 v6, v2
	v_min_u32_e32 v6, 32, v6
	v_lshrrev_b16_e32 v3, 3, v8
	v_subrev_u32_e32 v7, 28, v6
	v_and_b32_e32 v3, 15, v3
	v_lshlrev_b32_e32 v7, v7, v8
	v_sub_u32_e32 v6, 29, v6
	v_and_b32_e32 v7, 7, v7
	v_cmp_eq_u16_e32 vcc, 0, v3
	v_cndmask_b32_e32 v2, v2, v7, vcc
	v_cndmask_b32_e32 v3, v3, v6, vcc
	v_lshlrev_b32_e32 v6, 24, v8
	v_mov_b32_e32 v7, 0x3b800000
	v_lshlrev_b32_e32 v2, 20, v2
	v_and_b32_e32 v6, 0x80000000, v6
	v_lshl_add_u32 v3, v3, 23, v7
	v_or3_b32 v2, v6, v3, v2
.LBB1_4292:
	s_or_b64 exec, exec, s[6:7]
	s_movk_i32 s4, 0x7f
	v_cmp_gt_i16_sdwa s[6:7], v4, s4 src0_sel:BYTE_0 src1_sel:DWORD
	s_mov_b64 s[4:5], 0
                                        ; implicit-def: $sgpr10
	s_and_saveexec_b64 s[8:9], s[6:7]
	s_xor_b64 s[6:7], exec, s[8:9]
	s_cbranch_execz .LBB1_4293
; %bb.40133:
	s_getpc_b64 s[14:15]
.Lpost_getpc5730:
	s_add_u32 s14, s14, (.LBB1_18629-.Lpost_getpc5730)&4294967295
	s_addc_u32 s15, s15, (.LBB1_18629-.Lpost_getpc5730)>>32
	s_setpc_b64 s[14:15]
.LBB1_4293:
	s_or_saveexec_b64 s[6:7], s[6:7]
	v_mov_b32_e32 v3, s10
	s_xor_b64 exec, exec, s[6:7]
	s_cbranch_execz .LBB1_4294
; %bb.40135:
	s_getpc_b64 s[14:15]
.Lpost_getpc5731:
	s_add_u32 s14, s14, (.LBB1_18632-.Lpost_getpc5731)&4294967295
	s_addc_u32 s15, s15, (.LBB1_18632-.Lpost_getpc5731)>>32
	s_setpc_b64 s[14:15]
.LBB1_4294:
	s_or_b64 exec, exec, s[6:7]
	s_and_saveexec_b64 s[6:7], s[4:5]
	s_cbranch_execz .LBB1_4296
.LBB1_4295:
	v_and_b32_e32 v3, 7, v4
	v_ffbh_u32_e32 v7, v3
	v_min_u32_e32 v7, 32, v7
	v_lshrrev_b16_e32 v6, 3, v4
	v_subrev_u32_e32 v12, 28, v7
	v_and_b32_e32 v6, 15, v6
	v_lshlrev_b32_e32 v12, v12, v4
	v_sub_u32_e32 v7, 29, v7
	v_and_b32_e32 v12, 7, v12
	v_cmp_eq_u16_e32 vcc, 0, v6
	v_cndmask_b32_e32 v3, v3, v12, vcc
	v_cndmask_b32_e32 v6, v6, v7, vcc
	v_lshlrev_b32_e32 v7, 24, v4
	v_mov_b32_e32 v12, 0x3b800000
	v_lshlrev_b32_e32 v3, 20, v3
	v_and_b32_e32 v7, 0x80000000, v7
	v_lshl_add_u32 v6, v6, 23, v12
	v_or3_b32 v3, v7, v6, v3
.LBB1_4296:
	s_or_b64 exec, exec, s[6:7]
	s_nop 0
	v_mfma_f32_16x16x4f32 a[0:3], v2, v3, a[0:3]
	v_lshrrev_b32_e32 v3, 8, v8
	s_movk_i32 s4, 0x7f
	v_cmp_gt_i16_sdwa s[6:7], v3, s4 src0_sel:BYTE_0 src1_sel:DWORD
	s_mov_b64 s[4:5], 0
                                        ; implicit-def: $sgpr10
	s_and_saveexec_b64 s[8:9], s[6:7]
	s_xor_b64 s[6:7], exec, s[8:9]
	s_cbranch_execz .LBB1_4297
; %bb.40137:
	s_getpc_b64 s[14:15]
.Lpost_getpc5732:
	s_add_u32 s14, s14, (.LBB1_18633-.Lpost_getpc5732)&4294967295
	s_addc_u32 s15, s15, (.LBB1_18633-.Lpost_getpc5732)>>32
	s_setpc_b64 s[14:15]
.LBB1_4297:
	s_or_saveexec_b64 s[6:7], s[6:7]
	v_mov_b32_e32 v2, s10
	s_xor_b64 exec, exec, s[6:7]
	s_cbranch_execz .LBB1_4298
; %bb.40139:
	s_getpc_b64 s[14:15]
.Lpost_getpc5733:
	s_add_u32 s14, s14, (.LBB1_18636-.Lpost_getpc5733)&4294967295
	s_addc_u32 s15, s15, (.LBB1_18636-.Lpost_getpc5733)>>32
	s_setpc_b64 s[14:15]
.LBB1_4298:
	s_or_b64 exec, exec, s[6:7]
	s_and_saveexec_b64 s[6:7], s[4:5]
	s_cbranch_execz .LBB1_4300
.LBB1_4299:
	v_bfe_u32 v2, v8, 8, 3
	v_ffbh_u32_e32 v7, v2
	v_min_u32_e32 v7, 32, v7
	v_lshrrev_b16_e32 v6, 3, v3
	v_subrev_u32_e32 v12, 28, v7
	v_and_b32_e32 v6, 15, v6
	v_lshlrev_b32_e32 v3, v12, v3
	v_sub_u32_e32 v7, 29, v7
	v_and_b32_e32 v3, 7, v3
	v_cmp_eq_u16_e32 vcc, 0, v6
	v_cndmask_b32_e32 v2, v2, v3, vcc
	v_cndmask_b32_e32 v3, v6, v7, vcc
	v_lshlrev_b32_e32 v6, 16, v8
	v_mov_b32_e32 v7, 0x3b800000
	v_lshlrev_b32_e32 v2, 20, v2
	v_and_b32_e32 v6, 0x80000000, v6
	v_lshl_add_u32 v3, v3, 23, v7
	v_or3_b32 v2, v6, v3, v2
.LBB1_4300:
	s_or_b64 exec, exec, s[6:7]
	v_lshrrev_b32_e32 v3, 8, v4
	s_movk_i32 s4, 0x7f
	v_cmp_gt_i16_sdwa s[6:7], v3, s4 src0_sel:BYTE_0 src1_sel:DWORD
	s_mov_b64 s[4:5], 0
                                        ; implicit-def: $sgpr10
	s_and_saveexec_b64 s[8:9], s[6:7]
	s_xor_b64 s[6:7], exec, s[8:9]
	s_cbranch_execz .LBB1_4301
; %bb.40141:
	s_getpc_b64 s[14:15]
.Lpost_getpc5734:
	s_add_u32 s14, s14, (.LBB1_18637-.Lpost_getpc5734)&4294967295
	s_addc_u32 s15, s15, (.LBB1_18637-.Lpost_getpc5734)>>32
	s_setpc_b64 s[14:15]
.LBB1_4301:
	s_or_saveexec_b64 s[6:7], s[6:7]
	v_mov_b32_e32 v6, s10
	s_xor_b64 exec, exec, s[6:7]
	s_cbranch_execz .LBB1_4302
; %bb.40143:
	s_getpc_b64 s[14:15]
.Lpost_getpc5735:
	s_add_u32 s14, s14, (.LBB1_18640-.Lpost_getpc5735)&4294967295
	s_addc_u32 s15, s15, (.LBB1_18640-.Lpost_getpc5735)>>32
	s_setpc_b64 s[14:15]
.LBB1_4302:
	s_or_b64 exec, exec, s[6:7]
	s_and_saveexec_b64 s[6:7], s[4:5]
	s_cbranch_execz .LBB1_4304
.LBB1_4303:
	v_bfe_u32 v6, v4, 8, 3
	v_ffbh_u32_e32 v12, v6
	v_min_u32_e32 v12, 32, v12
	v_lshrrev_b16_e32 v7, 3, v3
	v_subrev_u32_e32 v13, 28, v12
	v_and_b32_e32 v7, 15, v7
	v_lshlrev_b32_e32 v3, v13, v3
	v_sub_u32_e32 v12, 29, v12
	v_and_b32_e32 v3, 7, v3
	v_cmp_eq_u16_e32 vcc, 0, v7
	v_cndmask_b32_e32 v3, v6, v3, vcc
	v_cndmask_b32_e32 v6, v7, v12, vcc
	v_lshlrev_b32_e32 v7, 16, v4
	v_mov_b32_e32 v12, 0x3b800000
	v_lshlrev_b32_e32 v3, 20, v3
	v_and_b32_e32 v7, 0x80000000, v7
	v_lshl_add_u32 v6, v6, 23, v12
	v_or3_b32 v6, v7, v6, v3
.LBB1_4304:
	s_or_b64 exec, exec, s[6:7]
	s_nop 0
	v_mfma_f32_16x16x4f32 a[0:3], v2, v6, a[0:3]
	s_movk_i32 s4, 0xff
	v_and_b32_sdwa v3, v8, s4 dst_sel:DWORD dst_unused:UNUSED_PAD src0_sel:WORD_1 src1_sel:DWORD
	s_movk_i32 s4, 0x7f
	v_cmp_lt_i16_e32 vcc, s4, v3
	s_mov_b64 s[4:5], 0
                                        ; implicit-def: $sgpr10
	s_and_saveexec_b64 s[6:7], vcc
	s_xor_b64 s[6:7], exec, s[6:7]
	s_cbranch_execz .LBB1_4305
; %bb.40145:
	s_getpc_b64 s[14:15]
.Lpost_getpc5736:
	s_add_u32 s14, s14, (.LBB1_18641-.Lpost_getpc5736)&4294967295
	s_addc_u32 s15, s15, (.LBB1_18641-.Lpost_getpc5736)>>32
	s_setpc_b64 s[14:15]
.LBB1_4305:
	s_or_saveexec_b64 s[6:7], s[6:7]
	v_mov_b32_e32 v2, s10
	s_xor_b64 exec, exec, s[6:7]
	s_cbranch_execz .LBB1_4306
; %bb.40147:
	s_getpc_b64 s[14:15]
.Lpost_getpc5737:
	s_add_u32 s14, s14, (.LBB1_18644-.Lpost_getpc5737)&4294967295
	s_addc_u32 s15, s15, (.LBB1_18644-.Lpost_getpc5737)>>32
	s_setpc_b64 s[14:15]
.LBB1_4306:
	s_or_b64 exec, exec, s[6:7]
	s_and_saveexec_b64 s[6:7], s[4:5]
	s_cbranch_execz .LBB1_4308
.LBB1_4307:
	v_bfe_u32 v2, v8, 16, 3
	v_ffbh_u32_e32 v7, v2
	v_min_u32_e32 v7, 32, v7
	v_lshrrev_b32_e32 v3, 19, v8
	v_subrev_u32_e32 v12, 28, v7
	v_and_b32_e32 v3, 15, v3
	v_lshlrev_b32_sdwa v12, v12, v8 dst_sel:DWORD dst_unused:UNUSED_PAD src0_sel:DWORD src1_sel:WORD_1
	v_bfe_u32 v6, v8, 19, 4
	v_sub_u32_e32 v7, 29, v7
	v_and_b32_e32 v12, 7, v12
	v_cmp_eq_u16_e32 vcc, 0, v3
	v_cndmask_b32_e32 v2, v2, v12, vcc
	v_cndmask_b32_e32 v3, v6, v7, vcc
	v_lshlrev_b32_e32 v6, 8, v8
	v_mov_b32_e32 v7, 0x3b800000
	v_lshlrev_b32_e32 v2, 20, v2
	v_and_b32_e32 v6, 0x80000000, v6
	v_lshl_add_u32 v3, v3, 23, v7
	v_or3_b32 v2, v6, v3, v2
.LBB1_4308:
	s_or_b64 exec, exec, s[6:7]
	s_movk_i32 s4, 0xff
	v_and_b32_sdwa v3, v4, s4 dst_sel:DWORD dst_unused:UNUSED_PAD src0_sel:WORD_1 src1_sel:DWORD
	s_movk_i32 s4, 0x7f
	v_cmp_lt_i16_e32 vcc, s4, v3
	s_mov_b64 s[4:5], 0
                                        ; implicit-def: $sgpr10
	s_and_saveexec_b64 s[6:7], vcc
	s_xor_b64 s[6:7], exec, s[6:7]
	s_cbranch_execz .LBB1_4309
; %bb.40149:
	s_getpc_b64 s[14:15]
.Lpost_getpc5738:
	s_add_u32 s14, s14, (.LBB1_18645-.Lpost_getpc5738)&4294967295
	s_addc_u32 s15, s15, (.LBB1_18645-.Lpost_getpc5738)>>32
	s_setpc_b64 s[14:15]
.LBB1_4309:
	s_or_saveexec_b64 s[6:7], s[6:7]
	v_mov_b32_e32 v6, s10
	s_xor_b64 exec, exec, s[6:7]
	s_cbranch_execz .LBB1_4310
; %bb.40151:
	s_getpc_b64 s[14:15]
.Lpost_getpc5739:
	s_add_u32 s14, s14, (.LBB1_18648-.Lpost_getpc5739)&4294967295
	s_addc_u32 s15, s15, (.LBB1_18648-.Lpost_getpc5739)>>32
	s_setpc_b64 s[14:15]
.LBB1_4310:
	s_or_b64 exec, exec, s[6:7]
	s_and_saveexec_b64 s[6:7], s[4:5]
	s_cbranch_execz .LBB1_4312
.LBB1_4311:
	v_bfe_u32 v3, v4, 16, 3
	v_ffbh_u32_e32 v12, v3
	v_min_u32_e32 v12, 32, v12
	v_lshrrev_b32_e32 v6, 19, v4
	v_subrev_u32_e32 v13, 28, v12
	v_and_b32_e32 v6, 15, v6
	v_lshlrev_b32_sdwa v13, v13, v4 dst_sel:DWORD dst_unused:UNUSED_PAD src0_sel:DWORD src1_sel:WORD_1
	v_bfe_u32 v7, v4, 19, 4
	v_sub_u32_e32 v12, 29, v12
	v_and_b32_e32 v13, 7, v13
	v_cmp_eq_u16_e32 vcc, 0, v6
	v_cndmask_b32_e32 v3, v3, v13, vcc
	v_cndmask_b32_e32 v6, v7, v12, vcc
	v_lshlrev_b32_e32 v7, 8, v4
	v_mov_b32_e32 v12, 0x3b800000
	v_lshlrev_b32_e32 v3, 20, v3
	v_and_b32_e32 v7, 0x80000000, v7
	v_lshl_add_u32 v6, v6, 23, v12
	v_or3_b32 v6, v7, v6, v3
.LBB1_4312:
	s_or_b64 exec, exec, s[6:7]
	s_nop 0
	v_mfma_f32_16x16x4f32 a[0:3], v2, v6, a[0:3]
	s_movk_i32 s4, 0x7f
	v_cmp_gt_i16_sdwa s[6:7], v8, s4 src0_sel:BYTE_3 src1_sel:DWORD
	s_mov_b64 s[4:5], 0
                                        ; implicit-def: $sgpr10
	s_and_saveexec_b64 s[8:9], s[6:7]
	s_xor_b64 s[6:7], exec, s[8:9]
	s_cbranch_execz .LBB1_4313
; %bb.40153:
	s_getpc_b64 s[14:15]
.Lpost_getpc5740:
	s_add_u32 s14, s14, (.LBB1_18649-.Lpost_getpc5740)&4294967295
	s_addc_u32 s15, s15, (.LBB1_18649-.Lpost_getpc5740)>>32
	s_setpc_b64 s[14:15]
.LBB1_4313:
	s_or_saveexec_b64 s[6:7], s[6:7]
	v_mov_b32_e32 v2, s10
	s_xor_b64 exec, exec, s[6:7]
	s_cbranch_execz .LBB1_4314
; %bb.40155:
	s_getpc_b64 s[14:15]
.Lpost_getpc5741:
	s_add_u32 s14, s14, (.LBB1_18652-.Lpost_getpc5741)&4294967295
	s_addc_u32 s15, s15, (.LBB1_18652-.Lpost_getpc5741)>>32
	s_setpc_b64 s[14:15]
.LBB1_4314:
	s_or_b64 exec, exec, s[6:7]
	s_and_saveexec_b64 s[6:7], s[4:5]
	s_cbranch_execz .LBB1_4316
.LBB1_4315:
	v_bfe_u32 v2, v8, 24, 3
	v_ffbh_u32_e32 v12, v2
	v_min_u32_e32 v12, 32, v12
	v_lshrrev_b32_e32 v6, 27, v8
	v_subrev_u32_e32 v13, 28, v12
	v_and_b32_e32 v3, 0x80000000, v8
	v_and_b32_e32 v6, 15, v6
	v_bfe_u32 v7, v8, 27, 4
	v_lshlrev_b32_sdwa v8, v13, v8 dst_sel:DWORD dst_unused:UNUSED_PAD src0_sel:DWORD src1_sel:BYTE_3
	v_sub_u32_e32 v12, 29, v12
	v_and_b32_e32 v8, 7, v8
	v_cmp_eq_u16_e32 vcc, 0, v6
	v_cndmask_b32_e32 v2, v2, v8, vcc
	v_cndmask_b32_e32 v6, v7, v12, vcc
	v_mov_b32_e32 v7, 0x3b800000
	v_lshlrev_b32_e32 v2, 20, v2
	v_lshl_add_u32 v6, v6, 23, v7
	v_or3_b32 v2, v3, v6, v2
.LBB1_4316:
	s_or_b64 exec, exec, s[6:7]
	s_movk_i32 s4, 0x7f
	v_cmp_gt_i16_sdwa s[6:7], v4, s4 src0_sel:BYTE_3 src1_sel:DWORD
	s_mov_b64 s[4:5], 0
                                        ; implicit-def: $sgpr10
	s_and_saveexec_b64 s[8:9], s[6:7]
	s_xor_b64 s[6:7], exec, s[8:9]
	s_cbranch_execz .LBB1_4317
; %bb.40157:
	s_getpc_b64 s[14:15]
.Lpost_getpc5742:
	s_add_u32 s14, s14, (.LBB1_18653-.Lpost_getpc5742)&4294967295
	s_addc_u32 s15, s15, (.LBB1_18653-.Lpost_getpc5742)>>32
	s_setpc_b64 s[14:15]
.LBB1_4317:
	s_or_saveexec_b64 s[6:7], s[6:7]
	v_mov_b32_e32 v3, s10
	s_xor_b64 exec, exec, s[6:7]
	s_cbranch_execz .LBB1_4318
; %bb.40159:
	s_getpc_b64 s[14:15]
.Lpost_getpc5743:
	s_add_u32 s14, s14, (.LBB1_18656-.Lpost_getpc5743)&4294967295
	s_addc_u32 s15, s15, (.LBB1_18656-.Lpost_getpc5743)>>32
	s_setpc_b64 s[14:15]
.LBB1_4318:
	s_or_b64 exec, exec, s[6:7]
	s_and_saveexec_b64 s[6:7], s[4:5]
	s_cbranch_execz .LBB1_4320
.LBB1_4319:
	v_bfe_u32 v3, v4, 24, 3
	v_ffbh_u32_e32 v12, v3
	v_min_u32_e32 v12, 32, v12
	v_lshrrev_b32_e32 v7, 27, v4
	v_subrev_u32_e32 v13, 28, v12
	v_and_b32_e32 v6, 0x80000000, v4
	v_and_b32_e32 v7, 15, v7
	v_bfe_u32 v8, v4, 27, 4
	v_lshlrev_b32_sdwa v4, v13, v4 dst_sel:DWORD dst_unused:UNUSED_PAD src0_sel:DWORD src1_sel:BYTE_3
	v_sub_u32_e32 v12, 29, v12
	v_and_b32_e32 v4, 7, v4
	v_cmp_eq_u16_e32 vcc, 0, v7
	v_cndmask_b32_e32 v3, v3, v4, vcc
	v_cndmask_b32_e32 v4, v8, v12, vcc
	v_mov_b32_e32 v7, 0x3b800000
	v_lshlrev_b32_e32 v3, 20, v3
	v_lshl_add_u32 v4, v4, 23, v7
	v_or3_b32 v3, v6, v4, v3
.LBB1_4320:
	s_or_b64 exec, exec, s[6:7]
	s_nop 0
	v_mfma_f32_16x16x4f32 a[0:3], v2, v3, a[0:3]
	s_movk_i32 s4, 0x7f
	v_cmp_gt_i16_sdwa s[6:7], v9, s4 src0_sel:BYTE_0 src1_sel:DWORD
	s_mov_b64 s[4:5], 0
                                        ; implicit-def: $sgpr10
	s_and_saveexec_b64 s[8:9], s[6:7]
	s_xor_b64 s[6:7], exec, s[8:9]
	s_cbranch_execz .LBB1_4321
; %bb.40161:
	s_getpc_b64 s[14:15]
.Lpost_getpc5744:
	s_add_u32 s14, s14, (.LBB1_18657-.Lpost_getpc5744)&4294967295
	s_addc_u32 s15, s15, (.LBB1_18657-.Lpost_getpc5744)>>32
	s_setpc_b64 s[14:15]
.LBB1_4321:
	s_or_saveexec_b64 s[6:7], s[6:7]
	v_mov_b32_e32 v2, s10
	s_xor_b64 exec, exec, s[6:7]
	s_cbranch_execz .LBB1_4322
; %bb.40163:
	s_getpc_b64 s[14:15]
.Lpost_getpc5745:
	s_add_u32 s14, s14, (.LBB1_18660-.Lpost_getpc5745)&4294967295
	s_addc_u32 s15, s15, (.LBB1_18660-.Lpost_getpc5745)>>32
	s_setpc_b64 s[14:15]
.LBB1_4322:
	s_or_b64 exec, exec, s[6:7]
	s_and_saveexec_b64 s[6:7], s[4:5]
	s_cbranch_execz .LBB1_4324
.LBB1_4323:
	v_mov_b32_e32 v2, 8
	v_and_b32_e32 v3, 7, v9
	v_lshrrev_b32_sdwa v2, v2, v9 dst_sel:BYTE_1 dst_unused:UNUSED_PAD src0_sel:DWORD src1_sel:DWORD
	v_ffbh_u32_e32 v4, v3
	v_or_b32_sdwa v2, v9, v2 dst_sel:DWORD dst_unused:UNUSED_PAD src0_sel:BYTE_0 src1_sel:DWORD
	v_min_u32_e32 v4, 32, v4
	v_lshrrev_b16_e32 v2, 3, v2
	v_subrev_u32_e32 v6, 28, v4
	v_and_b32_e32 v2, 15, v2
	v_lshlrev_b32_e32 v6, v6, v9
	v_sub_u32_e32 v4, 29, v4
	v_and_b32_e32 v6, 7, v6
	v_cmp_eq_u16_e32 vcc, 0, v2
	v_cndmask_b32_e32 v3, v3, v6, vcc
	v_cndmask_b32_e32 v2, v2, v4, vcc
	v_lshlrev_b32_e32 v4, 24, v9
	v_mov_b32_e32 v6, 0x3b800000
	v_lshlrev_b32_e32 v3, 20, v3
	v_and_b32_e32 v4, 0x80000000, v4
	v_lshl_add_u32 v2, v2, 23, v6
	v_or3_b32 v2, v4, v2, v3
.LBB1_4324:
	s_or_b64 exec, exec, s[6:7]
	s_movk_i32 s4, 0x7f
	v_cmp_gt_i16_sdwa s[6:7], v5, s4 src0_sel:BYTE_0 src1_sel:DWORD
	s_mov_b64 s[4:5], 0
                                        ; implicit-def: $sgpr10
	s_and_saveexec_b64 s[8:9], s[6:7]
	s_xor_b64 s[6:7], exec, s[8:9]
	s_cbranch_execz .LBB1_4325
; %bb.40165:
	s_getpc_b64 s[14:15]
.Lpost_getpc5746:
	s_add_u32 s14, s14, (.LBB1_18661-.Lpost_getpc5746)&4294967295
	s_addc_u32 s15, s15, (.LBB1_18661-.Lpost_getpc5746)>>32
	s_setpc_b64 s[14:15]
.LBB1_4325:
	s_or_saveexec_b64 s[6:7], s[6:7]
	v_mov_b32_e32 v3, s10
	s_xor_b64 exec, exec, s[6:7]
	s_cbranch_execz .LBB1_4326
; %bb.40167:
	s_getpc_b64 s[14:15]
.Lpost_getpc5747:
	s_add_u32 s14, s14, (.LBB1_18664-.Lpost_getpc5747)&4294967295
	s_addc_u32 s15, s15, (.LBB1_18664-.Lpost_getpc5747)>>32
	s_setpc_b64 s[14:15]
.LBB1_4326:
	s_or_b64 exec, exec, s[6:7]
	s_and_saveexec_b64 s[6:7], s[4:5]
	s_cbranch_execz .LBB1_4328
.LBB1_4327:
	v_mov_b32_e32 v3, 8
	v_and_b32_e32 v4, 7, v5
	v_lshrrev_b32_sdwa v3, v3, v5 dst_sel:BYTE_1 dst_unused:UNUSED_PAD src0_sel:DWORD src1_sel:DWORD
	v_ffbh_u32_e32 v6, v4
	v_or_b32_sdwa v3, v5, v3 dst_sel:DWORD dst_unused:UNUSED_PAD src0_sel:BYTE_0 src1_sel:DWORD
	v_min_u32_e32 v6, 32, v6
	v_lshrrev_b16_e32 v3, 3, v3
	v_subrev_u32_e32 v7, 28, v6
	v_and_b32_e32 v3, 15, v3
	v_lshlrev_b32_e32 v7, v7, v5
	v_sub_u32_e32 v6, 29, v6
	v_and_b32_e32 v7, 7, v7
	v_cmp_eq_u16_e32 vcc, 0, v3
	v_cndmask_b32_e32 v4, v4, v7, vcc
	v_cndmask_b32_e32 v3, v3, v6, vcc
	v_lshlrev_b32_e32 v6, 24, v5
	v_mov_b32_e32 v7, 0x3b800000
	v_lshlrev_b32_e32 v4, 20, v4
	v_and_b32_e32 v6, 0x80000000, v6
	v_lshl_add_u32 v3, v3, 23, v7
	v_or3_b32 v3, v6, v3, v4
.LBB1_4328:
	s_or_b64 exec, exec, s[6:7]
	s_nop 0
	v_mfma_f32_16x16x4f32 a[0:3], v2, v3, a[0:3]
	v_lshrrev_b32_e32 v3, 8, v9
	s_movk_i32 s4, 0x7f
	v_cmp_gt_i16_sdwa s[6:7], v3, s4 src0_sel:BYTE_0 src1_sel:DWORD
	s_mov_b64 s[4:5], 0
                                        ; implicit-def: $sgpr10
	s_and_saveexec_b64 s[8:9], s[6:7]
	s_xor_b64 s[6:7], exec, s[8:9]
	s_cbranch_execz .LBB1_4329
; %bb.40169:
	s_getpc_b64 s[14:15]
.Lpost_getpc5748:
	s_add_u32 s14, s14, (.LBB1_18665-.Lpost_getpc5748)&4294967295
	s_addc_u32 s15, s15, (.LBB1_18665-.Lpost_getpc5748)>>32
	s_setpc_b64 s[14:15]
.LBB1_4329:
	s_or_saveexec_b64 s[6:7], s[6:7]
	v_mov_b32_e32 v2, s10
	s_xor_b64 exec, exec, s[6:7]
	s_cbranch_execz .LBB1_4330
; %bb.40171:
	s_getpc_b64 s[14:15]
.Lpost_getpc5749:
	s_add_u32 s14, s14, (.LBB1_18668-.Lpost_getpc5749)&4294967295
	s_addc_u32 s15, s15, (.LBB1_18668-.Lpost_getpc5749)>>32
	s_setpc_b64 s[14:15]
.LBB1_4330:
	s_or_b64 exec, exec, s[6:7]
	s_and_saveexec_b64 s[6:7], s[4:5]
	s_cbranch_execz .LBB1_4332
.LBB1_4331:
	v_bfe_u32 v2, v9, 8, 3
	v_ffbh_u32_e32 v6, v2
	v_min_u32_e32 v6, 32, v6
	v_lshrrev_b16_e32 v4, 3, v3
	v_subrev_u32_e32 v7, 28, v6
	v_and_b32_e32 v4, 15, v4
	v_lshlrev_b32_e32 v3, v7, v3
	v_sub_u32_e32 v6, 29, v6
	v_and_b32_e32 v3, 7, v3
	v_cmp_eq_u16_e32 vcc, 0, v4
	v_cndmask_b32_e32 v2, v2, v3, vcc
	v_cndmask_b32_e32 v3, v4, v6, vcc
	v_lshlrev_b32_e32 v4, 16, v9
	v_mov_b32_e32 v6, 0x3b800000
	v_lshlrev_b32_e32 v2, 20, v2
	v_and_b32_e32 v4, 0x80000000, v4
	v_lshl_add_u32 v3, v3, 23, v6
	v_or3_b32 v2, v4, v3, v2
.LBB1_4332:
	s_or_b64 exec, exec, s[6:7]
	v_lshrrev_b32_e32 v3, 8, v5
	s_movk_i32 s4, 0x7f
	v_cmp_gt_i16_sdwa s[6:7], v3, s4 src0_sel:BYTE_0 src1_sel:DWORD
	s_mov_b64 s[4:5], 0
                                        ; implicit-def: $sgpr10
	s_and_saveexec_b64 s[8:9], s[6:7]
	s_xor_b64 s[6:7], exec, s[8:9]
	s_cbranch_execz .LBB1_4333
; %bb.40173:
	s_getpc_b64 s[14:15]
.Lpost_getpc5750:
	s_add_u32 s14, s14, (.LBB1_18669-.Lpost_getpc5750)&4294967295
	s_addc_u32 s15, s15, (.LBB1_18669-.Lpost_getpc5750)>>32
	s_setpc_b64 s[14:15]
.LBB1_4333:
	s_or_saveexec_b64 s[6:7], s[6:7]
	v_mov_b32_e32 v4, s10
	s_xor_b64 exec, exec, s[6:7]
	s_cbranch_execz .LBB1_4334
; %bb.40175:
	s_getpc_b64 s[14:15]
.Lpost_getpc5751:
	s_add_u32 s14, s14, (.LBB1_18672-.Lpost_getpc5751)&4294967295
	s_addc_u32 s15, s15, (.LBB1_18672-.Lpost_getpc5751)>>32
	s_setpc_b64 s[14:15]
.LBB1_4334:
	s_or_b64 exec, exec, s[6:7]
	s_and_saveexec_b64 s[6:7], s[4:5]
	s_cbranch_execz .LBB1_4336
.LBB1_4335:
	v_bfe_u32 v4, v5, 8, 3
	v_ffbh_u32_e32 v7, v4
	v_min_u32_e32 v7, 32, v7
	v_lshrrev_b16_e32 v6, 3, v3
	v_subrev_u32_e32 v8, 28, v7
	v_and_b32_e32 v6, 15, v6
	v_lshlrev_b32_e32 v3, v8, v3
	v_sub_u32_e32 v7, 29, v7
	v_and_b32_e32 v3, 7, v3
	v_cmp_eq_u16_e32 vcc, 0, v6
	v_cndmask_b32_e32 v3, v4, v3, vcc
	v_cndmask_b32_e32 v4, v6, v7, vcc
	v_lshlrev_b32_e32 v6, 16, v5
	v_mov_b32_e32 v7, 0x3b800000
	v_lshlrev_b32_e32 v3, 20, v3
	v_and_b32_e32 v6, 0x80000000, v6
	v_lshl_add_u32 v4, v4, 23, v7
	v_or3_b32 v4, v6, v4, v3
.LBB1_4336:
	s_or_b64 exec, exec, s[6:7]
	s_nop 0
	v_mfma_f32_16x16x4f32 a[0:3], v2, v4, a[0:3]
	s_movk_i32 s4, 0xff
	v_and_b32_sdwa v3, v9, s4 dst_sel:DWORD dst_unused:UNUSED_PAD src0_sel:WORD_1 src1_sel:DWORD
	s_movk_i32 s4, 0x7f
	v_cmp_lt_i16_e32 vcc, s4, v3
	s_mov_b64 s[4:5], 0
                                        ; implicit-def: $sgpr10
	s_and_saveexec_b64 s[6:7], vcc
	s_xor_b64 s[6:7], exec, s[6:7]
	s_cbranch_execz .LBB1_4337
; %bb.40177:
	s_getpc_b64 s[14:15]
.Lpost_getpc5752:
	s_add_u32 s14, s14, (.LBB1_18673-.Lpost_getpc5752)&4294967295
	s_addc_u32 s15, s15, (.LBB1_18673-.Lpost_getpc5752)>>32
	s_setpc_b64 s[14:15]
.LBB1_4337:
	s_or_saveexec_b64 s[6:7], s[6:7]
	v_mov_b32_e32 v2, s10
	s_xor_b64 exec, exec, s[6:7]
	s_cbranch_execz .LBB1_4338
; %bb.40179:
	s_getpc_b64 s[14:15]
.Lpost_getpc5753:
	s_add_u32 s14, s14, (.LBB1_18676-.Lpost_getpc5753)&4294967295
	s_addc_u32 s15, s15, (.LBB1_18676-.Lpost_getpc5753)>>32
	s_setpc_b64 s[14:15]
.LBB1_4338:
	s_or_b64 exec, exec, s[6:7]
	s_and_saveexec_b64 s[6:7], s[4:5]
	s_cbranch_execz .LBB1_4340
.LBB1_4339:
	v_bfe_u32 v2, v9, 16, 3
	v_ffbh_u32_e32 v6, v2
	v_min_u32_e32 v6, 32, v6
	v_lshrrev_b32_e32 v3, 19, v9
	v_subrev_u32_e32 v7, 28, v6
	v_and_b32_e32 v3, 15, v3
	v_lshlrev_b32_sdwa v7, v7, v9 dst_sel:DWORD dst_unused:UNUSED_PAD src0_sel:DWORD src1_sel:WORD_1
	v_bfe_u32 v4, v9, 19, 4
	v_sub_u32_e32 v6, 29, v6
	v_and_b32_e32 v7, 7, v7
	v_cmp_eq_u16_e32 vcc, 0, v3
	v_cndmask_b32_e32 v2, v2, v7, vcc
	v_cndmask_b32_e32 v3, v4, v6, vcc
	v_lshlrev_b32_e32 v4, 8, v9
	v_mov_b32_e32 v6, 0x3b800000
	v_lshlrev_b32_e32 v2, 20, v2
	v_and_b32_e32 v4, 0x80000000, v4
	v_lshl_add_u32 v3, v3, 23, v6
	v_or3_b32 v2, v4, v3, v2
.LBB1_4340:
	s_or_b64 exec, exec, s[6:7]
	s_movk_i32 s4, 0xff
	v_and_b32_sdwa v3, v5, s4 dst_sel:DWORD dst_unused:UNUSED_PAD src0_sel:WORD_1 src1_sel:DWORD
	s_movk_i32 s4, 0x7f
	v_cmp_lt_i16_e32 vcc, s4, v3
	s_mov_b64 s[4:5], 0
                                        ; implicit-def: $sgpr10
	s_and_saveexec_b64 s[6:7], vcc
	s_xor_b64 s[6:7], exec, s[6:7]
	s_cbranch_execz .LBB1_4341
; %bb.40181:
	s_getpc_b64 s[14:15]
.Lpost_getpc5754:
	s_add_u32 s14, s14, (.LBB1_18677-.Lpost_getpc5754)&4294967295
	s_addc_u32 s15, s15, (.LBB1_18677-.Lpost_getpc5754)>>32
	s_setpc_b64 s[14:15]
.LBB1_4341:
	s_or_saveexec_b64 s[6:7], s[6:7]
	v_mov_b32_e32 v4, s10
	s_xor_b64 exec, exec, s[6:7]
	s_cbranch_execz .LBB1_4342
; %bb.40183:
	s_getpc_b64 s[14:15]
.Lpost_getpc5755:
	s_add_u32 s14, s14, (.LBB1_18680-.Lpost_getpc5755)&4294967295
	s_addc_u32 s15, s15, (.LBB1_18680-.Lpost_getpc5755)>>32
	s_setpc_b64 s[14:15]
.LBB1_4342:
	s_or_b64 exec, exec, s[6:7]
	s_and_saveexec_b64 s[6:7], s[4:5]
	s_cbranch_execz .LBB1_4344
.LBB1_4343:
	v_bfe_u32 v3, v5, 16, 3
	v_ffbh_u32_e32 v7, v3
	v_min_u32_e32 v7, 32, v7
	v_lshrrev_b32_e32 v4, 19, v5
	v_subrev_u32_e32 v8, 28, v7
	v_and_b32_e32 v4, 15, v4
	v_lshlrev_b32_sdwa v8, v8, v5 dst_sel:DWORD dst_unused:UNUSED_PAD src0_sel:DWORD src1_sel:WORD_1
	v_bfe_u32 v6, v5, 19, 4
	v_sub_u32_e32 v7, 29, v7
	v_and_b32_e32 v8, 7, v8
	v_cmp_eq_u16_e32 vcc, 0, v4
	v_cndmask_b32_e32 v3, v3, v8, vcc
	v_cndmask_b32_e32 v4, v6, v7, vcc
	v_lshlrev_b32_e32 v6, 8, v5
	v_mov_b32_e32 v7, 0x3b800000
	v_lshlrev_b32_e32 v3, 20, v3
	v_and_b32_e32 v6, 0x80000000, v6
	v_lshl_add_u32 v4, v4, 23, v7
	v_or3_b32 v4, v6, v4, v3
.LBB1_4344:
	s_or_b64 exec, exec, s[6:7]
	s_nop 0
	v_mfma_f32_16x16x4f32 a[0:3], v2, v4, a[0:3]
	s_movk_i32 s4, 0x7f
	v_cmp_gt_i16_sdwa s[6:7], v9, s4 src0_sel:BYTE_3 src1_sel:DWORD
	s_mov_b64 s[4:5], 0
                                        ; implicit-def: $sgpr10
	s_and_saveexec_b64 s[8:9], s[6:7]
	s_xor_b64 s[6:7], exec, s[8:9]
	s_cbranch_execz .LBB1_4345
; %bb.40185:
	s_getpc_b64 s[14:15]
.Lpost_getpc5756:
	s_add_u32 s14, s14, (.LBB1_18681-.Lpost_getpc5756)&4294967295
	s_addc_u32 s15, s15, (.LBB1_18681-.Lpost_getpc5756)>>32
	s_setpc_b64 s[14:15]
.LBB1_4345:
	s_or_saveexec_b64 s[6:7], s[6:7]
	v_mov_b32_e32 v2, s10
	s_xor_b64 exec, exec, s[6:7]
	s_cbranch_execz .LBB1_4346
; %bb.40187:
	s_getpc_b64 s[14:15]
.Lpost_getpc5757:
	s_add_u32 s14, s14, (.LBB1_18684-.Lpost_getpc5757)&4294967295
	s_addc_u32 s15, s15, (.LBB1_18684-.Lpost_getpc5757)>>32
	s_setpc_b64 s[14:15]
.LBB1_4346:
	s_or_b64 exec, exec, s[6:7]
	s_and_saveexec_b64 s[6:7], s[4:5]
	s_cbranch_execz .LBB1_4348
.LBB1_4347:
	v_bfe_u32 v2, v9, 24, 3
	v_ffbh_u32_e32 v7, v2
	v_min_u32_e32 v7, 32, v7
	v_lshrrev_b32_e32 v4, 27, v9
	v_subrev_u32_e32 v8, 28, v7
	v_and_b32_e32 v4, 15, v4
	v_lshlrev_b32_sdwa v8, v8, v9 dst_sel:DWORD dst_unused:UNUSED_PAD src0_sel:DWORD src1_sel:BYTE_3
	v_bfe_u32 v6, v9, 27, 4
	v_sub_u32_e32 v7, 29, v7
	v_and_b32_e32 v8, 7, v8
	v_cmp_eq_u16_e32 vcc, 0, v4
	v_cndmask_b32_e32 v2, v2, v8, vcc
	v_cndmask_b32_e32 v4, v6, v7, vcc
	v_mov_b32_e32 v6, 0x3b800000
	v_and_b32_e32 v3, 0x80000000, v9
	v_lshlrev_b32_e32 v2, 20, v2
	v_lshl_add_u32 v4, v4, 23, v6
	v_or3_b32 v2, v3, v4, v2
.LBB1_4348:
	s_or_b64 exec, exec, s[6:7]
	s_movk_i32 s4, 0x7f
	v_cmp_gt_i16_sdwa s[6:7], v5, s4 src0_sel:BYTE_3 src1_sel:DWORD
	s_mov_b64 s[4:5], 0
                                        ; implicit-def: $sgpr10
	s_and_saveexec_b64 s[8:9], s[6:7]
	s_xor_b64 s[6:7], exec, s[8:9]
	s_cbranch_execz .LBB1_4349
; %bb.40189:
	s_getpc_b64 s[14:15]
.Lpost_getpc5758:
	s_add_u32 s14, s14, (.LBB1_18685-.Lpost_getpc5758)&4294967295
	s_addc_u32 s15, s15, (.LBB1_18685-.Lpost_getpc5758)>>32
	s_setpc_b64 s[14:15]
.LBB1_4349:
	s_or_saveexec_b64 s[6:7], s[6:7]
	v_mov_b32_e32 v3, s10
	s_xor_b64 exec, exec, s[6:7]
	s_cbranch_execz .LBB1_4350
; %bb.40191:
	s_getpc_b64 s[14:15]
.Lpost_getpc5759:
	s_add_u32 s14, s14, (.LBB1_18688-.Lpost_getpc5759)&4294967295
	s_addc_u32 s15, s15, (.LBB1_18688-.Lpost_getpc5759)>>32
	s_setpc_b64 s[14:15]
.LBB1_4350:
	s_or_b64 exec, exec, s[6:7]
	s_and_saveexec_b64 s[6:7], s[4:5]
	s_cbranch_execz .LBB1_4352
.LBB1_4351:
	v_bfe_u32 v3, v5, 24, 3
	v_ffbh_u32_e32 v8, v3
	v_min_u32_e32 v8, 32, v8
	v_lshrrev_b32_e32 v6, 27, v5
	v_subrev_u32_e32 v9, 28, v8
	v_and_b32_e32 v4, 0x80000000, v5
	v_and_b32_e32 v6, 15, v6
	v_bfe_u32 v7, v5, 27, 4
	v_lshlrev_b32_sdwa v5, v9, v5 dst_sel:DWORD dst_unused:UNUSED_PAD src0_sel:DWORD src1_sel:BYTE_3
	v_sub_u32_e32 v8, 29, v8
	v_and_b32_e32 v5, 7, v5
	v_cmp_eq_u16_e32 vcc, 0, v6
	v_cndmask_b32_e32 v3, v3, v5, vcc
	v_cndmask_b32_e32 v5, v7, v8, vcc
	v_mov_b32_e32 v6, 0x3b800000
	v_lshlrev_b32_e32 v3, 20, v3
	v_lshl_add_u32 v5, v5, 23, v6
	v_or3_b32 v3, v4, v5, v3
.LBB1_4352:
	s_or_b64 exec, exec, s[6:7]
	s_nop 0
	v_mfma_f32_16x16x4f32 a[0:3], v2, v3, a[0:3]
	s_movk_i32 s4, 0x7f
                                        ; implicit-def: $sgpr10
	s_nop 7
	s_nop 1
	flat_store_dwordx4 v[10:11], a[0:3] offset:528
	flat_load_dwordx4 v[12:15], v[0:1]
	s_nop 0
	flat_load_dwordx2 v[10:11], v[0:1] offset:16
	s_waitcnt vmcnt(0) lgkmcnt(0)
	flat_load_dwordx4 v[6:9], v[12:13] offset:64
	flat_load_dwordx4 v[2:5], v[14:15] offset:32
	s_waitcnt vmcnt(0) lgkmcnt(0)
	v_cmp_gt_i16_sdwa s[6:7], v6, s4 src0_sel:BYTE_0 src1_sel:DWORD
	s_mov_b64 s[4:5], 0
	s_and_saveexec_b64 s[8:9], s[6:7]
	s_xor_b64 s[6:7], exec, s[8:9]
	s_cbranch_execz .LBB1_4353
; %bb.40193:
	s_getpc_b64 s[14:15]
.Lpost_getpc5760:
	s_add_u32 s14, s14, (.LBB1_18689-.Lpost_getpc5760)&4294967295
	s_addc_u32 s15, s15, (.LBB1_18689-.Lpost_getpc5760)>>32
	s_setpc_b64 s[14:15]
.LBB1_4353:
	s_or_saveexec_b64 s[6:7], s[6:7]
	v_mov_b32_e32 v12, s10
	s_xor_b64 exec, exec, s[6:7]
	s_cbranch_execz .LBB1_4354
; %bb.40195:
	s_getpc_b64 s[14:15]
.Lpost_getpc5761:
	s_add_u32 s14, s14, (.LBB1_18692-.Lpost_getpc5761)&4294967295
	s_addc_u32 s15, s15, (.LBB1_18692-.Lpost_getpc5761)>>32
	s_setpc_b64 s[14:15]
.LBB1_4354:
	s_or_b64 exec, exec, s[6:7]
	s_and_saveexec_b64 s[6:7], s[4:5]
	s_cbranch_execz .LBB1_4356
.LBB1_4355:
	v_and_b32_e32 v12, 7, v6
	v_ffbh_u32_e32 v14, v12
	v_min_u32_e32 v14, 32, v14
	v_lshrrev_b16_e32 v13, 3, v6
	v_subrev_u32_e32 v15, 28, v14
	v_and_b32_e32 v13, 15, v13
	v_lshlrev_b32_e32 v15, v15, v6
	v_sub_u32_e32 v14, 29, v14
	v_and_b32_e32 v15, 7, v15
	v_cmp_eq_u16_e32 vcc, 0, v13
	v_cndmask_b32_e32 v12, v12, v15, vcc
	v_cndmask_b32_e32 v13, v13, v14, vcc
	v_lshlrev_b32_e32 v14, 24, v6
	v_mov_b32_e32 v15, 0x3b800000
	v_lshlrev_b32_e32 v12, 20, v12
	v_and_b32_e32 v14, 0x80000000, v14
	v_lshl_add_u32 v13, v13, 23, v15
	v_or3_b32 v12, v14, v13, v12
.LBB1_4356:
	s_or_b64 exec, exec, s[6:7]
	s_movk_i32 s4, 0x7f
	v_cmp_gt_i16_sdwa s[6:7], v2, s4 src0_sel:BYTE_0 src1_sel:DWORD
	s_mov_b64 s[4:5], 0
                                        ; implicit-def: $sgpr10
	s_and_saveexec_b64 s[8:9], s[6:7]
	s_xor_b64 s[6:7], exec, s[8:9]
	s_cbranch_execz .LBB1_4357
; %bb.40197:
	s_getpc_b64 s[14:15]
.Lpost_getpc5762:
	s_add_u32 s14, s14, (.LBB1_18693-.Lpost_getpc5762)&4294967295
	s_addc_u32 s15, s15, (.LBB1_18693-.Lpost_getpc5762)>>32
	s_setpc_b64 s[14:15]
.LBB1_4357:
	s_or_saveexec_b64 s[6:7], s[6:7]
	v_mov_b32_e32 v13, s10
	s_xor_b64 exec, exec, s[6:7]
	s_cbranch_execz .LBB1_4358
; %bb.40199:
	s_getpc_b64 s[14:15]
.Lpost_getpc5763:
	s_add_u32 s14, s14, (.LBB1_18696-.Lpost_getpc5763)&4294967295
	s_addc_u32 s15, s15, (.LBB1_18696-.Lpost_getpc5763)>>32
	s_setpc_b64 s[14:15]
.LBB1_4358:
	s_or_b64 exec, exec, s[6:7]
	s_and_saveexec_b64 s[6:7], s[4:5]
	s_cbranch_execz .LBB1_4360
.LBB1_4359:
	v_and_b32_e32 v13, 7, v2
	v_ffbh_u32_e32 v15, v13
	v_min_u32_e32 v15, 32, v15
	v_lshrrev_b16_e32 v14, 3, v2
	v_subrev_u32_e32 v16, 28, v15
	v_and_b32_e32 v14, 15, v14
	v_lshlrev_b32_e32 v16, v16, v2
	v_sub_u32_e32 v15, 29, v15
	v_and_b32_e32 v16, 7, v16
	v_cmp_eq_u16_e32 vcc, 0, v14
	v_cndmask_b32_e32 v13, v13, v16, vcc
	v_cndmask_b32_e32 v14, v14, v15, vcc
	v_lshlrev_b32_e32 v15, 24, v2
	v_mov_b32_e32 v16, 0x3b800000
	v_lshlrev_b32_e32 v13, 20, v13
	v_and_b32_e32 v15, 0x80000000, v15
	v_lshl_add_u32 v14, v14, 23, v16
	v_or3_b32 v13, v15, v14, v13
.LBB1_4360:
	s_or_b64 exec, exec, s[6:7]
	flat_load_dwordx4 a[0:3], v[10:11] offset:544
	s_movk_i32 s4, 0x7f
                                        ; implicit-def: $sgpr10
	s_waitcnt vmcnt(0) lgkmcnt(0)
	v_mfma_f32_16x16x4f32 a[0:3], v12, v13, a[0:3]
	v_lshrrev_b32_e32 v13, 8, v6
	v_cmp_gt_i16_sdwa s[6:7], v13, s4 src0_sel:BYTE_0 src1_sel:DWORD
	s_mov_b64 s[4:5], 0
	s_and_saveexec_b64 s[8:9], s[6:7]
	s_xor_b64 s[6:7], exec, s[8:9]
	s_cbranch_execz .LBB1_4361
; %bb.40201:
	s_getpc_b64 s[14:15]
.Lpost_getpc5764:
	s_add_u32 s14, s14, (.LBB1_18697-.Lpost_getpc5764)&4294967295
	s_addc_u32 s15, s15, (.LBB1_18697-.Lpost_getpc5764)>>32
	s_setpc_b64 s[14:15]
.LBB1_4361:
	s_or_saveexec_b64 s[6:7], s[6:7]
	v_mov_b32_e32 v12, s10
	s_xor_b64 exec, exec, s[6:7]
	s_cbranch_execz .LBB1_4362
; %bb.40203:
	s_getpc_b64 s[14:15]
.Lpost_getpc5765:
	s_add_u32 s14, s14, (.LBB1_18700-.Lpost_getpc5765)&4294967295
	s_addc_u32 s15, s15, (.LBB1_18700-.Lpost_getpc5765)>>32
	s_setpc_b64 s[14:15]
.LBB1_4362:
	s_or_b64 exec, exec, s[6:7]
	s_and_saveexec_b64 s[6:7], s[4:5]
	s_cbranch_execz .LBB1_4364
.LBB1_4363:
	v_bfe_u32 v12, v6, 8, 3
	v_ffbh_u32_e32 v15, v12
	v_min_u32_e32 v15, 32, v15
	v_lshrrev_b16_e32 v14, 3, v13
	v_subrev_u32_e32 v16, 28, v15
	v_and_b32_e32 v14, 15, v14
	v_lshlrev_b32_e32 v13, v16, v13
	v_sub_u32_e32 v15, 29, v15
	v_and_b32_e32 v13, 7, v13
	v_cmp_eq_u16_e32 vcc, 0, v14
	v_cndmask_b32_e32 v12, v12, v13, vcc
	v_cndmask_b32_e32 v13, v14, v15, vcc
	v_lshlrev_b32_e32 v14, 16, v6
	v_mov_b32_e32 v15, 0x3b800000
	v_lshlrev_b32_e32 v12, 20, v12
	v_and_b32_e32 v14, 0x80000000, v14
	v_lshl_add_u32 v13, v13, 23, v15
	v_or3_b32 v12, v14, v13, v12
.LBB1_4364:
	s_or_b64 exec, exec, s[6:7]
	v_lshrrev_b32_e32 v13, 8, v2
	s_movk_i32 s4, 0x7f
	v_cmp_gt_i16_sdwa s[6:7], v13, s4 src0_sel:BYTE_0 src1_sel:DWORD
	s_mov_b64 s[4:5], 0
                                        ; implicit-def: $sgpr10
	s_and_saveexec_b64 s[8:9], s[6:7]
	s_xor_b64 s[6:7], exec, s[8:9]
	s_cbranch_execz .LBB1_4365
; %bb.40205:
	s_getpc_b64 s[14:15]
.Lpost_getpc5766:
	s_add_u32 s14, s14, (.LBB1_18701-.Lpost_getpc5766)&4294967295
	s_addc_u32 s15, s15, (.LBB1_18701-.Lpost_getpc5766)>>32
	s_setpc_b64 s[14:15]
.LBB1_4365:
	s_or_saveexec_b64 s[6:7], s[6:7]
	v_mov_b32_e32 v14, s10
	s_xor_b64 exec, exec, s[6:7]
	s_cbranch_execz .LBB1_4366
; %bb.40207:
	s_getpc_b64 s[14:15]
.Lpost_getpc5767:
	s_add_u32 s14, s14, (.LBB1_18704-.Lpost_getpc5767)&4294967295
	s_addc_u32 s15, s15, (.LBB1_18704-.Lpost_getpc5767)>>32
	s_setpc_b64 s[14:15]
.LBB1_4366:
	s_or_b64 exec, exec, s[6:7]
	s_and_saveexec_b64 s[6:7], s[4:5]
	s_cbranch_execz .LBB1_4368
.LBB1_4367:
	v_bfe_u32 v14, v2, 8, 3
	v_ffbh_u32_e32 v16, v14
	v_min_u32_e32 v16, 32, v16
	v_lshrrev_b16_e32 v15, 3, v13
	v_subrev_u32_e32 v17, 28, v16
	v_and_b32_e32 v15, 15, v15
	v_lshlrev_b32_e32 v13, v17, v13
	v_sub_u32_e32 v16, 29, v16
	v_and_b32_e32 v13, 7, v13
	v_cmp_eq_u16_e32 vcc, 0, v15
	v_cndmask_b32_e32 v13, v14, v13, vcc
	v_cndmask_b32_e32 v14, v15, v16, vcc
	v_lshlrev_b32_e32 v15, 16, v2
	v_mov_b32_e32 v16, 0x3b800000
	v_lshlrev_b32_e32 v13, 20, v13
	v_and_b32_e32 v15, 0x80000000, v15
	v_lshl_add_u32 v14, v14, 23, v16
	v_or3_b32 v14, v15, v14, v13
.LBB1_4368:
	s_or_b64 exec, exec, s[6:7]
	s_nop 0
	v_mfma_f32_16x16x4f32 a[0:3], v12, v14, a[0:3]
	s_movk_i32 s4, 0xff
	v_and_b32_sdwa v13, v6, s4 dst_sel:DWORD dst_unused:UNUSED_PAD src0_sel:WORD_1 src1_sel:DWORD
	s_movk_i32 s4, 0x7f
	v_cmp_lt_i16_e32 vcc, s4, v13
	s_mov_b64 s[4:5], 0
                                        ; implicit-def: $sgpr10
	s_and_saveexec_b64 s[6:7], vcc
	s_xor_b64 s[6:7], exec, s[6:7]
	s_cbranch_execz .LBB1_4369
; %bb.40209:
	s_getpc_b64 s[14:15]
.Lpost_getpc5768:
	s_add_u32 s14, s14, (.LBB1_18705-.Lpost_getpc5768)&4294967295
	s_addc_u32 s15, s15, (.LBB1_18705-.Lpost_getpc5768)>>32
	s_setpc_b64 s[14:15]
.LBB1_4369:
	s_or_saveexec_b64 s[6:7], s[6:7]
	v_mov_b32_e32 v12, s10
	s_xor_b64 exec, exec, s[6:7]
	s_cbranch_execz .LBB1_4370
; %bb.40211:
	s_getpc_b64 s[14:15]
.Lpost_getpc5769:
	s_add_u32 s14, s14, (.LBB1_18708-.Lpost_getpc5769)&4294967295
	s_addc_u32 s15, s15, (.LBB1_18708-.Lpost_getpc5769)>>32
	s_setpc_b64 s[14:15]
.LBB1_4370:
	s_or_b64 exec, exec, s[6:7]
	s_and_saveexec_b64 s[6:7], s[4:5]
	s_cbranch_execz .LBB1_4372
.LBB1_4371:
	v_bfe_u32 v12, v6, 16, 3
	v_ffbh_u32_e32 v15, v12
	v_min_u32_e32 v15, 32, v15
	v_lshrrev_b32_e32 v13, 19, v6
	v_subrev_u32_e32 v16, 28, v15
	v_and_b32_e32 v13, 15, v13
	v_lshlrev_b32_sdwa v16, v16, v6 dst_sel:DWORD dst_unused:UNUSED_PAD src0_sel:DWORD src1_sel:WORD_1
	v_bfe_u32 v14, v6, 19, 4
	v_sub_u32_e32 v15, 29, v15
	v_and_b32_e32 v16, 7, v16
	v_cmp_eq_u16_e32 vcc, 0, v13
	v_cndmask_b32_e32 v12, v12, v16, vcc
	v_cndmask_b32_e32 v13, v14, v15, vcc
	v_lshlrev_b32_e32 v14, 8, v6
	v_mov_b32_e32 v15, 0x3b800000
	v_lshlrev_b32_e32 v12, 20, v12
	v_and_b32_e32 v14, 0x80000000, v14
	v_lshl_add_u32 v13, v13, 23, v15
	v_or3_b32 v12, v14, v13, v12
.LBB1_4372:
	s_or_b64 exec, exec, s[6:7]
	s_movk_i32 s4, 0xff
	v_and_b32_sdwa v13, v2, s4 dst_sel:DWORD dst_unused:UNUSED_PAD src0_sel:WORD_1 src1_sel:DWORD
	s_movk_i32 s4, 0x7f
	v_cmp_lt_i16_e32 vcc, s4, v13
	s_mov_b64 s[4:5], 0
                                        ; implicit-def: $sgpr10
	s_and_saveexec_b64 s[6:7], vcc
	s_xor_b64 s[6:7], exec, s[6:7]
	s_cbranch_execz .LBB1_4373
; %bb.40213:
	s_getpc_b64 s[14:15]
.Lpost_getpc5770:
	s_add_u32 s14, s14, (.LBB1_18709-.Lpost_getpc5770)&4294967295
	s_addc_u32 s15, s15, (.LBB1_18709-.Lpost_getpc5770)>>32
	s_setpc_b64 s[14:15]
.LBB1_4373:
	s_or_saveexec_b64 s[6:7], s[6:7]
	v_mov_b32_e32 v14, s10
	s_xor_b64 exec, exec, s[6:7]
	s_cbranch_execz .LBB1_4374
; %bb.40215:
	s_getpc_b64 s[14:15]
.Lpost_getpc5771:
	s_add_u32 s14, s14, (.LBB1_18712-.Lpost_getpc5771)&4294967295
	s_addc_u32 s15, s15, (.LBB1_18712-.Lpost_getpc5771)>>32
	s_setpc_b64 s[14:15]
.LBB1_4374:
	s_or_b64 exec, exec, s[6:7]
	s_and_saveexec_b64 s[6:7], s[4:5]
	s_cbranch_execz .LBB1_4376
.LBB1_4375:
	v_bfe_u32 v13, v2, 16, 3
	v_ffbh_u32_e32 v16, v13
	v_min_u32_e32 v16, 32, v16
	v_lshrrev_b32_e32 v14, 19, v2
	v_subrev_u32_e32 v17, 28, v16
	v_and_b32_e32 v14, 15, v14
	v_lshlrev_b32_sdwa v17, v17, v2 dst_sel:DWORD dst_unused:UNUSED_PAD src0_sel:DWORD src1_sel:WORD_1
	v_bfe_u32 v15, v2, 19, 4
	v_sub_u32_e32 v16, 29, v16
	v_and_b32_e32 v17, 7, v17
	v_cmp_eq_u16_e32 vcc, 0, v14
	v_cndmask_b32_e32 v13, v13, v17, vcc
	v_cndmask_b32_e32 v14, v15, v16, vcc
	v_lshlrev_b32_e32 v15, 8, v2
	v_mov_b32_e32 v16, 0x3b800000
	v_lshlrev_b32_e32 v13, 20, v13
	v_and_b32_e32 v15, 0x80000000, v15
	v_lshl_add_u32 v14, v14, 23, v16
	v_or3_b32 v14, v15, v14, v13
.LBB1_4376:
	s_or_b64 exec, exec, s[6:7]
	s_nop 0
	v_mfma_f32_16x16x4f32 a[0:3], v12, v14, a[0:3]
	s_movk_i32 s4, 0x7f
	v_cmp_gt_i16_sdwa s[6:7], v6, s4 src0_sel:BYTE_3 src1_sel:DWORD
	s_mov_b64 s[4:5], 0
                                        ; implicit-def: $sgpr10
	s_and_saveexec_b64 s[8:9], s[6:7]
	s_xor_b64 s[6:7], exec, s[8:9]
	s_cbranch_execz .LBB1_4377
; %bb.40217:
	s_getpc_b64 s[14:15]
.Lpost_getpc5772:
	s_add_u32 s14, s14, (.LBB1_18713-.Lpost_getpc5772)&4294967295
	s_addc_u32 s15, s15, (.LBB1_18713-.Lpost_getpc5772)>>32
	s_setpc_b64 s[14:15]
.LBB1_4377:
	s_or_saveexec_b64 s[6:7], s[6:7]
	v_mov_b32_e32 v12, s10
	s_xor_b64 exec, exec, s[6:7]
	s_cbranch_execz .LBB1_4378
; %bb.40219:
	s_getpc_b64 s[14:15]
.Lpost_getpc5773:
	s_add_u32 s14, s14, (.LBB1_18716-.Lpost_getpc5773)&4294967295
	s_addc_u32 s15, s15, (.LBB1_18716-.Lpost_getpc5773)>>32
	s_setpc_b64 s[14:15]
.LBB1_4378:
	s_or_b64 exec, exec, s[6:7]
	s_and_saveexec_b64 s[6:7], s[4:5]
	s_cbranch_execz .LBB1_4380
.LBB1_4379:
	v_bfe_u32 v12, v6, 24, 3
	v_ffbh_u32_e32 v16, v12
	v_min_u32_e32 v16, 32, v16
	v_lshrrev_b32_e32 v14, 27, v6
	v_subrev_u32_e32 v17, 28, v16
	v_and_b32_e32 v13, 0x80000000, v6
	v_and_b32_e32 v14, 15, v14
	v_bfe_u32 v15, v6, 27, 4
	v_lshlrev_b32_sdwa v6, v17, v6 dst_sel:DWORD dst_unused:UNUSED_PAD src0_sel:DWORD src1_sel:BYTE_3
	v_sub_u32_e32 v16, 29, v16
	v_and_b32_e32 v6, 7, v6
	v_cmp_eq_u16_e32 vcc, 0, v14
	v_cndmask_b32_e32 v6, v12, v6, vcc
	v_cndmask_b32_e32 v12, v15, v16, vcc
	v_mov_b32_e32 v14, 0x3b800000
	v_lshlrev_b32_e32 v6, 20, v6
	v_lshl_add_u32 v12, v12, 23, v14
	v_or3_b32 v12, v13, v12, v6
.LBB1_4380:
	s_or_b64 exec, exec, s[6:7]
	s_movk_i32 s4, 0x7f
	v_cmp_gt_i16_sdwa s[6:7], v2, s4 src0_sel:BYTE_3 src1_sel:DWORD
	s_mov_b64 s[4:5], 0
                                        ; implicit-def: $sgpr10
	s_and_saveexec_b64 s[8:9], s[6:7]
	s_xor_b64 s[6:7], exec, s[8:9]
	s_cbranch_execz .LBB1_4381
; %bb.40221:
	s_getpc_b64 s[14:15]
.Lpost_getpc5774:
	s_add_u32 s14, s14, (.LBB1_18717-.Lpost_getpc5774)&4294967295
	s_addc_u32 s15, s15, (.LBB1_18717-.Lpost_getpc5774)>>32
	s_setpc_b64 s[14:15]
.LBB1_4381:
	s_or_saveexec_b64 s[6:7], s[6:7]
	v_mov_b32_e32 v6, s10
	s_xor_b64 exec, exec, s[6:7]
	s_cbranch_execz .LBB1_4382
; %bb.40223:
	s_getpc_b64 s[14:15]
.Lpost_getpc5775:
	s_add_u32 s14, s14, (.LBB1_18720-.Lpost_getpc5775)&4294967295
	s_addc_u32 s15, s15, (.LBB1_18720-.Lpost_getpc5775)>>32
	s_setpc_b64 s[14:15]
.LBB1_4382:
	s_or_b64 exec, exec, s[6:7]
	s_and_saveexec_b64 s[6:7], s[4:5]
	s_cbranch_execz .LBB1_4384
.LBB1_4383:
	v_bfe_u32 v6, v2, 24, 3
	v_ffbh_u32_e32 v16, v6
	v_min_u32_e32 v16, 32, v16
	v_lshrrev_b32_e32 v14, 27, v2
	v_subrev_u32_e32 v17, 28, v16
	v_and_b32_e32 v13, 0x80000000, v2
	v_and_b32_e32 v14, 15, v14
	v_bfe_u32 v15, v2, 27, 4
	v_lshlrev_b32_sdwa v2, v17, v2 dst_sel:DWORD dst_unused:UNUSED_PAD src0_sel:DWORD src1_sel:BYTE_3
	v_sub_u32_e32 v16, 29, v16
	v_and_b32_e32 v2, 7, v2
	v_cmp_eq_u16_e32 vcc, 0, v14
	v_cndmask_b32_e32 v2, v6, v2, vcc
	v_cndmask_b32_e32 v6, v15, v16, vcc
	v_mov_b32_e32 v14, 0x3b800000
	v_lshlrev_b32_e32 v2, 20, v2
	v_lshl_add_u32 v6, v6, 23, v14
	v_or3_b32 v6, v13, v6, v2
.LBB1_4384:
	s_or_b64 exec, exec, s[6:7]
	s_nop 0
	v_mfma_f32_16x16x4f32 a[0:3], v12, v6, a[0:3]
	s_movk_i32 s4, 0x7f
	v_cmp_gt_i16_sdwa s[6:7], v7, s4 src0_sel:BYTE_0 src1_sel:DWORD
	s_mov_b64 s[4:5], 0
                                        ; implicit-def: $sgpr10
	s_and_saveexec_b64 s[8:9], s[6:7]
	s_xor_b64 s[6:7], exec, s[8:9]
	s_cbranch_execz .LBB1_4385
; %bb.40225:
	s_getpc_b64 s[14:15]
.Lpost_getpc5776:
	s_add_u32 s14, s14, (.LBB1_18721-.Lpost_getpc5776)&4294967295
	s_addc_u32 s15, s15, (.LBB1_18721-.Lpost_getpc5776)>>32
	s_setpc_b64 s[14:15]
.LBB1_4385:
	s_or_saveexec_b64 s[6:7], s[6:7]
	v_mov_b32_e32 v2, s10
	s_xor_b64 exec, exec, s[6:7]
	s_cbranch_execz .LBB1_4386
; %bb.40227:
	s_getpc_b64 s[14:15]
.Lpost_getpc5777:
	s_add_u32 s14, s14, (.LBB1_18724-.Lpost_getpc5777)&4294967295
	s_addc_u32 s15, s15, (.LBB1_18724-.Lpost_getpc5777)>>32
	s_setpc_b64 s[14:15]
.LBB1_4386:
	s_or_b64 exec, exec, s[6:7]
	s_and_saveexec_b64 s[6:7], s[4:5]
	s_cbranch_execz .LBB1_4388
.LBB1_4387:
	v_and_b32_e32 v2, 7, v7
	v_ffbh_u32_e32 v12, v2
	v_min_u32_e32 v12, 32, v12
	v_lshrrev_b16_e32 v6, 3, v7
	v_subrev_u32_e32 v13, 28, v12
	v_and_b32_e32 v6, 15, v6
	v_lshlrev_b32_e32 v13, v13, v7
	v_sub_u32_e32 v12, 29, v12
	v_and_b32_e32 v13, 7, v13
	v_cmp_eq_u16_e32 vcc, 0, v6
	v_cndmask_b32_e32 v2, v2, v13, vcc
	v_cndmask_b32_e32 v6, v6, v12, vcc
	v_lshlrev_b32_e32 v12, 24, v7
	v_mov_b32_e32 v13, 0x3b800000
	v_lshlrev_b32_e32 v2, 20, v2
	v_and_b32_e32 v12, 0x80000000, v12
	v_lshl_add_u32 v6, v6, 23, v13
	v_or3_b32 v2, v12, v6, v2
.LBB1_4388:
	s_or_b64 exec, exec, s[6:7]
	s_movk_i32 s4, 0x7f
	v_cmp_gt_i16_sdwa s[6:7], v3, s4 src0_sel:BYTE_0 src1_sel:DWORD
	s_mov_b64 s[4:5], 0
                                        ; implicit-def: $sgpr10
	s_and_saveexec_b64 s[8:9], s[6:7]
	s_xor_b64 s[6:7], exec, s[8:9]
	s_cbranch_execz .LBB1_4389
; %bb.40229:
	s_getpc_b64 s[14:15]
.Lpost_getpc5778:
	s_add_u32 s14, s14, (.LBB1_18725-.Lpost_getpc5778)&4294967295
	s_addc_u32 s15, s15, (.LBB1_18725-.Lpost_getpc5778)>>32
	s_setpc_b64 s[14:15]
.LBB1_4389:
	s_or_saveexec_b64 s[6:7], s[6:7]
	v_mov_b32_e32 v6, s10
	s_xor_b64 exec, exec, s[6:7]
	s_cbranch_execz .LBB1_4390
; %bb.40231:
	s_getpc_b64 s[14:15]
.Lpost_getpc5779:
	s_add_u32 s14, s14, (.LBB1_18728-.Lpost_getpc5779)&4294967295
	s_addc_u32 s15, s15, (.LBB1_18728-.Lpost_getpc5779)>>32
	s_setpc_b64 s[14:15]
.LBB1_4390:
	s_or_b64 exec, exec, s[6:7]
	s_and_saveexec_b64 s[6:7], s[4:5]
	s_cbranch_execz .LBB1_4392
.LBB1_4391:
	v_and_b32_e32 v6, 7, v3
	v_ffbh_u32_e32 v13, v6
	v_min_u32_e32 v13, 32, v13
	v_lshrrev_b16_e32 v12, 3, v3
	v_subrev_u32_e32 v14, 28, v13
	v_and_b32_e32 v12, 15, v12
	v_lshlrev_b32_e32 v14, v14, v3
	v_sub_u32_e32 v13, 29, v13
	v_and_b32_e32 v14, 7, v14
	v_cmp_eq_u16_e32 vcc, 0, v12
	v_cndmask_b32_e32 v6, v6, v14, vcc
	v_cndmask_b32_e32 v12, v12, v13, vcc
	v_lshlrev_b32_e32 v13, 24, v3
	v_mov_b32_e32 v14, 0x3b800000
	v_lshlrev_b32_e32 v6, 20, v6
	v_and_b32_e32 v13, 0x80000000, v13
	v_lshl_add_u32 v12, v12, 23, v14
	v_or3_b32 v6, v13, v12, v6
.LBB1_4392:
	s_or_b64 exec, exec, s[6:7]
	s_nop 0
	v_mfma_f32_16x16x4f32 a[0:3], v2, v6, a[0:3]
	v_lshrrev_b32_e32 v6, 8, v7
	s_movk_i32 s4, 0x7f
	v_cmp_gt_i16_sdwa s[6:7], v6, s4 src0_sel:BYTE_0 src1_sel:DWORD
	s_mov_b64 s[4:5], 0
                                        ; implicit-def: $sgpr10
	s_and_saveexec_b64 s[8:9], s[6:7]
	s_xor_b64 s[6:7], exec, s[8:9]
	s_cbranch_execz .LBB1_4393
; %bb.40233:
	s_getpc_b64 s[14:15]
.Lpost_getpc5780:
	s_add_u32 s14, s14, (.LBB1_18729-.Lpost_getpc5780)&4294967295
	s_addc_u32 s15, s15, (.LBB1_18729-.Lpost_getpc5780)>>32
	s_setpc_b64 s[14:15]
.LBB1_4393:
	s_or_saveexec_b64 s[6:7], s[6:7]
	v_mov_b32_e32 v2, s10
	s_xor_b64 exec, exec, s[6:7]
	s_cbranch_execz .LBB1_4394
; %bb.40235:
	s_getpc_b64 s[14:15]
.Lpost_getpc5781:
	s_add_u32 s14, s14, (.LBB1_18732-.Lpost_getpc5781)&4294967295
	s_addc_u32 s15, s15, (.LBB1_18732-.Lpost_getpc5781)>>32
	s_setpc_b64 s[14:15]
.LBB1_4394:
	s_or_b64 exec, exec, s[6:7]
	s_and_saveexec_b64 s[6:7], s[4:5]
	s_cbranch_execz .LBB1_4396
.LBB1_4395:
	v_bfe_u32 v2, v7, 8, 3
	v_ffbh_u32_e32 v13, v2
	v_min_u32_e32 v13, 32, v13
	v_lshrrev_b16_e32 v12, 3, v6
	v_subrev_u32_e32 v14, 28, v13
	v_and_b32_e32 v12, 15, v12
	v_lshlrev_b32_e32 v6, v14, v6
	v_sub_u32_e32 v13, 29, v13
	v_and_b32_e32 v6, 7, v6
	v_cmp_eq_u16_e32 vcc, 0, v12
	v_cndmask_b32_e32 v2, v2, v6, vcc
	v_cndmask_b32_e32 v6, v12, v13, vcc
	v_lshlrev_b32_e32 v12, 16, v7
	v_mov_b32_e32 v13, 0x3b800000
	v_lshlrev_b32_e32 v2, 20, v2
	v_and_b32_e32 v12, 0x80000000, v12
	v_lshl_add_u32 v6, v6, 23, v13
	v_or3_b32 v2, v12, v6, v2
.LBB1_4396:
	s_or_b64 exec, exec, s[6:7]
	v_lshrrev_b32_e32 v6, 8, v3
	s_movk_i32 s4, 0x7f
	v_cmp_gt_i16_sdwa s[6:7], v6, s4 src0_sel:BYTE_0 src1_sel:DWORD
	s_mov_b64 s[4:5], 0
                                        ; implicit-def: $sgpr10
	s_and_saveexec_b64 s[8:9], s[6:7]
	s_xor_b64 s[6:7], exec, s[8:9]
	s_cbranch_execz .LBB1_4397
; %bb.40237:
	s_getpc_b64 s[14:15]
.Lpost_getpc5782:
	s_add_u32 s14, s14, (.LBB1_18733-.Lpost_getpc5782)&4294967295
	s_addc_u32 s15, s15, (.LBB1_18733-.Lpost_getpc5782)>>32
	s_setpc_b64 s[14:15]
.LBB1_4397:
	s_or_saveexec_b64 s[6:7], s[6:7]
	v_mov_b32_e32 v12, s10
	s_xor_b64 exec, exec, s[6:7]
	s_cbranch_execz .LBB1_4398
; %bb.40239:
	s_getpc_b64 s[14:15]
.Lpost_getpc5783:
	s_add_u32 s14, s14, (.LBB1_18736-.Lpost_getpc5783)&4294967295
	s_addc_u32 s15, s15, (.LBB1_18736-.Lpost_getpc5783)>>32
	s_setpc_b64 s[14:15]
.LBB1_4398:
	s_or_b64 exec, exec, s[6:7]
	s_and_saveexec_b64 s[6:7], s[4:5]
	s_cbranch_execz .LBB1_4400
.LBB1_4399:
	v_bfe_u32 v12, v3, 8, 3
	v_ffbh_u32_e32 v14, v12
	v_min_u32_e32 v14, 32, v14
	v_lshrrev_b16_e32 v13, 3, v6
	v_subrev_u32_e32 v15, 28, v14
	v_and_b32_e32 v13, 15, v13
	v_lshlrev_b32_e32 v6, v15, v6
	v_sub_u32_e32 v14, 29, v14
	v_and_b32_e32 v6, 7, v6
	v_cmp_eq_u16_e32 vcc, 0, v13
	v_cndmask_b32_e32 v6, v12, v6, vcc
	v_cndmask_b32_e32 v12, v13, v14, vcc
	v_lshlrev_b32_e32 v13, 16, v3
	v_mov_b32_e32 v14, 0x3b800000
	v_lshlrev_b32_e32 v6, 20, v6
	v_and_b32_e32 v13, 0x80000000, v13
	v_lshl_add_u32 v12, v12, 23, v14
	v_or3_b32 v12, v13, v12, v6
.LBB1_4400:
	s_or_b64 exec, exec, s[6:7]
	s_nop 0
	v_mfma_f32_16x16x4f32 a[0:3], v2, v12, a[0:3]
	s_movk_i32 s4, 0xff
	v_and_b32_sdwa v6, v7, s4 dst_sel:DWORD dst_unused:UNUSED_PAD src0_sel:WORD_1 src1_sel:DWORD
	s_movk_i32 s4, 0x7f
	v_cmp_lt_i16_e32 vcc, s4, v6
	s_mov_b64 s[4:5], 0
                                        ; implicit-def: $sgpr10
	s_and_saveexec_b64 s[6:7], vcc
	s_xor_b64 s[6:7], exec, s[6:7]
	s_cbranch_execz .LBB1_4401
; %bb.40241:
	s_getpc_b64 s[14:15]
.Lpost_getpc5784:
	s_add_u32 s14, s14, (.LBB1_18737-.Lpost_getpc5784)&4294967295
	s_addc_u32 s15, s15, (.LBB1_18737-.Lpost_getpc5784)>>32
	s_setpc_b64 s[14:15]
.LBB1_4401:
	s_or_saveexec_b64 s[6:7], s[6:7]
	v_mov_b32_e32 v2, s10
	s_xor_b64 exec, exec, s[6:7]
	s_cbranch_execz .LBB1_4402
; %bb.40243:
	s_getpc_b64 s[14:15]
.Lpost_getpc5785:
	s_add_u32 s14, s14, (.LBB1_18740-.Lpost_getpc5785)&4294967295
	s_addc_u32 s15, s15, (.LBB1_18740-.Lpost_getpc5785)>>32
	s_setpc_b64 s[14:15]
.LBB1_4402:
	s_or_b64 exec, exec, s[6:7]
	s_and_saveexec_b64 s[6:7], s[4:5]
	s_cbranch_execz .LBB1_4404
.LBB1_4403:
	v_bfe_u32 v2, v7, 16, 3
	v_ffbh_u32_e32 v13, v2
	v_min_u32_e32 v13, 32, v13
	v_lshrrev_b32_e32 v6, 19, v7
	v_subrev_u32_e32 v14, 28, v13
	v_and_b32_e32 v6, 15, v6
	v_lshlrev_b32_sdwa v14, v14, v7 dst_sel:DWORD dst_unused:UNUSED_PAD src0_sel:DWORD src1_sel:WORD_1
	v_bfe_u32 v12, v7, 19, 4
	v_sub_u32_e32 v13, 29, v13
	v_and_b32_e32 v14, 7, v14
	v_cmp_eq_u16_e32 vcc, 0, v6
	v_cndmask_b32_e32 v2, v2, v14, vcc
	v_cndmask_b32_e32 v6, v12, v13, vcc
	v_lshlrev_b32_e32 v12, 8, v7
	v_mov_b32_e32 v13, 0x3b800000
	v_lshlrev_b32_e32 v2, 20, v2
	v_and_b32_e32 v12, 0x80000000, v12
	v_lshl_add_u32 v6, v6, 23, v13
	v_or3_b32 v2, v12, v6, v2
.LBB1_4404:
	s_or_b64 exec, exec, s[6:7]
	s_movk_i32 s4, 0xff
	v_and_b32_sdwa v6, v3, s4 dst_sel:DWORD dst_unused:UNUSED_PAD src0_sel:WORD_1 src1_sel:DWORD
	s_movk_i32 s4, 0x7f
	v_cmp_lt_i16_e32 vcc, s4, v6
	s_mov_b64 s[4:5], 0
                                        ; implicit-def: $sgpr10
	s_and_saveexec_b64 s[6:7], vcc
	s_xor_b64 s[6:7], exec, s[6:7]
	s_cbranch_execz .LBB1_4405
; %bb.40245:
	s_getpc_b64 s[14:15]
.Lpost_getpc5786:
	s_add_u32 s14, s14, (.LBB1_18741-.Lpost_getpc5786)&4294967295
	s_addc_u32 s15, s15, (.LBB1_18741-.Lpost_getpc5786)>>32
	s_setpc_b64 s[14:15]
.LBB1_4405:
	s_or_saveexec_b64 s[6:7], s[6:7]
	v_mov_b32_e32 v12, s10
	s_xor_b64 exec, exec, s[6:7]
	s_cbranch_execz .LBB1_4406
; %bb.40247:
	s_getpc_b64 s[14:15]
.Lpost_getpc5787:
	s_add_u32 s14, s14, (.LBB1_18744-.Lpost_getpc5787)&4294967295
	s_addc_u32 s15, s15, (.LBB1_18744-.Lpost_getpc5787)>>32
	s_setpc_b64 s[14:15]
.LBB1_4406:
	s_or_b64 exec, exec, s[6:7]
	s_and_saveexec_b64 s[6:7], s[4:5]
	s_cbranch_execz .LBB1_4408
.LBB1_4407:
	v_bfe_u32 v6, v3, 16, 3
	v_ffbh_u32_e32 v14, v6
	v_min_u32_e32 v14, 32, v14
	v_lshrrev_b32_e32 v12, 19, v3
	v_subrev_u32_e32 v15, 28, v14
	v_and_b32_e32 v12, 15, v12
	v_lshlrev_b32_sdwa v15, v15, v3 dst_sel:DWORD dst_unused:UNUSED_PAD src0_sel:DWORD src1_sel:WORD_1
	v_bfe_u32 v13, v3, 19, 4
	v_sub_u32_e32 v14, 29, v14
	v_and_b32_e32 v15, 7, v15
	v_cmp_eq_u16_e32 vcc, 0, v12
	v_cndmask_b32_e32 v6, v6, v15, vcc
	v_cndmask_b32_e32 v12, v13, v14, vcc
	v_lshlrev_b32_e32 v13, 8, v3
	v_mov_b32_e32 v14, 0x3b800000
	v_lshlrev_b32_e32 v6, 20, v6
	v_and_b32_e32 v13, 0x80000000, v13
	v_lshl_add_u32 v12, v12, 23, v14
	v_or3_b32 v12, v13, v12, v6
.LBB1_4408:
	s_or_b64 exec, exec, s[6:7]
	s_nop 0
	v_mfma_f32_16x16x4f32 a[0:3], v2, v12, a[0:3]
	s_movk_i32 s4, 0x7f
	v_cmp_gt_i16_sdwa s[6:7], v7, s4 src0_sel:BYTE_3 src1_sel:DWORD
	s_mov_b64 s[4:5], 0
                                        ; implicit-def: $sgpr10
	s_and_saveexec_b64 s[8:9], s[6:7]
	s_xor_b64 s[6:7], exec, s[8:9]
	s_cbranch_execz .LBB1_4409
; %bb.40249:
	s_getpc_b64 s[14:15]
.Lpost_getpc5788:
	s_add_u32 s14, s14, (.LBB1_18745-.Lpost_getpc5788)&4294967295
	s_addc_u32 s15, s15, (.LBB1_18745-.Lpost_getpc5788)>>32
	s_setpc_b64 s[14:15]
.LBB1_4409:
	s_or_saveexec_b64 s[6:7], s[6:7]
	v_mov_b32_e32 v2, s10
	s_xor_b64 exec, exec, s[6:7]
	s_cbranch_execz .LBB1_4410
; %bb.40251:
	s_getpc_b64 s[14:15]
.Lpost_getpc5789:
	s_add_u32 s14, s14, (.LBB1_18748-.Lpost_getpc5789)&4294967295
	s_addc_u32 s15, s15, (.LBB1_18748-.Lpost_getpc5789)>>32
	s_setpc_b64 s[14:15]
.LBB1_4410:
	s_or_b64 exec, exec, s[6:7]
	s_and_saveexec_b64 s[6:7], s[4:5]
	s_cbranch_execz .LBB1_4412
.LBB1_4411:
	v_bfe_u32 v2, v7, 24, 3
	v_ffbh_u32_e32 v14, v2
	v_min_u32_e32 v14, 32, v14
	v_lshrrev_b32_e32 v12, 27, v7
	v_subrev_u32_e32 v15, 28, v14
	v_and_b32_e32 v6, 0x80000000, v7
	v_and_b32_e32 v12, 15, v12
	v_bfe_u32 v13, v7, 27, 4
	v_lshlrev_b32_sdwa v7, v15, v7 dst_sel:DWORD dst_unused:UNUSED_PAD src0_sel:DWORD src1_sel:BYTE_3
	v_sub_u32_e32 v14, 29, v14
	v_and_b32_e32 v7, 7, v7
	v_cmp_eq_u16_e32 vcc, 0, v12
	v_cndmask_b32_e32 v2, v2, v7, vcc
	v_cndmask_b32_e32 v7, v13, v14, vcc
	v_mov_b32_e32 v12, 0x3b800000
	v_lshlrev_b32_e32 v2, 20, v2
	v_lshl_add_u32 v7, v7, 23, v12
	v_or3_b32 v2, v6, v7, v2
.LBB1_4412:
	s_or_b64 exec, exec, s[6:7]
	s_movk_i32 s4, 0x7f
	v_cmp_gt_i16_sdwa s[6:7], v3, s4 src0_sel:BYTE_3 src1_sel:DWORD
	s_mov_b64 s[4:5], 0
                                        ; implicit-def: $sgpr10
	s_and_saveexec_b64 s[8:9], s[6:7]
	s_xor_b64 s[6:7], exec, s[8:9]
	s_cbranch_execz .LBB1_4413
; %bb.40253:
	s_getpc_b64 s[14:15]
.Lpost_getpc5790:
	s_add_u32 s14, s14, (.LBB1_18749-.Lpost_getpc5790)&4294967295
	s_addc_u32 s15, s15, (.LBB1_18749-.Lpost_getpc5790)>>32
	s_setpc_b64 s[14:15]
.LBB1_4413:
	s_or_saveexec_b64 s[6:7], s[6:7]
	v_mov_b32_e32 v6, s10
	s_xor_b64 exec, exec, s[6:7]
	s_cbranch_execz .LBB1_4414
; %bb.40255:
	s_getpc_b64 s[14:15]
.Lpost_getpc5791:
	s_add_u32 s14, s14, (.LBB1_18752-.Lpost_getpc5791)&4294967295
	s_addc_u32 s15, s15, (.LBB1_18752-.Lpost_getpc5791)>>32
	s_setpc_b64 s[14:15]
.LBB1_4414:
	s_or_b64 exec, exec, s[6:7]
	s_and_saveexec_b64 s[6:7], s[4:5]
	s_cbranch_execz .LBB1_4416
.LBB1_4415:
	v_bfe_u32 v6, v3, 24, 3
	v_ffbh_u32_e32 v14, v6
	v_min_u32_e32 v14, 32, v14
	v_lshrrev_b32_e32 v12, 27, v3
	v_subrev_u32_e32 v15, 28, v14
	v_and_b32_e32 v7, 0x80000000, v3
	v_and_b32_e32 v12, 15, v12
	v_bfe_u32 v13, v3, 27, 4
	v_lshlrev_b32_sdwa v3, v15, v3 dst_sel:DWORD dst_unused:UNUSED_PAD src0_sel:DWORD src1_sel:BYTE_3
	v_sub_u32_e32 v14, 29, v14
	v_and_b32_e32 v3, 7, v3
	v_cmp_eq_u16_e32 vcc, 0, v12
	v_cndmask_b32_e32 v3, v6, v3, vcc
	v_cndmask_b32_e32 v6, v13, v14, vcc
	v_mov_b32_e32 v12, 0x3b800000
	v_lshlrev_b32_e32 v3, 20, v3
	v_lshl_add_u32 v6, v6, 23, v12
	v_or3_b32 v6, v7, v6, v3
.LBB1_4416:
	s_or_b64 exec, exec, s[6:7]
	s_nop 0
	v_mfma_f32_16x16x4f32 a[0:3], v2, v6, a[0:3]
	s_movk_i32 s4, 0x7f
	v_cmp_gt_i16_sdwa s[6:7], v8, s4 src0_sel:BYTE_0 src1_sel:DWORD
	s_mov_b64 s[4:5], 0
                                        ; implicit-def: $sgpr10
	s_and_saveexec_b64 s[8:9], s[6:7]
	s_xor_b64 s[6:7], exec, s[8:9]
	s_cbranch_execz .LBB1_4417
; %bb.40257:
	s_getpc_b64 s[14:15]
.Lpost_getpc5792:
	s_add_u32 s14, s14, (.LBB1_18753-.Lpost_getpc5792)&4294967295
	s_addc_u32 s15, s15, (.LBB1_18753-.Lpost_getpc5792)>>32
	s_setpc_b64 s[14:15]
.LBB1_4417:
	s_or_saveexec_b64 s[6:7], s[6:7]
	v_mov_b32_e32 v2, s10
	s_xor_b64 exec, exec, s[6:7]
	s_cbranch_execz .LBB1_4418
; %bb.40259:
	s_getpc_b64 s[14:15]
.Lpost_getpc5793:
	s_add_u32 s14, s14, (.LBB1_18756-.Lpost_getpc5793)&4294967295
	s_addc_u32 s15, s15, (.LBB1_18756-.Lpost_getpc5793)>>32
	s_setpc_b64 s[14:15]
.LBB1_4418:
	s_or_b64 exec, exec, s[6:7]
	s_and_saveexec_b64 s[6:7], s[4:5]
	s_cbranch_execz .LBB1_4420
.LBB1_4419:
	v_and_b32_e32 v2, 7, v8
	v_ffbh_u32_e32 v6, v2
	v_min_u32_e32 v6, 32, v6
	v_lshrrev_b16_e32 v3, 3, v8
	v_subrev_u32_e32 v7, 28, v6
	v_and_b32_e32 v3, 15, v3
	v_lshlrev_b32_e32 v7, v7, v8
	v_sub_u32_e32 v6, 29, v6
	v_and_b32_e32 v7, 7, v7
	v_cmp_eq_u16_e32 vcc, 0, v3
	v_cndmask_b32_e32 v2, v2, v7, vcc
	v_cndmask_b32_e32 v3, v3, v6, vcc
	v_lshlrev_b32_e32 v6, 24, v8
	v_mov_b32_e32 v7, 0x3b800000
	v_lshlrev_b32_e32 v2, 20, v2
	v_and_b32_e32 v6, 0x80000000, v6
	v_lshl_add_u32 v3, v3, 23, v7
	v_or3_b32 v2, v6, v3, v2
.LBB1_4420:
	s_or_b64 exec, exec, s[6:7]
	s_movk_i32 s4, 0x7f
	v_cmp_gt_i16_sdwa s[6:7], v4, s4 src0_sel:BYTE_0 src1_sel:DWORD
	s_mov_b64 s[4:5], 0
                                        ; implicit-def: $sgpr10
	s_and_saveexec_b64 s[8:9], s[6:7]
	s_xor_b64 s[6:7], exec, s[8:9]
	s_cbranch_execz .LBB1_4421
; %bb.40261:
	s_getpc_b64 s[14:15]
.Lpost_getpc5794:
	s_add_u32 s14, s14, (.LBB1_18757-.Lpost_getpc5794)&4294967295
	s_addc_u32 s15, s15, (.LBB1_18757-.Lpost_getpc5794)>>32
	s_setpc_b64 s[14:15]
.LBB1_4421:
	s_or_saveexec_b64 s[6:7], s[6:7]
	v_mov_b32_e32 v3, s10
	s_xor_b64 exec, exec, s[6:7]
	s_cbranch_execz .LBB1_4422
; %bb.40263:
	s_getpc_b64 s[14:15]
.Lpost_getpc5795:
	s_add_u32 s14, s14, (.LBB1_18760-.Lpost_getpc5795)&4294967295
	s_addc_u32 s15, s15, (.LBB1_18760-.Lpost_getpc5795)>>32
	s_setpc_b64 s[14:15]
.LBB1_4422:
	s_or_b64 exec, exec, s[6:7]
	s_and_saveexec_b64 s[6:7], s[4:5]
	s_cbranch_execz .LBB1_4424
.LBB1_4423:
	v_and_b32_e32 v3, 7, v4
	v_ffbh_u32_e32 v7, v3
	v_min_u32_e32 v7, 32, v7
	v_lshrrev_b16_e32 v6, 3, v4
	v_subrev_u32_e32 v12, 28, v7
	v_and_b32_e32 v6, 15, v6
	v_lshlrev_b32_e32 v12, v12, v4
	v_sub_u32_e32 v7, 29, v7
	v_and_b32_e32 v12, 7, v12
	v_cmp_eq_u16_e32 vcc, 0, v6
	v_cndmask_b32_e32 v3, v3, v12, vcc
	v_cndmask_b32_e32 v6, v6, v7, vcc
	v_lshlrev_b32_e32 v7, 24, v4
	v_mov_b32_e32 v12, 0x3b800000
	v_lshlrev_b32_e32 v3, 20, v3
	v_and_b32_e32 v7, 0x80000000, v7
	v_lshl_add_u32 v6, v6, 23, v12
	v_or3_b32 v3, v7, v6, v3
.LBB1_4424:
	s_or_b64 exec, exec, s[6:7]
	s_nop 0
	v_mfma_f32_16x16x4f32 a[0:3], v2, v3, a[0:3]
	v_lshrrev_b32_e32 v3, 8, v8
	s_movk_i32 s4, 0x7f
	v_cmp_gt_i16_sdwa s[6:7], v3, s4 src0_sel:BYTE_0 src1_sel:DWORD
	s_mov_b64 s[4:5], 0
                                        ; implicit-def: $sgpr10
	s_and_saveexec_b64 s[8:9], s[6:7]
	s_xor_b64 s[6:7], exec, s[8:9]
	s_cbranch_execz .LBB1_4425
; %bb.40265:
	s_getpc_b64 s[14:15]
.Lpost_getpc5796:
	s_add_u32 s14, s14, (.LBB1_18761-.Lpost_getpc5796)&4294967295
	s_addc_u32 s15, s15, (.LBB1_18761-.Lpost_getpc5796)>>32
	s_setpc_b64 s[14:15]
.LBB1_4425:
	s_or_saveexec_b64 s[6:7], s[6:7]
	v_mov_b32_e32 v2, s10
	s_xor_b64 exec, exec, s[6:7]
	s_cbranch_execz .LBB1_4426
; %bb.40267:
	s_getpc_b64 s[14:15]
.Lpost_getpc5797:
	s_add_u32 s14, s14, (.LBB1_18764-.Lpost_getpc5797)&4294967295
	s_addc_u32 s15, s15, (.LBB1_18764-.Lpost_getpc5797)>>32
	s_setpc_b64 s[14:15]
.LBB1_4426:
	s_or_b64 exec, exec, s[6:7]
	s_and_saveexec_b64 s[6:7], s[4:5]
	s_cbranch_execz .LBB1_4428
.LBB1_4427:
	v_bfe_u32 v2, v8, 8, 3
	v_ffbh_u32_e32 v7, v2
	v_min_u32_e32 v7, 32, v7
	v_lshrrev_b16_e32 v6, 3, v3
	v_subrev_u32_e32 v12, 28, v7
	v_and_b32_e32 v6, 15, v6
	v_lshlrev_b32_e32 v3, v12, v3
	v_sub_u32_e32 v7, 29, v7
	v_and_b32_e32 v3, 7, v3
	v_cmp_eq_u16_e32 vcc, 0, v6
	v_cndmask_b32_e32 v2, v2, v3, vcc
	v_cndmask_b32_e32 v3, v6, v7, vcc
	v_lshlrev_b32_e32 v6, 16, v8
	v_mov_b32_e32 v7, 0x3b800000
	v_lshlrev_b32_e32 v2, 20, v2
	v_and_b32_e32 v6, 0x80000000, v6
	v_lshl_add_u32 v3, v3, 23, v7
	v_or3_b32 v2, v6, v3, v2
.LBB1_4428:
	s_or_b64 exec, exec, s[6:7]
	v_lshrrev_b32_e32 v3, 8, v4
	s_movk_i32 s4, 0x7f
	v_cmp_gt_i16_sdwa s[6:7], v3, s4 src0_sel:BYTE_0 src1_sel:DWORD
	s_mov_b64 s[4:5], 0
                                        ; implicit-def: $sgpr10
	s_and_saveexec_b64 s[8:9], s[6:7]
	s_xor_b64 s[6:7], exec, s[8:9]
	s_cbranch_execz .LBB1_4429
; %bb.40269:
	s_getpc_b64 s[14:15]
.Lpost_getpc5798:
	s_add_u32 s14, s14, (.LBB1_18765-.Lpost_getpc5798)&4294967295
	s_addc_u32 s15, s15, (.LBB1_18765-.Lpost_getpc5798)>>32
	s_setpc_b64 s[14:15]
.LBB1_4429:
	s_or_saveexec_b64 s[6:7], s[6:7]
	v_mov_b32_e32 v6, s10
	s_xor_b64 exec, exec, s[6:7]
	s_cbranch_execz .LBB1_4430
; %bb.40271:
	s_getpc_b64 s[14:15]
.Lpost_getpc5799:
	s_add_u32 s14, s14, (.LBB1_18768-.Lpost_getpc5799)&4294967295
	s_addc_u32 s15, s15, (.LBB1_18768-.Lpost_getpc5799)>>32
	s_setpc_b64 s[14:15]
.LBB1_4430:
	s_or_b64 exec, exec, s[6:7]
	s_and_saveexec_b64 s[6:7], s[4:5]
	s_cbranch_execz .LBB1_4432
.LBB1_4431:
	v_bfe_u32 v6, v4, 8, 3
	v_ffbh_u32_e32 v12, v6
	v_min_u32_e32 v12, 32, v12
	v_lshrrev_b16_e32 v7, 3, v3
	v_subrev_u32_e32 v13, 28, v12
	v_and_b32_e32 v7, 15, v7
	v_lshlrev_b32_e32 v3, v13, v3
	v_sub_u32_e32 v12, 29, v12
	v_and_b32_e32 v3, 7, v3
	v_cmp_eq_u16_e32 vcc, 0, v7
	v_cndmask_b32_e32 v3, v6, v3, vcc
	v_cndmask_b32_e32 v6, v7, v12, vcc
	v_lshlrev_b32_e32 v7, 16, v4
	v_mov_b32_e32 v12, 0x3b800000
	v_lshlrev_b32_e32 v3, 20, v3
	v_and_b32_e32 v7, 0x80000000, v7
	v_lshl_add_u32 v6, v6, 23, v12
	v_or3_b32 v6, v7, v6, v3
.LBB1_4432:
	s_or_b64 exec, exec, s[6:7]
	s_nop 0
	v_mfma_f32_16x16x4f32 a[0:3], v2, v6, a[0:3]
	s_movk_i32 s4, 0xff
	v_and_b32_sdwa v3, v8, s4 dst_sel:DWORD dst_unused:UNUSED_PAD src0_sel:WORD_1 src1_sel:DWORD
	s_movk_i32 s4, 0x7f
	v_cmp_lt_i16_e32 vcc, s4, v3
	s_mov_b64 s[4:5], 0
                                        ; implicit-def: $sgpr10
	s_and_saveexec_b64 s[6:7], vcc
	s_xor_b64 s[6:7], exec, s[6:7]
	s_cbranch_execz .LBB1_4433
; %bb.40273:
	s_getpc_b64 s[14:15]
.Lpost_getpc5800:
	s_add_u32 s14, s14, (.LBB1_18769-.Lpost_getpc5800)&4294967295
	s_addc_u32 s15, s15, (.LBB1_18769-.Lpost_getpc5800)>>32
	s_setpc_b64 s[14:15]
.LBB1_4433:
	s_or_saveexec_b64 s[6:7], s[6:7]
	v_mov_b32_e32 v2, s10
	s_xor_b64 exec, exec, s[6:7]
	s_cbranch_execz .LBB1_4434
; %bb.40275:
	s_getpc_b64 s[14:15]
.Lpost_getpc5801:
	s_add_u32 s14, s14, (.LBB1_18772-.Lpost_getpc5801)&4294967295
	s_addc_u32 s15, s15, (.LBB1_18772-.Lpost_getpc5801)>>32
	s_setpc_b64 s[14:15]
.LBB1_4434:
	s_or_b64 exec, exec, s[6:7]
	s_and_saveexec_b64 s[6:7], s[4:5]
	s_cbranch_execz .LBB1_4436
.LBB1_4435:
	v_bfe_u32 v2, v8, 16, 3
	v_ffbh_u32_e32 v7, v2
	v_min_u32_e32 v7, 32, v7
	v_lshrrev_b32_e32 v3, 19, v8
	v_subrev_u32_e32 v12, 28, v7
	v_and_b32_e32 v3, 15, v3
	v_lshlrev_b32_sdwa v12, v12, v8 dst_sel:DWORD dst_unused:UNUSED_PAD src0_sel:DWORD src1_sel:WORD_1
	v_bfe_u32 v6, v8, 19, 4
	v_sub_u32_e32 v7, 29, v7
	v_and_b32_e32 v12, 7, v12
	v_cmp_eq_u16_e32 vcc, 0, v3
	v_cndmask_b32_e32 v2, v2, v12, vcc
	v_cndmask_b32_e32 v3, v6, v7, vcc
	v_lshlrev_b32_e32 v6, 8, v8
	v_mov_b32_e32 v7, 0x3b800000
	v_lshlrev_b32_e32 v2, 20, v2
	v_and_b32_e32 v6, 0x80000000, v6
	v_lshl_add_u32 v3, v3, 23, v7
	v_or3_b32 v2, v6, v3, v2
.LBB1_4436:
	s_or_b64 exec, exec, s[6:7]
	s_movk_i32 s4, 0xff
	v_and_b32_sdwa v3, v4, s4 dst_sel:DWORD dst_unused:UNUSED_PAD src0_sel:WORD_1 src1_sel:DWORD
	s_movk_i32 s4, 0x7f
	v_cmp_lt_i16_e32 vcc, s4, v3
	s_mov_b64 s[4:5], 0
                                        ; implicit-def: $sgpr10
	s_and_saveexec_b64 s[6:7], vcc
	s_xor_b64 s[6:7], exec, s[6:7]
	s_cbranch_execz .LBB1_4437
; %bb.40277:
	s_getpc_b64 s[14:15]
.Lpost_getpc5802:
	s_add_u32 s14, s14, (.LBB1_18773-.Lpost_getpc5802)&4294967295
	s_addc_u32 s15, s15, (.LBB1_18773-.Lpost_getpc5802)>>32
	s_setpc_b64 s[14:15]
.LBB1_4437:
	s_or_saveexec_b64 s[6:7], s[6:7]
	v_mov_b32_e32 v6, s10
	s_xor_b64 exec, exec, s[6:7]
	s_cbranch_execz .LBB1_4438
; %bb.40279:
	s_getpc_b64 s[14:15]
.Lpost_getpc5803:
	s_add_u32 s14, s14, (.LBB1_18776-.Lpost_getpc5803)&4294967295
	s_addc_u32 s15, s15, (.LBB1_18776-.Lpost_getpc5803)>>32
	s_setpc_b64 s[14:15]
.LBB1_4438:
	s_or_b64 exec, exec, s[6:7]
	s_and_saveexec_b64 s[6:7], s[4:5]
	s_cbranch_execz .LBB1_4440
.LBB1_4439:
	v_bfe_u32 v3, v4, 16, 3
	v_ffbh_u32_e32 v12, v3
	v_min_u32_e32 v12, 32, v12
	v_lshrrev_b32_e32 v6, 19, v4
	v_subrev_u32_e32 v13, 28, v12
	v_and_b32_e32 v6, 15, v6
	v_lshlrev_b32_sdwa v13, v13, v4 dst_sel:DWORD dst_unused:UNUSED_PAD src0_sel:DWORD src1_sel:WORD_1
	v_bfe_u32 v7, v4, 19, 4
	v_sub_u32_e32 v12, 29, v12
	v_and_b32_e32 v13, 7, v13
	v_cmp_eq_u16_e32 vcc, 0, v6
	v_cndmask_b32_e32 v3, v3, v13, vcc
	v_cndmask_b32_e32 v6, v7, v12, vcc
	v_lshlrev_b32_e32 v7, 8, v4
	v_mov_b32_e32 v12, 0x3b800000
	v_lshlrev_b32_e32 v3, 20, v3
	v_and_b32_e32 v7, 0x80000000, v7
	v_lshl_add_u32 v6, v6, 23, v12
	v_or3_b32 v6, v7, v6, v3
.LBB1_4440:
	s_or_b64 exec, exec, s[6:7]
	s_nop 0
	v_mfma_f32_16x16x4f32 a[0:3], v2, v6, a[0:3]
	s_movk_i32 s4, 0x7f
	v_cmp_gt_i16_sdwa s[6:7], v8, s4 src0_sel:BYTE_3 src1_sel:DWORD
	s_mov_b64 s[4:5], 0
                                        ; implicit-def: $sgpr10
	s_and_saveexec_b64 s[8:9], s[6:7]
	s_xor_b64 s[6:7], exec, s[8:9]
	s_cbranch_execz .LBB1_4441
; %bb.40281:
	s_getpc_b64 s[14:15]
.Lpost_getpc5804:
	s_add_u32 s14, s14, (.LBB1_18777-.Lpost_getpc5804)&4294967295
	s_addc_u32 s15, s15, (.LBB1_18777-.Lpost_getpc5804)>>32
	s_setpc_b64 s[14:15]
.LBB1_4441:
	s_or_saveexec_b64 s[6:7], s[6:7]
	v_mov_b32_e32 v2, s10
	s_xor_b64 exec, exec, s[6:7]
	s_cbranch_execz .LBB1_4442
; %bb.40283:
	s_getpc_b64 s[14:15]
.Lpost_getpc5805:
	s_add_u32 s14, s14, (.LBB1_18780-.Lpost_getpc5805)&4294967295
	s_addc_u32 s15, s15, (.LBB1_18780-.Lpost_getpc5805)>>32
	s_setpc_b64 s[14:15]
.LBB1_4442:
	s_or_b64 exec, exec, s[6:7]
	s_and_saveexec_b64 s[6:7], s[4:5]
	s_cbranch_execz .LBB1_4444
.LBB1_4443:
	v_bfe_u32 v2, v8, 24, 3
	v_ffbh_u32_e32 v12, v2
	v_min_u32_e32 v12, 32, v12
	v_lshrrev_b32_e32 v6, 27, v8
	v_subrev_u32_e32 v13, 28, v12
	v_and_b32_e32 v3, 0x80000000, v8
	v_and_b32_e32 v6, 15, v6
	v_bfe_u32 v7, v8, 27, 4
	v_lshlrev_b32_sdwa v8, v13, v8 dst_sel:DWORD dst_unused:UNUSED_PAD src0_sel:DWORD src1_sel:BYTE_3
	v_sub_u32_e32 v12, 29, v12
	v_and_b32_e32 v8, 7, v8
	v_cmp_eq_u16_e32 vcc, 0, v6
	v_cndmask_b32_e32 v2, v2, v8, vcc
	v_cndmask_b32_e32 v6, v7, v12, vcc
	v_mov_b32_e32 v7, 0x3b800000
	v_lshlrev_b32_e32 v2, 20, v2
	v_lshl_add_u32 v6, v6, 23, v7
	v_or3_b32 v2, v3, v6, v2
.LBB1_4444:
	s_or_b64 exec, exec, s[6:7]
	s_movk_i32 s4, 0x7f
	v_cmp_gt_i16_sdwa s[6:7], v4, s4 src0_sel:BYTE_3 src1_sel:DWORD
	s_mov_b64 s[4:5], 0
                                        ; implicit-def: $sgpr10
	s_and_saveexec_b64 s[8:9], s[6:7]
	s_xor_b64 s[6:7], exec, s[8:9]
	s_cbranch_execz .LBB1_4445
; %bb.40285:
	s_getpc_b64 s[14:15]
.Lpost_getpc5806:
	s_add_u32 s14, s14, (.LBB1_18781-.Lpost_getpc5806)&4294967295
	s_addc_u32 s15, s15, (.LBB1_18781-.Lpost_getpc5806)>>32
	s_setpc_b64 s[14:15]
.LBB1_4445:
	s_or_saveexec_b64 s[6:7], s[6:7]
	v_mov_b32_e32 v3, s10
	s_xor_b64 exec, exec, s[6:7]
	s_cbranch_execz .LBB1_4446
; %bb.40287:
	s_getpc_b64 s[14:15]
.Lpost_getpc5807:
	s_add_u32 s14, s14, (.LBB1_18784-.Lpost_getpc5807)&4294967295
	s_addc_u32 s15, s15, (.LBB1_18784-.Lpost_getpc5807)>>32
	s_setpc_b64 s[14:15]
.LBB1_4446:
	s_or_b64 exec, exec, s[6:7]
	s_and_saveexec_b64 s[6:7], s[4:5]
	s_cbranch_execz .LBB1_4448
.LBB1_4447:
	v_bfe_u32 v3, v4, 24, 3
	v_ffbh_u32_e32 v12, v3
	v_min_u32_e32 v12, 32, v12
	v_lshrrev_b32_e32 v7, 27, v4
	v_subrev_u32_e32 v13, 28, v12
	v_and_b32_e32 v6, 0x80000000, v4
	v_and_b32_e32 v7, 15, v7
	v_bfe_u32 v8, v4, 27, 4
	v_lshlrev_b32_sdwa v4, v13, v4 dst_sel:DWORD dst_unused:UNUSED_PAD src0_sel:DWORD src1_sel:BYTE_3
	v_sub_u32_e32 v12, 29, v12
	v_and_b32_e32 v4, 7, v4
	v_cmp_eq_u16_e32 vcc, 0, v7
	v_cndmask_b32_e32 v3, v3, v4, vcc
	v_cndmask_b32_e32 v4, v8, v12, vcc
	v_mov_b32_e32 v7, 0x3b800000
	v_lshlrev_b32_e32 v3, 20, v3
	v_lshl_add_u32 v4, v4, 23, v7
	v_or3_b32 v3, v6, v4, v3
.LBB1_4448:
	s_or_b64 exec, exec, s[6:7]
	s_nop 0
	v_mfma_f32_16x16x4f32 a[0:3], v2, v3, a[0:3]
	s_movk_i32 s4, 0x7f
	v_cmp_gt_i16_sdwa s[6:7], v9, s4 src0_sel:BYTE_0 src1_sel:DWORD
	s_mov_b64 s[4:5], 0
                                        ; implicit-def: $sgpr10
	s_and_saveexec_b64 s[8:9], s[6:7]
	s_xor_b64 s[6:7], exec, s[8:9]
	s_cbranch_execz .LBB1_4449
; %bb.40289:
	s_getpc_b64 s[14:15]
.Lpost_getpc5808:
	s_add_u32 s14, s14, (.LBB1_18785-.Lpost_getpc5808)&4294967295
	s_addc_u32 s15, s15, (.LBB1_18785-.Lpost_getpc5808)>>32
	s_setpc_b64 s[14:15]
.LBB1_4449:
	s_or_saveexec_b64 s[6:7], s[6:7]
	v_mov_b32_e32 v2, s10
	s_xor_b64 exec, exec, s[6:7]
	s_cbranch_execz .LBB1_4450
; %bb.40291:
	s_getpc_b64 s[14:15]
.Lpost_getpc5809:
	s_add_u32 s14, s14, (.LBB1_18788-.Lpost_getpc5809)&4294967295
	s_addc_u32 s15, s15, (.LBB1_18788-.Lpost_getpc5809)>>32
	s_setpc_b64 s[14:15]
.LBB1_4450:
	s_or_b64 exec, exec, s[6:7]
	s_and_saveexec_b64 s[6:7], s[4:5]
	s_cbranch_execz .LBB1_4452
.LBB1_4451:
	v_mov_b32_e32 v2, 8
	v_and_b32_e32 v3, 7, v9
	v_lshrrev_b32_sdwa v2, v2, v9 dst_sel:BYTE_1 dst_unused:UNUSED_PAD src0_sel:DWORD src1_sel:DWORD
	v_ffbh_u32_e32 v4, v3
	v_or_b32_sdwa v2, v9, v2 dst_sel:DWORD dst_unused:UNUSED_PAD src0_sel:BYTE_0 src1_sel:DWORD
	v_min_u32_e32 v4, 32, v4
	v_lshrrev_b16_e32 v2, 3, v2
	v_subrev_u32_e32 v6, 28, v4
	v_and_b32_e32 v2, 15, v2
	v_lshlrev_b32_e32 v6, v6, v9
	v_sub_u32_e32 v4, 29, v4
	v_and_b32_e32 v6, 7, v6
	v_cmp_eq_u16_e32 vcc, 0, v2
	v_cndmask_b32_e32 v3, v3, v6, vcc
	v_cndmask_b32_e32 v2, v2, v4, vcc
	v_lshlrev_b32_e32 v4, 24, v9
	v_mov_b32_e32 v6, 0x3b800000
	v_lshlrev_b32_e32 v3, 20, v3
	v_and_b32_e32 v4, 0x80000000, v4
	v_lshl_add_u32 v2, v2, 23, v6
	v_or3_b32 v2, v4, v2, v3
.LBB1_4452:
	s_or_b64 exec, exec, s[6:7]
	s_movk_i32 s4, 0x7f
	v_cmp_gt_i16_sdwa s[6:7], v5, s4 src0_sel:BYTE_0 src1_sel:DWORD
	s_mov_b64 s[4:5], 0
                                        ; implicit-def: $sgpr10
	s_and_saveexec_b64 s[8:9], s[6:7]
	s_xor_b64 s[6:7], exec, s[8:9]
	s_cbranch_execz .LBB1_4453
; %bb.40293:
	s_getpc_b64 s[14:15]
.Lpost_getpc5810:
	s_add_u32 s14, s14, (.LBB1_18789-.Lpost_getpc5810)&4294967295
	s_addc_u32 s15, s15, (.LBB1_18789-.Lpost_getpc5810)>>32
	s_setpc_b64 s[14:15]
.LBB1_4453:
	s_or_saveexec_b64 s[6:7], s[6:7]
	v_mov_b32_e32 v3, s10
	s_xor_b64 exec, exec, s[6:7]
	s_cbranch_execz .LBB1_4454
; %bb.40295:
	s_getpc_b64 s[14:15]
.Lpost_getpc5811:
	s_add_u32 s14, s14, (.LBB1_18792-.Lpost_getpc5811)&4294967295
	s_addc_u32 s15, s15, (.LBB1_18792-.Lpost_getpc5811)>>32
	s_setpc_b64 s[14:15]
.LBB1_4454:
	s_or_b64 exec, exec, s[6:7]
	s_and_saveexec_b64 s[6:7], s[4:5]
	s_cbranch_execz .LBB1_4456
.LBB1_4455:
	v_mov_b32_e32 v3, 8
	v_and_b32_e32 v4, 7, v5
	v_lshrrev_b32_sdwa v3, v3, v5 dst_sel:BYTE_1 dst_unused:UNUSED_PAD src0_sel:DWORD src1_sel:DWORD
	v_ffbh_u32_e32 v6, v4
	v_or_b32_sdwa v3, v5, v3 dst_sel:DWORD dst_unused:UNUSED_PAD src0_sel:BYTE_0 src1_sel:DWORD
	v_min_u32_e32 v6, 32, v6
	v_lshrrev_b16_e32 v3, 3, v3
	v_subrev_u32_e32 v7, 28, v6
	v_and_b32_e32 v3, 15, v3
	v_lshlrev_b32_e32 v7, v7, v5
	v_sub_u32_e32 v6, 29, v6
	v_and_b32_e32 v7, 7, v7
	v_cmp_eq_u16_e32 vcc, 0, v3
	v_cndmask_b32_e32 v4, v4, v7, vcc
	v_cndmask_b32_e32 v3, v3, v6, vcc
	v_lshlrev_b32_e32 v6, 24, v5
	v_mov_b32_e32 v7, 0x3b800000
	v_lshlrev_b32_e32 v4, 20, v4
	v_and_b32_e32 v6, 0x80000000, v6
	v_lshl_add_u32 v3, v3, 23, v7
	v_or3_b32 v3, v6, v3, v4
.LBB1_4456:
	s_or_b64 exec, exec, s[6:7]
	s_nop 0
	v_mfma_f32_16x16x4f32 a[0:3], v2, v3, a[0:3]
	v_lshrrev_b32_e32 v3, 8, v9
	s_movk_i32 s4, 0x7f
	v_cmp_gt_i16_sdwa s[6:7], v3, s4 src0_sel:BYTE_0 src1_sel:DWORD
	s_mov_b64 s[4:5], 0
                                        ; implicit-def: $sgpr10
	s_and_saveexec_b64 s[8:9], s[6:7]
	s_xor_b64 s[6:7], exec, s[8:9]
	s_cbranch_execz .LBB1_4457
; %bb.40297:
	s_getpc_b64 s[14:15]
.Lpost_getpc5812:
	s_add_u32 s14, s14, (.LBB1_18793-.Lpost_getpc5812)&4294967295
	s_addc_u32 s15, s15, (.LBB1_18793-.Lpost_getpc5812)>>32
	s_setpc_b64 s[14:15]
.LBB1_4457:
	s_or_saveexec_b64 s[6:7], s[6:7]
	v_mov_b32_e32 v2, s10
	s_xor_b64 exec, exec, s[6:7]
	s_cbranch_execz .LBB1_4458
; %bb.40299:
	s_getpc_b64 s[14:15]
.Lpost_getpc5813:
	s_add_u32 s14, s14, (.LBB1_18796-.Lpost_getpc5813)&4294967295
	s_addc_u32 s15, s15, (.LBB1_18796-.Lpost_getpc5813)>>32
	s_setpc_b64 s[14:15]
.LBB1_4458:
	s_or_b64 exec, exec, s[6:7]
	s_and_saveexec_b64 s[6:7], s[4:5]
	s_cbranch_execz .LBB1_4460
.LBB1_4459:
	v_bfe_u32 v2, v9, 8, 3
	v_ffbh_u32_e32 v6, v2
	v_min_u32_e32 v6, 32, v6
	v_lshrrev_b16_e32 v4, 3, v3
	v_subrev_u32_e32 v7, 28, v6
	v_and_b32_e32 v4, 15, v4
	v_lshlrev_b32_e32 v3, v7, v3
	v_sub_u32_e32 v6, 29, v6
	v_and_b32_e32 v3, 7, v3
	v_cmp_eq_u16_e32 vcc, 0, v4
	v_cndmask_b32_e32 v2, v2, v3, vcc
	v_cndmask_b32_e32 v3, v4, v6, vcc
	v_lshlrev_b32_e32 v4, 16, v9
	v_mov_b32_e32 v6, 0x3b800000
	v_lshlrev_b32_e32 v2, 20, v2
	v_and_b32_e32 v4, 0x80000000, v4
	v_lshl_add_u32 v3, v3, 23, v6
	v_or3_b32 v2, v4, v3, v2
.LBB1_4460:
	s_or_b64 exec, exec, s[6:7]
	v_lshrrev_b32_e32 v3, 8, v5
	s_movk_i32 s4, 0x7f
	v_cmp_gt_i16_sdwa s[6:7], v3, s4 src0_sel:BYTE_0 src1_sel:DWORD
	s_mov_b64 s[4:5], 0
                                        ; implicit-def: $sgpr10
	s_and_saveexec_b64 s[8:9], s[6:7]
	s_xor_b64 s[6:7], exec, s[8:9]
	s_cbranch_execz .LBB1_4461
; %bb.40301:
	s_getpc_b64 s[14:15]
.Lpost_getpc5814:
	s_add_u32 s14, s14, (.LBB1_18797-.Lpost_getpc5814)&4294967295
	s_addc_u32 s15, s15, (.LBB1_18797-.Lpost_getpc5814)>>32
	s_setpc_b64 s[14:15]
.LBB1_4461:
	s_or_saveexec_b64 s[6:7], s[6:7]
	v_mov_b32_e32 v4, s10
	s_xor_b64 exec, exec, s[6:7]
	s_cbranch_execz .LBB1_4462
; %bb.40303:
	s_getpc_b64 s[14:15]
.Lpost_getpc5815:
	s_add_u32 s14, s14, (.LBB1_18800-.Lpost_getpc5815)&4294967295
	s_addc_u32 s15, s15, (.LBB1_18800-.Lpost_getpc5815)>>32
	s_setpc_b64 s[14:15]
.LBB1_4462:
	s_or_b64 exec, exec, s[6:7]
	s_and_saveexec_b64 s[6:7], s[4:5]
	s_cbranch_execz .LBB1_4464
.LBB1_4463:
	v_bfe_u32 v4, v5, 8, 3
	v_ffbh_u32_e32 v7, v4
	v_min_u32_e32 v7, 32, v7
	v_lshrrev_b16_e32 v6, 3, v3
	v_subrev_u32_e32 v8, 28, v7
	v_and_b32_e32 v6, 15, v6
	v_lshlrev_b32_e32 v3, v8, v3
	v_sub_u32_e32 v7, 29, v7
	v_and_b32_e32 v3, 7, v3
	v_cmp_eq_u16_e32 vcc, 0, v6
	v_cndmask_b32_e32 v3, v4, v3, vcc
	v_cndmask_b32_e32 v4, v6, v7, vcc
	v_lshlrev_b32_e32 v6, 16, v5
	v_mov_b32_e32 v7, 0x3b800000
	v_lshlrev_b32_e32 v3, 20, v3
	v_and_b32_e32 v6, 0x80000000, v6
	v_lshl_add_u32 v4, v4, 23, v7
	v_or3_b32 v4, v6, v4, v3
.LBB1_4464:
	s_or_b64 exec, exec, s[6:7]
	s_nop 0
	v_mfma_f32_16x16x4f32 a[0:3], v2, v4, a[0:3]
	s_movk_i32 s4, 0xff
	v_and_b32_sdwa v3, v9, s4 dst_sel:DWORD dst_unused:UNUSED_PAD src0_sel:WORD_1 src1_sel:DWORD
	s_movk_i32 s4, 0x7f
	v_cmp_lt_i16_e32 vcc, s4, v3
	s_mov_b64 s[4:5], 0
                                        ; implicit-def: $sgpr10
	s_and_saveexec_b64 s[6:7], vcc
	s_xor_b64 s[6:7], exec, s[6:7]
	s_cbranch_execz .LBB1_4465
; %bb.40305:
	s_getpc_b64 s[14:15]
.Lpost_getpc5816:
	s_add_u32 s14, s14, (.LBB1_18801-.Lpost_getpc5816)&4294967295
	s_addc_u32 s15, s15, (.LBB1_18801-.Lpost_getpc5816)>>32
	s_setpc_b64 s[14:15]
.LBB1_4465:
	s_or_saveexec_b64 s[6:7], s[6:7]
	v_mov_b32_e32 v2, s10
	s_xor_b64 exec, exec, s[6:7]
	s_cbranch_execz .LBB1_4466
; %bb.40307:
	s_getpc_b64 s[14:15]
.Lpost_getpc5817:
	s_add_u32 s14, s14, (.LBB1_18804-.Lpost_getpc5817)&4294967295
	s_addc_u32 s15, s15, (.LBB1_18804-.Lpost_getpc5817)>>32
	s_setpc_b64 s[14:15]
.LBB1_4466:
	s_or_b64 exec, exec, s[6:7]
	s_and_saveexec_b64 s[6:7], s[4:5]
	s_cbranch_execz .LBB1_4468
.LBB1_4467:
	v_bfe_u32 v2, v9, 16, 3
	v_ffbh_u32_e32 v6, v2
	v_min_u32_e32 v6, 32, v6
	v_lshrrev_b32_e32 v3, 19, v9
	v_subrev_u32_e32 v7, 28, v6
	v_and_b32_e32 v3, 15, v3
	v_lshlrev_b32_sdwa v7, v7, v9 dst_sel:DWORD dst_unused:UNUSED_PAD src0_sel:DWORD src1_sel:WORD_1
	v_bfe_u32 v4, v9, 19, 4
	v_sub_u32_e32 v6, 29, v6
	v_and_b32_e32 v7, 7, v7
	v_cmp_eq_u16_e32 vcc, 0, v3
	v_cndmask_b32_e32 v2, v2, v7, vcc
	v_cndmask_b32_e32 v3, v4, v6, vcc
	v_lshlrev_b32_e32 v4, 8, v9
	v_mov_b32_e32 v6, 0x3b800000
	v_lshlrev_b32_e32 v2, 20, v2
	v_and_b32_e32 v4, 0x80000000, v4
	v_lshl_add_u32 v3, v3, 23, v6
	v_or3_b32 v2, v4, v3, v2
.LBB1_4468:
	s_or_b64 exec, exec, s[6:7]
	s_movk_i32 s4, 0xff
	v_and_b32_sdwa v3, v5, s4 dst_sel:DWORD dst_unused:UNUSED_PAD src0_sel:WORD_1 src1_sel:DWORD
	s_movk_i32 s4, 0x7f
	v_cmp_lt_i16_e32 vcc, s4, v3
	s_mov_b64 s[4:5], 0
                                        ; implicit-def: $sgpr10
	s_and_saveexec_b64 s[6:7], vcc
	s_xor_b64 s[6:7], exec, s[6:7]
	s_cbranch_execz .LBB1_4469
; %bb.40309:
	s_getpc_b64 s[14:15]
.Lpost_getpc5818:
	s_add_u32 s14, s14, (.LBB1_18805-.Lpost_getpc5818)&4294967295
	s_addc_u32 s15, s15, (.LBB1_18805-.Lpost_getpc5818)>>32
	s_setpc_b64 s[14:15]
.LBB1_4469:
	s_or_saveexec_b64 s[6:7], s[6:7]
	v_mov_b32_e32 v4, s10
	s_xor_b64 exec, exec, s[6:7]
	s_cbranch_execz .LBB1_4470
; %bb.40311:
	s_getpc_b64 s[14:15]
.Lpost_getpc5819:
	s_add_u32 s14, s14, (.LBB1_18808-.Lpost_getpc5819)&4294967295
	s_addc_u32 s15, s15, (.LBB1_18808-.Lpost_getpc5819)>>32
	s_setpc_b64 s[14:15]
.LBB1_4470:
	s_or_b64 exec, exec, s[6:7]
	s_and_saveexec_b64 s[6:7], s[4:5]
	s_cbranch_execz .LBB1_4472
.LBB1_4471:
	v_bfe_u32 v3, v5, 16, 3
	v_ffbh_u32_e32 v7, v3
	v_min_u32_e32 v7, 32, v7
	v_lshrrev_b32_e32 v4, 19, v5
	v_subrev_u32_e32 v8, 28, v7
	v_and_b32_e32 v4, 15, v4
	v_lshlrev_b32_sdwa v8, v8, v5 dst_sel:DWORD dst_unused:UNUSED_PAD src0_sel:DWORD src1_sel:WORD_1
	v_bfe_u32 v6, v5, 19, 4
	v_sub_u32_e32 v7, 29, v7
	v_and_b32_e32 v8, 7, v8
	v_cmp_eq_u16_e32 vcc, 0, v4
	v_cndmask_b32_e32 v3, v3, v8, vcc
	v_cndmask_b32_e32 v4, v6, v7, vcc
	v_lshlrev_b32_e32 v6, 8, v5
	v_mov_b32_e32 v7, 0x3b800000
	v_lshlrev_b32_e32 v3, 20, v3
	v_and_b32_e32 v6, 0x80000000, v6
	v_lshl_add_u32 v4, v4, 23, v7
	v_or3_b32 v4, v6, v4, v3
.LBB1_4472:
	s_or_b64 exec, exec, s[6:7]
	s_nop 0
	v_mfma_f32_16x16x4f32 a[0:3], v2, v4, a[0:3]
	s_movk_i32 s4, 0x7f
	v_cmp_gt_i16_sdwa s[6:7], v9, s4 src0_sel:BYTE_3 src1_sel:DWORD
	s_mov_b64 s[4:5], 0
                                        ; implicit-def: $sgpr10
	s_and_saveexec_b64 s[8:9], s[6:7]
	s_xor_b64 s[6:7], exec, s[8:9]
	s_cbranch_execz .LBB1_4473
; %bb.40313:
	s_getpc_b64 s[14:15]
.Lpost_getpc5820:
	s_add_u32 s14, s14, (.LBB1_18809-.Lpost_getpc5820)&4294967295
	s_addc_u32 s15, s15, (.LBB1_18809-.Lpost_getpc5820)>>32
	s_setpc_b64 s[14:15]
.LBB1_4473:
	s_or_saveexec_b64 s[6:7], s[6:7]
	v_mov_b32_e32 v2, s10
	s_xor_b64 exec, exec, s[6:7]
	s_cbranch_execz .LBB1_4474
; %bb.40315:
	s_getpc_b64 s[14:15]
.Lpost_getpc5821:
	s_add_u32 s14, s14, (.LBB1_18812-.Lpost_getpc5821)&4294967295
	s_addc_u32 s15, s15, (.LBB1_18812-.Lpost_getpc5821)>>32
	s_setpc_b64 s[14:15]
.LBB1_4474:
	s_or_b64 exec, exec, s[6:7]
	s_and_saveexec_b64 s[6:7], s[4:5]
	s_cbranch_execz .LBB1_4476
.LBB1_4475:
	v_bfe_u32 v2, v9, 24, 3
	v_ffbh_u32_e32 v7, v2
	v_min_u32_e32 v7, 32, v7
	v_lshrrev_b32_e32 v4, 27, v9
	v_subrev_u32_e32 v8, 28, v7
	v_and_b32_e32 v4, 15, v4
	v_lshlrev_b32_sdwa v8, v8, v9 dst_sel:DWORD dst_unused:UNUSED_PAD src0_sel:DWORD src1_sel:BYTE_3
	v_bfe_u32 v6, v9, 27, 4
	v_sub_u32_e32 v7, 29, v7
	v_and_b32_e32 v8, 7, v8
	v_cmp_eq_u16_e32 vcc, 0, v4
	v_cndmask_b32_e32 v2, v2, v8, vcc
	v_cndmask_b32_e32 v4, v6, v7, vcc
	v_mov_b32_e32 v6, 0x3b800000
	v_and_b32_e32 v3, 0x80000000, v9
	v_lshlrev_b32_e32 v2, 20, v2
	v_lshl_add_u32 v4, v4, 23, v6
	v_or3_b32 v2, v3, v4, v2
.LBB1_4476:
	s_or_b64 exec, exec, s[6:7]
	s_movk_i32 s4, 0x7f
	v_cmp_gt_i16_sdwa s[6:7], v5, s4 src0_sel:BYTE_3 src1_sel:DWORD
	s_mov_b64 s[4:5], 0
                                        ; implicit-def: $sgpr10
	s_and_saveexec_b64 s[8:9], s[6:7]
	s_xor_b64 s[6:7], exec, s[8:9]
	s_cbranch_execz .LBB1_4477
; %bb.40317:
	s_getpc_b64 s[14:15]
.Lpost_getpc5822:
	s_add_u32 s14, s14, (.LBB1_18813-.Lpost_getpc5822)&4294967295
	s_addc_u32 s15, s15, (.LBB1_18813-.Lpost_getpc5822)>>32
	s_setpc_b64 s[14:15]
.LBB1_4477:
	s_or_saveexec_b64 s[6:7], s[6:7]
	v_mov_b32_e32 v3, s10
	s_xor_b64 exec, exec, s[6:7]
	s_cbranch_execz .LBB1_4478
; %bb.40319:
	s_getpc_b64 s[14:15]
.Lpost_getpc5823:
	s_add_u32 s14, s14, (.LBB1_18816-.Lpost_getpc5823)&4294967295
	s_addc_u32 s15, s15, (.LBB1_18816-.Lpost_getpc5823)>>32
	s_setpc_b64 s[14:15]
.LBB1_4478:
	s_or_b64 exec, exec, s[6:7]
	s_and_saveexec_b64 s[6:7], s[4:5]
	s_cbranch_execz .LBB1_4480
.LBB1_4479:
	v_bfe_u32 v3, v5, 24, 3
	v_ffbh_u32_e32 v8, v3
	v_min_u32_e32 v8, 32, v8
	v_lshrrev_b32_e32 v6, 27, v5
	v_subrev_u32_e32 v9, 28, v8
	v_and_b32_e32 v4, 0x80000000, v5
	v_and_b32_e32 v6, 15, v6
	v_bfe_u32 v7, v5, 27, 4
	v_lshlrev_b32_sdwa v5, v9, v5 dst_sel:DWORD dst_unused:UNUSED_PAD src0_sel:DWORD src1_sel:BYTE_3
	v_sub_u32_e32 v8, 29, v8
	v_and_b32_e32 v5, 7, v5
	v_cmp_eq_u16_e32 vcc, 0, v6
	v_cndmask_b32_e32 v3, v3, v5, vcc
	v_cndmask_b32_e32 v5, v7, v8, vcc
	v_mov_b32_e32 v6, 0x3b800000
	v_lshlrev_b32_e32 v3, 20, v3
	v_lshl_add_u32 v5, v5, 23, v6
	v_or3_b32 v3, v4, v5, v3
.LBB1_4480:
	s_or_b64 exec, exec, s[6:7]
	s_nop 0
	v_mfma_f32_16x16x4f32 a[0:3], v2, v3, a[0:3]
	s_movk_i32 s4, 0x7f
                                        ; implicit-def: $sgpr10
	s_nop 7
	s_nop 1
	flat_store_dwordx4 v[10:11], a[0:3] offset:544
	flat_load_dwordx4 v[12:15], v[0:1]
	s_nop 0
	flat_load_dwordx2 v[10:11], v[0:1] offset:16
	s_waitcnt vmcnt(0) lgkmcnt(0)
	flat_load_dwordx4 v[6:9], v[12:13] offset:64
	flat_load_dwordx4 v[2:5], v[14:15] offset:48
	s_waitcnt vmcnt(0) lgkmcnt(0)
	v_cmp_gt_i16_sdwa s[6:7], v6, s4 src0_sel:BYTE_0 src1_sel:DWORD
	s_mov_b64 s[4:5], 0
	s_and_saveexec_b64 s[8:9], s[6:7]
	s_xor_b64 s[6:7], exec, s[8:9]
	s_cbranch_execz .LBB1_4481
; %bb.40321:
	s_getpc_b64 s[14:15]
.Lpost_getpc5824:
	s_add_u32 s14, s14, (.LBB1_18817-.Lpost_getpc5824)&4294967295
	s_addc_u32 s15, s15, (.LBB1_18817-.Lpost_getpc5824)>>32
	s_setpc_b64 s[14:15]
.LBB1_4481:
	s_or_saveexec_b64 s[6:7], s[6:7]
	v_mov_b32_e32 v12, s10
	s_xor_b64 exec, exec, s[6:7]
	s_cbranch_execz .LBB1_4482
; %bb.40323:
	s_getpc_b64 s[14:15]
.Lpost_getpc5825:
	s_add_u32 s14, s14, (.LBB1_18820-.Lpost_getpc5825)&4294967295
	s_addc_u32 s15, s15, (.LBB1_18820-.Lpost_getpc5825)>>32
	s_setpc_b64 s[14:15]
.LBB1_4482:
	s_or_b64 exec, exec, s[6:7]
	s_and_saveexec_b64 s[6:7], s[4:5]
	s_cbranch_execz .LBB1_4484
.LBB1_4483:
	v_and_b32_e32 v12, 7, v6
	v_ffbh_u32_e32 v14, v12
	v_min_u32_e32 v14, 32, v14
	v_lshrrev_b16_e32 v13, 3, v6
	v_subrev_u32_e32 v15, 28, v14
	v_and_b32_e32 v13, 15, v13
	v_lshlrev_b32_e32 v15, v15, v6
	v_sub_u32_e32 v14, 29, v14
	v_and_b32_e32 v15, 7, v15
	v_cmp_eq_u16_e32 vcc, 0, v13
	v_cndmask_b32_e32 v12, v12, v15, vcc
	v_cndmask_b32_e32 v13, v13, v14, vcc
	v_lshlrev_b32_e32 v14, 24, v6
	v_mov_b32_e32 v15, 0x3b800000
	v_lshlrev_b32_e32 v12, 20, v12
	v_and_b32_e32 v14, 0x80000000, v14
	v_lshl_add_u32 v13, v13, 23, v15
	v_or3_b32 v12, v14, v13, v12
.LBB1_4484:
	s_or_b64 exec, exec, s[6:7]
	s_movk_i32 s4, 0x7f
	v_cmp_gt_i16_sdwa s[6:7], v2, s4 src0_sel:BYTE_0 src1_sel:DWORD
	s_mov_b64 s[4:5], 0
                                        ; implicit-def: $sgpr10
	s_and_saveexec_b64 s[8:9], s[6:7]
	s_xor_b64 s[6:7], exec, s[8:9]
	s_cbranch_execz .LBB1_4485
; %bb.40325:
	s_getpc_b64 s[14:15]
.Lpost_getpc5826:
	s_add_u32 s14, s14, (.LBB1_18821-.Lpost_getpc5826)&4294967295
	s_addc_u32 s15, s15, (.LBB1_18821-.Lpost_getpc5826)>>32
	s_setpc_b64 s[14:15]
.LBB1_4485:
	s_or_saveexec_b64 s[6:7], s[6:7]
	v_mov_b32_e32 v13, s10
	s_xor_b64 exec, exec, s[6:7]
	s_cbranch_execz .LBB1_4486
; %bb.40327:
	s_getpc_b64 s[14:15]
.Lpost_getpc5827:
	s_add_u32 s14, s14, (.LBB1_18824-.Lpost_getpc5827)&4294967295
	s_addc_u32 s15, s15, (.LBB1_18824-.Lpost_getpc5827)>>32
	s_setpc_b64 s[14:15]
.LBB1_4486:
	s_or_b64 exec, exec, s[6:7]
	s_and_saveexec_b64 s[6:7], s[4:5]
	s_cbranch_execz .LBB1_4488
.LBB1_4487:
	v_and_b32_e32 v13, 7, v2
	v_ffbh_u32_e32 v15, v13
	v_min_u32_e32 v15, 32, v15
	v_lshrrev_b16_e32 v14, 3, v2
	v_subrev_u32_e32 v16, 28, v15
	v_and_b32_e32 v14, 15, v14
	v_lshlrev_b32_e32 v16, v16, v2
	v_sub_u32_e32 v15, 29, v15
	v_and_b32_e32 v16, 7, v16
	v_cmp_eq_u16_e32 vcc, 0, v14
	v_cndmask_b32_e32 v13, v13, v16, vcc
	v_cndmask_b32_e32 v14, v14, v15, vcc
	v_lshlrev_b32_e32 v15, 24, v2
	v_mov_b32_e32 v16, 0x3b800000
	v_lshlrev_b32_e32 v13, 20, v13
	v_and_b32_e32 v15, 0x80000000, v15
	v_lshl_add_u32 v14, v14, 23, v16
	v_or3_b32 v13, v15, v14, v13
.LBB1_4488:
	s_or_b64 exec, exec, s[6:7]
	flat_load_dwordx4 a[0:3], v[10:11] offset:560
	s_movk_i32 s4, 0x7f
                                        ; implicit-def: $sgpr10
	s_waitcnt vmcnt(0) lgkmcnt(0)
	v_mfma_f32_16x16x4f32 a[0:3], v12, v13, a[0:3]
	v_lshrrev_b32_e32 v13, 8, v6
	v_cmp_gt_i16_sdwa s[6:7], v13, s4 src0_sel:BYTE_0 src1_sel:DWORD
	s_mov_b64 s[4:5], 0
	s_and_saveexec_b64 s[8:9], s[6:7]
	s_xor_b64 s[6:7], exec, s[8:9]
	s_cbranch_execz .LBB1_4489
; %bb.40329:
	s_getpc_b64 s[14:15]
.Lpost_getpc5828:
	s_add_u32 s14, s14, (.LBB1_18825-.Lpost_getpc5828)&4294967295
	s_addc_u32 s15, s15, (.LBB1_18825-.Lpost_getpc5828)>>32
	s_setpc_b64 s[14:15]
.LBB1_4489:
	s_or_saveexec_b64 s[6:7], s[6:7]
	v_mov_b32_e32 v12, s10
	s_xor_b64 exec, exec, s[6:7]
	s_cbranch_execz .LBB1_4490
; %bb.40331:
	s_getpc_b64 s[14:15]
.Lpost_getpc5829:
	s_add_u32 s14, s14, (.LBB1_18828-.Lpost_getpc5829)&4294967295
	s_addc_u32 s15, s15, (.LBB1_18828-.Lpost_getpc5829)>>32
	s_setpc_b64 s[14:15]
.LBB1_4490:
	s_or_b64 exec, exec, s[6:7]
	s_and_saveexec_b64 s[6:7], s[4:5]
	s_cbranch_execz .LBB1_4492
.LBB1_4491:
	v_bfe_u32 v12, v6, 8, 3
	v_ffbh_u32_e32 v15, v12
	v_min_u32_e32 v15, 32, v15
	v_lshrrev_b16_e32 v14, 3, v13
	v_subrev_u32_e32 v16, 28, v15
	v_and_b32_e32 v14, 15, v14
	v_lshlrev_b32_e32 v13, v16, v13
	v_sub_u32_e32 v15, 29, v15
	v_and_b32_e32 v13, 7, v13
	v_cmp_eq_u16_e32 vcc, 0, v14
	v_cndmask_b32_e32 v12, v12, v13, vcc
	v_cndmask_b32_e32 v13, v14, v15, vcc
	v_lshlrev_b32_e32 v14, 16, v6
	v_mov_b32_e32 v15, 0x3b800000
	v_lshlrev_b32_e32 v12, 20, v12
	v_and_b32_e32 v14, 0x80000000, v14
	v_lshl_add_u32 v13, v13, 23, v15
	v_or3_b32 v12, v14, v13, v12
.LBB1_4492:
	s_or_b64 exec, exec, s[6:7]
	v_lshrrev_b32_e32 v13, 8, v2
	s_movk_i32 s4, 0x7f
	v_cmp_gt_i16_sdwa s[6:7], v13, s4 src0_sel:BYTE_0 src1_sel:DWORD
	s_mov_b64 s[4:5], 0
                                        ; implicit-def: $sgpr10
	s_and_saveexec_b64 s[8:9], s[6:7]
	s_xor_b64 s[6:7], exec, s[8:9]
	s_cbranch_execz .LBB1_4493
; %bb.40333:
	s_getpc_b64 s[14:15]
.Lpost_getpc5830:
	s_add_u32 s14, s14, (.LBB1_18829-.Lpost_getpc5830)&4294967295
	s_addc_u32 s15, s15, (.LBB1_18829-.Lpost_getpc5830)>>32
	s_setpc_b64 s[14:15]
.LBB1_4493:
	s_or_saveexec_b64 s[6:7], s[6:7]
	v_mov_b32_e32 v14, s10
	s_xor_b64 exec, exec, s[6:7]
	s_cbranch_execz .LBB1_4494
; %bb.40335:
	s_getpc_b64 s[14:15]
.Lpost_getpc5831:
	s_add_u32 s14, s14, (.LBB1_18832-.Lpost_getpc5831)&4294967295
	s_addc_u32 s15, s15, (.LBB1_18832-.Lpost_getpc5831)>>32
	s_setpc_b64 s[14:15]
.LBB1_4494:
	s_or_b64 exec, exec, s[6:7]
	s_and_saveexec_b64 s[6:7], s[4:5]
	s_cbranch_execz .LBB1_4496
.LBB1_4495:
	v_bfe_u32 v14, v2, 8, 3
	v_ffbh_u32_e32 v16, v14
	v_min_u32_e32 v16, 32, v16
	v_lshrrev_b16_e32 v15, 3, v13
	v_subrev_u32_e32 v17, 28, v16
	v_and_b32_e32 v15, 15, v15
	v_lshlrev_b32_e32 v13, v17, v13
	v_sub_u32_e32 v16, 29, v16
	v_and_b32_e32 v13, 7, v13
	v_cmp_eq_u16_e32 vcc, 0, v15
	v_cndmask_b32_e32 v13, v14, v13, vcc
	v_cndmask_b32_e32 v14, v15, v16, vcc
	v_lshlrev_b32_e32 v15, 16, v2
	v_mov_b32_e32 v16, 0x3b800000
	v_lshlrev_b32_e32 v13, 20, v13
	v_and_b32_e32 v15, 0x80000000, v15
	v_lshl_add_u32 v14, v14, 23, v16
	v_or3_b32 v14, v15, v14, v13
.LBB1_4496:
	s_or_b64 exec, exec, s[6:7]
	s_nop 0
	v_mfma_f32_16x16x4f32 a[0:3], v12, v14, a[0:3]
	s_movk_i32 s4, 0xff
	v_and_b32_sdwa v13, v6, s4 dst_sel:DWORD dst_unused:UNUSED_PAD src0_sel:WORD_1 src1_sel:DWORD
	s_movk_i32 s4, 0x7f
	v_cmp_lt_i16_e32 vcc, s4, v13
	s_mov_b64 s[4:5], 0
                                        ; implicit-def: $sgpr10
	s_and_saveexec_b64 s[6:7], vcc
	s_xor_b64 s[6:7], exec, s[6:7]
	s_cbranch_execz .LBB1_4497
; %bb.40337:
	s_getpc_b64 s[14:15]
.Lpost_getpc5832:
	s_add_u32 s14, s14, (.LBB1_18833-.Lpost_getpc5832)&4294967295
	s_addc_u32 s15, s15, (.LBB1_18833-.Lpost_getpc5832)>>32
	s_setpc_b64 s[14:15]
.LBB1_4497:
	s_or_saveexec_b64 s[6:7], s[6:7]
	v_mov_b32_e32 v12, s10
	s_xor_b64 exec, exec, s[6:7]
	s_cbranch_execz .LBB1_4498
; %bb.40339:
	s_getpc_b64 s[14:15]
.Lpost_getpc5833:
	s_add_u32 s14, s14, (.LBB1_18836-.Lpost_getpc5833)&4294967295
	s_addc_u32 s15, s15, (.LBB1_18836-.Lpost_getpc5833)>>32
	s_setpc_b64 s[14:15]
.LBB1_4498:
	s_or_b64 exec, exec, s[6:7]
	s_and_saveexec_b64 s[6:7], s[4:5]
	s_cbranch_execz .LBB1_4500
.LBB1_4499:
	v_bfe_u32 v12, v6, 16, 3
	v_ffbh_u32_e32 v15, v12
	v_min_u32_e32 v15, 32, v15
	v_lshrrev_b32_e32 v13, 19, v6
	v_subrev_u32_e32 v16, 28, v15
	v_and_b32_e32 v13, 15, v13
	v_lshlrev_b32_sdwa v16, v16, v6 dst_sel:DWORD dst_unused:UNUSED_PAD src0_sel:DWORD src1_sel:WORD_1
	v_bfe_u32 v14, v6, 19, 4
	v_sub_u32_e32 v15, 29, v15
	v_and_b32_e32 v16, 7, v16
	v_cmp_eq_u16_e32 vcc, 0, v13
	v_cndmask_b32_e32 v12, v12, v16, vcc
	v_cndmask_b32_e32 v13, v14, v15, vcc
	v_lshlrev_b32_e32 v14, 8, v6
	v_mov_b32_e32 v15, 0x3b800000
	v_lshlrev_b32_e32 v12, 20, v12
	v_and_b32_e32 v14, 0x80000000, v14
	v_lshl_add_u32 v13, v13, 23, v15
	v_or3_b32 v12, v14, v13, v12
.LBB1_4500:
	s_or_b64 exec, exec, s[6:7]
	s_movk_i32 s4, 0xff
	v_and_b32_sdwa v13, v2, s4 dst_sel:DWORD dst_unused:UNUSED_PAD src0_sel:WORD_1 src1_sel:DWORD
	s_movk_i32 s4, 0x7f
	v_cmp_lt_i16_e32 vcc, s4, v13
	s_mov_b64 s[4:5], 0
                                        ; implicit-def: $sgpr10
	s_and_saveexec_b64 s[6:7], vcc
	s_xor_b64 s[6:7], exec, s[6:7]
	s_cbranch_execz .LBB1_4501
; %bb.40341:
	s_getpc_b64 s[14:15]
.Lpost_getpc5834:
	s_add_u32 s14, s14, (.LBB1_18837-.Lpost_getpc5834)&4294967295
	s_addc_u32 s15, s15, (.LBB1_18837-.Lpost_getpc5834)>>32
	s_setpc_b64 s[14:15]
.LBB1_4501:
	s_or_saveexec_b64 s[6:7], s[6:7]
	v_mov_b32_e32 v14, s10
	s_xor_b64 exec, exec, s[6:7]
	s_cbranch_execz .LBB1_4502
; %bb.40343:
	s_getpc_b64 s[14:15]
.Lpost_getpc5835:
	s_add_u32 s14, s14, (.LBB1_18840-.Lpost_getpc5835)&4294967295
	s_addc_u32 s15, s15, (.LBB1_18840-.Lpost_getpc5835)>>32
	s_setpc_b64 s[14:15]
.LBB1_4502:
	s_or_b64 exec, exec, s[6:7]
	s_and_saveexec_b64 s[6:7], s[4:5]
	s_cbranch_execz .LBB1_4504
.LBB1_4503:
	v_bfe_u32 v13, v2, 16, 3
	v_ffbh_u32_e32 v16, v13
	v_min_u32_e32 v16, 32, v16
	v_lshrrev_b32_e32 v14, 19, v2
	v_subrev_u32_e32 v17, 28, v16
	v_and_b32_e32 v14, 15, v14
	v_lshlrev_b32_sdwa v17, v17, v2 dst_sel:DWORD dst_unused:UNUSED_PAD src0_sel:DWORD src1_sel:WORD_1
	v_bfe_u32 v15, v2, 19, 4
	v_sub_u32_e32 v16, 29, v16
	v_and_b32_e32 v17, 7, v17
	v_cmp_eq_u16_e32 vcc, 0, v14
	v_cndmask_b32_e32 v13, v13, v17, vcc
	v_cndmask_b32_e32 v14, v15, v16, vcc
	v_lshlrev_b32_e32 v15, 8, v2
	v_mov_b32_e32 v16, 0x3b800000
	v_lshlrev_b32_e32 v13, 20, v13
	v_and_b32_e32 v15, 0x80000000, v15
	v_lshl_add_u32 v14, v14, 23, v16
	v_or3_b32 v14, v15, v14, v13
.LBB1_4504:
	s_or_b64 exec, exec, s[6:7]
	s_nop 0
	v_mfma_f32_16x16x4f32 a[0:3], v12, v14, a[0:3]
	s_movk_i32 s4, 0x7f
	v_cmp_gt_i16_sdwa s[6:7], v6, s4 src0_sel:BYTE_3 src1_sel:DWORD
	s_mov_b64 s[4:5], 0
                                        ; implicit-def: $sgpr10
	s_and_saveexec_b64 s[8:9], s[6:7]
	s_xor_b64 s[6:7], exec, s[8:9]
	s_cbranch_execz .LBB1_4505
; %bb.40345:
	s_getpc_b64 s[14:15]
.Lpost_getpc5836:
	s_add_u32 s14, s14, (.LBB1_18841-.Lpost_getpc5836)&4294967295
	s_addc_u32 s15, s15, (.LBB1_18841-.Lpost_getpc5836)>>32
	s_setpc_b64 s[14:15]
.LBB1_4505:
	s_or_saveexec_b64 s[6:7], s[6:7]
	v_mov_b32_e32 v12, s10
	s_xor_b64 exec, exec, s[6:7]
	s_cbranch_execz .LBB1_4506
; %bb.40347:
	s_getpc_b64 s[14:15]
.Lpost_getpc5837:
	s_add_u32 s14, s14, (.LBB1_18844-.Lpost_getpc5837)&4294967295
	s_addc_u32 s15, s15, (.LBB1_18844-.Lpost_getpc5837)>>32
	s_setpc_b64 s[14:15]
.LBB1_4506:
	s_or_b64 exec, exec, s[6:7]
	s_and_saveexec_b64 s[6:7], s[4:5]
	s_cbranch_execz .LBB1_4508
.LBB1_4507:
	v_bfe_u32 v12, v6, 24, 3
	v_ffbh_u32_e32 v16, v12
	v_min_u32_e32 v16, 32, v16
	v_lshrrev_b32_e32 v14, 27, v6
	v_subrev_u32_e32 v17, 28, v16
	v_and_b32_e32 v13, 0x80000000, v6
	v_and_b32_e32 v14, 15, v14
	v_bfe_u32 v15, v6, 27, 4
	v_lshlrev_b32_sdwa v6, v17, v6 dst_sel:DWORD dst_unused:UNUSED_PAD src0_sel:DWORD src1_sel:BYTE_3
	v_sub_u32_e32 v16, 29, v16
	v_and_b32_e32 v6, 7, v6
	v_cmp_eq_u16_e32 vcc, 0, v14
	v_cndmask_b32_e32 v6, v12, v6, vcc
	v_cndmask_b32_e32 v12, v15, v16, vcc
	v_mov_b32_e32 v14, 0x3b800000
	v_lshlrev_b32_e32 v6, 20, v6
	v_lshl_add_u32 v12, v12, 23, v14
	v_or3_b32 v12, v13, v12, v6
.LBB1_4508:
	s_or_b64 exec, exec, s[6:7]
	s_movk_i32 s4, 0x7f
	v_cmp_gt_i16_sdwa s[6:7], v2, s4 src0_sel:BYTE_3 src1_sel:DWORD
	s_mov_b64 s[4:5], 0
                                        ; implicit-def: $sgpr10
	s_and_saveexec_b64 s[8:9], s[6:7]
	s_xor_b64 s[6:7], exec, s[8:9]
	s_cbranch_execz .LBB1_4509
; %bb.40349:
	s_getpc_b64 s[14:15]
.Lpost_getpc5838:
	s_add_u32 s14, s14, (.LBB1_18845-.Lpost_getpc5838)&4294967295
	s_addc_u32 s15, s15, (.LBB1_18845-.Lpost_getpc5838)>>32
	s_setpc_b64 s[14:15]
.LBB1_4509:
	s_or_saveexec_b64 s[6:7], s[6:7]
	v_mov_b32_e32 v6, s10
	s_xor_b64 exec, exec, s[6:7]
	s_cbranch_execz .LBB1_4510
; %bb.40351:
	s_getpc_b64 s[14:15]
.Lpost_getpc5839:
	s_add_u32 s14, s14, (.LBB1_18848-.Lpost_getpc5839)&4294967295
	s_addc_u32 s15, s15, (.LBB1_18848-.Lpost_getpc5839)>>32
	s_setpc_b64 s[14:15]
.LBB1_4510:
	s_or_b64 exec, exec, s[6:7]
	s_and_saveexec_b64 s[6:7], s[4:5]
	s_cbranch_execz .LBB1_4512
.LBB1_4511:
	v_bfe_u32 v6, v2, 24, 3
	v_ffbh_u32_e32 v16, v6
	v_min_u32_e32 v16, 32, v16
	v_lshrrev_b32_e32 v14, 27, v2
	v_subrev_u32_e32 v17, 28, v16
	v_and_b32_e32 v13, 0x80000000, v2
	v_and_b32_e32 v14, 15, v14
	v_bfe_u32 v15, v2, 27, 4
	v_lshlrev_b32_sdwa v2, v17, v2 dst_sel:DWORD dst_unused:UNUSED_PAD src0_sel:DWORD src1_sel:BYTE_3
	v_sub_u32_e32 v16, 29, v16
	v_and_b32_e32 v2, 7, v2
	v_cmp_eq_u16_e32 vcc, 0, v14
	v_cndmask_b32_e32 v2, v6, v2, vcc
	v_cndmask_b32_e32 v6, v15, v16, vcc
	v_mov_b32_e32 v14, 0x3b800000
	v_lshlrev_b32_e32 v2, 20, v2
	v_lshl_add_u32 v6, v6, 23, v14
	v_or3_b32 v6, v13, v6, v2
.LBB1_4512:
	s_or_b64 exec, exec, s[6:7]
	s_nop 0
	v_mfma_f32_16x16x4f32 a[0:3], v12, v6, a[0:3]
	s_movk_i32 s4, 0x7f
	v_cmp_gt_i16_sdwa s[6:7], v7, s4 src0_sel:BYTE_0 src1_sel:DWORD
	s_mov_b64 s[4:5], 0
                                        ; implicit-def: $sgpr10
	s_and_saveexec_b64 s[8:9], s[6:7]
	s_xor_b64 s[6:7], exec, s[8:9]
	s_cbranch_execz .LBB1_4513
; %bb.40353:
	s_getpc_b64 s[14:15]
.Lpost_getpc5840:
	s_add_u32 s14, s14, (.LBB1_18849-.Lpost_getpc5840)&4294967295
	s_addc_u32 s15, s15, (.LBB1_18849-.Lpost_getpc5840)>>32
	s_setpc_b64 s[14:15]
.LBB1_4513:
	s_or_saveexec_b64 s[6:7], s[6:7]
	v_mov_b32_e32 v2, s10
	s_xor_b64 exec, exec, s[6:7]
	s_cbranch_execz .LBB1_4514
; %bb.40355:
	s_getpc_b64 s[14:15]
.Lpost_getpc5841:
	s_add_u32 s14, s14, (.LBB1_18852-.Lpost_getpc5841)&4294967295
	s_addc_u32 s15, s15, (.LBB1_18852-.Lpost_getpc5841)>>32
	s_setpc_b64 s[14:15]
.LBB1_4514:
	s_or_b64 exec, exec, s[6:7]
	s_and_saveexec_b64 s[6:7], s[4:5]
	s_cbranch_execz .LBB1_4516
.LBB1_4515:
	v_and_b32_e32 v2, 7, v7
	v_ffbh_u32_e32 v12, v2
	v_min_u32_e32 v12, 32, v12
	v_lshrrev_b16_e32 v6, 3, v7
	v_subrev_u32_e32 v13, 28, v12
	v_and_b32_e32 v6, 15, v6
	v_lshlrev_b32_e32 v13, v13, v7
	v_sub_u32_e32 v12, 29, v12
	v_and_b32_e32 v13, 7, v13
	v_cmp_eq_u16_e32 vcc, 0, v6
	v_cndmask_b32_e32 v2, v2, v13, vcc
	v_cndmask_b32_e32 v6, v6, v12, vcc
	v_lshlrev_b32_e32 v12, 24, v7
	v_mov_b32_e32 v13, 0x3b800000
	v_lshlrev_b32_e32 v2, 20, v2
	v_and_b32_e32 v12, 0x80000000, v12
	v_lshl_add_u32 v6, v6, 23, v13
	v_or3_b32 v2, v12, v6, v2
.LBB1_4516:
	s_or_b64 exec, exec, s[6:7]
	s_movk_i32 s4, 0x7f
	v_cmp_gt_i16_sdwa s[6:7], v3, s4 src0_sel:BYTE_0 src1_sel:DWORD
	s_mov_b64 s[4:5], 0
                                        ; implicit-def: $sgpr10
	s_and_saveexec_b64 s[8:9], s[6:7]
	s_xor_b64 s[6:7], exec, s[8:9]
	s_cbranch_execz .LBB1_4517
; %bb.40357:
	s_getpc_b64 s[14:15]
.Lpost_getpc5842:
	s_add_u32 s14, s14, (.LBB1_18853-.Lpost_getpc5842)&4294967295
	s_addc_u32 s15, s15, (.LBB1_18853-.Lpost_getpc5842)>>32
	s_setpc_b64 s[14:15]
.LBB1_4517:
	s_or_saveexec_b64 s[6:7], s[6:7]
	v_mov_b32_e32 v6, s10
	s_xor_b64 exec, exec, s[6:7]
	s_cbranch_execz .LBB1_4518
; %bb.40359:
	s_getpc_b64 s[14:15]
.Lpost_getpc5843:
	s_add_u32 s14, s14, (.LBB1_18856-.Lpost_getpc5843)&4294967295
	s_addc_u32 s15, s15, (.LBB1_18856-.Lpost_getpc5843)>>32
	s_setpc_b64 s[14:15]
.LBB1_4518:
	s_or_b64 exec, exec, s[6:7]
	s_and_saveexec_b64 s[6:7], s[4:5]
	s_cbranch_execz .LBB1_4520
.LBB1_4519:
	v_and_b32_e32 v6, 7, v3
	v_ffbh_u32_e32 v13, v6
	v_min_u32_e32 v13, 32, v13
	v_lshrrev_b16_e32 v12, 3, v3
	v_subrev_u32_e32 v14, 28, v13
	v_and_b32_e32 v12, 15, v12
	v_lshlrev_b32_e32 v14, v14, v3
	v_sub_u32_e32 v13, 29, v13
	v_and_b32_e32 v14, 7, v14
	v_cmp_eq_u16_e32 vcc, 0, v12
	v_cndmask_b32_e32 v6, v6, v14, vcc
	v_cndmask_b32_e32 v12, v12, v13, vcc
	v_lshlrev_b32_e32 v13, 24, v3
	v_mov_b32_e32 v14, 0x3b800000
	v_lshlrev_b32_e32 v6, 20, v6
	v_and_b32_e32 v13, 0x80000000, v13
	v_lshl_add_u32 v12, v12, 23, v14
	v_or3_b32 v6, v13, v12, v6
.LBB1_4520:
	s_or_b64 exec, exec, s[6:7]
	s_nop 0
	v_mfma_f32_16x16x4f32 a[0:3], v2, v6, a[0:3]
	v_lshrrev_b32_e32 v6, 8, v7
	s_movk_i32 s4, 0x7f
	v_cmp_gt_i16_sdwa s[6:7], v6, s4 src0_sel:BYTE_0 src1_sel:DWORD
	s_mov_b64 s[4:5], 0
                                        ; implicit-def: $sgpr10
	s_and_saveexec_b64 s[8:9], s[6:7]
	s_xor_b64 s[6:7], exec, s[8:9]
	s_cbranch_execz .LBB1_4521
; %bb.40361:
	s_getpc_b64 s[14:15]
.Lpost_getpc5844:
	s_add_u32 s14, s14, (.LBB1_18857-.Lpost_getpc5844)&4294967295
	s_addc_u32 s15, s15, (.LBB1_18857-.Lpost_getpc5844)>>32
	s_setpc_b64 s[14:15]
.LBB1_4521:
	s_or_saveexec_b64 s[6:7], s[6:7]
	v_mov_b32_e32 v2, s10
	s_xor_b64 exec, exec, s[6:7]
	s_cbranch_execz .LBB1_4522
; %bb.40363:
	s_getpc_b64 s[14:15]
.Lpost_getpc5845:
	s_add_u32 s14, s14, (.LBB1_18860-.Lpost_getpc5845)&4294967295
	s_addc_u32 s15, s15, (.LBB1_18860-.Lpost_getpc5845)>>32
	s_setpc_b64 s[14:15]
.LBB1_4522:
	s_or_b64 exec, exec, s[6:7]
	s_and_saveexec_b64 s[6:7], s[4:5]
	s_cbranch_execz .LBB1_4524
.LBB1_4523:
	v_bfe_u32 v2, v7, 8, 3
	v_ffbh_u32_e32 v13, v2
	v_min_u32_e32 v13, 32, v13
	v_lshrrev_b16_e32 v12, 3, v6
	v_subrev_u32_e32 v14, 28, v13
	v_and_b32_e32 v12, 15, v12
	v_lshlrev_b32_e32 v6, v14, v6
	v_sub_u32_e32 v13, 29, v13
	v_and_b32_e32 v6, 7, v6
	v_cmp_eq_u16_e32 vcc, 0, v12
	v_cndmask_b32_e32 v2, v2, v6, vcc
	v_cndmask_b32_e32 v6, v12, v13, vcc
	v_lshlrev_b32_e32 v12, 16, v7
	v_mov_b32_e32 v13, 0x3b800000
	v_lshlrev_b32_e32 v2, 20, v2
	v_and_b32_e32 v12, 0x80000000, v12
	v_lshl_add_u32 v6, v6, 23, v13
	v_or3_b32 v2, v12, v6, v2
.LBB1_4524:
	s_or_b64 exec, exec, s[6:7]
	v_lshrrev_b32_e32 v6, 8, v3
	s_movk_i32 s4, 0x7f
	v_cmp_gt_i16_sdwa s[6:7], v6, s4 src0_sel:BYTE_0 src1_sel:DWORD
	s_mov_b64 s[4:5], 0
                                        ; implicit-def: $sgpr10
	s_and_saveexec_b64 s[8:9], s[6:7]
	s_xor_b64 s[6:7], exec, s[8:9]
	s_cbranch_execz .LBB1_4525
; %bb.40365:
	s_getpc_b64 s[14:15]
.Lpost_getpc5846:
	s_add_u32 s14, s14, (.LBB1_18861-.Lpost_getpc5846)&4294967295
	s_addc_u32 s15, s15, (.LBB1_18861-.Lpost_getpc5846)>>32
	s_setpc_b64 s[14:15]
.LBB1_4525:
	s_or_saveexec_b64 s[6:7], s[6:7]
	v_mov_b32_e32 v12, s10
	s_xor_b64 exec, exec, s[6:7]
	s_cbranch_execz .LBB1_4526
; %bb.40367:
	s_getpc_b64 s[14:15]
.Lpost_getpc5847:
	s_add_u32 s14, s14, (.LBB1_18864-.Lpost_getpc5847)&4294967295
	s_addc_u32 s15, s15, (.LBB1_18864-.Lpost_getpc5847)>>32
	s_setpc_b64 s[14:15]
.LBB1_4526:
	s_or_b64 exec, exec, s[6:7]
	s_and_saveexec_b64 s[6:7], s[4:5]
	s_cbranch_execz .LBB1_4528
.LBB1_4527:
	v_bfe_u32 v12, v3, 8, 3
	v_ffbh_u32_e32 v14, v12
	v_min_u32_e32 v14, 32, v14
	v_lshrrev_b16_e32 v13, 3, v6
	v_subrev_u32_e32 v15, 28, v14
	v_and_b32_e32 v13, 15, v13
	v_lshlrev_b32_e32 v6, v15, v6
	v_sub_u32_e32 v14, 29, v14
	v_and_b32_e32 v6, 7, v6
	v_cmp_eq_u16_e32 vcc, 0, v13
	v_cndmask_b32_e32 v6, v12, v6, vcc
	v_cndmask_b32_e32 v12, v13, v14, vcc
	v_lshlrev_b32_e32 v13, 16, v3
	v_mov_b32_e32 v14, 0x3b800000
	v_lshlrev_b32_e32 v6, 20, v6
	v_and_b32_e32 v13, 0x80000000, v13
	v_lshl_add_u32 v12, v12, 23, v14
	v_or3_b32 v12, v13, v12, v6
.LBB1_4528:
	s_or_b64 exec, exec, s[6:7]
	s_nop 0
	v_mfma_f32_16x16x4f32 a[0:3], v2, v12, a[0:3]
	s_movk_i32 s4, 0xff
	v_and_b32_sdwa v6, v7, s4 dst_sel:DWORD dst_unused:UNUSED_PAD src0_sel:WORD_1 src1_sel:DWORD
	s_movk_i32 s4, 0x7f
	v_cmp_lt_i16_e32 vcc, s4, v6
	s_mov_b64 s[4:5], 0
                                        ; implicit-def: $sgpr10
	s_and_saveexec_b64 s[6:7], vcc
	s_xor_b64 s[6:7], exec, s[6:7]
	s_cbranch_execz .LBB1_4529
; %bb.40369:
	s_getpc_b64 s[14:15]
.Lpost_getpc5848:
	s_add_u32 s14, s14, (.LBB1_18865-.Lpost_getpc5848)&4294967295
	s_addc_u32 s15, s15, (.LBB1_18865-.Lpost_getpc5848)>>32
	s_setpc_b64 s[14:15]
.LBB1_4529:
	s_or_saveexec_b64 s[6:7], s[6:7]
	v_mov_b32_e32 v2, s10
	s_xor_b64 exec, exec, s[6:7]
	s_cbranch_execz .LBB1_4530
; %bb.40371:
	s_getpc_b64 s[14:15]
.Lpost_getpc5849:
	s_add_u32 s14, s14, (.LBB1_18868-.Lpost_getpc5849)&4294967295
	s_addc_u32 s15, s15, (.LBB1_18868-.Lpost_getpc5849)>>32
	s_setpc_b64 s[14:15]
.LBB1_4530:
	s_or_b64 exec, exec, s[6:7]
	s_and_saveexec_b64 s[6:7], s[4:5]
	s_cbranch_execz .LBB1_4532
.LBB1_4531:
	v_bfe_u32 v2, v7, 16, 3
	v_ffbh_u32_e32 v13, v2
	v_min_u32_e32 v13, 32, v13
	v_lshrrev_b32_e32 v6, 19, v7
	v_subrev_u32_e32 v14, 28, v13
	v_and_b32_e32 v6, 15, v6
	v_lshlrev_b32_sdwa v14, v14, v7 dst_sel:DWORD dst_unused:UNUSED_PAD src0_sel:DWORD src1_sel:WORD_1
	v_bfe_u32 v12, v7, 19, 4
	v_sub_u32_e32 v13, 29, v13
	v_and_b32_e32 v14, 7, v14
	v_cmp_eq_u16_e32 vcc, 0, v6
	v_cndmask_b32_e32 v2, v2, v14, vcc
	v_cndmask_b32_e32 v6, v12, v13, vcc
	v_lshlrev_b32_e32 v12, 8, v7
	v_mov_b32_e32 v13, 0x3b800000
	v_lshlrev_b32_e32 v2, 20, v2
	v_and_b32_e32 v12, 0x80000000, v12
	v_lshl_add_u32 v6, v6, 23, v13
	v_or3_b32 v2, v12, v6, v2
.LBB1_4532:
	s_or_b64 exec, exec, s[6:7]
	s_movk_i32 s4, 0xff
	v_and_b32_sdwa v6, v3, s4 dst_sel:DWORD dst_unused:UNUSED_PAD src0_sel:WORD_1 src1_sel:DWORD
	s_movk_i32 s4, 0x7f
	v_cmp_lt_i16_e32 vcc, s4, v6
	s_mov_b64 s[4:5], 0
                                        ; implicit-def: $sgpr10
	s_and_saveexec_b64 s[6:7], vcc
	s_xor_b64 s[6:7], exec, s[6:7]
	s_cbranch_execz .LBB1_4533
; %bb.40373:
	s_getpc_b64 s[14:15]
.Lpost_getpc5850:
	s_add_u32 s14, s14, (.LBB1_18869-.Lpost_getpc5850)&4294967295
	s_addc_u32 s15, s15, (.LBB1_18869-.Lpost_getpc5850)>>32
	s_setpc_b64 s[14:15]
.LBB1_4533:
	s_or_saveexec_b64 s[6:7], s[6:7]
	v_mov_b32_e32 v12, s10
	s_xor_b64 exec, exec, s[6:7]
	s_cbranch_execz .LBB1_4534
; %bb.40375:
	s_getpc_b64 s[14:15]
.Lpost_getpc5851:
	s_add_u32 s14, s14, (.LBB1_18872-.Lpost_getpc5851)&4294967295
	s_addc_u32 s15, s15, (.LBB1_18872-.Lpost_getpc5851)>>32
	s_setpc_b64 s[14:15]
.LBB1_4534:
	s_or_b64 exec, exec, s[6:7]
	s_and_saveexec_b64 s[6:7], s[4:5]
	s_cbranch_execz .LBB1_4536
.LBB1_4535:
	v_bfe_u32 v6, v3, 16, 3
	v_ffbh_u32_e32 v14, v6
	v_min_u32_e32 v14, 32, v14
	v_lshrrev_b32_e32 v12, 19, v3
	v_subrev_u32_e32 v15, 28, v14
	v_and_b32_e32 v12, 15, v12
	v_lshlrev_b32_sdwa v15, v15, v3 dst_sel:DWORD dst_unused:UNUSED_PAD src0_sel:DWORD src1_sel:WORD_1
	v_bfe_u32 v13, v3, 19, 4
	v_sub_u32_e32 v14, 29, v14
	v_and_b32_e32 v15, 7, v15
	v_cmp_eq_u16_e32 vcc, 0, v12
	v_cndmask_b32_e32 v6, v6, v15, vcc
	v_cndmask_b32_e32 v12, v13, v14, vcc
	v_lshlrev_b32_e32 v13, 8, v3
	v_mov_b32_e32 v14, 0x3b800000
	v_lshlrev_b32_e32 v6, 20, v6
	v_and_b32_e32 v13, 0x80000000, v13
	v_lshl_add_u32 v12, v12, 23, v14
	v_or3_b32 v12, v13, v12, v6
.LBB1_4536:
	s_or_b64 exec, exec, s[6:7]
	s_nop 0
	v_mfma_f32_16x16x4f32 a[0:3], v2, v12, a[0:3]
	s_movk_i32 s4, 0x7f
	v_cmp_gt_i16_sdwa s[6:7], v7, s4 src0_sel:BYTE_3 src1_sel:DWORD
	s_mov_b64 s[4:5], 0
                                        ; implicit-def: $sgpr10
	s_and_saveexec_b64 s[8:9], s[6:7]
	s_xor_b64 s[6:7], exec, s[8:9]
	s_cbranch_execz .LBB1_4537
; %bb.40377:
	s_getpc_b64 s[14:15]
.Lpost_getpc5852:
	s_add_u32 s14, s14, (.LBB1_18873-.Lpost_getpc5852)&4294967295
	s_addc_u32 s15, s15, (.LBB1_18873-.Lpost_getpc5852)>>32
	s_setpc_b64 s[14:15]
.LBB1_4537:
	s_or_saveexec_b64 s[6:7], s[6:7]
	v_mov_b32_e32 v2, s10
	s_xor_b64 exec, exec, s[6:7]
	s_cbranch_execz .LBB1_4538
; %bb.40379:
	s_getpc_b64 s[14:15]
.Lpost_getpc5853:
	s_add_u32 s14, s14, (.LBB1_18876-.Lpost_getpc5853)&4294967295
	s_addc_u32 s15, s15, (.LBB1_18876-.Lpost_getpc5853)>>32
	s_setpc_b64 s[14:15]
.LBB1_4538:
	s_or_b64 exec, exec, s[6:7]
	s_and_saveexec_b64 s[6:7], s[4:5]
	s_cbranch_execz .LBB1_4540
.LBB1_4539:
	v_bfe_u32 v2, v7, 24, 3
	v_ffbh_u32_e32 v14, v2
	v_min_u32_e32 v14, 32, v14
	v_lshrrev_b32_e32 v12, 27, v7
	v_subrev_u32_e32 v15, 28, v14
	v_and_b32_e32 v6, 0x80000000, v7
	v_and_b32_e32 v12, 15, v12
	v_bfe_u32 v13, v7, 27, 4
	v_lshlrev_b32_sdwa v7, v15, v7 dst_sel:DWORD dst_unused:UNUSED_PAD src0_sel:DWORD src1_sel:BYTE_3
	v_sub_u32_e32 v14, 29, v14
	v_and_b32_e32 v7, 7, v7
	v_cmp_eq_u16_e32 vcc, 0, v12
	v_cndmask_b32_e32 v2, v2, v7, vcc
	v_cndmask_b32_e32 v7, v13, v14, vcc
	v_mov_b32_e32 v12, 0x3b800000
	v_lshlrev_b32_e32 v2, 20, v2
	v_lshl_add_u32 v7, v7, 23, v12
	v_or3_b32 v2, v6, v7, v2
.LBB1_4540:
	s_or_b64 exec, exec, s[6:7]
	s_movk_i32 s4, 0x7f
	v_cmp_gt_i16_sdwa s[6:7], v3, s4 src0_sel:BYTE_3 src1_sel:DWORD
	s_mov_b64 s[4:5], 0
                                        ; implicit-def: $sgpr10
	s_and_saveexec_b64 s[8:9], s[6:7]
	s_xor_b64 s[6:7], exec, s[8:9]
	s_cbranch_execz .LBB1_4541
; %bb.40381:
	s_getpc_b64 s[14:15]
.Lpost_getpc5854:
	s_add_u32 s14, s14, (.LBB1_18877-.Lpost_getpc5854)&4294967295
	s_addc_u32 s15, s15, (.LBB1_18877-.Lpost_getpc5854)>>32
	s_setpc_b64 s[14:15]
.LBB1_4541:
	s_or_saveexec_b64 s[6:7], s[6:7]
	v_mov_b32_e32 v6, s10
	s_xor_b64 exec, exec, s[6:7]
	s_cbranch_execz .LBB1_4542
; %bb.40383:
	s_getpc_b64 s[14:15]
.Lpost_getpc5855:
	s_add_u32 s14, s14, (.LBB1_18880-.Lpost_getpc5855)&4294967295
	s_addc_u32 s15, s15, (.LBB1_18880-.Lpost_getpc5855)>>32
	s_setpc_b64 s[14:15]
.LBB1_4542:
	s_or_b64 exec, exec, s[6:7]
	s_and_saveexec_b64 s[6:7], s[4:5]
	s_cbranch_execz .LBB1_4544
.LBB1_4543:
	v_bfe_u32 v6, v3, 24, 3
	v_ffbh_u32_e32 v14, v6
	v_min_u32_e32 v14, 32, v14
	v_lshrrev_b32_e32 v12, 27, v3
	v_subrev_u32_e32 v15, 28, v14
	v_and_b32_e32 v7, 0x80000000, v3
	v_and_b32_e32 v12, 15, v12
	v_bfe_u32 v13, v3, 27, 4
	v_lshlrev_b32_sdwa v3, v15, v3 dst_sel:DWORD dst_unused:UNUSED_PAD src0_sel:DWORD src1_sel:BYTE_3
	v_sub_u32_e32 v14, 29, v14
	v_and_b32_e32 v3, 7, v3
	v_cmp_eq_u16_e32 vcc, 0, v12
	v_cndmask_b32_e32 v3, v6, v3, vcc
	v_cndmask_b32_e32 v6, v13, v14, vcc
	v_mov_b32_e32 v12, 0x3b800000
	v_lshlrev_b32_e32 v3, 20, v3
	v_lshl_add_u32 v6, v6, 23, v12
	v_or3_b32 v6, v7, v6, v3
.LBB1_4544:
	s_or_b64 exec, exec, s[6:7]
	s_nop 0
	v_mfma_f32_16x16x4f32 a[0:3], v2, v6, a[0:3]
	s_movk_i32 s4, 0x7f
	v_cmp_gt_i16_sdwa s[6:7], v8, s4 src0_sel:BYTE_0 src1_sel:DWORD
	s_mov_b64 s[4:5], 0
                                        ; implicit-def: $sgpr10
	s_and_saveexec_b64 s[8:9], s[6:7]
	s_xor_b64 s[6:7], exec, s[8:9]
	s_cbranch_execz .LBB1_4545
; %bb.40385:
	s_getpc_b64 s[14:15]
.Lpost_getpc5856:
	s_add_u32 s14, s14, (.LBB1_18881-.Lpost_getpc5856)&4294967295
	s_addc_u32 s15, s15, (.LBB1_18881-.Lpost_getpc5856)>>32
	s_setpc_b64 s[14:15]
.LBB1_4545:
	s_or_saveexec_b64 s[6:7], s[6:7]
	v_mov_b32_e32 v2, s10
	s_xor_b64 exec, exec, s[6:7]
	s_cbranch_execz .LBB1_4546
; %bb.40387:
	s_getpc_b64 s[14:15]
.Lpost_getpc5857:
	s_add_u32 s14, s14, (.LBB1_18884-.Lpost_getpc5857)&4294967295
	s_addc_u32 s15, s15, (.LBB1_18884-.Lpost_getpc5857)>>32
	s_setpc_b64 s[14:15]
.LBB1_4546:
	s_or_b64 exec, exec, s[6:7]
	s_and_saveexec_b64 s[6:7], s[4:5]
	s_cbranch_execz .LBB1_4548
.LBB1_4547:
	v_and_b32_e32 v2, 7, v8
	v_ffbh_u32_e32 v6, v2
	v_min_u32_e32 v6, 32, v6
	v_lshrrev_b16_e32 v3, 3, v8
	v_subrev_u32_e32 v7, 28, v6
	v_and_b32_e32 v3, 15, v3
	v_lshlrev_b32_e32 v7, v7, v8
	v_sub_u32_e32 v6, 29, v6
	v_and_b32_e32 v7, 7, v7
	v_cmp_eq_u16_e32 vcc, 0, v3
	v_cndmask_b32_e32 v2, v2, v7, vcc
	v_cndmask_b32_e32 v3, v3, v6, vcc
	v_lshlrev_b32_e32 v6, 24, v8
	v_mov_b32_e32 v7, 0x3b800000
	v_lshlrev_b32_e32 v2, 20, v2
	v_and_b32_e32 v6, 0x80000000, v6
	v_lshl_add_u32 v3, v3, 23, v7
	v_or3_b32 v2, v6, v3, v2
.LBB1_4548:
	s_or_b64 exec, exec, s[6:7]
	s_movk_i32 s4, 0x7f
	v_cmp_gt_i16_sdwa s[6:7], v4, s4 src0_sel:BYTE_0 src1_sel:DWORD
	s_mov_b64 s[4:5], 0
                                        ; implicit-def: $sgpr10
	s_and_saveexec_b64 s[8:9], s[6:7]
	s_xor_b64 s[6:7], exec, s[8:9]
	s_cbranch_execz .LBB1_4549
; %bb.40389:
	s_getpc_b64 s[14:15]
.Lpost_getpc5858:
	s_add_u32 s14, s14, (.LBB1_18885-.Lpost_getpc5858)&4294967295
	s_addc_u32 s15, s15, (.LBB1_18885-.Lpost_getpc5858)>>32
	s_setpc_b64 s[14:15]
.LBB1_4549:
	s_or_saveexec_b64 s[6:7], s[6:7]
	v_mov_b32_e32 v3, s10
	s_xor_b64 exec, exec, s[6:7]
	s_cbranch_execz .LBB1_4550
; %bb.40391:
	s_getpc_b64 s[14:15]
.Lpost_getpc5859:
	s_add_u32 s14, s14, (.LBB1_18888-.Lpost_getpc5859)&4294967295
	s_addc_u32 s15, s15, (.LBB1_18888-.Lpost_getpc5859)>>32
	s_setpc_b64 s[14:15]
.LBB1_4550:
	s_or_b64 exec, exec, s[6:7]
	s_and_saveexec_b64 s[6:7], s[4:5]
	s_cbranch_execz .LBB1_4552
.LBB1_4551:
	v_and_b32_e32 v3, 7, v4
	v_ffbh_u32_e32 v7, v3
	v_min_u32_e32 v7, 32, v7
	v_lshrrev_b16_e32 v6, 3, v4
	v_subrev_u32_e32 v12, 28, v7
	v_and_b32_e32 v6, 15, v6
	v_lshlrev_b32_e32 v12, v12, v4
	v_sub_u32_e32 v7, 29, v7
	v_and_b32_e32 v12, 7, v12
	v_cmp_eq_u16_e32 vcc, 0, v6
	v_cndmask_b32_e32 v3, v3, v12, vcc
	v_cndmask_b32_e32 v6, v6, v7, vcc
	v_lshlrev_b32_e32 v7, 24, v4
	v_mov_b32_e32 v12, 0x3b800000
	v_lshlrev_b32_e32 v3, 20, v3
	v_and_b32_e32 v7, 0x80000000, v7
	v_lshl_add_u32 v6, v6, 23, v12
	v_or3_b32 v3, v7, v6, v3
.LBB1_4552:
	s_or_b64 exec, exec, s[6:7]
	s_nop 0
	v_mfma_f32_16x16x4f32 a[0:3], v2, v3, a[0:3]
	v_lshrrev_b32_e32 v3, 8, v8
	s_movk_i32 s4, 0x7f
	v_cmp_gt_i16_sdwa s[6:7], v3, s4 src0_sel:BYTE_0 src1_sel:DWORD
	s_mov_b64 s[4:5], 0
                                        ; implicit-def: $sgpr10
	s_and_saveexec_b64 s[8:9], s[6:7]
	s_xor_b64 s[6:7], exec, s[8:9]
	s_cbranch_execz .LBB1_4553
; %bb.40393:
	s_getpc_b64 s[14:15]
.Lpost_getpc5860:
	s_add_u32 s14, s14, (.LBB1_18889-.Lpost_getpc5860)&4294967295
	s_addc_u32 s15, s15, (.LBB1_18889-.Lpost_getpc5860)>>32
	s_setpc_b64 s[14:15]
.LBB1_4553:
	s_or_saveexec_b64 s[6:7], s[6:7]
	v_mov_b32_e32 v2, s10
	s_xor_b64 exec, exec, s[6:7]
	s_cbranch_execz .LBB1_4554
; %bb.40395:
	s_getpc_b64 s[14:15]
.Lpost_getpc5861:
	s_add_u32 s14, s14, (.LBB1_18892-.Lpost_getpc5861)&4294967295
	s_addc_u32 s15, s15, (.LBB1_18892-.Lpost_getpc5861)>>32
	s_setpc_b64 s[14:15]
.LBB1_4554:
	s_or_b64 exec, exec, s[6:7]
	s_and_saveexec_b64 s[6:7], s[4:5]
	s_cbranch_execz .LBB1_4556
.LBB1_4555:
	v_bfe_u32 v2, v8, 8, 3
	v_ffbh_u32_e32 v7, v2
	v_min_u32_e32 v7, 32, v7
	v_lshrrev_b16_e32 v6, 3, v3
	v_subrev_u32_e32 v12, 28, v7
	v_and_b32_e32 v6, 15, v6
	v_lshlrev_b32_e32 v3, v12, v3
	v_sub_u32_e32 v7, 29, v7
	v_and_b32_e32 v3, 7, v3
	v_cmp_eq_u16_e32 vcc, 0, v6
	v_cndmask_b32_e32 v2, v2, v3, vcc
	v_cndmask_b32_e32 v3, v6, v7, vcc
	v_lshlrev_b32_e32 v6, 16, v8
	v_mov_b32_e32 v7, 0x3b800000
	v_lshlrev_b32_e32 v2, 20, v2
	v_and_b32_e32 v6, 0x80000000, v6
	v_lshl_add_u32 v3, v3, 23, v7
	v_or3_b32 v2, v6, v3, v2
.LBB1_4556:
	s_or_b64 exec, exec, s[6:7]
	v_lshrrev_b32_e32 v3, 8, v4
	s_movk_i32 s4, 0x7f
	v_cmp_gt_i16_sdwa s[6:7], v3, s4 src0_sel:BYTE_0 src1_sel:DWORD
	s_mov_b64 s[4:5], 0
                                        ; implicit-def: $sgpr10
	s_and_saveexec_b64 s[8:9], s[6:7]
	s_xor_b64 s[6:7], exec, s[8:9]
	s_cbranch_execz .LBB1_4557
; %bb.40397:
	s_getpc_b64 s[14:15]
.Lpost_getpc5862:
	s_add_u32 s14, s14, (.LBB1_18893-.Lpost_getpc5862)&4294967295
	s_addc_u32 s15, s15, (.LBB1_18893-.Lpost_getpc5862)>>32
	s_setpc_b64 s[14:15]
.LBB1_4557:
	s_or_saveexec_b64 s[6:7], s[6:7]
	v_mov_b32_e32 v6, s10
	s_xor_b64 exec, exec, s[6:7]
	s_cbranch_execz .LBB1_4558
; %bb.40399:
	s_getpc_b64 s[14:15]
.Lpost_getpc5863:
	s_add_u32 s14, s14, (.LBB1_18896-.Lpost_getpc5863)&4294967295
	s_addc_u32 s15, s15, (.LBB1_18896-.Lpost_getpc5863)>>32
	s_setpc_b64 s[14:15]
.LBB1_4558:
	s_or_b64 exec, exec, s[6:7]
	s_and_saveexec_b64 s[6:7], s[4:5]
	s_cbranch_execz .LBB1_4560
.LBB1_4559:
	v_bfe_u32 v6, v4, 8, 3
	v_ffbh_u32_e32 v12, v6
	v_min_u32_e32 v12, 32, v12
	v_lshrrev_b16_e32 v7, 3, v3
	v_subrev_u32_e32 v13, 28, v12
	v_and_b32_e32 v7, 15, v7
	v_lshlrev_b32_e32 v3, v13, v3
	v_sub_u32_e32 v12, 29, v12
	v_and_b32_e32 v3, 7, v3
	v_cmp_eq_u16_e32 vcc, 0, v7
	v_cndmask_b32_e32 v3, v6, v3, vcc
	v_cndmask_b32_e32 v6, v7, v12, vcc
	v_lshlrev_b32_e32 v7, 16, v4
	v_mov_b32_e32 v12, 0x3b800000
	v_lshlrev_b32_e32 v3, 20, v3
	v_and_b32_e32 v7, 0x80000000, v7
	v_lshl_add_u32 v6, v6, 23, v12
	v_or3_b32 v6, v7, v6, v3
.LBB1_4560:
	s_or_b64 exec, exec, s[6:7]
	s_nop 0
	v_mfma_f32_16x16x4f32 a[0:3], v2, v6, a[0:3]
	s_movk_i32 s4, 0xff
	v_and_b32_sdwa v3, v8, s4 dst_sel:DWORD dst_unused:UNUSED_PAD src0_sel:WORD_1 src1_sel:DWORD
	s_movk_i32 s4, 0x7f
	v_cmp_lt_i16_e32 vcc, s4, v3
	s_mov_b64 s[4:5], 0
                                        ; implicit-def: $sgpr10
	s_and_saveexec_b64 s[6:7], vcc
	s_xor_b64 s[6:7], exec, s[6:7]
	s_cbranch_execz .LBB1_4561
; %bb.40401:
	s_getpc_b64 s[14:15]
.Lpost_getpc5864:
	s_add_u32 s14, s14, (.LBB1_18897-.Lpost_getpc5864)&4294967295
	s_addc_u32 s15, s15, (.LBB1_18897-.Lpost_getpc5864)>>32
	s_setpc_b64 s[14:15]
.LBB1_4561:
	s_or_saveexec_b64 s[6:7], s[6:7]
	v_mov_b32_e32 v2, s10
	s_xor_b64 exec, exec, s[6:7]
	s_cbranch_execz .LBB1_4562
; %bb.40403:
	s_getpc_b64 s[14:15]
.Lpost_getpc5865:
	s_add_u32 s14, s14, (.LBB1_18900-.Lpost_getpc5865)&4294967295
	s_addc_u32 s15, s15, (.LBB1_18900-.Lpost_getpc5865)>>32
	s_setpc_b64 s[14:15]
.LBB1_4562:
	s_or_b64 exec, exec, s[6:7]
	s_and_saveexec_b64 s[6:7], s[4:5]
	s_cbranch_execz .LBB1_4564
.LBB1_4563:
	v_bfe_u32 v2, v8, 16, 3
	v_ffbh_u32_e32 v7, v2
	v_min_u32_e32 v7, 32, v7
	v_lshrrev_b32_e32 v3, 19, v8
	v_subrev_u32_e32 v12, 28, v7
	v_and_b32_e32 v3, 15, v3
	v_lshlrev_b32_sdwa v12, v12, v8 dst_sel:DWORD dst_unused:UNUSED_PAD src0_sel:DWORD src1_sel:WORD_1
	v_bfe_u32 v6, v8, 19, 4
	v_sub_u32_e32 v7, 29, v7
	v_and_b32_e32 v12, 7, v12
	v_cmp_eq_u16_e32 vcc, 0, v3
	v_cndmask_b32_e32 v2, v2, v12, vcc
	v_cndmask_b32_e32 v3, v6, v7, vcc
	v_lshlrev_b32_e32 v6, 8, v8
	v_mov_b32_e32 v7, 0x3b800000
	v_lshlrev_b32_e32 v2, 20, v2
	v_and_b32_e32 v6, 0x80000000, v6
	v_lshl_add_u32 v3, v3, 23, v7
	v_or3_b32 v2, v6, v3, v2
.LBB1_4564:
	s_or_b64 exec, exec, s[6:7]
	s_movk_i32 s4, 0xff
	v_and_b32_sdwa v3, v4, s4 dst_sel:DWORD dst_unused:UNUSED_PAD src0_sel:WORD_1 src1_sel:DWORD
	s_movk_i32 s4, 0x7f
	v_cmp_lt_i16_e32 vcc, s4, v3
	s_mov_b64 s[4:5], 0
                                        ; implicit-def: $sgpr10
	s_and_saveexec_b64 s[6:7], vcc
	s_xor_b64 s[6:7], exec, s[6:7]
	s_cbranch_execz .LBB1_4565
; %bb.40405:
	s_getpc_b64 s[14:15]
.Lpost_getpc5866:
	s_add_u32 s14, s14, (.LBB1_18901-.Lpost_getpc5866)&4294967295
	s_addc_u32 s15, s15, (.LBB1_18901-.Lpost_getpc5866)>>32
	s_setpc_b64 s[14:15]
.LBB1_4565:
	s_or_saveexec_b64 s[6:7], s[6:7]
	v_mov_b32_e32 v6, s10
	s_xor_b64 exec, exec, s[6:7]
	s_cbranch_execz .LBB1_4566
; %bb.40407:
	s_getpc_b64 s[14:15]
.Lpost_getpc5867:
	s_add_u32 s14, s14, (.LBB1_18904-.Lpost_getpc5867)&4294967295
	s_addc_u32 s15, s15, (.LBB1_18904-.Lpost_getpc5867)>>32
	s_setpc_b64 s[14:15]
.LBB1_4566:
	s_or_b64 exec, exec, s[6:7]
	s_and_saveexec_b64 s[6:7], s[4:5]
	s_cbranch_execz .LBB1_4568
.LBB1_4567:
	v_bfe_u32 v3, v4, 16, 3
	v_ffbh_u32_e32 v12, v3
	v_min_u32_e32 v12, 32, v12
	v_lshrrev_b32_e32 v6, 19, v4
	v_subrev_u32_e32 v13, 28, v12
	v_and_b32_e32 v6, 15, v6
	v_lshlrev_b32_sdwa v13, v13, v4 dst_sel:DWORD dst_unused:UNUSED_PAD src0_sel:DWORD src1_sel:WORD_1
	v_bfe_u32 v7, v4, 19, 4
	v_sub_u32_e32 v12, 29, v12
	v_and_b32_e32 v13, 7, v13
	v_cmp_eq_u16_e32 vcc, 0, v6
	v_cndmask_b32_e32 v3, v3, v13, vcc
	v_cndmask_b32_e32 v6, v7, v12, vcc
	v_lshlrev_b32_e32 v7, 8, v4
	v_mov_b32_e32 v12, 0x3b800000
	v_lshlrev_b32_e32 v3, 20, v3
	v_and_b32_e32 v7, 0x80000000, v7
	v_lshl_add_u32 v6, v6, 23, v12
	v_or3_b32 v6, v7, v6, v3
.LBB1_4568:
	s_or_b64 exec, exec, s[6:7]
	s_nop 0
	v_mfma_f32_16x16x4f32 a[0:3], v2, v6, a[0:3]
	s_movk_i32 s4, 0x7f
	v_cmp_gt_i16_sdwa s[6:7], v8, s4 src0_sel:BYTE_3 src1_sel:DWORD
	s_mov_b64 s[4:5], 0
                                        ; implicit-def: $sgpr10
	s_and_saveexec_b64 s[8:9], s[6:7]
	s_xor_b64 s[6:7], exec, s[8:9]
	s_cbranch_execz .LBB1_4569
; %bb.40409:
	s_getpc_b64 s[14:15]
.Lpost_getpc5868:
	s_add_u32 s14, s14, (.LBB1_18905-.Lpost_getpc5868)&4294967295
	s_addc_u32 s15, s15, (.LBB1_18905-.Lpost_getpc5868)>>32
	s_setpc_b64 s[14:15]
.LBB1_4569:
	s_or_saveexec_b64 s[6:7], s[6:7]
	v_mov_b32_e32 v2, s10
	s_xor_b64 exec, exec, s[6:7]
	s_cbranch_execz .LBB1_4570
; %bb.40411:
	s_getpc_b64 s[14:15]
.Lpost_getpc5869:
	s_add_u32 s14, s14, (.LBB1_18908-.Lpost_getpc5869)&4294967295
	s_addc_u32 s15, s15, (.LBB1_18908-.Lpost_getpc5869)>>32
	s_setpc_b64 s[14:15]
.LBB1_4570:
	s_or_b64 exec, exec, s[6:7]
	s_and_saveexec_b64 s[6:7], s[4:5]
	s_cbranch_execz .LBB1_4572
.LBB1_4571:
	v_bfe_u32 v2, v8, 24, 3
	v_ffbh_u32_e32 v12, v2
	v_min_u32_e32 v12, 32, v12
	v_lshrrev_b32_e32 v6, 27, v8
	v_subrev_u32_e32 v13, 28, v12
	v_and_b32_e32 v3, 0x80000000, v8
	v_and_b32_e32 v6, 15, v6
	v_bfe_u32 v7, v8, 27, 4
	v_lshlrev_b32_sdwa v8, v13, v8 dst_sel:DWORD dst_unused:UNUSED_PAD src0_sel:DWORD src1_sel:BYTE_3
	v_sub_u32_e32 v12, 29, v12
	v_and_b32_e32 v8, 7, v8
	v_cmp_eq_u16_e32 vcc, 0, v6
	v_cndmask_b32_e32 v2, v2, v8, vcc
	v_cndmask_b32_e32 v6, v7, v12, vcc
	v_mov_b32_e32 v7, 0x3b800000
	v_lshlrev_b32_e32 v2, 20, v2
	v_lshl_add_u32 v6, v6, 23, v7
	v_or3_b32 v2, v3, v6, v2
.LBB1_4572:
	s_or_b64 exec, exec, s[6:7]
	s_movk_i32 s4, 0x7f
	v_cmp_gt_i16_sdwa s[6:7], v4, s4 src0_sel:BYTE_3 src1_sel:DWORD
	s_mov_b64 s[4:5], 0
                                        ; implicit-def: $sgpr10
	s_and_saveexec_b64 s[8:9], s[6:7]
	s_xor_b64 s[6:7], exec, s[8:9]
	s_cbranch_execz .LBB1_4573
; %bb.40413:
	s_getpc_b64 s[14:15]
.Lpost_getpc5870:
	s_add_u32 s14, s14, (.LBB1_18909-.Lpost_getpc5870)&4294967295
	s_addc_u32 s15, s15, (.LBB1_18909-.Lpost_getpc5870)>>32
	s_setpc_b64 s[14:15]
.LBB1_4573:
	s_or_saveexec_b64 s[6:7], s[6:7]
	v_mov_b32_e32 v3, s10
	s_xor_b64 exec, exec, s[6:7]
	s_cbranch_execz .LBB1_4574
; %bb.40415:
	s_getpc_b64 s[14:15]
.Lpost_getpc5871:
	s_add_u32 s14, s14, (.LBB1_18912-.Lpost_getpc5871)&4294967295
	s_addc_u32 s15, s15, (.LBB1_18912-.Lpost_getpc5871)>>32
	s_setpc_b64 s[14:15]
.LBB1_4574:
	s_or_b64 exec, exec, s[6:7]
	s_and_saveexec_b64 s[6:7], s[4:5]
	s_cbranch_execz .LBB1_4576
.LBB1_4575:
	v_bfe_u32 v3, v4, 24, 3
	v_ffbh_u32_e32 v12, v3
	v_min_u32_e32 v12, 32, v12
	v_lshrrev_b32_e32 v7, 27, v4
	v_subrev_u32_e32 v13, 28, v12
	v_and_b32_e32 v6, 0x80000000, v4
	v_and_b32_e32 v7, 15, v7
	v_bfe_u32 v8, v4, 27, 4
	v_lshlrev_b32_sdwa v4, v13, v4 dst_sel:DWORD dst_unused:UNUSED_PAD src0_sel:DWORD src1_sel:BYTE_3
	v_sub_u32_e32 v12, 29, v12
	v_and_b32_e32 v4, 7, v4
	v_cmp_eq_u16_e32 vcc, 0, v7
	v_cndmask_b32_e32 v3, v3, v4, vcc
	v_cndmask_b32_e32 v4, v8, v12, vcc
	v_mov_b32_e32 v7, 0x3b800000
	v_lshlrev_b32_e32 v3, 20, v3
	v_lshl_add_u32 v4, v4, 23, v7
	v_or3_b32 v3, v6, v4, v3
.LBB1_4576:
	s_or_b64 exec, exec, s[6:7]
	s_nop 0
	v_mfma_f32_16x16x4f32 a[0:3], v2, v3, a[0:3]
	s_movk_i32 s4, 0x7f
	v_cmp_gt_i16_sdwa s[6:7], v9, s4 src0_sel:BYTE_0 src1_sel:DWORD
	s_mov_b64 s[4:5], 0
                                        ; implicit-def: $sgpr10
	s_and_saveexec_b64 s[8:9], s[6:7]
	s_xor_b64 s[6:7], exec, s[8:9]
	s_cbranch_execz .LBB1_4577
; %bb.40417:
	s_getpc_b64 s[14:15]
.Lpost_getpc5872:
	s_add_u32 s14, s14, (.LBB1_18913-.Lpost_getpc5872)&4294967295
	s_addc_u32 s15, s15, (.LBB1_18913-.Lpost_getpc5872)>>32
	s_setpc_b64 s[14:15]
.LBB1_4577:
	s_or_saveexec_b64 s[6:7], s[6:7]
	v_mov_b32_e32 v2, s10
	s_xor_b64 exec, exec, s[6:7]
	s_cbranch_execz .LBB1_4578
; %bb.40419:
	s_getpc_b64 s[14:15]
.Lpost_getpc5873:
	s_add_u32 s14, s14, (.LBB1_18916-.Lpost_getpc5873)&4294967295
	s_addc_u32 s15, s15, (.LBB1_18916-.Lpost_getpc5873)>>32
	s_setpc_b64 s[14:15]
.LBB1_4578:
	s_or_b64 exec, exec, s[6:7]
	s_and_saveexec_b64 s[6:7], s[4:5]
	s_cbranch_execz .LBB1_4580
.LBB1_4579:
	v_mov_b32_e32 v2, 8
	v_and_b32_e32 v3, 7, v9
	v_lshrrev_b32_sdwa v2, v2, v9 dst_sel:BYTE_1 dst_unused:UNUSED_PAD src0_sel:DWORD src1_sel:DWORD
	v_ffbh_u32_e32 v4, v3
	v_or_b32_sdwa v2, v9, v2 dst_sel:DWORD dst_unused:UNUSED_PAD src0_sel:BYTE_0 src1_sel:DWORD
	v_min_u32_e32 v4, 32, v4
	v_lshrrev_b16_e32 v2, 3, v2
	v_subrev_u32_e32 v6, 28, v4
	v_and_b32_e32 v2, 15, v2
	v_lshlrev_b32_e32 v6, v6, v9
	v_sub_u32_e32 v4, 29, v4
	v_and_b32_e32 v6, 7, v6
	v_cmp_eq_u16_e32 vcc, 0, v2
	v_cndmask_b32_e32 v3, v3, v6, vcc
	v_cndmask_b32_e32 v2, v2, v4, vcc
	v_lshlrev_b32_e32 v4, 24, v9
	v_mov_b32_e32 v6, 0x3b800000
	v_lshlrev_b32_e32 v3, 20, v3
	v_and_b32_e32 v4, 0x80000000, v4
	v_lshl_add_u32 v2, v2, 23, v6
	v_or3_b32 v2, v4, v2, v3
.LBB1_4580:
	s_or_b64 exec, exec, s[6:7]
	s_movk_i32 s4, 0x7f
	v_cmp_gt_i16_sdwa s[6:7], v5, s4 src0_sel:BYTE_0 src1_sel:DWORD
	s_mov_b64 s[4:5], 0
                                        ; implicit-def: $sgpr10
	s_and_saveexec_b64 s[8:9], s[6:7]
	s_xor_b64 s[6:7], exec, s[8:9]
	s_cbranch_execz .LBB1_4581
; %bb.40421:
	s_getpc_b64 s[14:15]
.Lpost_getpc5874:
	s_add_u32 s14, s14, (.LBB1_18917-.Lpost_getpc5874)&4294967295
	s_addc_u32 s15, s15, (.LBB1_18917-.Lpost_getpc5874)>>32
	s_setpc_b64 s[14:15]
.LBB1_4581:
	s_or_saveexec_b64 s[6:7], s[6:7]
	v_mov_b32_e32 v3, s10
	s_xor_b64 exec, exec, s[6:7]
	s_cbranch_execz .LBB1_4582
; %bb.40423:
	s_getpc_b64 s[14:15]
.Lpost_getpc5875:
	s_add_u32 s14, s14, (.LBB1_18920-.Lpost_getpc5875)&4294967295
	s_addc_u32 s15, s15, (.LBB1_18920-.Lpost_getpc5875)>>32
	s_setpc_b64 s[14:15]
.LBB1_4582:
	s_or_b64 exec, exec, s[6:7]
	s_and_saveexec_b64 s[6:7], s[4:5]
	s_cbranch_execz .LBB1_4584
.LBB1_4583:
	v_mov_b32_e32 v3, 8
	v_and_b32_e32 v4, 7, v5
	v_lshrrev_b32_sdwa v3, v3, v5 dst_sel:BYTE_1 dst_unused:UNUSED_PAD src0_sel:DWORD src1_sel:DWORD
	v_ffbh_u32_e32 v6, v4
	v_or_b32_sdwa v3, v5, v3 dst_sel:DWORD dst_unused:UNUSED_PAD src0_sel:BYTE_0 src1_sel:DWORD
	v_min_u32_e32 v6, 32, v6
	v_lshrrev_b16_e32 v3, 3, v3
	v_subrev_u32_e32 v7, 28, v6
	v_and_b32_e32 v3, 15, v3
	v_lshlrev_b32_e32 v7, v7, v5
	v_sub_u32_e32 v6, 29, v6
	v_and_b32_e32 v7, 7, v7
	v_cmp_eq_u16_e32 vcc, 0, v3
	v_cndmask_b32_e32 v4, v4, v7, vcc
	v_cndmask_b32_e32 v3, v3, v6, vcc
	v_lshlrev_b32_e32 v6, 24, v5
	v_mov_b32_e32 v7, 0x3b800000
	v_lshlrev_b32_e32 v4, 20, v4
	v_and_b32_e32 v6, 0x80000000, v6
	v_lshl_add_u32 v3, v3, 23, v7
	v_or3_b32 v3, v6, v3, v4
.LBB1_4584:
	s_or_b64 exec, exec, s[6:7]
	s_nop 0
	v_mfma_f32_16x16x4f32 a[0:3], v2, v3, a[0:3]
	v_lshrrev_b32_e32 v3, 8, v9
	s_movk_i32 s4, 0x7f
	v_cmp_gt_i16_sdwa s[6:7], v3, s4 src0_sel:BYTE_0 src1_sel:DWORD
	s_mov_b64 s[4:5], 0
                                        ; implicit-def: $sgpr10
	s_and_saveexec_b64 s[8:9], s[6:7]
	s_xor_b64 s[6:7], exec, s[8:9]
	s_cbranch_execz .LBB1_4585
; %bb.40425:
	s_getpc_b64 s[14:15]
.Lpost_getpc5876:
	s_add_u32 s14, s14, (.LBB1_18921-.Lpost_getpc5876)&4294967295
	s_addc_u32 s15, s15, (.LBB1_18921-.Lpost_getpc5876)>>32
	s_setpc_b64 s[14:15]
.LBB1_4585:
	s_or_saveexec_b64 s[6:7], s[6:7]
	v_mov_b32_e32 v2, s10
	s_xor_b64 exec, exec, s[6:7]
	s_cbranch_execz .LBB1_4586
; %bb.40427:
	s_getpc_b64 s[14:15]
.Lpost_getpc5877:
	s_add_u32 s14, s14, (.LBB1_18924-.Lpost_getpc5877)&4294967295
	s_addc_u32 s15, s15, (.LBB1_18924-.Lpost_getpc5877)>>32
	s_setpc_b64 s[14:15]
.LBB1_4586:
	s_or_b64 exec, exec, s[6:7]
	s_and_saveexec_b64 s[6:7], s[4:5]
	s_cbranch_execz .LBB1_4588
.LBB1_4587:
	v_bfe_u32 v2, v9, 8, 3
	v_ffbh_u32_e32 v6, v2
	v_min_u32_e32 v6, 32, v6
	v_lshrrev_b16_e32 v4, 3, v3
	v_subrev_u32_e32 v7, 28, v6
	v_and_b32_e32 v4, 15, v4
	v_lshlrev_b32_e32 v3, v7, v3
	v_sub_u32_e32 v6, 29, v6
	v_and_b32_e32 v3, 7, v3
	v_cmp_eq_u16_e32 vcc, 0, v4
	v_cndmask_b32_e32 v2, v2, v3, vcc
	v_cndmask_b32_e32 v3, v4, v6, vcc
	v_lshlrev_b32_e32 v4, 16, v9
	v_mov_b32_e32 v6, 0x3b800000
	v_lshlrev_b32_e32 v2, 20, v2
	v_and_b32_e32 v4, 0x80000000, v4
	v_lshl_add_u32 v3, v3, 23, v6
	v_or3_b32 v2, v4, v3, v2
.LBB1_4588:
	s_or_b64 exec, exec, s[6:7]
	v_lshrrev_b32_e32 v3, 8, v5
	s_movk_i32 s4, 0x7f
	v_cmp_gt_i16_sdwa s[6:7], v3, s4 src0_sel:BYTE_0 src1_sel:DWORD
	s_mov_b64 s[4:5], 0
                                        ; implicit-def: $sgpr10
	s_and_saveexec_b64 s[8:9], s[6:7]
	s_xor_b64 s[6:7], exec, s[8:9]
	s_cbranch_execz .LBB1_4589
; %bb.40429:
	s_getpc_b64 s[14:15]
.Lpost_getpc5878:
	s_add_u32 s14, s14, (.LBB1_18925-.Lpost_getpc5878)&4294967295
	s_addc_u32 s15, s15, (.LBB1_18925-.Lpost_getpc5878)>>32
	s_setpc_b64 s[14:15]
.LBB1_4589:
	s_or_saveexec_b64 s[6:7], s[6:7]
	v_mov_b32_e32 v4, s10
	s_xor_b64 exec, exec, s[6:7]
	s_cbranch_execz .LBB1_4590
; %bb.40431:
	s_getpc_b64 s[14:15]
.Lpost_getpc5879:
	s_add_u32 s14, s14, (.LBB1_18928-.Lpost_getpc5879)&4294967295
	s_addc_u32 s15, s15, (.LBB1_18928-.Lpost_getpc5879)>>32
	s_setpc_b64 s[14:15]
.LBB1_4590:
	s_or_b64 exec, exec, s[6:7]
	s_and_saveexec_b64 s[6:7], s[4:5]
	s_cbranch_execz .LBB1_4592
.LBB1_4591:
	v_bfe_u32 v4, v5, 8, 3
	v_ffbh_u32_e32 v7, v4
	v_min_u32_e32 v7, 32, v7
	v_lshrrev_b16_e32 v6, 3, v3
	v_subrev_u32_e32 v8, 28, v7
	v_and_b32_e32 v6, 15, v6
	v_lshlrev_b32_e32 v3, v8, v3
	v_sub_u32_e32 v7, 29, v7
	v_and_b32_e32 v3, 7, v3
	v_cmp_eq_u16_e32 vcc, 0, v6
	v_cndmask_b32_e32 v3, v4, v3, vcc
	v_cndmask_b32_e32 v4, v6, v7, vcc
	v_lshlrev_b32_e32 v6, 16, v5
	v_mov_b32_e32 v7, 0x3b800000
	v_lshlrev_b32_e32 v3, 20, v3
	v_and_b32_e32 v6, 0x80000000, v6
	v_lshl_add_u32 v4, v4, 23, v7
	v_or3_b32 v4, v6, v4, v3
.LBB1_4592:
	s_or_b64 exec, exec, s[6:7]
	s_nop 0
	v_mfma_f32_16x16x4f32 a[0:3], v2, v4, a[0:3]
	s_movk_i32 s4, 0xff
	v_and_b32_sdwa v3, v9, s4 dst_sel:DWORD dst_unused:UNUSED_PAD src0_sel:WORD_1 src1_sel:DWORD
	s_movk_i32 s4, 0x7f
	v_cmp_lt_i16_e32 vcc, s4, v3
	s_mov_b64 s[4:5], 0
                                        ; implicit-def: $sgpr10
	s_and_saveexec_b64 s[6:7], vcc
	s_xor_b64 s[6:7], exec, s[6:7]
	s_cbranch_execz .LBB1_4593
; %bb.40433:
	s_getpc_b64 s[14:15]
.Lpost_getpc5880:
	s_add_u32 s14, s14, (.LBB1_18929-.Lpost_getpc5880)&4294967295
	s_addc_u32 s15, s15, (.LBB1_18929-.Lpost_getpc5880)>>32
	s_setpc_b64 s[14:15]
.LBB1_4593:
	s_or_saveexec_b64 s[6:7], s[6:7]
	v_mov_b32_e32 v2, s10
	s_xor_b64 exec, exec, s[6:7]
	s_cbranch_execz .LBB1_4594
; %bb.40435:
	s_getpc_b64 s[14:15]
.Lpost_getpc5881:
	s_add_u32 s14, s14, (.LBB1_18932-.Lpost_getpc5881)&4294967295
	s_addc_u32 s15, s15, (.LBB1_18932-.Lpost_getpc5881)>>32
	s_setpc_b64 s[14:15]
.LBB1_4594:
	s_or_b64 exec, exec, s[6:7]
	s_and_saveexec_b64 s[6:7], s[4:5]
	s_cbranch_execz .LBB1_4596
.LBB1_4595:
	v_bfe_u32 v2, v9, 16, 3
	v_ffbh_u32_e32 v6, v2
	v_min_u32_e32 v6, 32, v6
	v_lshrrev_b32_e32 v3, 19, v9
	v_subrev_u32_e32 v7, 28, v6
	v_and_b32_e32 v3, 15, v3
	v_lshlrev_b32_sdwa v7, v7, v9 dst_sel:DWORD dst_unused:UNUSED_PAD src0_sel:DWORD src1_sel:WORD_1
	v_bfe_u32 v4, v9, 19, 4
	v_sub_u32_e32 v6, 29, v6
	v_and_b32_e32 v7, 7, v7
	v_cmp_eq_u16_e32 vcc, 0, v3
	v_cndmask_b32_e32 v2, v2, v7, vcc
	v_cndmask_b32_e32 v3, v4, v6, vcc
	v_lshlrev_b32_e32 v4, 8, v9
	v_mov_b32_e32 v6, 0x3b800000
	v_lshlrev_b32_e32 v2, 20, v2
	v_and_b32_e32 v4, 0x80000000, v4
	v_lshl_add_u32 v3, v3, 23, v6
	v_or3_b32 v2, v4, v3, v2
.LBB1_4596:
	s_or_b64 exec, exec, s[6:7]
	s_movk_i32 s4, 0xff
	v_and_b32_sdwa v3, v5, s4 dst_sel:DWORD dst_unused:UNUSED_PAD src0_sel:WORD_1 src1_sel:DWORD
	s_movk_i32 s4, 0x7f
	v_cmp_lt_i16_e32 vcc, s4, v3
	s_mov_b64 s[4:5], 0
                                        ; implicit-def: $sgpr10
	s_and_saveexec_b64 s[6:7], vcc
	s_xor_b64 s[6:7], exec, s[6:7]
	s_cbranch_execz .LBB1_4597
; %bb.40437:
	s_getpc_b64 s[14:15]
.Lpost_getpc5882:
	s_add_u32 s14, s14, (.LBB1_18933-.Lpost_getpc5882)&4294967295
	s_addc_u32 s15, s15, (.LBB1_18933-.Lpost_getpc5882)>>32
	s_setpc_b64 s[14:15]
.LBB1_4597:
	s_or_saveexec_b64 s[6:7], s[6:7]
	v_mov_b32_e32 v4, s10
	s_xor_b64 exec, exec, s[6:7]
	s_cbranch_execz .LBB1_4598
; %bb.40439:
	s_getpc_b64 s[14:15]
.Lpost_getpc5883:
	s_add_u32 s14, s14, (.LBB1_18936-.Lpost_getpc5883)&4294967295
	s_addc_u32 s15, s15, (.LBB1_18936-.Lpost_getpc5883)>>32
	s_setpc_b64 s[14:15]
.LBB1_4598:
	s_or_b64 exec, exec, s[6:7]
	s_and_saveexec_b64 s[6:7], s[4:5]
	s_cbranch_execz .LBB1_4600
.LBB1_4599:
	v_bfe_u32 v3, v5, 16, 3
	v_ffbh_u32_e32 v7, v3
	v_min_u32_e32 v7, 32, v7
	v_lshrrev_b32_e32 v4, 19, v5
	v_subrev_u32_e32 v8, 28, v7
	v_and_b32_e32 v4, 15, v4
	v_lshlrev_b32_sdwa v8, v8, v5 dst_sel:DWORD dst_unused:UNUSED_PAD src0_sel:DWORD src1_sel:WORD_1
	v_bfe_u32 v6, v5, 19, 4
	v_sub_u32_e32 v7, 29, v7
	v_and_b32_e32 v8, 7, v8
	v_cmp_eq_u16_e32 vcc, 0, v4
	v_cndmask_b32_e32 v3, v3, v8, vcc
	v_cndmask_b32_e32 v4, v6, v7, vcc
	v_lshlrev_b32_e32 v6, 8, v5
	v_mov_b32_e32 v7, 0x3b800000
	v_lshlrev_b32_e32 v3, 20, v3
	v_and_b32_e32 v6, 0x80000000, v6
	v_lshl_add_u32 v4, v4, 23, v7
	v_or3_b32 v4, v6, v4, v3
.LBB1_4600:
	s_or_b64 exec, exec, s[6:7]
	s_nop 0
	v_mfma_f32_16x16x4f32 a[0:3], v2, v4, a[0:3]
	s_movk_i32 s4, 0x7f
	v_cmp_gt_i16_sdwa s[6:7], v9, s4 src0_sel:BYTE_3 src1_sel:DWORD
	s_mov_b64 s[4:5], 0
                                        ; implicit-def: $sgpr10
	s_and_saveexec_b64 s[8:9], s[6:7]
	s_xor_b64 s[6:7], exec, s[8:9]
	s_cbranch_execz .LBB1_4601
; %bb.40441:
	s_getpc_b64 s[14:15]
.Lpost_getpc5884:
	s_add_u32 s14, s14, (.LBB1_18937-.Lpost_getpc5884)&4294967295
	s_addc_u32 s15, s15, (.LBB1_18937-.Lpost_getpc5884)>>32
	s_setpc_b64 s[14:15]
.LBB1_4601:
	s_or_saveexec_b64 s[6:7], s[6:7]
	v_mov_b32_e32 v2, s10
	s_xor_b64 exec, exec, s[6:7]
	s_cbranch_execz .LBB1_4602
; %bb.40443:
	s_getpc_b64 s[14:15]
.Lpost_getpc5885:
	s_add_u32 s14, s14, (.LBB1_18940-.Lpost_getpc5885)&4294967295
	s_addc_u32 s15, s15, (.LBB1_18940-.Lpost_getpc5885)>>32
	s_setpc_b64 s[14:15]
.LBB1_4602:
	s_or_b64 exec, exec, s[6:7]
	s_and_saveexec_b64 s[6:7], s[4:5]
	s_cbranch_execz .LBB1_4604
.LBB1_4603:
	v_bfe_u32 v2, v9, 24, 3
	v_ffbh_u32_e32 v7, v2
	v_min_u32_e32 v7, 32, v7
	v_lshrrev_b32_e32 v4, 27, v9
	v_subrev_u32_e32 v8, 28, v7
	v_and_b32_e32 v4, 15, v4
	v_lshlrev_b32_sdwa v8, v8, v9 dst_sel:DWORD dst_unused:UNUSED_PAD src0_sel:DWORD src1_sel:BYTE_3
	v_bfe_u32 v6, v9, 27, 4
	v_sub_u32_e32 v7, 29, v7
	v_and_b32_e32 v8, 7, v8
	v_cmp_eq_u16_e32 vcc, 0, v4
	v_cndmask_b32_e32 v2, v2, v8, vcc
	v_cndmask_b32_e32 v4, v6, v7, vcc
	v_mov_b32_e32 v6, 0x3b800000
	v_and_b32_e32 v3, 0x80000000, v9
	v_lshlrev_b32_e32 v2, 20, v2
	v_lshl_add_u32 v4, v4, 23, v6
	v_or3_b32 v2, v3, v4, v2
.LBB1_4604:
	s_or_b64 exec, exec, s[6:7]
	s_movk_i32 s4, 0x7f
	v_cmp_gt_i16_sdwa s[6:7], v5, s4 src0_sel:BYTE_3 src1_sel:DWORD
	s_mov_b64 s[4:5], 0
                                        ; implicit-def: $sgpr10
	s_and_saveexec_b64 s[8:9], s[6:7]
	s_xor_b64 s[6:7], exec, s[8:9]
	s_cbranch_execz .LBB1_4605
; %bb.40445:
	s_getpc_b64 s[14:15]
.Lpost_getpc5886:
	s_add_u32 s14, s14, (.LBB1_18941-.Lpost_getpc5886)&4294967295
	s_addc_u32 s15, s15, (.LBB1_18941-.Lpost_getpc5886)>>32
	s_setpc_b64 s[14:15]
.LBB1_4605:
	s_or_saveexec_b64 s[6:7], s[6:7]
	v_mov_b32_e32 v3, s10
	s_xor_b64 exec, exec, s[6:7]
	s_cbranch_execz .LBB1_4606
; %bb.40447:
	s_getpc_b64 s[14:15]
.Lpost_getpc5887:
	s_add_u32 s14, s14, (.LBB1_18944-.Lpost_getpc5887)&4294967295
	s_addc_u32 s15, s15, (.LBB1_18944-.Lpost_getpc5887)>>32
	s_setpc_b64 s[14:15]
.LBB1_4606:
	s_or_b64 exec, exec, s[6:7]
	s_and_saveexec_b64 s[6:7], s[4:5]
	s_cbranch_execz .LBB1_4608
.LBB1_4607:
	v_bfe_u32 v3, v5, 24, 3
	v_ffbh_u32_e32 v8, v3
	v_min_u32_e32 v8, 32, v8
	v_lshrrev_b32_e32 v6, 27, v5
	v_subrev_u32_e32 v9, 28, v8
	v_and_b32_e32 v4, 0x80000000, v5
	v_and_b32_e32 v6, 15, v6
	v_bfe_u32 v7, v5, 27, 4
	v_lshlrev_b32_sdwa v5, v9, v5 dst_sel:DWORD dst_unused:UNUSED_PAD src0_sel:DWORD src1_sel:BYTE_3
	v_sub_u32_e32 v8, 29, v8
	v_and_b32_e32 v5, 7, v5
	v_cmp_eq_u16_e32 vcc, 0, v6
	v_cndmask_b32_e32 v3, v3, v5, vcc
	v_cndmask_b32_e32 v5, v7, v8, vcc
	v_mov_b32_e32 v6, 0x3b800000
	v_lshlrev_b32_e32 v3, 20, v3
	v_lshl_add_u32 v5, v5, 23, v6
	v_or3_b32 v3, v4, v5, v3
.LBB1_4608:
	s_or_b64 exec, exec, s[6:7]
	s_nop 0
	v_mfma_f32_16x16x4f32 a[0:3], v2, v3, a[0:3]
	s_movk_i32 s4, 0x7f
                                        ; implicit-def: $sgpr10
	s_nop 7
	s_nop 1
	flat_store_dwordx4 v[10:11], a[0:3] offset:560
	flat_load_dwordx4 v[12:15], v[0:1]
	s_nop 0
	flat_load_dwordx2 v[10:11], v[0:1] offset:16
	s_waitcnt vmcnt(0) lgkmcnt(0)
	flat_load_dwordx4 v[6:9], v[12:13] offset:64
	flat_load_dwordx4 v[2:5], v[14:15] offset:64
	s_waitcnt vmcnt(0) lgkmcnt(0)
	v_cmp_gt_i16_sdwa s[6:7], v6, s4 src0_sel:BYTE_0 src1_sel:DWORD
	s_mov_b64 s[4:5], 0
	s_and_saveexec_b64 s[8:9], s[6:7]
	s_xor_b64 s[6:7], exec, s[8:9]
	s_cbranch_execz .LBB1_4609
; %bb.40449:
	s_getpc_b64 s[14:15]
.Lpost_getpc5888:
	s_add_u32 s14, s14, (.LBB1_18945-.Lpost_getpc5888)&4294967295
	s_addc_u32 s15, s15, (.LBB1_18945-.Lpost_getpc5888)>>32
	s_setpc_b64 s[14:15]
.LBB1_4609:
	s_or_saveexec_b64 s[6:7], s[6:7]
	v_mov_b32_e32 v12, s10
	s_xor_b64 exec, exec, s[6:7]
	s_cbranch_execz .LBB1_4610
; %bb.40451:
	s_getpc_b64 s[14:15]
.Lpost_getpc5889:
	s_add_u32 s14, s14, (.LBB1_18948-.Lpost_getpc5889)&4294967295
	s_addc_u32 s15, s15, (.LBB1_18948-.Lpost_getpc5889)>>32
	s_setpc_b64 s[14:15]
.LBB1_4610:
	s_or_b64 exec, exec, s[6:7]
	s_and_saveexec_b64 s[6:7], s[4:5]
	s_cbranch_execz .LBB1_4612
.LBB1_4611:
	v_and_b32_e32 v12, 7, v6
	v_ffbh_u32_e32 v14, v12
	v_min_u32_e32 v14, 32, v14
	v_lshrrev_b16_e32 v13, 3, v6
	v_subrev_u32_e32 v15, 28, v14
	v_and_b32_e32 v13, 15, v13
	v_lshlrev_b32_e32 v15, v15, v6
	v_sub_u32_e32 v14, 29, v14
	v_and_b32_e32 v15, 7, v15
	v_cmp_eq_u16_e32 vcc, 0, v13
	v_cndmask_b32_e32 v12, v12, v15, vcc
	v_cndmask_b32_e32 v13, v13, v14, vcc
	v_lshlrev_b32_e32 v14, 24, v6
	v_mov_b32_e32 v15, 0x3b800000
	v_lshlrev_b32_e32 v12, 20, v12
	v_and_b32_e32 v14, 0x80000000, v14
	v_lshl_add_u32 v13, v13, 23, v15
	v_or3_b32 v12, v14, v13, v12
.LBB1_4612:
	s_or_b64 exec, exec, s[6:7]
	s_movk_i32 s4, 0x7f
	v_cmp_gt_i16_sdwa s[6:7], v2, s4 src0_sel:BYTE_0 src1_sel:DWORD
	s_mov_b64 s[4:5], 0
                                        ; implicit-def: $sgpr10
	s_and_saveexec_b64 s[8:9], s[6:7]
	s_xor_b64 s[6:7], exec, s[8:9]
	s_cbranch_execz .LBB1_4613
; %bb.40453:
	s_getpc_b64 s[14:15]
.Lpost_getpc5890:
	s_add_u32 s14, s14, (.LBB1_18949-.Lpost_getpc5890)&4294967295
	s_addc_u32 s15, s15, (.LBB1_18949-.Lpost_getpc5890)>>32
	s_setpc_b64 s[14:15]
.LBB1_4613:
	s_or_saveexec_b64 s[6:7], s[6:7]
	v_mov_b32_e32 v13, s10
	s_xor_b64 exec, exec, s[6:7]
	s_cbranch_execz .LBB1_4614
; %bb.40455:
	s_getpc_b64 s[14:15]
.Lpost_getpc5891:
	s_add_u32 s14, s14, (.LBB1_18952-.Lpost_getpc5891)&4294967295
	s_addc_u32 s15, s15, (.LBB1_18952-.Lpost_getpc5891)>>32
	s_setpc_b64 s[14:15]
.LBB1_4614:
	s_or_b64 exec, exec, s[6:7]
	s_and_saveexec_b64 s[6:7], s[4:5]
	s_cbranch_execz .LBB1_4616
.LBB1_4615:
	v_and_b32_e32 v13, 7, v2
	v_ffbh_u32_e32 v15, v13
	v_min_u32_e32 v15, 32, v15
	v_lshrrev_b16_e32 v14, 3, v2
	v_subrev_u32_e32 v16, 28, v15
	v_and_b32_e32 v14, 15, v14
	v_lshlrev_b32_e32 v16, v16, v2
	v_sub_u32_e32 v15, 29, v15
	v_and_b32_e32 v16, 7, v16
	v_cmp_eq_u16_e32 vcc, 0, v14
	v_cndmask_b32_e32 v13, v13, v16, vcc
	v_cndmask_b32_e32 v14, v14, v15, vcc
	v_lshlrev_b32_e32 v15, 24, v2
	v_mov_b32_e32 v16, 0x3b800000
	v_lshlrev_b32_e32 v13, 20, v13
	v_and_b32_e32 v15, 0x80000000, v15
	v_lshl_add_u32 v14, v14, 23, v16
	v_or3_b32 v13, v15, v14, v13
.LBB1_4616:
	s_or_b64 exec, exec, s[6:7]
	flat_load_dwordx4 a[0:3], v[10:11] offset:576
	s_movk_i32 s4, 0x7f
                                        ; implicit-def: $sgpr10
	s_waitcnt vmcnt(0) lgkmcnt(0)
	v_mfma_f32_16x16x4f32 a[0:3], v12, v13, a[0:3]
	v_lshrrev_b32_e32 v13, 8, v6
	v_cmp_gt_i16_sdwa s[6:7], v13, s4 src0_sel:BYTE_0 src1_sel:DWORD
	s_mov_b64 s[4:5], 0
	s_and_saveexec_b64 s[8:9], s[6:7]
	s_xor_b64 s[6:7], exec, s[8:9]
	s_cbranch_execz .LBB1_4617
; %bb.40457:
	s_getpc_b64 s[14:15]
.Lpost_getpc5892:
	s_add_u32 s14, s14, (.LBB1_18953-.Lpost_getpc5892)&4294967295
	s_addc_u32 s15, s15, (.LBB1_18953-.Lpost_getpc5892)>>32
	s_setpc_b64 s[14:15]
.LBB1_4617:
	s_or_saveexec_b64 s[6:7], s[6:7]
	v_mov_b32_e32 v12, s10
	s_xor_b64 exec, exec, s[6:7]
	s_cbranch_execz .LBB1_4618
; %bb.40459:
	s_getpc_b64 s[14:15]
.Lpost_getpc5893:
	s_add_u32 s14, s14, (.LBB1_18956-.Lpost_getpc5893)&4294967295
	s_addc_u32 s15, s15, (.LBB1_18956-.Lpost_getpc5893)>>32
	s_setpc_b64 s[14:15]
.LBB1_4618:
	s_or_b64 exec, exec, s[6:7]
	s_and_saveexec_b64 s[6:7], s[4:5]
	s_cbranch_execz .LBB1_4620
.LBB1_4619:
	v_bfe_u32 v12, v6, 8, 3
	v_ffbh_u32_e32 v15, v12
	v_min_u32_e32 v15, 32, v15
	v_lshrrev_b16_e32 v14, 3, v13
	v_subrev_u32_e32 v16, 28, v15
	v_and_b32_e32 v14, 15, v14
	v_lshlrev_b32_e32 v13, v16, v13
	v_sub_u32_e32 v15, 29, v15
	v_and_b32_e32 v13, 7, v13
	v_cmp_eq_u16_e32 vcc, 0, v14
	v_cndmask_b32_e32 v12, v12, v13, vcc
	v_cndmask_b32_e32 v13, v14, v15, vcc
	v_lshlrev_b32_e32 v14, 16, v6
	v_mov_b32_e32 v15, 0x3b800000
	v_lshlrev_b32_e32 v12, 20, v12
	v_and_b32_e32 v14, 0x80000000, v14
	v_lshl_add_u32 v13, v13, 23, v15
	v_or3_b32 v12, v14, v13, v12
.LBB1_4620:
	s_or_b64 exec, exec, s[6:7]
	v_lshrrev_b32_e32 v13, 8, v2
	s_movk_i32 s4, 0x7f
	v_cmp_gt_i16_sdwa s[6:7], v13, s4 src0_sel:BYTE_0 src1_sel:DWORD
	s_mov_b64 s[4:5], 0
                                        ; implicit-def: $sgpr10
	s_and_saveexec_b64 s[8:9], s[6:7]
	s_xor_b64 s[6:7], exec, s[8:9]
	s_cbranch_execz .LBB1_4621
; %bb.40461:
	s_getpc_b64 s[14:15]
.Lpost_getpc5894:
	s_add_u32 s14, s14, (.LBB1_18957-.Lpost_getpc5894)&4294967295
	s_addc_u32 s15, s15, (.LBB1_18957-.Lpost_getpc5894)>>32
	s_setpc_b64 s[14:15]
.LBB1_4621:
	s_or_saveexec_b64 s[6:7], s[6:7]
	v_mov_b32_e32 v14, s10
	s_xor_b64 exec, exec, s[6:7]
	s_cbranch_execz .LBB1_4622
; %bb.40463:
	s_getpc_b64 s[14:15]
.Lpost_getpc5895:
	s_add_u32 s14, s14, (.LBB1_18960-.Lpost_getpc5895)&4294967295
	s_addc_u32 s15, s15, (.LBB1_18960-.Lpost_getpc5895)>>32
	s_setpc_b64 s[14:15]
.LBB1_4622:
	s_or_b64 exec, exec, s[6:7]
	s_and_saveexec_b64 s[6:7], s[4:5]
	s_cbranch_execz .LBB1_4624
.LBB1_4623:
	v_bfe_u32 v14, v2, 8, 3
	v_ffbh_u32_e32 v16, v14
	v_min_u32_e32 v16, 32, v16
	v_lshrrev_b16_e32 v15, 3, v13
	v_subrev_u32_e32 v17, 28, v16
	v_and_b32_e32 v15, 15, v15
	v_lshlrev_b32_e32 v13, v17, v13
	v_sub_u32_e32 v16, 29, v16
	v_and_b32_e32 v13, 7, v13
	v_cmp_eq_u16_e32 vcc, 0, v15
	v_cndmask_b32_e32 v13, v14, v13, vcc
	v_cndmask_b32_e32 v14, v15, v16, vcc
	v_lshlrev_b32_e32 v15, 16, v2
	v_mov_b32_e32 v16, 0x3b800000
	v_lshlrev_b32_e32 v13, 20, v13
	v_and_b32_e32 v15, 0x80000000, v15
	v_lshl_add_u32 v14, v14, 23, v16
	v_or3_b32 v14, v15, v14, v13
.LBB1_4624:
	s_or_b64 exec, exec, s[6:7]
	s_nop 0
	v_mfma_f32_16x16x4f32 a[0:3], v12, v14, a[0:3]
	s_movk_i32 s4, 0xff
	v_and_b32_sdwa v13, v6, s4 dst_sel:DWORD dst_unused:UNUSED_PAD src0_sel:WORD_1 src1_sel:DWORD
	s_movk_i32 s4, 0x7f
	v_cmp_lt_i16_e32 vcc, s4, v13
	s_mov_b64 s[4:5], 0
                                        ; implicit-def: $sgpr10
	s_and_saveexec_b64 s[6:7], vcc
	s_xor_b64 s[6:7], exec, s[6:7]
	s_cbranch_execz .LBB1_4625
; %bb.40465:
	s_getpc_b64 s[14:15]
.Lpost_getpc5896:
	s_add_u32 s14, s14, (.LBB1_18961-.Lpost_getpc5896)&4294967295
	s_addc_u32 s15, s15, (.LBB1_18961-.Lpost_getpc5896)>>32
	s_setpc_b64 s[14:15]
.LBB1_4625:
	s_or_saveexec_b64 s[6:7], s[6:7]
	v_mov_b32_e32 v12, s10
	s_xor_b64 exec, exec, s[6:7]
	s_cbranch_execz .LBB1_4626
; %bb.40467:
	s_getpc_b64 s[14:15]
.Lpost_getpc5897:
	s_add_u32 s14, s14, (.LBB1_18964-.Lpost_getpc5897)&4294967295
	s_addc_u32 s15, s15, (.LBB1_18964-.Lpost_getpc5897)>>32
	s_setpc_b64 s[14:15]
.LBB1_4626:
	s_or_b64 exec, exec, s[6:7]
	s_and_saveexec_b64 s[6:7], s[4:5]
	s_cbranch_execz .LBB1_4628
.LBB1_4627:
	v_bfe_u32 v12, v6, 16, 3
	v_ffbh_u32_e32 v15, v12
	v_min_u32_e32 v15, 32, v15
	v_lshrrev_b32_e32 v13, 19, v6
	v_subrev_u32_e32 v16, 28, v15
	v_and_b32_e32 v13, 15, v13
	v_lshlrev_b32_sdwa v16, v16, v6 dst_sel:DWORD dst_unused:UNUSED_PAD src0_sel:DWORD src1_sel:WORD_1
	v_bfe_u32 v14, v6, 19, 4
	v_sub_u32_e32 v15, 29, v15
	v_and_b32_e32 v16, 7, v16
	v_cmp_eq_u16_e32 vcc, 0, v13
	v_cndmask_b32_e32 v12, v12, v16, vcc
	v_cndmask_b32_e32 v13, v14, v15, vcc
	v_lshlrev_b32_e32 v14, 8, v6
	v_mov_b32_e32 v15, 0x3b800000
	v_lshlrev_b32_e32 v12, 20, v12
	v_and_b32_e32 v14, 0x80000000, v14
	v_lshl_add_u32 v13, v13, 23, v15
	v_or3_b32 v12, v14, v13, v12
.LBB1_4628:
	s_or_b64 exec, exec, s[6:7]
	s_movk_i32 s4, 0xff
	v_and_b32_sdwa v13, v2, s4 dst_sel:DWORD dst_unused:UNUSED_PAD src0_sel:WORD_1 src1_sel:DWORD
	s_movk_i32 s4, 0x7f
	v_cmp_lt_i16_e32 vcc, s4, v13
	s_mov_b64 s[4:5], 0
                                        ; implicit-def: $sgpr10
	s_and_saveexec_b64 s[6:7], vcc
	s_xor_b64 s[6:7], exec, s[6:7]
	s_cbranch_execz .LBB1_4629
; %bb.40469:
	s_getpc_b64 s[14:15]
.Lpost_getpc5898:
	s_add_u32 s14, s14, (.LBB1_18965-.Lpost_getpc5898)&4294967295
	s_addc_u32 s15, s15, (.LBB1_18965-.Lpost_getpc5898)>>32
	s_setpc_b64 s[14:15]
.LBB1_4629:
	s_or_saveexec_b64 s[6:7], s[6:7]
	v_mov_b32_e32 v14, s10
	s_xor_b64 exec, exec, s[6:7]
	s_cbranch_execz .LBB1_4630
; %bb.40471:
	s_getpc_b64 s[14:15]
.Lpost_getpc5899:
	s_add_u32 s14, s14, (.LBB1_18968-.Lpost_getpc5899)&4294967295
	s_addc_u32 s15, s15, (.LBB1_18968-.Lpost_getpc5899)>>32
	s_setpc_b64 s[14:15]
.LBB1_4630:
	s_or_b64 exec, exec, s[6:7]
	s_and_saveexec_b64 s[6:7], s[4:5]
	s_cbranch_execz .LBB1_4632
.LBB1_4631:
	v_bfe_u32 v13, v2, 16, 3
	v_ffbh_u32_e32 v16, v13
	v_min_u32_e32 v16, 32, v16
	v_lshrrev_b32_e32 v14, 19, v2
	v_subrev_u32_e32 v17, 28, v16
	v_and_b32_e32 v14, 15, v14
	v_lshlrev_b32_sdwa v17, v17, v2 dst_sel:DWORD dst_unused:UNUSED_PAD src0_sel:DWORD src1_sel:WORD_1
	v_bfe_u32 v15, v2, 19, 4
	v_sub_u32_e32 v16, 29, v16
	v_and_b32_e32 v17, 7, v17
	v_cmp_eq_u16_e32 vcc, 0, v14
	v_cndmask_b32_e32 v13, v13, v17, vcc
	v_cndmask_b32_e32 v14, v15, v16, vcc
	v_lshlrev_b32_e32 v15, 8, v2
	v_mov_b32_e32 v16, 0x3b800000
	v_lshlrev_b32_e32 v13, 20, v13
	v_and_b32_e32 v15, 0x80000000, v15
	v_lshl_add_u32 v14, v14, 23, v16
	v_or3_b32 v14, v15, v14, v13
.LBB1_4632:
	s_or_b64 exec, exec, s[6:7]
	s_nop 0
	v_mfma_f32_16x16x4f32 a[0:3], v12, v14, a[0:3]
	s_movk_i32 s4, 0x7f
	v_cmp_gt_i16_sdwa s[6:7], v6, s4 src0_sel:BYTE_3 src1_sel:DWORD
	s_mov_b64 s[4:5], 0
                                        ; implicit-def: $sgpr10
	s_and_saveexec_b64 s[8:9], s[6:7]
	s_xor_b64 s[6:7], exec, s[8:9]
	s_cbranch_execz .LBB1_4633
; %bb.40473:
	s_getpc_b64 s[14:15]
.Lpost_getpc5900:
	s_add_u32 s14, s14, (.LBB1_18969-.Lpost_getpc5900)&4294967295
	s_addc_u32 s15, s15, (.LBB1_18969-.Lpost_getpc5900)>>32
	s_setpc_b64 s[14:15]
.LBB1_4633:
	s_or_saveexec_b64 s[6:7], s[6:7]
	v_mov_b32_e32 v12, s10
	s_xor_b64 exec, exec, s[6:7]
	s_cbranch_execz .LBB1_4634
; %bb.40475:
	s_getpc_b64 s[14:15]
.Lpost_getpc5901:
	s_add_u32 s14, s14, (.LBB1_18972-.Lpost_getpc5901)&4294967295
	s_addc_u32 s15, s15, (.LBB1_18972-.Lpost_getpc5901)>>32
	s_setpc_b64 s[14:15]
.LBB1_4634:
	s_or_b64 exec, exec, s[6:7]
	s_and_saveexec_b64 s[6:7], s[4:5]
	s_cbranch_execz .LBB1_4636
.LBB1_4635:
	v_bfe_u32 v12, v6, 24, 3
	v_ffbh_u32_e32 v16, v12
	v_min_u32_e32 v16, 32, v16
	v_lshrrev_b32_e32 v14, 27, v6
	v_subrev_u32_e32 v17, 28, v16
	v_and_b32_e32 v13, 0x80000000, v6
	v_and_b32_e32 v14, 15, v14
	v_bfe_u32 v15, v6, 27, 4
	v_lshlrev_b32_sdwa v6, v17, v6 dst_sel:DWORD dst_unused:UNUSED_PAD src0_sel:DWORD src1_sel:BYTE_3
	v_sub_u32_e32 v16, 29, v16
	v_and_b32_e32 v6, 7, v6
	v_cmp_eq_u16_e32 vcc, 0, v14
	v_cndmask_b32_e32 v6, v12, v6, vcc
	v_cndmask_b32_e32 v12, v15, v16, vcc
	v_mov_b32_e32 v14, 0x3b800000
	v_lshlrev_b32_e32 v6, 20, v6
	v_lshl_add_u32 v12, v12, 23, v14
	v_or3_b32 v12, v13, v12, v6
.LBB1_4636:
	s_or_b64 exec, exec, s[6:7]
	s_movk_i32 s4, 0x7f
	v_cmp_gt_i16_sdwa s[6:7], v2, s4 src0_sel:BYTE_3 src1_sel:DWORD
	s_mov_b64 s[4:5], 0
                                        ; implicit-def: $sgpr10
	s_and_saveexec_b64 s[8:9], s[6:7]
	s_xor_b64 s[6:7], exec, s[8:9]
	s_cbranch_execz .LBB1_4637
; %bb.40477:
	s_getpc_b64 s[14:15]
.Lpost_getpc5902:
	s_add_u32 s14, s14, (.LBB1_18973-.Lpost_getpc5902)&4294967295
	s_addc_u32 s15, s15, (.LBB1_18973-.Lpost_getpc5902)>>32
	s_setpc_b64 s[14:15]
.LBB1_4637:
	s_or_saveexec_b64 s[6:7], s[6:7]
	v_mov_b32_e32 v6, s10
	s_xor_b64 exec, exec, s[6:7]
	s_cbranch_execz .LBB1_4638
; %bb.40479:
	s_getpc_b64 s[14:15]
.Lpost_getpc5903:
	s_add_u32 s14, s14, (.LBB1_18976-.Lpost_getpc5903)&4294967295
	s_addc_u32 s15, s15, (.LBB1_18976-.Lpost_getpc5903)>>32
	s_setpc_b64 s[14:15]
.LBB1_4638:
	s_or_b64 exec, exec, s[6:7]
	s_and_saveexec_b64 s[6:7], s[4:5]
	s_cbranch_execz .LBB1_4640
.LBB1_4639:
	v_bfe_u32 v6, v2, 24, 3
	v_ffbh_u32_e32 v16, v6
	v_min_u32_e32 v16, 32, v16
	v_lshrrev_b32_e32 v14, 27, v2
	v_subrev_u32_e32 v17, 28, v16
	v_and_b32_e32 v13, 0x80000000, v2
	v_and_b32_e32 v14, 15, v14
	v_bfe_u32 v15, v2, 27, 4
	v_lshlrev_b32_sdwa v2, v17, v2 dst_sel:DWORD dst_unused:UNUSED_PAD src0_sel:DWORD src1_sel:BYTE_3
	v_sub_u32_e32 v16, 29, v16
	v_and_b32_e32 v2, 7, v2
	v_cmp_eq_u16_e32 vcc, 0, v14
	v_cndmask_b32_e32 v2, v6, v2, vcc
	v_cndmask_b32_e32 v6, v15, v16, vcc
	v_mov_b32_e32 v14, 0x3b800000
	v_lshlrev_b32_e32 v2, 20, v2
	v_lshl_add_u32 v6, v6, 23, v14
	v_or3_b32 v6, v13, v6, v2
.LBB1_4640:
	s_or_b64 exec, exec, s[6:7]
	s_nop 0
	v_mfma_f32_16x16x4f32 a[0:3], v12, v6, a[0:3]
	s_movk_i32 s4, 0x7f
	v_cmp_gt_i16_sdwa s[6:7], v7, s4 src0_sel:BYTE_0 src1_sel:DWORD
	s_mov_b64 s[4:5], 0
                                        ; implicit-def: $sgpr10
	s_and_saveexec_b64 s[8:9], s[6:7]
	s_xor_b64 s[6:7], exec, s[8:9]
	s_cbranch_execz .LBB1_4641
; %bb.40481:
	s_getpc_b64 s[14:15]
.Lpost_getpc5904:
	s_add_u32 s14, s14, (.LBB1_18977-.Lpost_getpc5904)&4294967295
	s_addc_u32 s15, s15, (.LBB1_18977-.Lpost_getpc5904)>>32
	s_setpc_b64 s[14:15]
.LBB1_4641:
	s_or_saveexec_b64 s[6:7], s[6:7]
	v_mov_b32_e32 v2, s10
	s_xor_b64 exec, exec, s[6:7]
	s_cbranch_execz .LBB1_4642
; %bb.40483:
	s_getpc_b64 s[14:15]
.Lpost_getpc5905:
	s_add_u32 s14, s14, (.LBB1_18980-.Lpost_getpc5905)&4294967295
	s_addc_u32 s15, s15, (.LBB1_18980-.Lpost_getpc5905)>>32
	s_setpc_b64 s[14:15]
.LBB1_4642:
	s_or_b64 exec, exec, s[6:7]
	s_and_saveexec_b64 s[6:7], s[4:5]
	s_cbranch_execz .LBB1_4644
.LBB1_4643:
	v_and_b32_e32 v2, 7, v7
	v_ffbh_u32_e32 v12, v2
	v_min_u32_e32 v12, 32, v12
	v_lshrrev_b16_e32 v6, 3, v7
	v_subrev_u32_e32 v13, 28, v12
	v_and_b32_e32 v6, 15, v6
	v_lshlrev_b32_e32 v13, v13, v7
	v_sub_u32_e32 v12, 29, v12
	v_and_b32_e32 v13, 7, v13
	v_cmp_eq_u16_e32 vcc, 0, v6
	v_cndmask_b32_e32 v2, v2, v13, vcc
	v_cndmask_b32_e32 v6, v6, v12, vcc
	v_lshlrev_b32_e32 v12, 24, v7
	v_mov_b32_e32 v13, 0x3b800000
	v_lshlrev_b32_e32 v2, 20, v2
	v_and_b32_e32 v12, 0x80000000, v12
	v_lshl_add_u32 v6, v6, 23, v13
	v_or3_b32 v2, v12, v6, v2
.LBB1_4644:
	s_or_b64 exec, exec, s[6:7]
	s_movk_i32 s4, 0x7f
	v_cmp_gt_i16_sdwa s[6:7], v3, s4 src0_sel:BYTE_0 src1_sel:DWORD
	s_mov_b64 s[4:5], 0
                                        ; implicit-def: $sgpr10
	s_and_saveexec_b64 s[8:9], s[6:7]
	s_xor_b64 s[6:7], exec, s[8:9]
	s_cbranch_execz .LBB1_4645
; %bb.40485:
	s_getpc_b64 s[14:15]
.Lpost_getpc5906:
	s_add_u32 s14, s14, (.LBB1_18981-.Lpost_getpc5906)&4294967295
	s_addc_u32 s15, s15, (.LBB1_18981-.Lpost_getpc5906)>>32
	s_setpc_b64 s[14:15]
.LBB1_4645:
	s_or_saveexec_b64 s[6:7], s[6:7]
	v_mov_b32_e32 v6, s10
	s_xor_b64 exec, exec, s[6:7]
	s_cbranch_execz .LBB1_4646
; %bb.40487:
	s_getpc_b64 s[14:15]
.Lpost_getpc5907:
	s_add_u32 s14, s14, (.LBB1_18984-.Lpost_getpc5907)&4294967295
	s_addc_u32 s15, s15, (.LBB1_18984-.Lpost_getpc5907)>>32
	s_setpc_b64 s[14:15]
.LBB1_4646:
	s_or_b64 exec, exec, s[6:7]
	s_and_saveexec_b64 s[6:7], s[4:5]
	s_cbranch_execz .LBB1_4648
.LBB1_4647:
	v_and_b32_e32 v6, 7, v3
	v_ffbh_u32_e32 v13, v6
	v_min_u32_e32 v13, 32, v13
	v_lshrrev_b16_e32 v12, 3, v3
	v_subrev_u32_e32 v14, 28, v13
	v_and_b32_e32 v12, 15, v12
	v_lshlrev_b32_e32 v14, v14, v3
	v_sub_u32_e32 v13, 29, v13
	v_and_b32_e32 v14, 7, v14
	v_cmp_eq_u16_e32 vcc, 0, v12
	v_cndmask_b32_e32 v6, v6, v14, vcc
	v_cndmask_b32_e32 v12, v12, v13, vcc
	v_lshlrev_b32_e32 v13, 24, v3
	v_mov_b32_e32 v14, 0x3b800000
	v_lshlrev_b32_e32 v6, 20, v6
	v_and_b32_e32 v13, 0x80000000, v13
	v_lshl_add_u32 v12, v12, 23, v14
	v_or3_b32 v6, v13, v12, v6
.LBB1_4648:
	s_or_b64 exec, exec, s[6:7]
	s_nop 0
	v_mfma_f32_16x16x4f32 a[0:3], v2, v6, a[0:3]
	v_lshrrev_b32_e32 v6, 8, v7
	s_movk_i32 s4, 0x7f
	v_cmp_gt_i16_sdwa s[6:7], v6, s4 src0_sel:BYTE_0 src1_sel:DWORD
	s_mov_b64 s[4:5], 0
                                        ; implicit-def: $sgpr10
	s_and_saveexec_b64 s[8:9], s[6:7]
	s_xor_b64 s[6:7], exec, s[8:9]
	s_cbranch_execz .LBB1_4649
; %bb.40489:
	s_getpc_b64 s[14:15]
.Lpost_getpc5908:
	s_add_u32 s14, s14, (.LBB1_18985-.Lpost_getpc5908)&4294967295
	s_addc_u32 s15, s15, (.LBB1_18985-.Lpost_getpc5908)>>32
	s_setpc_b64 s[14:15]
.LBB1_4649:
	s_or_saveexec_b64 s[6:7], s[6:7]
	v_mov_b32_e32 v2, s10
	s_xor_b64 exec, exec, s[6:7]
	s_cbranch_execz .LBB1_4650
; %bb.40491:
	s_getpc_b64 s[14:15]
.Lpost_getpc5909:
	s_add_u32 s14, s14, (.LBB1_18988-.Lpost_getpc5909)&4294967295
	s_addc_u32 s15, s15, (.LBB1_18988-.Lpost_getpc5909)>>32
	s_setpc_b64 s[14:15]
.LBB1_4650:
	s_or_b64 exec, exec, s[6:7]
	s_and_saveexec_b64 s[6:7], s[4:5]
	s_cbranch_execz .LBB1_4652
.LBB1_4651:
	v_bfe_u32 v2, v7, 8, 3
	v_ffbh_u32_e32 v13, v2
	v_min_u32_e32 v13, 32, v13
	v_lshrrev_b16_e32 v12, 3, v6
	v_subrev_u32_e32 v14, 28, v13
	v_and_b32_e32 v12, 15, v12
	v_lshlrev_b32_e32 v6, v14, v6
	v_sub_u32_e32 v13, 29, v13
	v_and_b32_e32 v6, 7, v6
	v_cmp_eq_u16_e32 vcc, 0, v12
	v_cndmask_b32_e32 v2, v2, v6, vcc
	v_cndmask_b32_e32 v6, v12, v13, vcc
	v_lshlrev_b32_e32 v12, 16, v7
	v_mov_b32_e32 v13, 0x3b800000
	v_lshlrev_b32_e32 v2, 20, v2
	v_and_b32_e32 v12, 0x80000000, v12
	v_lshl_add_u32 v6, v6, 23, v13
	v_or3_b32 v2, v12, v6, v2
.LBB1_4652:
	s_or_b64 exec, exec, s[6:7]
	v_lshrrev_b32_e32 v6, 8, v3
	s_movk_i32 s4, 0x7f
	v_cmp_gt_i16_sdwa s[6:7], v6, s4 src0_sel:BYTE_0 src1_sel:DWORD
	s_mov_b64 s[4:5], 0
                                        ; implicit-def: $sgpr10
	s_and_saveexec_b64 s[8:9], s[6:7]
	s_xor_b64 s[6:7], exec, s[8:9]
	s_cbranch_execz .LBB1_4653
; %bb.40493:
	s_getpc_b64 s[14:15]
.Lpost_getpc5910:
	s_add_u32 s14, s14, (.LBB1_18989-.Lpost_getpc5910)&4294967295
	s_addc_u32 s15, s15, (.LBB1_18989-.Lpost_getpc5910)>>32
	s_setpc_b64 s[14:15]
.LBB1_4653:
	s_or_saveexec_b64 s[6:7], s[6:7]
	v_mov_b32_e32 v12, s10
	s_xor_b64 exec, exec, s[6:7]
	s_cbranch_execz .LBB1_4654
; %bb.40495:
	s_getpc_b64 s[14:15]
.Lpost_getpc5911:
	s_add_u32 s14, s14, (.LBB1_18992-.Lpost_getpc5911)&4294967295
	s_addc_u32 s15, s15, (.LBB1_18992-.Lpost_getpc5911)>>32
	s_setpc_b64 s[14:15]
.LBB1_4654:
	s_or_b64 exec, exec, s[6:7]
	s_and_saveexec_b64 s[6:7], s[4:5]
	s_cbranch_execz .LBB1_4656
.LBB1_4655:
	v_bfe_u32 v12, v3, 8, 3
	v_ffbh_u32_e32 v14, v12
	v_min_u32_e32 v14, 32, v14
	v_lshrrev_b16_e32 v13, 3, v6
	v_subrev_u32_e32 v15, 28, v14
	v_and_b32_e32 v13, 15, v13
	v_lshlrev_b32_e32 v6, v15, v6
	v_sub_u32_e32 v14, 29, v14
	v_and_b32_e32 v6, 7, v6
	v_cmp_eq_u16_e32 vcc, 0, v13
	v_cndmask_b32_e32 v6, v12, v6, vcc
	v_cndmask_b32_e32 v12, v13, v14, vcc
	v_lshlrev_b32_e32 v13, 16, v3
	v_mov_b32_e32 v14, 0x3b800000
	v_lshlrev_b32_e32 v6, 20, v6
	v_and_b32_e32 v13, 0x80000000, v13
	v_lshl_add_u32 v12, v12, 23, v14
	v_or3_b32 v12, v13, v12, v6
.LBB1_4656:
	s_or_b64 exec, exec, s[6:7]
	s_nop 0
	v_mfma_f32_16x16x4f32 a[0:3], v2, v12, a[0:3]
	s_movk_i32 s4, 0xff
	v_and_b32_sdwa v6, v7, s4 dst_sel:DWORD dst_unused:UNUSED_PAD src0_sel:WORD_1 src1_sel:DWORD
	s_movk_i32 s4, 0x7f
	v_cmp_lt_i16_e32 vcc, s4, v6
	s_mov_b64 s[4:5], 0
                                        ; implicit-def: $sgpr10
	s_and_saveexec_b64 s[6:7], vcc
	s_xor_b64 s[6:7], exec, s[6:7]
	s_cbranch_execz .LBB1_4657
; %bb.40497:
	s_getpc_b64 s[14:15]
.Lpost_getpc5912:
	s_add_u32 s14, s14, (.LBB1_18993-.Lpost_getpc5912)&4294967295
	s_addc_u32 s15, s15, (.LBB1_18993-.Lpost_getpc5912)>>32
	s_setpc_b64 s[14:15]
.LBB1_4657:
	s_or_saveexec_b64 s[6:7], s[6:7]
	v_mov_b32_e32 v2, s10
	s_xor_b64 exec, exec, s[6:7]
	s_cbranch_execz .LBB1_4658
; %bb.40499:
	s_getpc_b64 s[14:15]
.Lpost_getpc5913:
	s_add_u32 s14, s14, (.LBB1_18996-.Lpost_getpc5913)&4294967295
	s_addc_u32 s15, s15, (.LBB1_18996-.Lpost_getpc5913)>>32
	s_setpc_b64 s[14:15]
.LBB1_4658:
	s_or_b64 exec, exec, s[6:7]
	s_and_saveexec_b64 s[6:7], s[4:5]
	s_cbranch_execz .LBB1_4660
.LBB1_4659:
	v_bfe_u32 v2, v7, 16, 3
	v_ffbh_u32_e32 v13, v2
	v_min_u32_e32 v13, 32, v13
	v_lshrrev_b32_e32 v6, 19, v7
	v_subrev_u32_e32 v14, 28, v13
	v_and_b32_e32 v6, 15, v6
	v_lshlrev_b32_sdwa v14, v14, v7 dst_sel:DWORD dst_unused:UNUSED_PAD src0_sel:DWORD src1_sel:WORD_1
	v_bfe_u32 v12, v7, 19, 4
	v_sub_u32_e32 v13, 29, v13
	v_and_b32_e32 v14, 7, v14
	v_cmp_eq_u16_e32 vcc, 0, v6
	v_cndmask_b32_e32 v2, v2, v14, vcc
	v_cndmask_b32_e32 v6, v12, v13, vcc
	v_lshlrev_b32_e32 v12, 8, v7
	v_mov_b32_e32 v13, 0x3b800000
	v_lshlrev_b32_e32 v2, 20, v2
	v_and_b32_e32 v12, 0x80000000, v12
	v_lshl_add_u32 v6, v6, 23, v13
	v_or3_b32 v2, v12, v6, v2
.LBB1_4660:
	s_or_b64 exec, exec, s[6:7]
	s_movk_i32 s4, 0xff
	v_and_b32_sdwa v6, v3, s4 dst_sel:DWORD dst_unused:UNUSED_PAD src0_sel:WORD_1 src1_sel:DWORD
	s_movk_i32 s4, 0x7f
	v_cmp_lt_i16_e32 vcc, s4, v6
	s_mov_b64 s[4:5], 0
                                        ; implicit-def: $sgpr10
	s_and_saveexec_b64 s[6:7], vcc
	s_xor_b64 s[6:7], exec, s[6:7]
	s_cbranch_execz .LBB1_4661
; %bb.40501:
	s_getpc_b64 s[14:15]
.Lpost_getpc5914:
	s_add_u32 s14, s14, (.LBB1_18997-.Lpost_getpc5914)&4294967295
	s_addc_u32 s15, s15, (.LBB1_18997-.Lpost_getpc5914)>>32
	s_setpc_b64 s[14:15]
.LBB1_4661:
	s_or_saveexec_b64 s[6:7], s[6:7]
	v_mov_b32_e32 v12, s10
	s_xor_b64 exec, exec, s[6:7]
	s_cbranch_execz .LBB1_4662
; %bb.40503:
	s_getpc_b64 s[14:15]
.Lpost_getpc5915:
	s_add_u32 s14, s14, (.LBB1_19000-.Lpost_getpc5915)&4294967295
	s_addc_u32 s15, s15, (.LBB1_19000-.Lpost_getpc5915)>>32
	s_setpc_b64 s[14:15]
.LBB1_4662:
	s_or_b64 exec, exec, s[6:7]
	s_and_saveexec_b64 s[6:7], s[4:5]
	s_cbranch_execz .LBB1_4664
.LBB1_4663:
	v_bfe_u32 v6, v3, 16, 3
	v_ffbh_u32_e32 v14, v6
	v_min_u32_e32 v14, 32, v14
	v_lshrrev_b32_e32 v12, 19, v3
	v_subrev_u32_e32 v15, 28, v14
	v_and_b32_e32 v12, 15, v12
	v_lshlrev_b32_sdwa v15, v15, v3 dst_sel:DWORD dst_unused:UNUSED_PAD src0_sel:DWORD src1_sel:WORD_1
	v_bfe_u32 v13, v3, 19, 4
	v_sub_u32_e32 v14, 29, v14
	v_and_b32_e32 v15, 7, v15
	v_cmp_eq_u16_e32 vcc, 0, v12
	v_cndmask_b32_e32 v6, v6, v15, vcc
	v_cndmask_b32_e32 v12, v13, v14, vcc
	v_lshlrev_b32_e32 v13, 8, v3
	v_mov_b32_e32 v14, 0x3b800000
	v_lshlrev_b32_e32 v6, 20, v6
	v_and_b32_e32 v13, 0x80000000, v13
	v_lshl_add_u32 v12, v12, 23, v14
	v_or3_b32 v12, v13, v12, v6
.LBB1_4664:
	s_or_b64 exec, exec, s[6:7]
	s_nop 0
	v_mfma_f32_16x16x4f32 a[0:3], v2, v12, a[0:3]
	s_movk_i32 s4, 0x7f
	v_cmp_gt_i16_sdwa s[6:7], v7, s4 src0_sel:BYTE_3 src1_sel:DWORD
	s_mov_b64 s[4:5], 0
                                        ; implicit-def: $sgpr10
	s_and_saveexec_b64 s[8:9], s[6:7]
	s_xor_b64 s[6:7], exec, s[8:9]
	s_cbranch_execz .LBB1_4665
; %bb.40505:
	s_getpc_b64 s[14:15]
.Lpost_getpc5916:
	s_add_u32 s14, s14, (.LBB1_19001-.Lpost_getpc5916)&4294967295
	s_addc_u32 s15, s15, (.LBB1_19001-.Lpost_getpc5916)>>32
	s_setpc_b64 s[14:15]
.LBB1_4665:
	s_or_saveexec_b64 s[6:7], s[6:7]
	v_mov_b32_e32 v2, s10
	s_xor_b64 exec, exec, s[6:7]
	s_cbranch_execz .LBB1_4666
; %bb.40507:
	s_getpc_b64 s[14:15]
.Lpost_getpc5917:
	s_add_u32 s14, s14, (.LBB1_19004-.Lpost_getpc5917)&4294967295
	s_addc_u32 s15, s15, (.LBB1_19004-.Lpost_getpc5917)>>32
	s_setpc_b64 s[14:15]
.LBB1_4666:
	s_or_b64 exec, exec, s[6:7]
	s_and_saveexec_b64 s[6:7], s[4:5]
	s_cbranch_execz .LBB1_4668
.LBB1_4667:
	v_bfe_u32 v2, v7, 24, 3
	v_ffbh_u32_e32 v14, v2
	v_min_u32_e32 v14, 32, v14
	v_lshrrev_b32_e32 v12, 27, v7
	v_subrev_u32_e32 v15, 28, v14
	v_and_b32_e32 v6, 0x80000000, v7
	v_and_b32_e32 v12, 15, v12
	v_bfe_u32 v13, v7, 27, 4
	v_lshlrev_b32_sdwa v7, v15, v7 dst_sel:DWORD dst_unused:UNUSED_PAD src0_sel:DWORD src1_sel:BYTE_3
	v_sub_u32_e32 v14, 29, v14
	v_and_b32_e32 v7, 7, v7
	v_cmp_eq_u16_e32 vcc, 0, v12
	v_cndmask_b32_e32 v2, v2, v7, vcc
	v_cndmask_b32_e32 v7, v13, v14, vcc
	v_mov_b32_e32 v12, 0x3b800000
	v_lshlrev_b32_e32 v2, 20, v2
	v_lshl_add_u32 v7, v7, 23, v12
	v_or3_b32 v2, v6, v7, v2
.LBB1_4668:
	s_or_b64 exec, exec, s[6:7]
	s_movk_i32 s4, 0x7f
	v_cmp_gt_i16_sdwa s[6:7], v3, s4 src0_sel:BYTE_3 src1_sel:DWORD
	s_mov_b64 s[4:5], 0
                                        ; implicit-def: $sgpr10
	s_and_saveexec_b64 s[8:9], s[6:7]
	s_xor_b64 s[6:7], exec, s[8:9]
	s_cbranch_execz .LBB1_4669
; %bb.40509:
	s_getpc_b64 s[14:15]
.Lpost_getpc5918:
	s_add_u32 s14, s14, (.LBB1_19005-.Lpost_getpc5918)&4294967295
	s_addc_u32 s15, s15, (.LBB1_19005-.Lpost_getpc5918)>>32
	s_setpc_b64 s[14:15]
.LBB1_4669:
	s_or_saveexec_b64 s[6:7], s[6:7]
	v_mov_b32_e32 v6, s10
	s_xor_b64 exec, exec, s[6:7]
	s_cbranch_execz .LBB1_4670
; %bb.40511:
	s_getpc_b64 s[14:15]
.Lpost_getpc5919:
	s_add_u32 s14, s14, (.LBB1_19008-.Lpost_getpc5919)&4294967295
	s_addc_u32 s15, s15, (.LBB1_19008-.Lpost_getpc5919)>>32
	s_setpc_b64 s[14:15]
.LBB1_4670:
	s_or_b64 exec, exec, s[6:7]
	s_and_saveexec_b64 s[6:7], s[4:5]
	s_cbranch_execz .LBB1_4672
.LBB1_4671:
	v_bfe_u32 v6, v3, 24, 3
	v_ffbh_u32_e32 v14, v6
	v_min_u32_e32 v14, 32, v14
	v_lshrrev_b32_e32 v12, 27, v3
	v_subrev_u32_e32 v15, 28, v14
	v_and_b32_e32 v7, 0x80000000, v3
	v_and_b32_e32 v12, 15, v12
	v_bfe_u32 v13, v3, 27, 4
	v_lshlrev_b32_sdwa v3, v15, v3 dst_sel:DWORD dst_unused:UNUSED_PAD src0_sel:DWORD src1_sel:BYTE_3
	v_sub_u32_e32 v14, 29, v14
	v_and_b32_e32 v3, 7, v3
	v_cmp_eq_u16_e32 vcc, 0, v12
	v_cndmask_b32_e32 v3, v6, v3, vcc
	v_cndmask_b32_e32 v6, v13, v14, vcc
	v_mov_b32_e32 v12, 0x3b800000
	v_lshlrev_b32_e32 v3, 20, v3
	v_lshl_add_u32 v6, v6, 23, v12
	v_or3_b32 v6, v7, v6, v3
.LBB1_4672:
	s_or_b64 exec, exec, s[6:7]
	s_nop 0
	v_mfma_f32_16x16x4f32 a[0:3], v2, v6, a[0:3]
	s_movk_i32 s4, 0x7f
	v_cmp_gt_i16_sdwa s[6:7], v8, s4 src0_sel:BYTE_0 src1_sel:DWORD
	s_mov_b64 s[4:5], 0
                                        ; implicit-def: $sgpr10
	s_and_saveexec_b64 s[8:9], s[6:7]
	s_xor_b64 s[6:7], exec, s[8:9]
	s_cbranch_execz .LBB1_4673
; %bb.40513:
	s_getpc_b64 s[14:15]
.Lpost_getpc5920:
	s_add_u32 s14, s14, (.LBB1_19009-.Lpost_getpc5920)&4294967295
	s_addc_u32 s15, s15, (.LBB1_19009-.Lpost_getpc5920)>>32
	s_setpc_b64 s[14:15]
.LBB1_4673:
	s_or_saveexec_b64 s[6:7], s[6:7]
	v_mov_b32_e32 v2, s10
	s_xor_b64 exec, exec, s[6:7]
	s_cbranch_execz .LBB1_4674
; %bb.40515:
	s_getpc_b64 s[14:15]
.Lpost_getpc5921:
	s_add_u32 s14, s14, (.LBB1_19012-.Lpost_getpc5921)&4294967295
	s_addc_u32 s15, s15, (.LBB1_19012-.Lpost_getpc5921)>>32
	s_setpc_b64 s[14:15]
.LBB1_4674:
	s_or_b64 exec, exec, s[6:7]
	s_and_saveexec_b64 s[6:7], s[4:5]
	s_cbranch_execz .LBB1_4676
.LBB1_4675:
	v_and_b32_e32 v2, 7, v8
	v_ffbh_u32_e32 v6, v2
	v_min_u32_e32 v6, 32, v6
	v_lshrrev_b16_e32 v3, 3, v8
	v_subrev_u32_e32 v7, 28, v6
	v_and_b32_e32 v3, 15, v3
	v_lshlrev_b32_e32 v7, v7, v8
	v_sub_u32_e32 v6, 29, v6
	v_and_b32_e32 v7, 7, v7
	v_cmp_eq_u16_e32 vcc, 0, v3
	v_cndmask_b32_e32 v2, v2, v7, vcc
	v_cndmask_b32_e32 v3, v3, v6, vcc
	v_lshlrev_b32_e32 v6, 24, v8
	v_mov_b32_e32 v7, 0x3b800000
	v_lshlrev_b32_e32 v2, 20, v2
	v_and_b32_e32 v6, 0x80000000, v6
	v_lshl_add_u32 v3, v3, 23, v7
	v_or3_b32 v2, v6, v3, v2
.LBB1_4676:
	s_or_b64 exec, exec, s[6:7]
	s_movk_i32 s4, 0x7f
	v_cmp_gt_i16_sdwa s[6:7], v4, s4 src0_sel:BYTE_0 src1_sel:DWORD
	s_mov_b64 s[4:5], 0
                                        ; implicit-def: $sgpr10
	s_and_saveexec_b64 s[8:9], s[6:7]
	s_xor_b64 s[6:7], exec, s[8:9]
	s_cbranch_execz .LBB1_4677
; %bb.40517:
	s_getpc_b64 s[14:15]
.Lpost_getpc5922:
	s_add_u32 s14, s14, (.LBB1_19013-.Lpost_getpc5922)&4294967295
	s_addc_u32 s15, s15, (.LBB1_19013-.Lpost_getpc5922)>>32
	s_setpc_b64 s[14:15]
.LBB1_4677:
	s_or_saveexec_b64 s[6:7], s[6:7]
	v_mov_b32_e32 v3, s10
	s_xor_b64 exec, exec, s[6:7]
	s_cbranch_execz .LBB1_4678
; %bb.40519:
	s_getpc_b64 s[14:15]
.Lpost_getpc5923:
	s_add_u32 s14, s14, (.LBB1_19016-.Lpost_getpc5923)&4294967295
	s_addc_u32 s15, s15, (.LBB1_19016-.Lpost_getpc5923)>>32
	s_setpc_b64 s[14:15]
.LBB1_4678:
	s_or_b64 exec, exec, s[6:7]
	s_and_saveexec_b64 s[6:7], s[4:5]
	s_cbranch_execz .LBB1_4680
.LBB1_4679:
	v_and_b32_e32 v3, 7, v4
	v_ffbh_u32_e32 v7, v3
	v_min_u32_e32 v7, 32, v7
	v_lshrrev_b16_e32 v6, 3, v4
	v_subrev_u32_e32 v12, 28, v7
	v_and_b32_e32 v6, 15, v6
	v_lshlrev_b32_e32 v12, v12, v4
	v_sub_u32_e32 v7, 29, v7
	v_and_b32_e32 v12, 7, v12
	v_cmp_eq_u16_e32 vcc, 0, v6
	v_cndmask_b32_e32 v3, v3, v12, vcc
	v_cndmask_b32_e32 v6, v6, v7, vcc
	v_lshlrev_b32_e32 v7, 24, v4
	v_mov_b32_e32 v12, 0x3b800000
	v_lshlrev_b32_e32 v3, 20, v3
	v_and_b32_e32 v7, 0x80000000, v7
	v_lshl_add_u32 v6, v6, 23, v12
	v_or3_b32 v3, v7, v6, v3
.LBB1_4680:
	s_or_b64 exec, exec, s[6:7]
	s_nop 0
	v_mfma_f32_16x16x4f32 a[0:3], v2, v3, a[0:3]
	v_lshrrev_b32_e32 v3, 8, v8
	s_movk_i32 s4, 0x7f
	v_cmp_gt_i16_sdwa s[6:7], v3, s4 src0_sel:BYTE_0 src1_sel:DWORD
	s_mov_b64 s[4:5], 0
                                        ; implicit-def: $sgpr10
	s_and_saveexec_b64 s[8:9], s[6:7]
	s_xor_b64 s[6:7], exec, s[8:9]
	s_cbranch_execz .LBB1_4681
; %bb.40521:
	s_getpc_b64 s[14:15]
.Lpost_getpc5924:
	s_add_u32 s14, s14, (.LBB1_19017-.Lpost_getpc5924)&4294967295
	s_addc_u32 s15, s15, (.LBB1_19017-.Lpost_getpc5924)>>32
	s_setpc_b64 s[14:15]
.LBB1_4681:
	s_or_saveexec_b64 s[6:7], s[6:7]
	v_mov_b32_e32 v2, s10
	s_xor_b64 exec, exec, s[6:7]
	s_cbranch_execz .LBB1_4682
; %bb.40523:
	s_getpc_b64 s[14:15]
.Lpost_getpc5925:
	s_add_u32 s14, s14, (.LBB1_19020-.Lpost_getpc5925)&4294967295
	s_addc_u32 s15, s15, (.LBB1_19020-.Lpost_getpc5925)>>32
	s_setpc_b64 s[14:15]
.LBB1_4682:
	s_or_b64 exec, exec, s[6:7]
	s_and_saveexec_b64 s[6:7], s[4:5]
	s_cbranch_execz .LBB1_4684
.LBB1_4683:
	v_bfe_u32 v2, v8, 8, 3
	v_ffbh_u32_e32 v7, v2
	v_min_u32_e32 v7, 32, v7
	v_lshrrev_b16_e32 v6, 3, v3
	v_subrev_u32_e32 v12, 28, v7
	v_and_b32_e32 v6, 15, v6
	v_lshlrev_b32_e32 v3, v12, v3
	v_sub_u32_e32 v7, 29, v7
	v_and_b32_e32 v3, 7, v3
	v_cmp_eq_u16_e32 vcc, 0, v6
	v_cndmask_b32_e32 v2, v2, v3, vcc
	v_cndmask_b32_e32 v3, v6, v7, vcc
	v_lshlrev_b32_e32 v6, 16, v8
	v_mov_b32_e32 v7, 0x3b800000
	v_lshlrev_b32_e32 v2, 20, v2
	v_and_b32_e32 v6, 0x80000000, v6
	v_lshl_add_u32 v3, v3, 23, v7
	v_or3_b32 v2, v6, v3, v2
.LBB1_4684:
	s_or_b64 exec, exec, s[6:7]
	v_lshrrev_b32_e32 v3, 8, v4
	s_movk_i32 s4, 0x7f
	v_cmp_gt_i16_sdwa s[6:7], v3, s4 src0_sel:BYTE_0 src1_sel:DWORD
	s_mov_b64 s[4:5], 0
                                        ; implicit-def: $sgpr10
	s_and_saveexec_b64 s[8:9], s[6:7]
	s_xor_b64 s[6:7], exec, s[8:9]
	s_cbranch_execz .LBB1_4685
; %bb.40525:
	s_getpc_b64 s[14:15]
.Lpost_getpc5926:
	s_add_u32 s14, s14, (.LBB1_19021-.Lpost_getpc5926)&4294967295
	s_addc_u32 s15, s15, (.LBB1_19021-.Lpost_getpc5926)>>32
	s_setpc_b64 s[14:15]
.LBB1_4685:
	s_or_saveexec_b64 s[6:7], s[6:7]
	v_mov_b32_e32 v6, s10
	s_xor_b64 exec, exec, s[6:7]
	s_cbranch_execz .LBB1_4686
; %bb.40527:
	s_getpc_b64 s[14:15]
.Lpost_getpc5927:
	s_add_u32 s14, s14, (.LBB1_19024-.Lpost_getpc5927)&4294967295
	s_addc_u32 s15, s15, (.LBB1_19024-.Lpost_getpc5927)>>32
	s_setpc_b64 s[14:15]
.LBB1_4686:
	s_or_b64 exec, exec, s[6:7]
	s_and_saveexec_b64 s[6:7], s[4:5]
	s_cbranch_execz .LBB1_4688
.LBB1_4687:
	v_bfe_u32 v6, v4, 8, 3
	v_ffbh_u32_e32 v12, v6
	v_min_u32_e32 v12, 32, v12
	v_lshrrev_b16_e32 v7, 3, v3
	v_subrev_u32_e32 v13, 28, v12
	v_and_b32_e32 v7, 15, v7
	v_lshlrev_b32_e32 v3, v13, v3
	v_sub_u32_e32 v12, 29, v12
	v_and_b32_e32 v3, 7, v3
	v_cmp_eq_u16_e32 vcc, 0, v7
	v_cndmask_b32_e32 v3, v6, v3, vcc
	v_cndmask_b32_e32 v6, v7, v12, vcc
	v_lshlrev_b32_e32 v7, 16, v4
	v_mov_b32_e32 v12, 0x3b800000
	v_lshlrev_b32_e32 v3, 20, v3
	v_and_b32_e32 v7, 0x80000000, v7
	v_lshl_add_u32 v6, v6, 23, v12
	v_or3_b32 v6, v7, v6, v3
.LBB1_4688:
	s_or_b64 exec, exec, s[6:7]
	s_nop 0
	v_mfma_f32_16x16x4f32 a[0:3], v2, v6, a[0:3]
	s_movk_i32 s4, 0xff
	v_and_b32_sdwa v3, v8, s4 dst_sel:DWORD dst_unused:UNUSED_PAD src0_sel:WORD_1 src1_sel:DWORD
	s_movk_i32 s4, 0x7f
	v_cmp_lt_i16_e32 vcc, s4, v3
	s_mov_b64 s[4:5], 0
                                        ; implicit-def: $sgpr10
	s_and_saveexec_b64 s[6:7], vcc
	s_xor_b64 s[6:7], exec, s[6:7]
	s_cbranch_execz .LBB1_4689
; %bb.40529:
	s_getpc_b64 s[14:15]
.Lpost_getpc5928:
	s_add_u32 s14, s14, (.LBB1_19025-.Lpost_getpc5928)&4294967295
	s_addc_u32 s15, s15, (.LBB1_19025-.Lpost_getpc5928)>>32
	s_setpc_b64 s[14:15]
.LBB1_4689:
	s_or_saveexec_b64 s[6:7], s[6:7]
	v_mov_b32_e32 v2, s10
	s_xor_b64 exec, exec, s[6:7]
	s_cbranch_execz .LBB1_4690
; %bb.40531:
	s_getpc_b64 s[14:15]
.Lpost_getpc5929:
	s_add_u32 s14, s14, (.LBB1_19028-.Lpost_getpc5929)&4294967295
	s_addc_u32 s15, s15, (.LBB1_19028-.Lpost_getpc5929)>>32
	s_setpc_b64 s[14:15]
.LBB1_4690:
	s_or_b64 exec, exec, s[6:7]
	s_and_saveexec_b64 s[6:7], s[4:5]
	s_cbranch_execz .LBB1_4692
.LBB1_4691:
	v_bfe_u32 v2, v8, 16, 3
	v_ffbh_u32_e32 v7, v2
	v_min_u32_e32 v7, 32, v7
	v_lshrrev_b32_e32 v3, 19, v8
	v_subrev_u32_e32 v12, 28, v7
	v_and_b32_e32 v3, 15, v3
	v_lshlrev_b32_sdwa v12, v12, v8 dst_sel:DWORD dst_unused:UNUSED_PAD src0_sel:DWORD src1_sel:WORD_1
	v_bfe_u32 v6, v8, 19, 4
	v_sub_u32_e32 v7, 29, v7
	v_and_b32_e32 v12, 7, v12
	v_cmp_eq_u16_e32 vcc, 0, v3
	v_cndmask_b32_e32 v2, v2, v12, vcc
	v_cndmask_b32_e32 v3, v6, v7, vcc
	v_lshlrev_b32_e32 v6, 8, v8
	v_mov_b32_e32 v7, 0x3b800000
	v_lshlrev_b32_e32 v2, 20, v2
	v_and_b32_e32 v6, 0x80000000, v6
	v_lshl_add_u32 v3, v3, 23, v7
	v_or3_b32 v2, v6, v3, v2
.LBB1_4692:
	s_or_b64 exec, exec, s[6:7]
	s_movk_i32 s4, 0xff
	v_and_b32_sdwa v3, v4, s4 dst_sel:DWORD dst_unused:UNUSED_PAD src0_sel:WORD_1 src1_sel:DWORD
	s_movk_i32 s4, 0x7f
	v_cmp_lt_i16_e32 vcc, s4, v3
	s_mov_b64 s[4:5], 0
                                        ; implicit-def: $sgpr10
	s_and_saveexec_b64 s[6:7], vcc
	s_xor_b64 s[6:7], exec, s[6:7]
	s_cbranch_execz .LBB1_4693
; %bb.40533:
	s_getpc_b64 s[14:15]
.Lpost_getpc5930:
	s_add_u32 s14, s14, (.LBB1_19029-.Lpost_getpc5930)&4294967295
	s_addc_u32 s15, s15, (.LBB1_19029-.Lpost_getpc5930)>>32
	s_setpc_b64 s[14:15]
.LBB1_4693:
	s_or_saveexec_b64 s[6:7], s[6:7]
	v_mov_b32_e32 v6, s10
	s_xor_b64 exec, exec, s[6:7]
	s_cbranch_execz .LBB1_4694
; %bb.40535:
	s_getpc_b64 s[14:15]
.Lpost_getpc5931:
	s_add_u32 s14, s14, (.LBB1_19032-.Lpost_getpc5931)&4294967295
	s_addc_u32 s15, s15, (.LBB1_19032-.Lpost_getpc5931)>>32
	s_setpc_b64 s[14:15]
.LBB1_4694:
	s_or_b64 exec, exec, s[6:7]
	s_and_saveexec_b64 s[6:7], s[4:5]
	s_cbranch_execz .LBB1_4696
.LBB1_4695:
	v_bfe_u32 v3, v4, 16, 3
	v_ffbh_u32_e32 v12, v3
	v_min_u32_e32 v12, 32, v12
	v_lshrrev_b32_e32 v6, 19, v4
	v_subrev_u32_e32 v13, 28, v12
	v_and_b32_e32 v6, 15, v6
	v_lshlrev_b32_sdwa v13, v13, v4 dst_sel:DWORD dst_unused:UNUSED_PAD src0_sel:DWORD src1_sel:WORD_1
	v_bfe_u32 v7, v4, 19, 4
	v_sub_u32_e32 v12, 29, v12
	v_and_b32_e32 v13, 7, v13
	v_cmp_eq_u16_e32 vcc, 0, v6
	v_cndmask_b32_e32 v3, v3, v13, vcc
	v_cndmask_b32_e32 v6, v7, v12, vcc
	v_lshlrev_b32_e32 v7, 8, v4
	v_mov_b32_e32 v12, 0x3b800000
	v_lshlrev_b32_e32 v3, 20, v3
	v_and_b32_e32 v7, 0x80000000, v7
	v_lshl_add_u32 v6, v6, 23, v12
	v_or3_b32 v6, v7, v6, v3
.LBB1_4696:
	s_or_b64 exec, exec, s[6:7]
	s_nop 0
	v_mfma_f32_16x16x4f32 a[0:3], v2, v6, a[0:3]
	s_movk_i32 s4, 0x7f
	v_cmp_gt_i16_sdwa s[6:7], v8, s4 src0_sel:BYTE_3 src1_sel:DWORD
	s_mov_b64 s[4:5], 0
                                        ; implicit-def: $sgpr10
	s_and_saveexec_b64 s[8:9], s[6:7]
	s_xor_b64 s[6:7], exec, s[8:9]
	s_cbranch_execz .LBB1_4697
; %bb.40537:
	s_getpc_b64 s[14:15]
.Lpost_getpc5932:
	s_add_u32 s14, s14, (.LBB1_19033-.Lpost_getpc5932)&4294967295
	s_addc_u32 s15, s15, (.LBB1_19033-.Lpost_getpc5932)>>32
	s_setpc_b64 s[14:15]
.LBB1_4697:
	s_or_saveexec_b64 s[6:7], s[6:7]
	v_mov_b32_e32 v2, s10
	s_xor_b64 exec, exec, s[6:7]
	s_cbranch_execz .LBB1_4698
; %bb.40539:
	s_getpc_b64 s[14:15]
.Lpost_getpc5933:
	s_add_u32 s14, s14, (.LBB1_19036-.Lpost_getpc5933)&4294967295
	s_addc_u32 s15, s15, (.LBB1_19036-.Lpost_getpc5933)>>32
	s_setpc_b64 s[14:15]
.LBB1_4698:
	s_or_b64 exec, exec, s[6:7]
	s_and_saveexec_b64 s[6:7], s[4:5]
	s_cbranch_execz .LBB1_4700
.LBB1_4699:
	v_bfe_u32 v2, v8, 24, 3
	v_ffbh_u32_e32 v12, v2
	v_min_u32_e32 v12, 32, v12
	v_lshrrev_b32_e32 v6, 27, v8
	v_subrev_u32_e32 v13, 28, v12
	v_and_b32_e32 v3, 0x80000000, v8
	v_and_b32_e32 v6, 15, v6
	v_bfe_u32 v7, v8, 27, 4
	v_lshlrev_b32_sdwa v8, v13, v8 dst_sel:DWORD dst_unused:UNUSED_PAD src0_sel:DWORD src1_sel:BYTE_3
	v_sub_u32_e32 v12, 29, v12
	v_and_b32_e32 v8, 7, v8
	v_cmp_eq_u16_e32 vcc, 0, v6
	v_cndmask_b32_e32 v2, v2, v8, vcc
	v_cndmask_b32_e32 v6, v7, v12, vcc
	v_mov_b32_e32 v7, 0x3b800000
	v_lshlrev_b32_e32 v2, 20, v2
	v_lshl_add_u32 v6, v6, 23, v7
	v_or3_b32 v2, v3, v6, v2
.LBB1_4700:
	s_or_b64 exec, exec, s[6:7]
	s_movk_i32 s4, 0x7f
	v_cmp_gt_i16_sdwa s[6:7], v4, s4 src0_sel:BYTE_3 src1_sel:DWORD
	s_mov_b64 s[4:5], 0
                                        ; implicit-def: $sgpr10
	s_and_saveexec_b64 s[8:9], s[6:7]
	s_xor_b64 s[6:7], exec, s[8:9]
	s_cbranch_execz .LBB1_4701
; %bb.40541:
	s_getpc_b64 s[14:15]
.Lpost_getpc5934:
	s_add_u32 s14, s14, (.LBB1_19037-.Lpost_getpc5934)&4294967295
	s_addc_u32 s15, s15, (.LBB1_19037-.Lpost_getpc5934)>>32
	s_setpc_b64 s[14:15]
.LBB1_4701:
	s_or_saveexec_b64 s[6:7], s[6:7]
	v_mov_b32_e32 v3, s10
	s_xor_b64 exec, exec, s[6:7]
	s_cbranch_execz .LBB1_4702
; %bb.40543:
	s_getpc_b64 s[14:15]
.Lpost_getpc5935:
	s_add_u32 s14, s14, (.LBB1_19040-.Lpost_getpc5935)&4294967295
	s_addc_u32 s15, s15, (.LBB1_19040-.Lpost_getpc5935)>>32
	s_setpc_b64 s[14:15]
.LBB1_4702:
	s_or_b64 exec, exec, s[6:7]
	s_and_saveexec_b64 s[6:7], s[4:5]
	s_cbranch_execz .LBB1_4704
.LBB1_4703:
	v_bfe_u32 v3, v4, 24, 3
	v_ffbh_u32_e32 v12, v3
	v_min_u32_e32 v12, 32, v12
	v_lshrrev_b32_e32 v7, 27, v4
	v_subrev_u32_e32 v13, 28, v12
	v_and_b32_e32 v6, 0x80000000, v4
	v_and_b32_e32 v7, 15, v7
	v_bfe_u32 v8, v4, 27, 4
	v_lshlrev_b32_sdwa v4, v13, v4 dst_sel:DWORD dst_unused:UNUSED_PAD src0_sel:DWORD src1_sel:BYTE_3
	v_sub_u32_e32 v12, 29, v12
	v_and_b32_e32 v4, 7, v4
	v_cmp_eq_u16_e32 vcc, 0, v7
	v_cndmask_b32_e32 v3, v3, v4, vcc
	v_cndmask_b32_e32 v4, v8, v12, vcc
	v_mov_b32_e32 v7, 0x3b800000
	v_lshlrev_b32_e32 v3, 20, v3
	v_lshl_add_u32 v4, v4, 23, v7
	v_or3_b32 v3, v6, v4, v3
.LBB1_4704:
	s_or_b64 exec, exec, s[6:7]
	s_nop 0
	v_mfma_f32_16x16x4f32 a[0:3], v2, v3, a[0:3]
	s_movk_i32 s4, 0x7f
	v_cmp_gt_i16_sdwa s[6:7], v9, s4 src0_sel:BYTE_0 src1_sel:DWORD
	s_mov_b64 s[4:5], 0
                                        ; implicit-def: $sgpr10
	s_and_saveexec_b64 s[8:9], s[6:7]
	s_xor_b64 s[6:7], exec, s[8:9]
	s_cbranch_execz .LBB1_4705
; %bb.40545:
	s_getpc_b64 s[14:15]
.Lpost_getpc5936:
	s_add_u32 s14, s14, (.LBB1_19041-.Lpost_getpc5936)&4294967295
	s_addc_u32 s15, s15, (.LBB1_19041-.Lpost_getpc5936)>>32
	s_setpc_b64 s[14:15]
.LBB1_4705:
	s_or_saveexec_b64 s[6:7], s[6:7]
	v_mov_b32_e32 v2, s10
	s_xor_b64 exec, exec, s[6:7]
	s_cbranch_execz .LBB1_4706
; %bb.40547:
	s_getpc_b64 s[14:15]
.Lpost_getpc5937:
	s_add_u32 s14, s14, (.LBB1_19044-.Lpost_getpc5937)&4294967295
	s_addc_u32 s15, s15, (.LBB1_19044-.Lpost_getpc5937)>>32
	s_setpc_b64 s[14:15]
.LBB1_4706:
	s_or_b64 exec, exec, s[6:7]
	s_and_saveexec_b64 s[6:7], s[4:5]
	s_cbranch_execz .LBB1_4708
.LBB1_4707:
	v_mov_b32_e32 v2, 8
	v_and_b32_e32 v3, 7, v9
	v_lshrrev_b32_sdwa v2, v2, v9 dst_sel:BYTE_1 dst_unused:UNUSED_PAD src0_sel:DWORD src1_sel:DWORD
	v_ffbh_u32_e32 v4, v3
	v_or_b32_sdwa v2, v9, v2 dst_sel:DWORD dst_unused:UNUSED_PAD src0_sel:BYTE_0 src1_sel:DWORD
	v_min_u32_e32 v4, 32, v4
	v_lshrrev_b16_e32 v2, 3, v2
	v_subrev_u32_e32 v6, 28, v4
	v_and_b32_e32 v2, 15, v2
	v_lshlrev_b32_e32 v6, v6, v9
	v_sub_u32_e32 v4, 29, v4
	v_and_b32_e32 v6, 7, v6
	v_cmp_eq_u16_e32 vcc, 0, v2
	v_cndmask_b32_e32 v3, v3, v6, vcc
	v_cndmask_b32_e32 v2, v2, v4, vcc
	v_lshlrev_b32_e32 v4, 24, v9
	v_mov_b32_e32 v6, 0x3b800000
	v_lshlrev_b32_e32 v3, 20, v3
	v_and_b32_e32 v4, 0x80000000, v4
	v_lshl_add_u32 v2, v2, 23, v6
	v_or3_b32 v2, v4, v2, v3
.LBB1_4708:
	s_or_b64 exec, exec, s[6:7]
	s_movk_i32 s4, 0x7f
	v_cmp_gt_i16_sdwa s[6:7], v5, s4 src0_sel:BYTE_0 src1_sel:DWORD
	s_mov_b64 s[4:5], 0
                                        ; implicit-def: $sgpr10
	s_and_saveexec_b64 s[8:9], s[6:7]
	s_xor_b64 s[6:7], exec, s[8:9]
	s_cbranch_execz .LBB1_4709
; %bb.40549:
	s_getpc_b64 s[14:15]
.Lpost_getpc5938:
	s_add_u32 s14, s14, (.LBB1_19045-.Lpost_getpc5938)&4294967295
	s_addc_u32 s15, s15, (.LBB1_19045-.Lpost_getpc5938)>>32
	s_setpc_b64 s[14:15]
.LBB1_4709:
	s_or_saveexec_b64 s[6:7], s[6:7]
	v_mov_b32_e32 v3, s10
	s_xor_b64 exec, exec, s[6:7]
	s_cbranch_execz .LBB1_4710
; %bb.40551:
	s_getpc_b64 s[14:15]
.Lpost_getpc5939:
	s_add_u32 s14, s14, (.LBB1_19048-.Lpost_getpc5939)&4294967295
	s_addc_u32 s15, s15, (.LBB1_19048-.Lpost_getpc5939)>>32
	s_setpc_b64 s[14:15]
.LBB1_4710:
	s_or_b64 exec, exec, s[6:7]
	s_and_saveexec_b64 s[6:7], s[4:5]
	s_cbranch_execz .LBB1_4712
.LBB1_4711:
	v_mov_b32_e32 v3, 8
	v_and_b32_e32 v4, 7, v5
	v_lshrrev_b32_sdwa v3, v3, v5 dst_sel:BYTE_1 dst_unused:UNUSED_PAD src0_sel:DWORD src1_sel:DWORD
	v_ffbh_u32_e32 v6, v4
	v_or_b32_sdwa v3, v5, v3 dst_sel:DWORD dst_unused:UNUSED_PAD src0_sel:BYTE_0 src1_sel:DWORD
	v_min_u32_e32 v6, 32, v6
	v_lshrrev_b16_e32 v3, 3, v3
	v_subrev_u32_e32 v7, 28, v6
	v_and_b32_e32 v3, 15, v3
	v_lshlrev_b32_e32 v7, v7, v5
	v_sub_u32_e32 v6, 29, v6
	v_and_b32_e32 v7, 7, v7
	v_cmp_eq_u16_e32 vcc, 0, v3
	v_cndmask_b32_e32 v4, v4, v7, vcc
	v_cndmask_b32_e32 v3, v3, v6, vcc
	v_lshlrev_b32_e32 v6, 24, v5
	v_mov_b32_e32 v7, 0x3b800000
	v_lshlrev_b32_e32 v4, 20, v4
	v_and_b32_e32 v6, 0x80000000, v6
	v_lshl_add_u32 v3, v3, 23, v7
	v_or3_b32 v3, v6, v3, v4
.LBB1_4712:
	s_or_b64 exec, exec, s[6:7]
	s_nop 0
	v_mfma_f32_16x16x4f32 a[0:3], v2, v3, a[0:3]
	v_lshrrev_b32_e32 v3, 8, v9
	s_movk_i32 s4, 0x7f
	v_cmp_gt_i16_sdwa s[6:7], v3, s4 src0_sel:BYTE_0 src1_sel:DWORD
	s_mov_b64 s[4:5], 0
                                        ; implicit-def: $sgpr10
	s_and_saveexec_b64 s[8:9], s[6:7]
	s_xor_b64 s[6:7], exec, s[8:9]
	s_cbranch_execz .LBB1_4713
; %bb.40553:
	s_getpc_b64 s[14:15]
.Lpost_getpc5940:
	s_add_u32 s14, s14, (.LBB1_19049-.Lpost_getpc5940)&4294967295
	s_addc_u32 s15, s15, (.LBB1_19049-.Lpost_getpc5940)>>32
	s_setpc_b64 s[14:15]
.LBB1_4713:
	s_or_saveexec_b64 s[6:7], s[6:7]
	v_mov_b32_e32 v2, s10
	s_xor_b64 exec, exec, s[6:7]
	s_cbranch_execz .LBB1_4714
; %bb.40555:
	s_getpc_b64 s[14:15]
.Lpost_getpc5941:
	s_add_u32 s14, s14, (.LBB1_19052-.Lpost_getpc5941)&4294967295
	s_addc_u32 s15, s15, (.LBB1_19052-.Lpost_getpc5941)>>32
	s_setpc_b64 s[14:15]
.LBB1_4714:
	s_or_b64 exec, exec, s[6:7]
	s_and_saveexec_b64 s[6:7], s[4:5]
	s_cbranch_execz .LBB1_4716
.LBB1_4715:
	v_bfe_u32 v2, v9, 8, 3
	v_ffbh_u32_e32 v6, v2
	v_min_u32_e32 v6, 32, v6
	v_lshrrev_b16_e32 v4, 3, v3
	v_subrev_u32_e32 v7, 28, v6
	v_and_b32_e32 v4, 15, v4
	v_lshlrev_b32_e32 v3, v7, v3
	v_sub_u32_e32 v6, 29, v6
	v_and_b32_e32 v3, 7, v3
	v_cmp_eq_u16_e32 vcc, 0, v4
	v_cndmask_b32_e32 v2, v2, v3, vcc
	v_cndmask_b32_e32 v3, v4, v6, vcc
	v_lshlrev_b32_e32 v4, 16, v9
	v_mov_b32_e32 v6, 0x3b800000
	v_lshlrev_b32_e32 v2, 20, v2
	v_and_b32_e32 v4, 0x80000000, v4
	v_lshl_add_u32 v3, v3, 23, v6
	v_or3_b32 v2, v4, v3, v2
.LBB1_4716:
	s_or_b64 exec, exec, s[6:7]
	v_lshrrev_b32_e32 v3, 8, v5
	s_movk_i32 s4, 0x7f
	v_cmp_gt_i16_sdwa s[6:7], v3, s4 src0_sel:BYTE_0 src1_sel:DWORD
	s_mov_b64 s[4:5], 0
                                        ; implicit-def: $sgpr10
	s_and_saveexec_b64 s[8:9], s[6:7]
	s_xor_b64 s[6:7], exec, s[8:9]
	s_cbranch_execz .LBB1_4717
; %bb.40557:
	s_getpc_b64 s[14:15]
.Lpost_getpc5942:
	s_add_u32 s14, s14, (.LBB1_19053-.Lpost_getpc5942)&4294967295
	s_addc_u32 s15, s15, (.LBB1_19053-.Lpost_getpc5942)>>32
	s_setpc_b64 s[14:15]
.LBB1_4717:
	s_or_saveexec_b64 s[6:7], s[6:7]
	v_mov_b32_e32 v4, s10
	s_xor_b64 exec, exec, s[6:7]
	s_cbranch_execz .LBB1_4718
; %bb.40559:
	s_getpc_b64 s[14:15]
.Lpost_getpc5943:
	s_add_u32 s14, s14, (.LBB1_19056-.Lpost_getpc5943)&4294967295
	s_addc_u32 s15, s15, (.LBB1_19056-.Lpost_getpc5943)>>32
	s_setpc_b64 s[14:15]
.LBB1_4718:
	s_or_b64 exec, exec, s[6:7]
	s_and_saveexec_b64 s[6:7], s[4:5]
	s_cbranch_execz .LBB1_4720
.LBB1_4719:
	v_bfe_u32 v4, v5, 8, 3
	v_ffbh_u32_e32 v7, v4
	v_min_u32_e32 v7, 32, v7
	v_lshrrev_b16_e32 v6, 3, v3
	v_subrev_u32_e32 v8, 28, v7
	v_and_b32_e32 v6, 15, v6
	v_lshlrev_b32_e32 v3, v8, v3
	v_sub_u32_e32 v7, 29, v7
	v_and_b32_e32 v3, 7, v3
	v_cmp_eq_u16_e32 vcc, 0, v6
	v_cndmask_b32_e32 v3, v4, v3, vcc
	v_cndmask_b32_e32 v4, v6, v7, vcc
	v_lshlrev_b32_e32 v6, 16, v5
	v_mov_b32_e32 v7, 0x3b800000
	v_lshlrev_b32_e32 v3, 20, v3
	v_and_b32_e32 v6, 0x80000000, v6
	v_lshl_add_u32 v4, v4, 23, v7
	v_or3_b32 v4, v6, v4, v3
.LBB1_4720:
	s_or_b64 exec, exec, s[6:7]
	s_nop 0
	v_mfma_f32_16x16x4f32 a[0:3], v2, v4, a[0:3]
	s_movk_i32 s4, 0xff
	v_and_b32_sdwa v3, v9, s4 dst_sel:DWORD dst_unused:UNUSED_PAD src0_sel:WORD_1 src1_sel:DWORD
	s_movk_i32 s4, 0x7f
	v_cmp_lt_i16_e32 vcc, s4, v3
	s_mov_b64 s[4:5], 0
                                        ; implicit-def: $sgpr10
	s_and_saveexec_b64 s[6:7], vcc
	s_xor_b64 s[6:7], exec, s[6:7]
	s_cbranch_execz .LBB1_4721
; %bb.40561:
	s_getpc_b64 s[14:15]
.Lpost_getpc5944:
	s_add_u32 s14, s14, (.LBB1_19057-.Lpost_getpc5944)&4294967295
	s_addc_u32 s15, s15, (.LBB1_19057-.Lpost_getpc5944)>>32
	s_setpc_b64 s[14:15]
.LBB1_4721:
	s_or_saveexec_b64 s[6:7], s[6:7]
	v_mov_b32_e32 v2, s10
	s_xor_b64 exec, exec, s[6:7]
	s_cbranch_execz .LBB1_4722
; %bb.40563:
	s_getpc_b64 s[14:15]
.Lpost_getpc5945:
	s_add_u32 s14, s14, (.LBB1_19060-.Lpost_getpc5945)&4294967295
	s_addc_u32 s15, s15, (.LBB1_19060-.Lpost_getpc5945)>>32
	s_setpc_b64 s[14:15]
.LBB1_4722:
	s_or_b64 exec, exec, s[6:7]
	s_and_saveexec_b64 s[6:7], s[4:5]
	s_cbranch_execz .LBB1_4724
.LBB1_4723:
	v_bfe_u32 v2, v9, 16, 3
	v_ffbh_u32_e32 v6, v2
	v_min_u32_e32 v6, 32, v6
	v_lshrrev_b32_e32 v3, 19, v9
	v_subrev_u32_e32 v7, 28, v6
	v_and_b32_e32 v3, 15, v3
	v_lshlrev_b32_sdwa v7, v7, v9 dst_sel:DWORD dst_unused:UNUSED_PAD src0_sel:DWORD src1_sel:WORD_1
	v_bfe_u32 v4, v9, 19, 4
	v_sub_u32_e32 v6, 29, v6
	v_and_b32_e32 v7, 7, v7
	v_cmp_eq_u16_e32 vcc, 0, v3
	v_cndmask_b32_e32 v2, v2, v7, vcc
	v_cndmask_b32_e32 v3, v4, v6, vcc
	v_lshlrev_b32_e32 v4, 8, v9
	v_mov_b32_e32 v6, 0x3b800000
	v_lshlrev_b32_e32 v2, 20, v2
	v_and_b32_e32 v4, 0x80000000, v4
	v_lshl_add_u32 v3, v3, 23, v6
	v_or3_b32 v2, v4, v3, v2
.LBB1_4724:
	s_or_b64 exec, exec, s[6:7]
	s_movk_i32 s4, 0xff
	v_and_b32_sdwa v3, v5, s4 dst_sel:DWORD dst_unused:UNUSED_PAD src0_sel:WORD_1 src1_sel:DWORD
	s_movk_i32 s4, 0x7f
	v_cmp_lt_i16_e32 vcc, s4, v3
	s_mov_b64 s[4:5], 0
                                        ; implicit-def: $sgpr10
	s_and_saveexec_b64 s[6:7], vcc
	s_xor_b64 s[6:7], exec, s[6:7]
	s_cbranch_execz .LBB1_4725
; %bb.40565:
	s_getpc_b64 s[14:15]
.Lpost_getpc5946:
	s_add_u32 s14, s14, (.LBB1_19061-.Lpost_getpc5946)&4294967295
	s_addc_u32 s15, s15, (.LBB1_19061-.Lpost_getpc5946)>>32
	s_setpc_b64 s[14:15]
.LBB1_4725:
	s_or_saveexec_b64 s[6:7], s[6:7]
	v_mov_b32_e32 v4, s10
	s_xor_b64 exec, exec, s[6:7]
	s_cbranch_execz .LBB1_4726
; %bb.40567:
	s_getpc_b64 s[14:15]
.Lpost_getpc5947:
	s_add_u32 s14, s14, (.LBB1_19064-.Lpost_getpc5947)&4294967295
	s_addc_u32 s15, s15, (.LBB1_19064-.Lpost_getpc5947)>>32
	s_setpc_b64 s[14:15]
.LBB1_4726:
	s_or_b64 exec, exec, s[6:7]
	s_and_saveexec_b64 s[6:7], s[4:5]
	s_cbranch_execz .LBB1_4728
.LBB1_4727:
	v_bfe_u32 v3, v5, 16, 3
	v_ffbh_u32_e32 v7, v3
	v_min_u32_e32 v7, 32, v7
	v_lshrrev_b32_e32 v4, 19, v5
	v_subrev_u32_e32 v8, 28, v7
	v_and_b32_e32 v4, 15, v4
	v_lshlrev_b32_sdwa v8, v8, v5 dst_sel:DWORD dst_unused:UNUSED_PAD src0_sel:DWORD src1_sel:WORD_1
	v_bfe_u32 v6, v5, 19, 4
	v_sub_u32_e32 v7, 29, v7
	v_and_b32_e32 v8, 7, v8
	v_cmp_eq_u16_e32 vcc, 0, v4
	v_cndmask_b32_e32 v3, v3, v8, vcc
	v_cndmask_b32_e32 v4, v6, v7, vcc
	v_lshlrev_b32_e32 v6, 8, v5
	v_mov_b32_e32 v7, 0x3b800000
	v_lshlrev_b32_e32 v3, 20, v3
	v_and_b32_e32 v6, 0x80000000, v6
	v_lshl_add_u32 v4, v4, 23, v7
	v_or3_b32 v4, v6, v4, v3
.LBB1_4728:
	s_or_b64 exec, exec, s[6:7]
	s_nop 0
	v_mfma_f32_16x16x4f32 a[0:3], v2, v4, a[0:3]
	s_movk_i32 s4, 0x7f
	v_cmp_gt_i16_sdwa s[6:7], v9, s4 src0_sel:BYTE_3 src1_sel:DWORD
	s_mov_b64 s[4:5], 0
                                        ; implicit-def: $sgpr10
	s_and_saveexec_b64 s[8:9], s[6:7]
	s_xor_b64 s[6:7], exec, s[8:9]
	s_cbranch_execz .LBB1_4729
; %bb.40569:
	s_getpc_b64 s[14:15]
.Lpost_getpc5948:
	s_add_u32 s14, s14, (.LBB1_19065-.Lpost_getpc5948)&4294967295
	s_addc_u32 s15, s15, (.LBB1_19065-.Lpost_getpc5948)>>32
	s_setpc_b64 s[14:15]
.LBB1_4729:
	s_or_saveexec_b64 s[6:7], s[6:7]
	v_mov_b32_e32 v2, s10
	s_xor_b64 exec, exec, s[6:7]
	s_cbranch_execz .LBB1_4730
; %bb.40571:
	s_getpc_b64 s[14:15]
.Lpost_getpc5949:
	s_add_u32 s14, s14, (.LBB1_19068-.Lpost_getpc5949)&4294967295
	s_addc_u32 s15, s15, (.LBB1_19068-.Lpost_getpc5949)>>32
	s_setpc_b64 s[14:15]
.LBB1_4730:
	s_or_b64 exec, exec, s[6:7]
	s_and_saveexec_b64 s[6:7], s[4:5]
	s_cbranch_execz .LBB1_4732
.LBB1_4731:
	v_bfe_u32 v2, v9, 24, 3
	v_ffbh_u32_e32 v7, v2
	v_min_u32_e32 v7, 32, v7
	v_lshrrev_b32_e32 v4, 27, v9
	v_subrev_u32_e32 v8, 28, v7
	v_and_b32_e32 v4, 15, v4
	v_lshlrev_b32_sdwa v8, v8, v9 dst_sel:DWORD dst_unused:UNUSED_PAD src0_sel:DWORD src1_sel:BYTE_3
	v_bfe_u32 v6, v9, 27, 4
	v_sub_u32_e32 v7, 29, v7
	v_and_b32_e32 v8, 7, v8
	v_cmp_eq_u16_e32 vcc, 0, v4
	v_cndmask_b32_e32 v2, v2, v8, vcc
	v_cndmask_b32_e32 v4, v6, v7, vcc
	v_mov_b32_e32 v6, 0x3b800000
	v_and_b32_e32 v3, 0x80000000, v9
	v_lshlrev_b32_e32 v2, 20, v2
	v_lshl_add_u32 v4, v4, 23, v6
	v_or3_b32 v2, v3, v4, v2
.LBB1_4732:
	s_or_b64 exec, exec, s[6:7]
	s_movk_i32 s4, 0x7f
	v_cmp_gt_i16_sdwa s[6:7], v5, s4 src0_sel:BYTE_3 src1_sel:DWORD
	s_mov_b64 s[4:5], 0
                                        ; implicit-def: $sgpr10
	s_and_saveexec_b64 s[8:9], s[6:7]
	s_xor_b64 s[6:7], exec, s[8:9]
	s_cbranch_execz .LBB1_4733
; %bb.40573:
	s_getpc_b64 s[14:15]
.Lpost_getpc5950:
	s_add_u32 s14, s14, (.LBB1_19069-.Lpost_getpc5950)&4294967295
	s_addc_u32 s15, s15, (.LBB1_19069-.Lpost_getpc5950)>>32
	s_setpc_b64 s[14:15]
.LBB1_4733:
	s_or_saveexec_b64 s[6:7], s[6:7]
	v_mov_b32_e32 v3, s10
	s_xor_b64 exec, exec, s[6:7]
	s_cbranch_execz .LBB1_4734
; %bb.40575:
	s_getpc_b64 s[14:15]
.Lpost_getpc5951:
	s_add_u32 s14, s14, (.LBB1_19072-.Lpost_getpc5951)&4294967295
	s_addc_u32 s15, s15, (.LBB1_19072-.Lpost_getpc5951)>>32
	s_setpc_b64 s[14:15]
.LBB1_4734:
	s_or_b64 exec, exec, s[6:7]
	s_and_saveexec_b64 s[6:7], s[4:5]
	s_cbranch_execz .LBB1_4736
.LBB1_4735:
	v_bfe_u32 v3, v5, 24, 3
	v_ffbh_u32_e32 v8, v3
	v_min_u32_e32 v8, 32, v8
	v_lshrrev_b32_e32 v6, 27, v5
	v_subrev_u32_e32 v9, 28, v8
	v_and_b32_e32 v4, 0x80000000, v5
	v_and_b32_e32 v6, 15, v6
	v_bfe_u32 v7, v5, 27, 4
	v_lshlrev_b32_sdwa v5, v9, v5 dst_sel:DWORD dst_unused:UNUSED_PAD src0_sel:DWORD src1_sel:BYTE_3
	v_sub_u32_e32 v8, 29, v8
	v_and_b32_e32 v5, 7, v5
	v_cmp_eq_u16_e32 vcc, 0, v6
	v_cndmask_b32_e32 v3, v3, v5, vcc
	v_cndmask_b32_e32 v5, v7, v8, vcc
	v_mov_b32_e32 v6, 0x3b800000
	v_lshlrev_b32_e32 v3, 20, v3
	v_lshl_add_u32 v5, v5, 23, v6
	v_or3_b32 v3, v4, v5, v3
.LBB1_4736:
	s_or_b64 exec, exec, s[6:7]
	s_nop 0
	v_mfma_f32_16x16x4f32 a[0:3], v2, v3, a[0:3]
	s_movk_i32 s4, 0x7f
                                        ; implicit-def: $sgpr10
	s_nop 7
	s_nop 1
	flat_store_dwordx4 v[10:11], a[0:3] offset:576
	flat_load_dwordx4 v[12:15], v[0:1]
	s_nop 0
	flat_load_dwordx2 v[10:11], v[0:1] offset:16
	s_waitcnt vmcnt(0) lgkmcnt(0)
	flat_load_dwordx4 v[6:9], v[12:13] offset:64
	flat_load_dwordx4 v[2:5], v[14:15] offset:80
	s_waitcnt vmcnt(0) lgkmcnt(0)
	v_cmp_gt_i16_sdwa s[6:7], v6, s4 src0_sel:BYTE_0 src1_sel:DWORD
	s_mov_b64 s[4:5], 0
	s_and_saveexec_b64 s[8:9], s[6:7]
	s_xor_b64 s[6:7], exec, s[8:9]
	s_cbranch_execz .LBB1_4737
; %bb.40577:
	s_getpc_b64 s[14:15]
.Lpost_getpc5952:
	s_add_u32 s14, s14, (.LBB1_19073-.Lpost_getpc5952)&4294967295
	s_addc_u32 s15, s15, (.LBB1_19073-.Lpost_getpc5952)>>32
	s_setpc_b64 s[14:15]
.LBB1_4737:
	s_or_saveexec_b64 s[6:7], s[6:7]
	v_mov_b32_e32 v12, s10
	s_xor_b64 exec, exec, s[6:7]
	s_cbranch_execz .LBB1_4738
; %bb.40579:
	s_getpc_b64 s[14:15]
.Lpost_getpc5953:
	s_add_u32 s14, s14, (.LBB1_19076-.Lpost_getpc5953)&4294967295
	s_addc_u32 s15, s15, (.LBB1_19076-.Lpost_getpc5953)>>32
	s_setpc_b64 s[14:15]
.LBB1_4738:
	s_or_b64 exec, exec, s[6:7]
	s_and_saveexec_b64 s[6:7], s[4:5]
	s_cbranch_execz .LBB1_4740
.LBB1_4739:
	v_and_b32_e32 v12, 7, v6
	v_ffbh_u32_e32 v14, v12
	v_min_u32_e32 v14, 32, v14
	v_lshrrev_b16_e32 v13, 3, v6
	v_subrev_u32_e32 v15, 28, v14
	v_and_b32_e32 v13, 15, v13
	v_lshlrev_b32_e32 v15, v15, v6
	v_sub_u32_e32 v14, 29, v14
	v_and_b32_e32 v15, 7, v15
	v_cmp_eq_u16_e32 vcc, 0, v13
	v_cndmask_b32_e32 v12, v12, v15, vcc
	v_cndmask_b32_e32 v13, v13, v14, vcc
	v_lshlrev_b32_e32 v14, 24, v6
	v_mov_b32_e32 v15, 0x3b800000
	v_lshlrev_b32_e32 v12, 20, v12
	v_and_b32_e32 v14, 0x80000000, v14
	v_lshl_add_u32 v13, v13, 23, v15
	v_or3_b32 v12, v14, v13, v12
.LBB1_4740:
	s_or_b64 exec, exec, s[6:7]
	s_movk_i32 s4, 0x7f
	v_cmp_gt_i16_sdwa s[6:7], v2, s4 src0_sel:BYTE_0 src1_sel:DWORD
	s_mov_b64 s[4:5], 0
                                        ; implicit-def: $sgpr10
	s_and_saveexec_b64 s[8:9], s[6:7]
	s_xor_b64 s[6:7], exec, s[8:9]
	s_cbranch_execz .LBB1_4741
; %bb.40581:
	s_getpc_b64 s[14:15]
.Lpost_getpc5954:
	s_add_u32 s14, s14, (.LBB1_19077-.Lpost_getpc5954)&4294967295
	s_addc_u32 s15, s15, (.LBB1_19077-.Lpost_getpc5954)>>32
	s_setpc_b64 s[14:15]
.LBB1_4741:
	s_or_saveexec_b64 s[6:7], s[6:7]
	v_mov_b32_e32 v13, s10
	s_xor_b64 exec, exec, s[6:7]
	s_cbranch_execz .LBB1_4742
; %bb.40583:
	s_getpc_b64 s[14:15]
.Lpost_getpc5955:
	s_add_u32 s14, s14, (.LBB1_19080-.Lpost_getpc5955)&4294967295
	s_addc_u32 s15, s15, (.LBB1_19080-.Lpost_getpc5955)>>32
	s_setpc_b64 s[14:15]
.LBB1_4742:
	s_or_b64 exec, exec, s[6:7]
	s_and_saveexec_b64 s[6:7], s[4:5]
	s_cbranch_execz .LBB1_4744
.LBB1_4743:
	v_and_b32_e32 v13, 7, v2
	v_ffbh_u32_e32 v15, v13
	v_min_u32_e32 v15, 32, v15
	v_lshrrev_b16_e32 v14, 3, v2
	v_subrev_u32_e32 v16, 28, v15
	v_and_b32_e32 v14, 15, v14
	v_lshlrev_b32_e32 v16, v16, v2
	v_sub_u32_e32 v15, 29, v15
	v_and_b32_e32 v16, 7, v16
	v_cmp_eq_u16_e32 vcc, 0, v14
	v_cndmask_b32_e32 v13, v13, v16, vcc
	v_cndmask_b32_e32 v14, v14, v15, vcc
	v_lshlrev_b32_e32 v15, 24, v2
	v_mov_b32_e32 v16, 0x3b800000
	v_lshlrev_b32_e32 v13, 20, v13
	v_and_b32_e32 v15, 0x80000000, v15
	v_lshl_add_u32 v14, v14, 23, v16
	v_or3_b32 v13, v15, v14, v13
.LBB1_4744:
	s_or_b64 exec, exec, s[6:7]
	flat_load_dwordx4 a[0:3], v[10:11] offset:592
	s_movk_i32 s4, 0x7f
                                        ; implicit-def: $sgpr10
	s_waitcnt vmcnt(0) lgkmcnt(0)
	v_mfma_f32_16x16x4f32 a[0:3], v12, v13, a[0:3]
	v_lshrrev_b32_e32 v13, 8, v6
	v_cmp_gt_i16_sdwa s[6:7], v13, s4 src0_sel:BYTE_0 src1_sel:DWORD
	s_mov_b64 s[4:5], 0
	s_and_saveexec_b64 s[8:9], s[6:7]
	s_xor_b64 s[6:7], exec, s[8:9]
	s_cbranch_execz .LBB1_4745
; %bb.40585:
	s_getpc_b64 s[14:15]
.Lpost_getpc5956:
	s_add_u32 s14, s14, (.LBB1_19081-.Lpost_getpc5956)&4294967295
	s_addc_u32 s15, s15, (.LBB1_19081-.Lpost_getpc5956)>>32
	s_setpc_b64 s[14:15]
.LBB1_4745:
	s_or_saveexec_b64 s[6:7], s[6:7]
	v_mov_b32_e32 v12, s10
	s_xor_b64 exec, exec, s[6:7]
	s_cbranch_execz .LBB1_4746
; %bb.40587:
	s_getpc_b64 s[14:15]
.Lpost_getpc5957:
	s_add_u32 s14, s14, (.LBB1_19084-.Lpost_getpc5957)&4294967295
	s_addc_u32 s15, s15, (.LBB1_19084-.Lpost_getpc5957)>>32
	s_setpc_b64 s[14:15]
.LBB1_4746:
	s_or_b64 exec, exec, s[6:7]
	s_and_saveexec_b64 s[6:7], s[4:5]
	s_cbranch_execz .LBB1_4748
.LBB1_4747:
	v_bfe_u32 v12, v6, 8, 3
	v_ffbh_u32_e32 v15, v12
	v_min_u32_e32 v15, 32, v15
	v_lshrrev_b16_e32 v14, 3, v13
	v_subrev_u32_e32 v16, 28, v15
	v_and_b32_e32 v14, 15, v14
	v_lshlrev_b32_e32 v13, v16, v13
	v_sub_u32_e32 v15, 29, v15
	v_and_b32_e32 v13, 7, v13
	v_cmp_eq_u16_e32 vcc, 0, v14
	v_cndmask_b32_e32 v12, v12, v13, vcc
	v_cndmask_b32_e32 v13, v14, v15, vcc
	v_lshlrev_b32_e32 v14, 16, v6
	v_mov_b32_e32 v15, 0x3b800000
	v_lshlrev_b32_e32 v12, 20, v12
	v_and_b32_e32 v14, 0x80000000, v14
	v_lshl_add_u32 v13, v13, 23, v15
	v_or3_b32 v12, v14, v13, v12
.LBB1_4748:
	s_or_b64 exec, exec, s[6:7]
	v_lshrrev_b32_e32 v13, 8, v2
	s_movk_i32 s4, 0x7f
	v_cmp_gt_i16_sdwa s[6:7], v13, s4 src0_sel:BYTE_0 src1_sel:DWORD
	s_mov_b64 s[4:5], 0
                                        ; implicit-def: $sgpr10
	s_and_saveexec_b64 s[8:9], s[6:7]
	s_xor_b64 s[6:7], exec, s[8:9]
	s_cbranch_execz .LBB1_4749
; %bb.40589:
	s_getpc_b64 s[14:15]
.Lpost_getpc5958:
	s_add_u32 s14, s14, (.LBB1_19085-.Lpost_getpc5958)&4294967295
	s_addc_u32 s15, s15, (.LBB1_19085-.Lpost_getpc5958)>>32
	s_setpc_b64 s[14:15]
.LBB1_4749:
	s_or_saveexec_b64 s[6:7], s[6:7]
	v_mov_b32_e32 v14, s10
	s_xor_b64 exec, exec, s[6:7]
	s_cbranch_execz .LBB1_4750
; %bb.40591:
	s_getpc_b64 s[14:15]
.Lpost_getpc5959:
	s_add_u32 s14, s14, (.LBB1_19088-.Lpost_getpc5959)&4294967295
	s_addc_u32 s15, s15, (.LBB1_19088-.Lpost_getpc5959)>>32
	s_setpc_b64 s[14:15]
.LBB1_4750:
	s_or_b64 exec, exec, s[6:7]
	s_and_saveexec_b64 s[6:7], s[4:5]
	s_cbranch_execz .LBB1_4752
.LBB1_4751:
	v_bfe_u32 v14, v2, 8, 3
	v_ffbh_u32_e32 v16, v14
	v_min_u32_e32 v16, 32, v16
	v_lshrrev_b16_e32 v15, 3, v13
	v_subrev_u32_e32 v17, 28, v16
	v_and_b32_e32 v15, 15, v15
	v_lshlrev_b32_e32 v13, v17, v13
	v_sub_u32_e32 v16, 29, v16
	v_and_b32_e32 v13, 7, v13
	v_cmp_eq_u16_e32 vcc, 0, v15
	v_cndmask_b32_e32 v13, v14, v13, vcc
	v_cndmask_b32_e32 v14, v15, v16, vcc
	v_lshlrev_b32_e32 v15, 16, v2
	v_mov_b32_e32 v16, 0x3b800000
	v_lshlrev_b32_e32 v13, 20, v13
	v_and_b32_e32 v15, 0x80000000, v15
	v_lshl_add_u32 v14, v14, 23, v16
	v_or3_b32 v14, v15, v14, v13
.LBB1_4752:
	s_or_b64 exec, exec, s[6:7]
	s_nop 0
	v_mfma_f32_16x16x4f32 a[0:3], v12, v14, a[0:3]
	s_movk_i32 s4, 0xff
	v_and_b32_sdwa v13, v6, s4 dst_sel:DWORD dst_unused:UNUSED_PAD src0_sel:WORD_1 src1_sel:DWORD
	s_movk_i32 s4, 0x7f
	v_cmp_lt_i16_e32 vcc, s4, v13
	s_mov_b64 s[4:5], 0
                                        ; implicit-def: $sgpr10
	s_and_saveexec_b64 s[6:7], vcc
	s_xor_b64 s[6:7], exec, s[6:7]
	s_cbranch_execz .LBB1_4753
; %bb.40593:
	s_getpc_b64 s[14:15]
.Lpost_getpc5960:
	s_add_u32 s14, s14, (.LBB1_19089-.Lpost_getpc5960)&4294967295
	s_addc_u32 s15, s15, (.LBB1_19089-.Lpost_getpc5960)>>32
	s_setpc_b64 s[14:15]
.LBB1_4753:
	s_or_saveexec_b64 s[6:7], s[6:7]
	v_mov_b32_e32 v12, s10
	s_xor_b64 exec, exec, s[6:7]
	s_cbranch_execz .LBB1_4754
; %bb.40595:
	s_getpc_b64 s[14:15]
.Lpost_getpc5961:
	s_add_u32 s14, s14, (.LBB1_19092-.Lpost_getpc5961)&4294967295
	s_addc_u32 s15, s15, (.LBB1_19092-.Lpost_getpc5961)>>32
	s_setpc_b64 s[14:15]
.LBB1_4754:
	s_or_b64 exec, exec, s[6:7]
	s_and_saveexec_b64 s[6:7], s[4:5]
	s_cbranch_execz .LBB1_4756
.LBB1_4755:
	v_bfe_u32 v12, v6, 16, 3
	v_ffbh_u32_e32 v15, v12
	v_min_u32_e32 v15, 32, v15
	v_lshrrev_b32_e32 v13, 19, v6
	v_subrev_u32_e32 v16, 28, v15
	v_and_b32_e32 v13, 15, v13
	v_lshlrev_b32_sdwa v16, v16, v6 dst_sel:DWORD dst_unused:UNUSED_PAD src0_sel:DWORD src1_sel:WORD_1
	v_bfe_u32 v14, v6, 19, 4
	v_sub_u32_e32 v15, 29, v15
	v_and_b32_e32 v16, 7, v16
	v_cmp_eq_u16_e32 vcc, 0, v13
	v_cndmask_b32_e32 v12, v12, v16, vcc
	v_cndmask_b32_e32 v13, v14, v15, vcc
	v_lshlrev_b32_e32 v14, 8, v6
	v_mov_b32_e32 v15, 0x3b800000
	v_lshlrev_b32_e32 v12, 20, v12
	v_and_b32_e32 v14, 0x80000000, v14
	v_lshl_add_u32 v13, v13, 23, v15
	v_or3_b32 v12, v14, v13, v12
.LBB1_4756:
	s_or_b64 exec, exec, s[6:7]
	s_movk_i32 s4, 0xff
	v_and_b32_sdwa v13, v2, s4 dst_sel:DWORD dst_unused:UNUSED_PAD src0_sel:WORD_1 src1_sel:DWORD
	s_movk_i32 s4, 0x7f
	v_cmp_lt_i16_e32 vcc, s4, v13
	s_mov_b64 s[4:5], 0
                                        ; implicit-def: $sgpr10
	s_and_saveexec_b64 s[6:7], vcc
	s_xor_b64 s[6:7], exec, s[6:7]
	s_cbranch_execz .LBB1_4757
; %bb.40597:
	s_getpc_b64 s[14:15]
.Lpost_getpc5962:
	s_add_u32 s14, s14, (.LBB1_19093-.Lpost_getpc5962)&4294967295
	s_addc_u32 s15, s15, (.LBB1_19093-.Lpost_getpc5962)>>32
	s_setpc_b64 s[14:15]
.LBB1_4757:
	s_or_saveexec_b64 s[6:7], s[6:7]
	v_mov_b32_e32 v14, s10
	s_xor_b64 exec, exec, s[6:7]
	s_cbranch_execz .LBB1_4758
; %bb.40599:
	s_getpc_b64 s[14:15]
.Lpost_getpc5963:
	s_add_u32 s14, s14, (.LBB1_19096-.Lpost_getpc5963)&4294967295
	s_addc_u32 s15, s15, (.LBB1_19096-.Lpost_getpc5963)>>32
	s_setpc_b64 s[14:15]
.LBB1_4758:
	s_or_b64 exec, exec, s[6:7]
	s_and_saveexec_b64 s[6:7], s[4:5]
	s_cbranch_execz .LBB1_4760
.LBB1_4759:
	v_bfe_u32 v13, v2, 16, 3
	v_ffbh_u32_e32 v16, v13
	v_min_u32_e32 v16, 32, v16
	v_lshrrev_b32_e32 v14, 19, v2
	v_subrev_u32_e32 v17, 28, v16
	v_and_b32_e32 v14, 15, v14
	v_lshlrev_b32_sdwa v17, v17, v2 dst_sel:DWORD dst_unused:UNUSED_PAD src0_sel:DWORD src1_sel:WORD_1
	v_bfe_u32 v15, v2, 19, 4
	v_sub_u32_e32 v16, 29, v16
	v_and_b32_e32 v17, 7, v17
	v_cmp_eq_u16_e32 vcc, 0, v14
	v_cndmask_b32_e32 v13, v13, v17, vcc
	v_cndmask_b32_e32 v14, v15, v16, vcc
	v_lshlrev_b32_e32 v15, 8, v2
	v_mov_b32_e32 v16, 0x3b800000
	v_lshlrev_b32_e32 v13, 20, v13
	v_and_b32_e32 v15, 0x80000000, v15
	v_lshl_add_u32 v14, v14, 23, v16
	v_or3_b32 v14, v15, v14, v13
.LBB1_4760:
	s_or_b64 exec, exec, s[6:7]
	s_nop 0
	v_mfma_f32_16x16x4f32 a[0:3], v12, v14, a[0:3]
	s_movk_i32 s4, 0x7f
	v_cmp_gt_i16_sdwa s[6:7], v6, s4 src0_sel:BYTE_3 src1_sel:DWORD
	s_mov_b64 s[4:5], 0
                                        ; implicit-def: $sgpr10
	s_and_saveexec_b64 s[8:9], s[6:7]
	s_xor_b64 s[6:7], exec, s[8:9]
	s_cbranch_execz .LBB1_4761
; %bb.40601:
	s_getpc_b64 s[14:15]
.Lpost_getpc5964:
	s_add_u32 s14, s14, (.LBB1_19097-.Lpost_getpc5964)&4294967295
	s_addc_u32 s15, s15, (.LBB1_19097-.Lpost_getpc5964)>>32
	s_setpc_b64 s[14:15]
.LBB1_4761:
	s_or_saveexec_b64 s[6:7], s[6:7]
	v_mov_b32_e32 v12, s10
	s_xor_b64 exec, exec, s[6:7]
	s_cbranch_execz .LBB1_4762
; %bb.40603:
	s_getpc_b64 s[14:15]
.Lpost_getpc5965:
	s_add_u32 s14, s14, (.LBB1_19100-.Lpost_getpc5965)&4294967295
	s_addc_u32 s15, s15, (.LBB1_19100-.Lpost_getpc5965)>>32
	s_setpc_b64 s[14:15]
.LBB1_4762:
	s_or_b64 exec, exec, s[6:7]
	s_and_saveexec_b64 s[6:7], s[4:5]
	s_cbranch_execz .LBB1_4764
.LBB1_4763:
	v_bfe_u32 v12, v6, 24, 3
	v_ffbh_u32_e32 v16, v12
	v_min_u32_e32 v16, 32, v16
	v_lshrrev_b32_e32 v14, 27, v6
	v_subrev_u32_e32 v17, 28, v16
	v_and_b32_e32 v13, 0x80000000, v6
	v_and_b32_e32 v14, 15, v14
	v_bfe_u32 v15, v6, 27, 4
	v_lshlrev_b32_sdwa v6, v17, v6 dst_sel:DWORD dst_unused:UNUSED_PAD src0_sel:DWORD src1_sel:BYTE_3
	v_sub_u32_e32 v16, 29, v16
	v_and_b32_e32 v6, 7, v6
	v_cmp_eq_u16_e32 vcc, 0, v14
	v_cndmask_b32_e32 v6, v12, v6, vcc
	v_cndmask_b32_e32 v12, v15, v16, vcc
	v_mov_b32_e32 v14, 0x3b800000
	v_lshlrev_b32_e32 v6, 20, v6
	v_lshl_add_u32 v12, v12, 23, v14
	v_or3_b32 v12, v13, v12, v6
.LBB1_4764:
	s_or_b64 exec, exec, s[6:7]
	s_movk_i32 s4, 0x7f
	v_cmp_gt_i16_sdwa s[6:7], v2, s4 src0_sel:BYTE_3 src1_sel:DWORD
	s_mov_b64 s[4:5], 0
                                        ; implicit-def: $sgpr10
	s_and_saveexec_b64 s[8:9], s[6:7]
	s_xor_b64 s[6:7], exec, s[8:9]
	s_cbranch_execz .LBB1_4765
; %bb.40605:
	s_getpc_b64 s[14:15]
.Lpost_getpc5966:
	s_add_u32 s14, s14, (.LBB1_19101-.Lpost_getpc5966)&4294967295
	s_addc_u32 s15, s15, (.LBB1_19101-.Lpost_getpc5966)>>32
	s_setpc_b64 s[14:15]
.LBB1_4765:
	s_or_saveexec_b64 s[6:7], s[6:7]
	v_mov_b32_e32 v6, s10
	s_xor_b64 exec, exec, s[6:7]
	s_cbranch_execz .LBB1_4766
; %bb.40607:
	s_getpc_b64 s[14:15]
.Lpost_getpc5967:
	s_add_u32 s14, s14, (.LBB1_19104-.Lpost_getpc5967)&4294967295
	s_addc_u32 s15, s15, (.LBB1_19104-.Lpost_getpc5967)>>32
	s_setpc_b64 s[14:15]
.LBB1_4766:
	s_or_b64 exec, exec, s[6:7]
	s_and_saveexec_b64 s[6:7], s[4:5]
	s_cbranch_execz .LBB1_4768
.LBB1_4767:
	v_bfe_u32 v6, v2, 24, 3
	v_ffbh_u32_e32 v16, v6
	v_min_u32_e32 v16, 32, v16
	v_lshrrev_b32_e32 v14, 27, v2
	v_subrev_u32_e32 v17, 28, v16
	v_and_b32_e32 v13, 0x80000000, v2
	v_and_b32_e32 v14, 15, v14
	v_bfe_u32 v15, v2, 27, 4
	v_lshlrev_b32_sdwa v2, v17, v2 dst_sel:DWORD dst_unused:UNUSED_PAD src0_sel:DWORD src1_sel:BYTE_3
	v_sub_u32_e32 v16, 29, v16
	v_and_b32_e32 v2, 7, v2
	v_cmp_eq_u16_e32 vcc, 0, v14
	v_cndmask_b32_e32 v2, v6, v2, vcc
	v_cndmask_b32_e32 v6, v15, v16, vcc
	v_mov_b32_e32 v14, 0x3b800000
	v_lshlrev_b32_e32 v2, 20, v2
	v_lshl_add_u32 v6, v6, 23, v14
	v_or3_b32 v6, v13, v6, v2
.LBB1_4768:
	s_or_b64 exec, exec, s[6:7]
	s_nop 0
	v_mfma_f32_16x16x4f32 a[0:3], v12, v6, a[0:3]
	s_movk_i32 s4, 0x7f
	v_cmp_gt_i16_sdwa s[6:7], v7, s4 src0_sel:BYTE_0 src1_sel:DWORD
	s_mov_b64 s[4:5], 0
                                        ; implicit-def: $sgpr10
	s_and_saveexec_b64 s[8:9], s[6:7]
	s_xor_b64 s[6:7], exec, s[8:9]
	s_cbranch_execz .LBB1_4769
; %bb.40609:
	s_getpc_b64 s[14:15]
.Lpost_getpc5968:
	s_add_u32 s14, s14, (.LBB1_19105-.Lpost_getpc5968)&4294967295
	s_addc_u32 s15, s15, (.LBB1_19105-.Lpost_getpc5968)>>32
	s_setpc_b64 s[14:15]
.LBB1_4769:
	s_or_saveexec_b64 s[6:7], s[6:7]
	v_mov_b32_e32 v2, s10
	s_xor_b64 exec, exec, s[6:7]
	s_cbranch_execz .LBB1_4770
; %bb.40611:
	s_getpc_b64 s[14:15]
.Lpost_getpc5969:
	s_add_u32 s14, s14, (.LBB1_19108-.Lpost_getpc5969)&4294967295
	s_addc_u32 s15, s15, (.LBB1_19108-.Lpost_getpc5969)>>32
	s_setpc_b64 s[14:15]
.LBB1_4770:
	s_or_b64 exec, exec, s[6:7]
	s_and_saveexec_b64 s[6:7], s[4:5]
	s_cbranch_execz .LBB1_4772
.LBB1_4771:
	v_and_b32_e32 v2, 7, v7
	v_ffbh_u32_e32 v12, v2
	v_min_u32_e32 v12, 32, v12
	v_lshrrev_b16_e32 v6, 3, v7
	v_subrev_u32_e32 v13, 28, v12
	v_and_b32_e32 v6, 15, v6
	v_lshlrev_b32_e32 v13, v13, v7
	v_sub_u32_e32 v12, 29, v12
	v_and_b32_e32 v13, 7, v13
	v_cmp_eq_u16_e32 vcc, 0, v6
	v_cndmask_b32_e32 v2, v2, v13, vcc
	v_cndmask_b32_e32 v6, v6, v12, vcc
	v_lshlrev_b32_e32 v12, 24, v7
	v_mov_b32_e32 v13, 0x3b800000
	v_lshlrev_b32_e32 v2, 20, v2
	v_and_b32_e32 v12, 0x80000000, v12
	v_lshl_add_u32 v6, v6, 23, v13
	v_or3_b32 v2, v12, v6, v2
.LBB1_4772:
	s_or_b64 exec, exec, s[6:7]
	s_movk_i32 s4, 0x7f
	v_cmp_gt_i16_sdwa s[6:7], v3, s4 src0_sel:BYTE_0 src1_sel:DWORD
	s_mov_b64 s[4:5], 0
                                        ; implicit-def: $sgpr10
	s_and_saveexec_b64 s[8:9], s[6:7]
	s_xor_b64 s[6:7], exec, s[8:9]
	s_cbranch_execz .LBB1_4773
; %bb.40613:
	s_getpc_b64 s[14:15]
.Lpost_getpc5970:
	s_add_u32 s14, s14, (.LBB1_19109-.Lpost_getpc5970)&4294967295
	s_addc_u32 s15, s15, (.LBB1_19109-.Lpost_getpc5970)>>32
	s_setpc_b64 s[14:15]
.LBB1_4773:
	s_or_saveexec_b64 s[6:7], s[6:7]
	v_mov_b32_e32 v6, s10
	s_xor_b64 exec, exec, s[6:7]
	s_cbranch_execz .LBB1_4774
; %bb.40615:
	s_getpc_b64 s[14:15]
.Lpost_getpc5971:
	s_add_u32 s14, s14, (.LBB1_19112-.Lpost_getpc5971)&4294967295
	s_addc_u32 s15, s15, (.LBB1_19112-.Lpost_getpc5971)>>32
	s_setpc_b64 s[14:15]
.LBB1_4774:
	s_or_b64 exec, exec, s[6:7]
	s_and_saveexec_b64 s[6:7], s[4:5]
	s_cbranch_execz .LBB1_4776
.LBB1_4775:
	v_and_b32_e32 v6, 7, v3
	v_ffbh_u32_e32 v13, v6
	v_min_u32_e32 v13, 32, v13
	v_lshrrev_b16_e32 v12, 3, v3
	v_subrev_u32_e32 v14, 28, v13
	v_and_b32_e32 v12, 15, v12
	v_lshlrev_b32_e32 v14, v14, v3
	v_sub_u32_e32 v13, 29, v13
	v_and_b32_e32 v14, 7, v14
	v_cmp_eq_u16_e32 vcc, 0, v12
	v_cndmask_b32_e32 v6, v6, v14, vcc
	v_cndmask_b32_e32 v12, v12, v13, vcc
	v_lshlrev_b32_e32 v13, 24, v3
	v_mov_b32_e32 v14, 0x3b800000
	v_lshlrev_b32_e32 v6, 20, v6
	v_and_b32_e32 v13, 0x80000000, v13
	v_lshl_add_u32 v12, v12, 23, v14
	v_or3_b32 v6, v13, v12, v6
.LBB1_4776:
	s_or_b64 exec, exec, s[6:7]
	s_nop 0
	v_mfma_f32_16x16x4f32 a[0:3], v2, v6, a[0:3]
	v_lshrrev_b32_e32 v6, 8, v7
	s_movk_i32 s4, 0x7f
	v_cmp_gt_i16_sdwa s[6:7], v6, s4 src0_sel:BYTE_0 src1_sel:DWORD
	s_mov_b64 s[4:5], 0
                                        ; implicit-def: $sgpr10
	s_and_saveexec_b64 s[8:9], s[6:7]
	s_xor_b64 s[6:7], exec, s[8:9]
	s_cbranch_execz .LBB1_4777
; %bb.40617:
	s_getpc_b64 s[14:15]
.Lpost_getpc5972:
	s_add_u32 s14, s14, (.LBB1_19113-.Lpost_getpc5972)&4294967295
	s_addc_u32 s15, s15, (.LBB1_19113-.Lpost_getpc5972)>>32
	s_setpc_b64 s[14:15]
.LBB1_4777:
	s_or_saveexec_b64 s[6:7], s[6:7]
	v_mov_b32_e32 v2, s10
	s_xor_b64 exec, exec, s[6:7]
	s_cbranch_execz .LBB1_4778
; %bb.40619:
	s_getpc_b64 s[14:15]
.Lpost_getpc5973:
	s_add_u32 s14, s14, (.LBB1_19116-.Lpost_getpc5973)&4294967295
	s_addc_u32 s15, s15, (.LBB1_19116-.Lpost_getpc5973)>>32
	s_setpc_b64 s[14:15]
.LBB1_4778:
	s_or_b64 exec, exec, s[6:7]
	s_and_saveexec_b64 s[6:7], s[4:5]
	s_cbranch_execz .LBB1_4780
.LBB1_4779:
	v_bfe_u32 v2, v7, 8, 3
	v_ffbh_u32_e32 v13, v2
	v_min_u32_e32 v13, 32, v13
	v_lshrrev_b16_e32 v12, 3, v6
	v_subrev_u32_e32 v14, 28, v13
	v_and_b32_e32 v12, 15, v12
	v_lshlrev_b32_e32 v6, v14, v6
	v_sub_u32_e32 v13, 29, v13
	v_and_b32_e32 v6, 7, v6
	v_cmp_eq_u16_e32 vcc, 0, v12
	v_cndmask_b32_e32 v2, v2, v6, vcc
	v_cndmask_b32_e32 v6, v12, v13, vcc
	v_lshlrev_b32_e32 v12, 16, v7
	v_mov_b32_e32 v13, 0x3b800000
	v_lshlrev_b32_e32 v2, 20, v2
	v_and_b32_e32 v12, 0x80000000, v12
	v_lshl_add_u32 v6, v6, 23, v13
	v_or3_b32 v2, v12, v6, v2
.LBB1_4780:
	s_or_b64 exec, exec, s[6:7]
	v_lshrrev_b32_e32 v6, 8, v3
	s_movk_i32 s4, 0x7f
	v_cmp_gt_i16_sdwa s[6:7], v6, s4 src0_sel:BYTE_0 src1_sel:DWORD
	s_mov_b64 s[4:5], 0
                                        ; implicit-def: $sgpr10
	s_and_saveexec_b64 s[8:9], s[6:7]
	s_xor_b64 s[6:7], exec, s[8:9]
	s_cbranch_execz .LBB1_4781
; %bb.40621:
	s_getpc_b64 s[14:15]
.Lpost_getpc5974:
	s_add_u32 s14, s14, (.LBB1_19117-.Lpost_getpc5974)&4294967295
	s_addc_u32 s15, s15, (.LBB1_19117-.Lpost_getpc5974)>>32
	s_setpc_b64 s[14:15]
.LBB1_4781:
	s_or_saveexec_b64 s[6:7], s[6:7]
	v_mov_b32_e32 v12, s10
	s_xor_b64 exec, exec, s[6:7]
	s_cbranch_execz .LBB1_4782
; %bb.40623:
	s_getpc_b64 s[14:15]
.Lpost_getpc5975:
	s_add_u32 s14, s14, (.LBB1_19120-.Lpost_getpc5975)&4294967295
	s_addc_u32 s15, s15, (.LBB1_19120-.Lpost_getpc5975)>>32
	s_setpc_b64 s[14:15]
.LBB1_4782:
	s_or_b64 exec, exec, s[6:7]
	s_and_saveexec_b64 s[6:7], s[4:5]
	s_cbranch_execz .LBB1_4784
.LBB1_4783:
	v_bfe_u32 v12, v3, 8, 3
	v_ffbh_u32_e32 v14, v12
	v_min_u32_e32 v14, 32, v14
	v_lshrrev_b16_e32 v13, 3, v6
	v_subrev_u32_e32 v15, 28, v14
	v_and_b32_e32 v13, 15, v13
	v_lshlrev_b32_e32 v6, v15, v6
	v_sub_u32_e32 v14, 29, v14
	v_and_b32_e32 v6, 7, v6
	v_cmp_eq_u16_e32 vcc, 0, v13
	v_cndmask_b32_e32 v6, v12, v6, vcc
	v_cndmask_b32_e32 v12, v13, v14, vcc
	v_lshlrev_b32_e32 v13, 16, v3
	v_mov_b32_e32 v14, 0x3b800000
	v_lshlrev_b32_e32 v6, 20, v6
	v_and_b32_e32 v13, 0x80000000, v13
	v_lshl_add_u32 v12, v12, 23, v14
	v_or3_b32 v12, v13, v12, v6
.LBB1_4784:
	s_or_b64 exec, exec, s[6:7]
	s_nop 0
	v_mfma_f32_16x16x4f32 a[0:3], v2, v12, a[0:3]
	s_movk_i32 s4, 0xff
	v_and_b32_sdwa v6, v7, s4 dst_sel:DWORD dst_unused:UNUSED_PAD src0_sel:WORD_1 src1_sel:DWORD
	s_movk_i32 s4, 0x7f
	v_cmp_lt_i16_e32 vcc, s4, v6
	s_mov_b64 s[4:5], 0
                                        ; implicit-def: $sgpr10
	s_and_saveexec_b64 s[6:7], vcc
	s_xor_b64 s[6:7], exec, s[6:7]
	s_cbranch_execz .LBB1_4785
; %bb.40625:
	s_getpc_b64 s[14:15]
.Lpost_getpc5976:
	s_add_u32 s14, s14, (.LBB1_19121-.Lpost_getpc5976)&4294967295
	s_addc_u32 s15, s15, (.LBB1_19121-.Lpost_getpc5976)>>32
	s_setpc_b64 s[14:15]
.LBB1_4785:
	s_or_saveexec_b64 s[6:7], s[6:7]
	v_mov_b32_e32 v2, s10
	s_xor_b64 exec, exec, s[6:7]
	s_cbranch_execz .LBB1_4786
; %bb.40627:
	s_getpc_b64 s[14:15]
.Lpost_getpc5977:
	s_add_u32 s14, s14, (.LBB1_19124-.Lpost_getpc5977)&4294967295
	s_addc_u32 s15, s15, (.LBB1_19124-.Lpost_getpc5977)>>32
	s_setpc_b64 s[14:15]
.LBB1_4786:
	s_or_b64 exec, exec, s[6:7]
	s_and_saveexec_b64 s[6:7], s[4:5]
	s_cbranch_execz .LBB1_4788
.LBB1_4787:
	v_bfe_u32 v2, v7, 16, 3
	v_ffbh_u32_e32 v13, v2
	v_min_u32_e32 v13, 32, v13
	v_lshrrev_b32_e32 v6, 19, v7
	v_subrev_u32_e32 v14, 28, v13
	v_and_b32_e32 v6, 15, v6
	v_lshlrev_b32_sdwa v14, v14, v7 dst_sel:DWORD dst_unused:UNUSED_PAD src0_sel:DWORD src1_sel:WORD_1
	v_bfe_u32 v12, v7, 19, 4
	v_sub_u32_e32 v13, 29, v13
	v_and_b32_e32 v14, 7, v14
	v_cmp_eq_u16_e32 vcc, 0, v6
	v_cndmask_b32_e32 v2, v2, v14, vcc
	v_cndmask_b32_e32 v6, v12, v13, vcc
	v_lshlrev_b32_e32 v12, 8, v7
	v_mov_b32_e32 v13, 0x3b800000
	v_lshlrev_b32_e32 v2, 20, v2
	v_and_b32_e32 v12, 0x80000000, v12
	v_lshl_add_u32 v6, v6, 23, v13
	v_or3_b32 v2, v12, v6, v2
.LBB1_4788:
	s_or_b64 exec, exec, s[6:7]
	s_movk_i32 s4, 0xff
	v_and_b32_sdwa v6, v3, s4 dst_sel:DWORD dst_unused:UNUSED_PAD src0_sel:WORD_1 src1_sel:DWORD
	s_movk_i32 s4, 0x7f
	v_cmp_lt_i16_e32 vcc, s4, v6
	s_mov_b64 s[4:5], 0
                                        ; implicit-def: $sgpr10
	s_and_saveexec_b64 s[6:7], vcc
	s_xor_b64 s[6:7], exec, s[6:7]
	s_cbranch_execz .LBB1_4789
; %bb.40629:
	s_getpc_b64 s[14:15]
.Lpost_getpc5978:
	s_add_u32 s14, s14, (.LBB1_19125-.Lpost_getpc5978)&4294967295
	s_addc_u32 s15, s15, (.LBB1_19125-.Lpost_getpc5978)>>32
	s_setpc_b64 s[14:15]
.LBB1_4789:
	s_or_saveexec_b64 s[6:7], s[6:7]
	v_mov_b32_e32 v12, s10
	s_xor_b64 exec, exec, s[6:7]
	s_cbranch_execz .LBB1_4790
; %bb.40631:
	s_getpc_b64 s[14:15]
.Lpost_getpc5979:
	s_add_u32 s14, s14, (.LBB1_19128-.Lpost_getpc5979)&4294967295
	s_addc_u32 s15, s15, (.LBB1_19128-.Lpost_getpc5979)>>32
	s_setpc_b64 s[14:15]
.LBB1_4790:
	s_or_b64 exec, exec, s[6:7]
	s_and_saveexec_b64 s[6:7], s[4:5]
	s_cbranch_execz .LBB1_4792
.LBB1_4791:
	v_bfe_u32 v6, v3, 16, 3
	v_ffbh_u32_e32 v14, v6
	v_min_u32_e32 v14, 32, v14
	v_lshrrev_b32_e32 v12, 19, v3
	v_subrev_u32_e32 v15, 28, v14
	v_and_b32_e32 v12, 15, v12
	v_lshlrev_b32_sdwa v15, v15, v3 dst_sel:DWORD dst_unused:UNUSED_PAD src0_sel:DWORD src1_sel:WORD_1
	v_bfe_u32 v13, v3, 19, 4
	v_sub_u32_e32 v14, 29, v14
	v_and_b32_e32 v15, 7, v15
	v_cmp_eq_u16_e32 vcc, 0, v12
	v_cndmask_b32_e32 v6, v6, v15, vcc
	v_cndmask_b32_e32 v12, v13, v14, vcc
	v_lshlrev_b32_e32 v13, 8, v3
	v_mov_b32_e32 v14, 0x3b800000
	v_lshlrev_b32_e32 v6, 20, v6
	v_and_b32_e32 v13, 0x80000000, v13
	v_lshl_add_u32 v12, v12, 23, v14
	v_or3_b32 v12, v13, v12, v6
.LBB1_4792:
	s_or_b64 exec, exec, s[6:7]
	s_nop 0
	v_mfma_f32_16x16x4f32 a[0:3], v2, v12, a[0:3]
	s_movk_i32 s4, 0x7f
	v_cmp_gt_i16_sdwa s[6:7], v7, s4 src0_sel:BYTE_3 src1_sel:DWORD
	s_mov_b64 s[4:5], 0
                                        ; implicit-def: $sgpr10
	s_and_saveexec_b64 s[8:9], s[6:7]
	s_xor_b64 s[6:7], exec, s[8:9]
	s_cbranch_execz .LBB1_4793
; %bb.40633:
	s_getpc_b64 s[14:15]
.Lpost_getpc5980:
	s_add_u32 s14, s14, (.LBB1_19129-.Lpost_getpc5980)&4294967295
	s_addc_u32 s15, s15, (.LBB1_19129-.Lpost_getpc5980)>>32
	s_setpc_b64 s[14:15]
.LBB1_4793:
	s_or_saveexec_b64 s[6:7], s[6:7]
	v_mov_b32_e32 v2, s10
	s_xor_b64 exec, exec, s[6:7]
	s_cbranch_execz .LBB1_4794
; %bb.40635:
	s_getpc_b64 s[14:15]
.Lpost_getpc5981:
	s_add_u32 s14, s14, (.LBB1_19132-.Lpost_getpc5981)&4294967295
	s_addc_u32 s15, s15, (.LBB1_19132-.Lpost_getpc5981)>>32
	s_setpc_b64 s[14:15]
.LBB1_4794:
	s_or_b64 exec, exec, s[6:7]
	s_and_saveexec_b64 s[6:7], s[4:5]
	s_cbranch_execz .LBB1_4796
.LBB1_4795:
	v_bfe_u32 v2, v7, 24, 3
	v_ffbh_u32_e32 v14, v2
	v_min_u32_e32 v14, 32, v14
	v_lshrrev_b32_e32 v12, 27, v7
	v_subrev_u32_e32 v15, 28, v14
	v_and_b32_e32 v6, 0x80000000, v7
	v_and_b32_e32 v12, 15, v12
	v_bfe_u32 v13, v7, 27, 4
	v_lshlrev_b32_sdwa v7, v15, v7 dst_sel:DWORD dst_unused:UNUSED_PAD src0_sel:DWORD src1_sel:BYTE_3
	v_sub_u32_e32 v14, 29, v14
	v_and_b32_e32 v7, 7, v7
	v_cmp_eq_u16_e32 vcc, 0, v12
	v_cndmask_b32_e32 v2, v2, v7, vcc
	v_cndmask_b32_e32 v7, v13, v14, vcc
	v_mov_b32_e32 v12, 0x3b800000
	v_lshlrev_b32_e32 v2, 20, v2
	v_lshl_add_u32 v7, v7, 23, v12
	v_or3_b32 v2, v6, v7, v2
.LBB1_4796:
	s_or_b64 exec, exec, s[6:7]
	s_movk_i32 s4, 0x7f
	v_cmp_gt_i16_sdwa s[6:7], v3, s4 src0_sel:BYTE_3 src1_sel:DWORD
	s_mov_b64 s[4:5], 0
                                        ; implicit-def: $sgpr10
	s_and_saveexec_b64 s[8:9], s[6:7]
	s_xor_b64 s[6:7], exec, s[8:9]
	s_cbranch_execz .LBB1_4797
; %bb.40637:
	s_getpc_b64 s[14:15]
.Lpost_getpc5982:
	s_add_u32 s14, s14, (.LBB1_19133-.Lpost_getpc5982)&4294967295
	s_addc_u32 s15, s15, (.LBB1_19133-.Lpost_getpc5982)>>32
	s_setpc_b64 s[14:15]
.LBB1_4797:
	s_or_saveexec_b64 s[6:7], s[6:7]
	v_mov_b32_e32 v6, s10
	s_xor_b64 exec, exec, s[6:7]
	s_cbranch_execz .LBB1_4798
; %bb.40639:
	s_getpc_b64 s[14:15]
.Lpost_getpc5983:
	s_add_u32 s14, s14, (.LBB1_19136-.Lpost_getpc5983)&4294967295
	s_addc_u32 s15, s15, (.LBB1_19136-.Lpost_getpc5983)>>32
	s_setpc_b64 s[14:15]
.LBB1_4798:
	s_or_b64 exec, exec, s[6:7]
	s_and_saveexec_b64 s[6:7], s[4:5]
	s_cbranch_execz .LBB1_4800
.LBB1_4799:
	v_bfe_u32 v6, v3, 24, 3
	v_ffbh_u32_e32 v14, v6
	v_min_u32_e32 v14, 32, v14
	v_lshrrev_b32_e32 v12, 27, v3
	v_subrev_u32_e32 v15, 28, v14
	v_and_b32_e32 v7, 0x80000000, v3
	v_and_b32_e32 v12, 15, v12
	v_bfe_u32 v13, v3, 27, 4
	v_lshlrev_b32_sdwa v3, v15, v3 dst_sel:DWORD dst_unused:UNUSED_PAD src0_sel:DWORD src1_sel:BYTE_3
	v_sub_u32_e32 v14, 29, v14
	v_and_b32_e32 v3, 7, v3
	v_cmp_eq_u16_e32 vcc, 0, v12
	v_cndmask_b32_e32 v3, v6, v3, vcc
	v_cndmask_b32_e32 v6, v13, v14, vcc
	v_mov_b32_e32 v12, 0x3b800000
	v_lshlrev_b32_e32 v3, 20, v3
	v_lshl_add_u32 v6, v6, 23, v12
	v_or3_b32 v6, v7, v6, v3
.LBB1_4800:
	s_or_b64 exec, exec, s[6:7]
	s_nop 0
	v_mfma_f32_16x16x4f32 a[0:3], v2, v6, a[0:3]
	s_movk_i32 s4, 0x7f
	v_cmp_gt_i16_sdwa s[6:7], v8, s4 src0_sel:BYTE_0 src1_sel:DWORD
	s_mov_b64 s[4:5], 0
                                        ; implicit-def: $sgpr10
	s_and_saveexec_b64 s[8:9], s[6:7]
	s_xor_b64 s[6:7], exec, s[8:9]
	s_cbranch_execz .LBB1_4801
; %bb.40641:
	s_getpc_b64 s[14:15]
.Lpost_getpc5984:
	s_add_u32 s14, s14, (.LBB1_19137-.Lpost_getpc5984)&4294967295
	s_addc_u32 s15, s15, (.LBB1_19137-.Lpost_getpc5984)>>32
	s_setpc_b64 s[14:15]
.LBB1_4801:
	s_or_saveexec_b64 s[6:7], s[6:7]
	v_mov_b32_e32 v2, s10
	s_xor_b64 exec, exec, s[6:7]
	s_cbranch_execz .LBB1_4802
; %bb.40643:
	s_getpc_b64 s[14:15]
.Lpost_getpc5985:
	s_add_u32 s14, s14, (.LBB1_19140-.Lpost_getpc5985)&4294967295
	s_addc_u32 s15, s15, (.LBB1_19140-.Lpost_getpc5985)>>32
	s_setpc_b64 s[14:15]
.LBB1_4802:
	s_or_b64 exec, exec, s[6:7]
	s_and_saveexec_b64 s[6:7], s[4:5]
	s_cbranch_execz .LBB1_4804
.LBB1_4803:
	v_and_b32_e32 v2, 7, v8
	v_ffbh_u32_e32 v6, v2
	v_min_u32_e32 v6, 32, v6
	v_lshrrev_b16_e32 v3, 3, v8
	v_subrev_u32_e32 v7, 28, v6
	v_and_b32_e32 v3, 15, v3
	v_lshlrev_b32_e32 v7, v7, v8
	v_sub_u32_e32 v6, 29, v6
	v_and_b32_e32 v7, 7, v7
	v_cmp_eq_u16_e32 vcc, 0, v3
	v_cndmask_b32_e32 v2, v2, v7, vcc
	v_cndmask_b32_e32 v3, v3, v6, vcc
	v_lshlrev_b32_e32 v6, 24, v8
	v_mov_b32_e32 v7, 0x3b800000
	v_lshlrev_b32_e32 v2, 20, v2
	v_and_b32_e32 v6, 0x80000000, v6
	v_lshl_add_u32 v3, v3, 23, v7
	v_or3_b32 v2, v6, v3, v2
.LBB1_4804:
	s_or_b64 exec, exec, s[6:7]
	s_movk_i32 s4, 0x7f
	v_cmp_gt_i16_sdwa s[6:7], v4, s4 src0_sel:BYTE_0 src1_sel:DWORD
	s_mov_b64 s[4:5], 0
                                        ; implicit-def: $sgpr10
	s_and_saveexec_b64 s[8:9], s[6:7]
	s_xor_b64 s[6:7], exec, s[8:9]
	s_cbranch_execz .LBB1_4805
; %bb.40645:
	s_getpc_b64 s[14:15]
.Lpost_getpc5986:
	s_add_u32 s14, s14, (.LBB1_19141-.Lpost_getpc5986)&4294967295
	s_addc_u32 s15, s15, (.LBB1_19141-.Lpost_getpc5986)>>32
	s_setpc_b64 s[14:15]
.LBB1_4805:
	s_or_saveexec_b64 s[6:7], s[6:7]
	v_mov_b32_e32 v3, s10
	s_xor_b64 exec, exec, s[6:7]
	s_cbranch_execz .LBB1_4806
; %bb.40647:
	s_getpc_b64 s[14:15]
.Lpost_getpc5987:
	s_add_u32 s14, s14, (.LBB1_19144-.Lpost_getpc5987)&4294967295
	s_addc_u32 s15, s15, (.LBB1_19144-.Lpost_getpc5987)>>32
	s_setpc_b64 s[14:15]
.LBB1_4806:
	s_or_b64 exec, exec, s[6:7]
	s_and_saveexec_b64 s[6:7], s[4:5]
	s_cbranch_execz .LBB1_4808
.LBB1_4807:
	v_and_b32_e32 v3, 7, v4
	v_ffbh_u32_e32 v7, v3
	v_min_u32_e32 v7, 32, v7
	v_lshrrev_b16_e32 v6, 3, v4
	v_subrev_u32_e32 v12, 28, v7
	v_and_b32_e32 v6, 15, v6
	v_lshlrev_b32_e32 v12, v12, v4
	v_sub_u32_e32 v7, 29, v7
	v_and_b32_e32 v12, 7, v12
	v_cmp_eq_u16_e32 vcc, 0, v6
	v_cndmask_b32_e32 v3, v3, v12, vcc
	v_cndmask_b32_e32 v6, v6, v7, vcc
	v_lshlrev_b32_e32 v7, 24, v4
	v_mov_b32_e32 v12, 0x3b800000
	v_lshlrev_b32_e32 v3, 20, v3
	v_and_b32_e32 v7, 0x80000000, v7
	v_lshl_add_u32 v6, v6, 23, v12
	v_or3_b32 v3, v7, v6, v3
.LBB1_4808:
	s_or_b64 exec, exec, s[6:7]
	s_nop 0
	v_mfma_f32_16x16x4f32 a[0:3], v2, v3, a[0:3]
	v_lshrrev_b32_e32 v3, 8, v8
	s_movk_i32 s4, 0x7f
	v_cmp_gt_i16_sdwa s[6:7], v3, s4 src0_sel:BYTE_0 src1_sel:DWORD
	s_mov_b64 s[4:5], 0
                                        ; implicit-def: $sgpr10
	s_and_saveexec_b64 s[8:9], s[6:7]
	s_xor_b64 s[6:7], exec, s[8:9]
	s_cbranch_execz .LBB1_4809
; %bb.40649:
	s_getpc_b64 s[14:15]
.Lpost_getpc5988:
	s_add_u32 s14, s14, (.LBB1_19145-.Lpost_getpc5988)&4294967295
	s_addc_u32 s15, s15, (.LBB1_19145-.Lpost_getpc5988)>>32
	s_setpc_b64 s[14:15]
.LBB1_4809:
	s_or_saveexec_b64 s[6:7], s[6:7]
	v_mov_b32_e32 v2, s10
	s_xor_b64 exec, exec, s[6:7]
	s_cbranch_execz .LBB1_4810
; %bb.40651:
	s_getpc_b64 s[14:15]
.Lpost_getpc5989:
	s_add_u32 s14, s14, (.LBB1_19148-.Lpost_getpc5989)&4294967295
	s_addc_u32 s15, s15, (.LBB1_19148-.Lpost_getpc5989)>>32
	s_setpc_b64 s[14:15]
.LBB1_4810:
	s_or_b64 exec, exec, s[6:7]
	s_and_saveexec_b64 s[6:7], s[4:5]
	s_cbranch_execz .LBB1_4812
.LBB1_4811:
	v_bfe_u32 v2, v8, 8, 3
	v_ffbh_u32_e32 v7, v2
	v_min_u32_e32 v7, 32, v7
	v_lshrrev_b16_e32 v6, 3, v3
	v_subrev_u32_e32 v12, 28, v7
	v_and_b32_e32 v6, 15, v6
	v_lshlrev_b32_e32 v3, v12, v3
	v_sub_u32_e32 v7, 29, v7
	v_and_b32_e32 v3, 7, v3
	v_cmp_eq_u16_e32 vcc, 0, v6
	v_cndmask_b32_e32 v2, v2, v3, vcc
	v_cndmask_b32_e32 v3, v6, v7, vcc
	v_lshlrev_b32_e32 v6, 16, v8
	v_mov_b32_e32 v7, 0x3b800000
	v_lshlrev_b32_e32 v2, 20, v2
	v_and_b32_e32 v6, 0x80000000, v6
	v_lshl_add_u32 v3, v3, 23, v7
	v_or3_b32 v2, v6, v3, v2
.LBB1_4812:
	s_or_b64 exec, exec, s[6:7]
	v_lshrrev_b32_e32 v3, 8, v4
	s_movk_i32 s4, 0x7f
	v_cmp_gt_i16_sdwa s[6:7], v3, s4 src0_sel:BYTE_0 src1_sel:DWORD
	s_mov_b64 s[4:5], 0
                                        ; implicit-def: $sgpr10
	s_and_saveexec_b64 s[8:9], s[6:7]
	s_xor_b64 s[6:7], exec, s[8:9]
	s_cbranch_execz .LBB1_4813
; %bb.40653:
	s_getpc_b64 s[14:15]
.Lpost_getpc5990:
	s_add_u32 s14, s14, (.LBB1_19149-.Lpost_getpc5990)&4294967295
	s_addc_u32 s15, s15, (.LBB1_19149-.Lpost_getpc5990)>>32
	s_setpc_b64 s[14:15]
.LBB1_4813:
	s_or_saveexec_b64 s[6:7], s[6:7]
	v_mov_b32_e32 v6, s10
	s_xor_b64 exec, exec, s[6:7]
	s_cbranch_execz .LBB1_4814
; %bb.40655:
	s_getpc_b64 s[14:15]
.Lpost_getpc5991:
	s_add_u32 s14, s14, (.LBB1_19152-.Lpost_getpc5991)&4294967295
	s_addc_u32 s15, s15, (.LBB1_19152-.Lpost_getpc5991)>>32
	s_setpc_b64 s[14:15]
.LBB1_4814:
	s_or_b64 exec, exec, s[6:7]
	s_and_saveexec_b64 s[6:7], s[4:5]
	s_cbranch_execz .LBB1_4816
.LBB1_4815:
	v_bfe_u32 v6, v4, 8, 3
	v_ffbh_u32_e32 v12, v6
	v_min_u32_e32 v12, 32, v12
	v_lshrrev_b16_e32 v7, 3, v3
	v_subrev_u32_e32 v13, 28, v12
	v_and_b32_e32 v7, 15, v7
	v_lshlrev_b32_e32 v3, v13, v3
	v_sub_u32_e32 v12, 29, v12
	v_and_b32_e32 v3, 7, v3
	v_cmp_eq_u16_e32 vcc, 0, v7
	v_cndmask_b32_e32 v3, v6, v3, vcc
	v_cndmask_b32_e32 v6, v7, v12, vcc
	v_lshlrev_b32_e32 v7, 16, v4
	v_mov_b32_e32 v12, 0x3b800000
	v_lshlrev_b32_e32 v3, 20, v3
	v_and_b32_e32 v7, 0x80000000, v7
	v_lshl_add_u32 v6, v6, 23, v12
	v_or3_b32 v6, v7, v6, v3
.LBB1_4816:
	s_or_b64 exec, exec, s[6:7]
	s_nop 0
	v_mfma_f32_16x16x4f32 a[0:3], v2, v6, a[0:3]
	s_movk_i32 s4, 0xff
	v_and_b32_sdwa v3, v8, s4 dst_sel:DWORD dst_unused:UNUSED_PAD src0_sel:WORD_1 src1_sel:DWORD
	s_movk_i32 s4, 0x7f
	v_cmp_lt_i16_e32 vcc, s4, v3
	s_mov_b64 s[4:5], 0
                                        ; implicit-def: $sgpr10
	s_and_saveexec_b64 s[6:7], vcc
	s_xor_b64 s[6:7], exec, s[6:7]
	s_cbranch_execz .LBB1_4817
; %bb.40657:
	s_getpc_b64 s[14:15]
.Lpost_getpc5992:
	s_add_u32 s14, s14, (.LBB1_19153-.Lpost_getpc5992)&4294967295
	s_addc_u32 s15, s15, (.LBB1_19153-.Lpost_getpc5992)>>32
	s_setpc_b64 s[14:15]
.LBB1_4817:
	s_or_saveexec_b64 s[6:7], s[6:7]
	v_mov_b32_e32 v2, s10
	s_xor_b64 exec, exec, s[6:7]
	s_cbranch_execz .LBB1_4818
; %bb.40659:
	s_getpc_b64 s[14:15]
.Lpost_getpc5993:
	s_add_u32 s14, s14, (.LBB1_19156-.Lpost_getpc5993)&4294967295
	s_addc_u32 s15, s15, (.LBB1_19156-.Lpost_getpc5993)>>32
	s_setpc_b64 s[14:15]
.LBB1_4818:
	s_or_b64 exec, exec, s[6:7]
	s_and_saveexec_b64 s[6:7], s[4:5]
	s_cbranch_execz .LBB1_4820
.LBB1_4819:
	v_bfe_u32 v2, v8, 16, 3
	v_ffbh_u32_e32 v7, v2
	v_min_u32_e32 v7, 32, v7
	v_lshrrev_b32_e32 v3, 19, v8
	v_subrev_u32_e32 v12, 28, v7
	v_and_b32_e32 v3, 15, v3
	v_lshlrev_b32_sdwa v12, v12, v8 dst_sel:DWORD dst_unused:UNUSED_PAD src0_sel:DWORD src1_sel:WORD_1
	v_bfe_u32 v6, v8, 19, 4
	v_sub_u32_e32 v7, 29, v7
	v_and_b32_e32 v12, 7, v12
	v_cmp_eq_u16_e32 vcc, 0, v3
	v_cndmask_b32_e32 v2, v2, v12, vcc
	v_cndmask_b32_e32 v3, v6, v7, vcc
	v_lshlrev_b32_e32 v6, 8, v8
	v_mov_b32_e32 v7, 0x3b800000
	v_lshlrev_b32_e32 v2, 20, v2
	v_and_b32_e32 v6, 0x80000000, v6
	v_lshl_add_u32 v3, v3, 23, v7
	v_or3_b32 v2, v6, v3, v2
.LBB1_4820:
	s_or_b64 exec, exec, s[6:7]
	s_movk_i32 s4, 0xff
	v_and_b32_sdwa v3, v4, s4 dst_sel:DWORD dst_unused:UNUSED_PAD src0_sel:WORD_1 src1_sel:DWORD
	s_movk_i32 s4, 0x7f
	v_cmp_lt_i16_e32 vcc, s4, v3
	s_mov_b64 s[4:5], 0
                                        ; implicit-def: $sgpr10
	s_and_saveexec_b64 s[6:7], vcc
	s_xor_b64 s[6:7], exec, s[6:7]
	s_cbranch_execz .LBB1_4821
; %bb.40661:
	s_getpc_b64 s[14:15]
.Lpost_getpc5994:
	s_add_u32 s14, s14, (.LBB1_19157-.Lpost_getpc5994)&4294967295
	s_addc_u32 s15, s15, (.LBB1_19157-.Lpost_getpc5994)>>32
	s_setpc_b64 s[14:15]
.LBB1_4821:
	s_or_saveexec_b64 s[6:7], s[6:7]
	v_mov_b32_e32 v6, s10
	s_xor_b64 exec, exec, s[6:7]
	s_cbranch_execz .LBB1_4822
; %bb.40663:
	s_getpc_b64 s[14:15]
.Lpost_getpc5995:
	s_add_u32 s14, s14, (.LBB1_19160-.Lpost_getpc5995)&4294967295
	s_addc_u32 s15, s15, (.LBB1_19160-.Lpost_getpc5995)>>32
	s_setpc_b64 s[14:15]
.LBB1_4822:
	s_or_b64 exec, exec, s[6:7]
	s_and_saveexec_b64 s[6:7], s[4:5]
	s_cbranch_execz .LBB1_4824
.LBB1_4823:
	v_bfe_u32 v3, v4, 16, 3
	v_ffbh_u32_e32 v12, v3
	v_min_u32_e32 v12, 32, v12
	v_lshrrev_b32_e32 v6, 19, v4
	v_subrev_u32_e32 v13, 28, v12
	v_and_b32_e32 v6, 15, v6
	v_lshlrev_b32_sdwa v13, v13, v4 dst_sel:DWORD dst_unused:UNUSED_PAD src0_sel:DWORD src1_sel:WORD_1
	v_bfe_u32 v7, v4, 19, 4
	v_sub_u32_e32 v12, 29, v12
	v_and_b32_e32 v13, 7, v13
	v_cmp_eq_u16_e32 vcc, 0, v6
	v_cndmask_b32_e32 v3, v3, v13, vcc
	v_cndmask_b32_e32 v6, v7, v12, vcc
	v_lshlrev_b32_e32 v7, 8, v4
	v_mov_b32_e32 v12, 0x3b800000
	v_lshlrev_b32_e32 v3, 20, v3
	v_and_b32_e32 v7, 0x80000000, v7
	v_lshl_add_u32 v6, v6, 23, v12
	v_or3_b32 v6, v7, v6, v3
.LBB1_4824:
	s_or_b64 exec, exec, s[6:7]
	s_nop 0
	v_mfma_f32_16x16x4f32 a[0:3], v2, v6, a[0:3]
	s_movk_i32 s4, 0x7f
	v_cmp_gt_i16_sdwa s[6:7], v8, s4 src0_sel:BYTE_3 src1_sel:DWORD
	s_mov_b64 s[4:5], 0
                                        ; implicit-def: $sgpr10
	s_and_saveexec_b64 s[8:9], s[6:7]
	s_xor_b64 s[6:7], exec, s[8:9]
	s_cbranch_execz .LBB1_4825
; %bb.40665:
	s_getpc_b64 s[14:15]
.Lpost_getpc5996:
	s_add_u32 s14, s14, (.LBB1_19161-.Lpost_getpc5996)&4294967295
	s_addc_u32 s15, s15, (.LBB1_19161-.Lpost_getpc5996)>>32
	s_setpc_b64 s[14:15]
.LBB1_4825:
	s_or_saveexec_b64 s[6:7], s[6:7]
	v_mov_b32_e32 v2, s10
	s_xor_b64 exec, exec, s[6:7]
	s_cbranch_execz .LBB1_4826
; %bb.40667:
	s_getpc_b64 s[14:15]
.Lpost_getpc5997:
	s_add_u32 s14, s14, (.LBB1_19164-.Lpost_getpc5997)&4294967295
	s_addc_u32 s15, s15, (.LBB1_19164-.Lpost_getpc5997)>>32
	s_setpc_b64 s[14:15]
.LBB1_4826:
	s_or_b64 exec, exec, s[6:7]
	s_and_saveexec_b64 s[6:7], s[4:5]
	s_cbranch_execz .LBB1_4828
.LBB1_4827:
	v_bfe_u32 v2, v8, 24, 3
	v_ffbh_u32_e32 v12, v2
	v_min_u32_e32 v12, 32, v12
	v_lshrrev_b32_e32 v6, 27, v8
	v_subrev_u32_e32 v13, 28, v12
	v_and_b32_e32 v3, 0x80000000, v8
	v_and_b32_e32 v6, 15, v6
	v_bfe_u32 v7, v8, 27, 4
	v_lshlrev_b32_sdwa v8, v13, v8 dst_sel:DWORD dst_unused:UNUSED_PAD src0_sel:DWORD src1_sel:BYTE_3
	v_sub_u32_e32 v12, 29, v12
	v_and_b32_e32 v8, 7, v8
	v_cmp_eq_u16_e32 vcc, 0, v6
	v_cndmask_b32_e32 v2, v2, v8, vcc
	v_cndmask_b32_e32 v6, v7, v12, vcc
	v_mov_b32_e32 v7, 0x3b800000
	v_lshlrev_b32_e32 v2, 20, v2
	v_lshl_add_u32 v6, v6, 23, v7
	v_or3_b32 v2, v3, v6, v2
.LBB1_4828:
	s_or_b64 exec, exec, s[6:7]
	s_movk_i32 s4, 0x7f
	v_cmp_gt_i16_sdwa s[6:7], v4, s4 src0_sel:BYTE_3 src1_sel:DWORD
	s_mov_b64 s[4:5], 0
                                        ; implicit-def: $sgpr10
	s_and_saveexec_b64 s[8:9], s[6:7]
	s_xor_b64 s[6:7], exec, s[8:9]
	s_cbranch_execz .LBB1_4829
; %bb.40669:
	s_getpc_b64 s[14:15]
.Lpost_getpc5998:
	s_add_u32 s14, s14, (.LBB1_19165-.Lpost_getpc5998)&4294967295
	s_addc_u32 s15, s15, (.LBB1_19165-.Lpost_getpc5998)>>32
	s_setpc_b64 s[14:15]
.LBB1_4829:
	s_or_saveexec_b64 s[6:7], s[6:7]
	v_mov_b32_e32 v3, s10
	s_xor_b64 exec, exec, s[6:7]
	s_cbranch_execz .LBB1_4830
; %bb.40671:
	s_getpc_b64 s[14:15]
.Lpost_getpc5999:
	s_add_u32 s14, s14, (.LBB1_19168-.Lpost_getpc5999)&4294967295
	s_addc_u32 s15, s15, (.LBB1_19168-.Lpost_getpc5999)>>32
	s_setpc_b64 s[14:15]
.LBB1_4830:
	s_or_b64 exec, exec, s[6:7]
	s_and_saveexec_b64 s[6:7], s[4:5]
	s_cbranch_execz .LBB1_4832
.LBB1_4831:
	v_bfe_u32 v3, v4, 24, 3
	v_ffbh_u32_e32 v12, v3
	v_min_u32_e32 v12, 32, v12
	v_lshrrev_b32_e32 v7, 27, v4
	v_subrev_u32_e32 v13, 28, v12
	v_and_b32_e32 v6, 0x80000000, v4
	v_and_b32_e32 v7, 15, v7
	v_bfe_u32 v8, v4, 27, 4
	v_lshlrev_b32_sdwa v4, v13, v4 dst_sel:DWORD dst_unused:UNUSED_PAD src0_sel:DWORD src1_sel:BYTE_3
	v_sub_u32_e32 v12, 29, v12
	v_and_b32_e32 v4, 7, v4
	v_cmp_eq_u16_e32 vcc, 0, v7
	v_cndmask_b32_e32 v3, v3, v4, vcc
	v_cndmask_b32_e32 v4, v8, v12, vcc
	v_mov_b32_e32 v7, 0x3b800000
	v_lshlrev_b32_e32 v3, 20, v3
	v_lshl_add_u32 v4, v4, 23, v7
	v_or3_b32 v3, v6, v4, v3
.LBB1_4832:
	s_or_b64 exec, exec, s[6:7]
	s_nop 0
	v_mfma_f32_16x16x4f32 a[0:3], v2, v3, a[0:3]
	s_movk_i32 s4, 0x7f
	v_cmp_gt_i16_sdwa s[6:7], v9, s4 src0_sel:BYTE_0 src1_sel:DWORD
	s_mov_b64 s[4:5], 0
                                        ; implicit-def: $sgpr10
	s_and_saveexec_b64 s[8:9], s[6:7]
	s_xor_b64 s[6:7], exec, s[8:9]
	s_cbranch_execz .LBB1_4833
; %bb.40673:
	s_getpc_b64 s[14:15]
.Lpost_getpc6000:
	s_add_u32 s14, s14, (.LBB1_19169-.Lpost_getpc6000)&4294967295
	s_addc_u32 s15, s15, (.LBB1_19169-.Lpost_getpc6000)>>32
	s_setpc_b64 s[14:15]
.LBB1_4833:
	s_or_saveexec_b64 s[6:7], s[6:7]
	v_mov_b32_e32 v2, s10
	s_xor_b64 exec, exec, s[6:7]
	s_cbranch_execz .LBB1_4834
; %bb.40675:
	s_getpc_b64 s[14:15]
.Lpost_getpc6001:
	s_add_u32 s14, s14, (.LBB1_19172-.Lpost_getpc6001)&4294967295
	s_addc_u32 s15, s15, (.LBB1_19172-.Lpost_getpc6001)>>32
	s_setpc_b64 s[14:15]
.LBB1_4834:
	s_or_b64 exec, exec, s[6:7]
	s_and_saveexec_b64 s[6:7], s[4:5]
	s_cbranch_execz .LBB1_4836
.LBB1_4835:
	v_mov_b32_e32 v2, 8
	v_and_b32_e32 v3, 7, v9
	v_lshrrev_b32_sdwa v2, v2, v9 dst_sel:BYTE_1 dst_unused:UNUSED_PAD src0_sel:DWORD src1_sel:DWORD
	v_ffbh_u32_e32 v4, v3
	v_or_b32_sdwa v2, v9, v2 dst_sel:DWORD dst_unused:UNUSED_PAD src0_sel:BYTE_0 src1_sel:DWORD
	v_min_u32_e32 v4, 32, v4
	v_lshrrev_b16_e32 v2, 3, v2
	v_subrev_u32_e32 v6, 28, v4
	v_and_b32_e32 v2, 15, v2
	v_lshlrev_b32_e32 v6, v6, v9
	v_sub_u32_e32 v4, 29, v4
	v_and_b32_e32 v6, 7, v6
	v_cmp_eq_u16_e32 vcc, 0, v2
	v_cndmask_b32_e32 v3, v3, v6, vcc
	v_cndmask_b32_e32 v2, v2, v4, vcc
	v_lshlrev_b32_e32 v4, 24, v9
	v_mov_b32_e32 v6, 0x3b800000
	v_lshlrev_b32_e32 v3, 20, v3
	v_and_b32_e32 v4, 0x80000000, v4
	v_lshl_add_u32 v2, v2, 23, v6
	v_or3_b32 v2, v4, v2, v3
.LBB1_4836:
	s_or_b64 exec, exec, s[6:7]
	s_movk_i32 s4, 0x7f
	v_cmp_gt_i16_sdwa s[6:7], v5, s4 src0_sel:BYTE_0 src1_sel:DWORD
	s_mov_b64 s[4:5], 0
                                        ; implicit-def: $sgpr10
	s_and_saveexec_b64 s[8:9], s[6:7]
	s_xor_b64 s[6:7], exec, s[8:9]
	s_cbranch_execz .LBB1_4837
; %bb.40677:
	s_getpc_b64 s[14:15]
.Lpost_getpc6002:
	s_add_u32 s14, s14, (.LBB1_19173-.Lpost_getpc6002)&4294967295
	s_addc_u32 s15, s15, (.LBB1_19173-.Lpost_getpc6002)>>32
	s_setpc_b64 s[14:15]
.LBB1_4837:
	s_or_saveexec_b64 s[6:7], s[6:7]
	v_mov_b32_e32 v3, s10
	s_xor_b64 exec, exec, s[6:7]
	s_cbranch_execz .LBB1_4838
; %bb.40679:
	s_getpc_b64 s[14:15]
.Lpost_getpc6003:
	s_add_u32 s14, s14, (.LBB1_19176-.Lpost_getpc6003)&4294967295
	s_addc_u32 s15, s15, (.LBB1_19176-.Lpost_getpc6003)>>32
	s_setpc_b64 s[14:15]
.LBB1_4838:
	s_or_b64 exec, exec, s[6:7]
	s_and_saveexec_b64 s[6:7], s[4:5]
	s_cbranch_execz .LBB1_4840
.LBB1_4839:
	v_mov_b32_e32 v3, 8
	v_and_b32_e32 v4, 7, v5
	v_lshrrev_b32_sdwa v3, v3, v5 dst_sel:BYTE_1 dst_unused:UNUSED_PAD src0_sel:DWORD src1_sel:DWORD
	v_ffbh_u32_e32 v6, v4
	v_or_b32_sdwa v3, v5, v3 dst_sel:DWORD dst_unused:UNUSED_PAD src0_sel:BYTE_0 src1_sel:DWORD
	v_min_u32_e32 v6, 32, v6
	v_lshrrev_b16_e32 v3, 3, v3
	v_subrev_u32_e32 v7, 28, v6
	v_and_b32_e32 v3, 15, v3
	v_lshlrev_b32_e32 v7, v7, v5
	v_sub_u32_e32 v6, 29, v6
	v_and_b32_e32 v7, 7, v7
	v_cmp_eq_u16_e32 vcc, 0, v3
	v_cndmask_b32_e32 v4, v4, v7, vcc
	v_cndmask_b32_e32 v3, v3, v6, vcc
	v_lshlrev_b32_e32 v6, 24, v5
	v_mov_b32_e32 v7, 0x3b800000
	v_lshlrev_b32_e32 v4, 20, v4
	v_and_b32_e32 v6, 0x80000000, v6
	v_lshl_add_u32 v3, v3, 23, v7
	v_or3_b32 v3, v6, v3, v4
.LBB1_4840:
	s_or_b64 exec, exec, s[6:7]
	s_nop 0
	v_mfma_f32_16x16x4f32 a[0:3], v2, v3, a[0:3]
	v_lshrrev_b32_e32 v3, 8, v9
	s_movk_i32 s4, 0x7f
	v_cmp_gt_i16_sdwa s[6:7], v3, s4 src0_sel:BYTE_0 src1_sel:DWORD
	s_mov_b64 s[4:5], 0
                                        ; implicit-def: $sgpr10
	s_and_saveexec_b64 s[8:9], s[6:7]
	s_xor_b64 s[6:7], exec, s[8:9]
	s_cbranch_execz .LBB1_4841
; %bb.40681:
	s_getpc_b64 s[14:15]
.Lpost_getpc6004:
	s_add_u32 s14, s14, (.LBB1_19177-.Lpost_getpc6004)&4294967295
	s_addc_u32 s15, s15, (.LBB1_19177-.Lpost_getpc6004)>>32
	s_setpc_b64 s[14:15]
.LBB1_4841:
	s_or_saveexec_b64 s[6:7], s[6:7]
	v_mov_b32_e32 v2, s10
	s_xor_b64 exec, exec, s[6:7]
	s_cbranch_execz .LBB1_4842
; %bb.40683:
	s_getpc_b64 s[14:15]
.Lpost_getpc6005:
	s_add_u32 s14, s14, (.LBB1_19180-.Lpost_getpc6005)&4294967295
	s_addc_u32 s15, s15, (.LBB1_19180-.Lpost_getpc6005)>>32
	s_setpc_b64 s[14:15]
.LBB1_4842:
	s_or_b64 exec, exec, s[6:7]
	s_and_saveexec_b64 s[6:7], s[4:5]
	s_cbranch_execz .LBB1_4844
.LBB1_4843:
	v_bfe_u32 v2, v9, 8, 3
	v_ffbh_u32_e32 v6, v2
	v_min_u32_e32 v6, 32, v6
	v_lshrrev_b16_e32 v4, 3, v3
	v_subrev_u32_e32 v7, 28, v6
	v_and_b32_e32 v4, 15, v4
	v_lshlrev_b32_e32 v3, v7, v3
	v_sub_u32_e32 v6, 29, v6
	v_and_b32_e32 v3, 7, v3
	v_cmp_eq_u16_e32 vcc, 0, v4
	v_cndmask_b32_e32 v2, v2, v3, vcc
	v_cndmask_b32_e32 v3, v4, v6, vcc
	v_lshlrev_b32_e32 v4, 16, v9
	v_mov_b32_e32 v6, 0x3b800000
	v_lshlrev_b32_e32 v2, 20, v2
	v_and_b32_e32 v4, 0x80000000, v4
	v_lshl_add_u32 v3, v3, 23, v6
	v_or3_b32 v2, v4, v3, v2
.LBB1_4844:
	s_or_b64 exec, exec, s[6:7]
	v_lshrrev_b32_e32 v3, 8, v5
	s_movk_i32 s4, 0x7f
	v_cmp_gt_i16_sdwa s[6:7], v3, s4 src0_sel:BYTE_0 src1_sel:DWORD
	s_mov_b64 s[4:5], 0
                                        ; implicit-def: $sgpr10
	s_and_saveexec_b64 s[8:9], s[6:7]
	s_xor_b64 s[6:7], exec, s[8:9]
	s_cbranch_execz .LBB1_4845
; %bb.40685:
	s_getpc_b64 s[14:15]
.Lpost_getpc6006:
	s_add_u32 s14, s14, (.LBB1_19181-.Lpost_getpc6006)&4294967295
	s_addc_u32 s15, s15, (.LBB1_19181-.Lpost_getpc6006)>>32
	s_setpc_b64 s[14:15]
.LBB1_4845:
	s_or_saveexec_b64 s[6:7], s[6:7]
	v_mov_b32_e32 v4, s10
	s_xor_b64 exec, exec, s[6:7]
	s_cbranch_execz .LBB1_4846
; %bb.40687:
	s_getpc_b64 s[14:15]
.Lpost_getpc6007:
	s_add_u32 s14, s14, (.LBB1_19184-.Lpost_getpc6007)&4294967295
	s_addc_u32 s15, s15, (.LBB1_19184-.Lpost_getpc6007)>>32
	s_setpc_b64 s[14:15]
.LBB1_4846:
	s_or_b64 exec, exec, s[6:7]
	s_and_saveexec_b64 s[6:7], s[4:5]
	s_cbranch_execz .LBB1_4848
.LBB1_4847:
	v_bfe_u32 v4, v5, 8, 3
	v_ffbh_u32_e32 v7, v4
	v_min_u32_e32 v7, 32, v7
	v_lshrrev_b16_e32 v6, 3, v3
	v_subrev_u32_e32 v8, 28, v7
	v_and_b32_e32 v6, 15, v6
	v_lshlrev_b32_e32 v3, v8, v3
	v_sub_u32_e32 v7, 29, v7
	v_and_b32_e32 v3, 7, v3
	v_cmp_eq_u16_e32 vcc, 0, v6
	v_cndmask_b32_e32 v3, v4, v3, vcc
	v_cndmask_b32_e32 v4, v6, v7, vcc
	v_lshlrev_b32_e32 v6, 16, v5
	v_mov_b32_e32 v7, 0x3b800000
	v_lshlrev_b32_e32 v3, 20, v3
	v_and_b32_e32 v6, 0x80000000, v6
	v_lshl_add_u32 v4, v4, 23, v7
	v_or3_b32 v4, v6, v4, v3
.LBB1_4848:
	s_or_b64 exec, exec, s[6:7]
	s_nop 0
	v_mfma_f32_16x16x4f32 a[0:3], v2, v4, a[0:3]
	s_movk_i32 s4, 0xff
	v_and_b32_sdwa v3, v9, s4 dst_sel:DWORD dst_unused:UNUSED_PAD src0_sel:WORD_1 src1_sel:DWORD
	s_movk_i32 s4, 0x7f
	v_cmp_lt_i16_e32 vcc, s4, v3
	s_mov_b64 s[4:5], 0
                                        ; implicit-def: $sgpr10
	s_and_saveexec_b64 s[6:7], vcc
	s_xor_b64 s[6:7], exec, s[6:7]
	s_cbranch_execz .LBB1_4849
; %bb.40689:
	s_getpc_b64 s[14:15]
.Lpost_getpc6008:
	s_add_u32 s14, s14, (.LBB1_19185-.Lpost_getpc6008)&4294967295
	s_addc_u32 s15, s15, (.LBB1_19185-.Lpost_getpc6008)>>32
	s_setpc_b64 s[14:15]
.LBB1_4849:
	s_or_saveexec_b64 s[6:7], s[6:7]
	v_mov_b32_e32 v2, s10
	s_xor_b64 exec, exec, s[6:7]
	s_cbranch_execz .LBB1_4850
; %bb.40691:
	s_getpc_b64 s[14:15]
.Lpost_getpc6009:
	s_add_u32 s14, s14, (.LBB1_19188-.Lpost_getpc6009)&4294967295
	s_addc_u32 s15, s15, (.LBB1_19188-.Lpost_getpc6009)>>32
	s_setpc_b64 s[14:15]
.LBB1_4850:
	s_or_b64 exec, exec, s[6:7]
	s_and_saveexec_b64 s[6:7], s[4:5]
	s_cbranch_execz .LBB1_4852
.LBB1_4851:
	v_bfe_u32 v2, v9, 16, 3
	v_ffbh_u32_e32 v6, v2
	v_min_u32_e32 v6, 32, v6
	v_lshrrev_b32_e32 v3, 19, v9
	v_subrev_u32_e32 v7, 28, v6
	v_and_b32_e32 v3, 15, v3
	v_lshlrev_b32_sdwa v7, v7, v9 dst_sel:DWORD dst_unused:UNUSED_PAD src0_sel:DWORD src1_sel:WORD_1
	v_bfe_u32 v4, v9, 19, 4
	v_sub_u32_e32 v6, 29, v6
	v_and_b32_e32 v7, 7, v7
	v_cmp_eq_u16_e32 vcc, 0, v3
	v_cndmask_b32_e32 v2, v2, v7, vcc
	v_cndmask_b32_e32 v3, v4, v6, vcc
	v_lshlrev_b32_e32 v4, 8, v9
	v_mov_b32_e32 v6, 0x3b800000
	v_lshlrev_b32_e32 v2, 20, v2
	v_and_b32_e32 v4, 0x80000000, v4
	v_lshl_add_u32 v3, v3, 23, v6
	v_or3_b32 v2, v4, v3, v2
.LBB1_4852:
	s_or_b64 exec, exec, s[6:7]
	s_movk_i32 s4, 0xff
	v_and_b32_sdwa v3, v5, s4 dst_sel:DWORD dst_unused:UNUSED_PAD src0_sel:WORD_1 src1_sel:DWORD
	s_movk_i32 s4, 0x7f
	v_cmp_lt_i16_e32 vcc, s4, v3
	s_mov_b64 s[4:5], 0
                                        ; implicit-def: $sgpr10
	s_and_saveexec_b64 s[6:7], vcc
	s_xor_b64 s[6:7], exec, s[6:7]
	s_cbranch_execz .LBB1_4853
; %bb.40693:
	s_getpc_b64 s[14:15]
.Lpost_getpc6010:
	s_add_u32 s14, s14, (.LBB1_19189-.Lpost_getpc6010)&4294967295
	s_addc_u32 s15, s15, (.LBB1_19189-.Lpost_getpc6010)>>32
	s_setpc_b64 s[14:15]
.LBB1_4853:
	s_or_saveexec_b64 s[6:7], s[6:7]
	v_mov_b32_e32 v4, s10
	s_xor_b64 exec, exec, s[6:7]
	s_cbranch_execz .LBB1_4854
; %bb.40695:
	s_getpc_b64 s[14:15]
.Lpost_getpc6011:
	s_add_u32 s14, s14, (.LBB1_19192-.Lpost_getpc6011)&4294967295
	s_addc_u32 s15, s15, (.LBB1_19192-.Lpost_getpc6011)>>32
	s_setpc_b64 s[14:15]
.LBB1_4854:
	s_or_b64 exec, exec, s[6:7]
	s_and_saveexec_b64 s[6:7], s[4:5]
	s_cbranch_execz .LBB1_4856
.LBB1_4855:
	v_bfe_u32 v3, v5, 16, 3
	v_ffbh_u32_e32 v7, v3
	v_min_u32_e32 v7, 32, v7
	v_lshrrev_b32_e32 v4, 19, v5
	v_subrev_u32_e32 v8, 28, v7
	v_and_b32_e32 v4, 15, v4
	v_lshlrev_b32_sdwa v8, v8, v5 dst_sel:DWORD dst_unused:UNUSED_PAD src0_sel:DWORD src1_sel:WORD_1
	v_bfe_u32 v6, v5, 19, 4
	v_sub_u32_e32 v7, 29, v7
	v_and_b32_e32 v8, 7, v8
	v_cmp_eq_u16_e32 vcc, 0, v4
	v_cndmask_b32_e32 v3, v3, v8, vcc
	v_cndmask_b32_e32 v4, v6, v7, vcc
	v_lshlrev_b32_e32 v6, 8, v5
	v_mov_b32_e32 v7, 0x3b800000
	v_lshlrev_b32_e32 v3, 20, v3
	v_and_b32_e32 v6, 0x80000000, v6
	v_lshl_add_u32 v4, v4, 23, v7
	v_or3_b32 v4, v6, v4, v3
.LBB1_4856:
	s_or_b64 exec, exec, s[6:7]
	s_nop 0
	v_mfma_f32_16x16x4f32 a[0:3], v2, v4, a[0:3]
	s_movk_i32 s4, 0x7f
	v_cmp_gt_i16_sdwa s[6:7], v9, s4 src0_sel:BYTE_3 src1_sel:DWORD
	s_mov_b64 s[4:5], 0
                                        ; implicit-def: $sgpr10
	s_and_saveexec_b64 s[8:9], s[6:7]
	s_xor_b64 s[6:7], exec, s[8:9]
	s_cbranch_execz .LBB1_4857
; %bb.40697:
	s_getpc_b64 s[14:15]
.Lpost_getpc6012:
	s_add_u32 s14, s14, (.LBB1_19193-.Lpost_getpc6012)&4294967295
	s_addc_u32 s15, s15, (.LBB1_19193-.Lpost_getpc6012)>>32
	s_setpc_b64 s[14:15]
.LBB1_4857:
	s_or_saveexec_b64 s[6:7], s[6:7]
	v_mov_b32_e32 v2, s10
	s_xor_b64 exec, exec, s[6:7]
	s_cbranch_execz .LBB1_4858
; %bb.40699:
	s_getpc_b64 s[14:15]
.Lpost_getpc6013:
	s_add_u32 s14, s14, (.LBB1_19196-.Lpost_getpc6013)&4294967295
	s_addc_u32 s15, s15, (.LBB1_19196-.Lpost_getpc6013)>>32
	s_setpc_b64 s[14:15]
.LBB1_4858:
	s_or_b64 exec, exec, s[6:7]
	s_and_saveexec_b64 s[6:7], s[4:5]
	s_cbranch_execz .LBB1_4860
.LBB1_4859:
	v_bfe_u32 v2, v9, 24, 3
	v_ffbh_u32_e32 v7, v2
	v_min_u32_e32 v7, 32, v7
	v_lshrrev_b32_e32 v4, 27, v9
	v_subrev_u32_e32 v8, 28, v7
	v_and_b32_e32 v4, 15, v4
	v_lshlrev_b32_sdwa v8, v8, v9 dst_sel:DWORD dst_unused:UNUSED_PAD src0_sel:DWORD src1_sel:BYTE_3
	v_bfe_u32 v6, v9, 27, 4
	v_sub_u32_e32 v7, 29, v7
	v_and_b32_e32 v8, 7, v8
	v_cmp_eq_u16_e32 vcc, 0, v4
	v_cndmask_b32_e32 v2, v2, v8, vcc
	v_cndmask_b32_e32 v4, v6, v7, vcc
	v_mov_b32_e32 v6, 0x3b800000
	v_and_b32_e32 v3, 0x80000000, v9
	v_lshlrev_b32_e32 v2, 20, v2
	v_lshl_add_u32 v4, v4, 23, v6
	v_or3_b32 v2, v3, v4, v2
.LBB1_4860:
	s_or_b64 exec, exec, s[6:7]
	s_movk_i32 s4, 0x7f
	v_cmp_gt_i16_sdwa s[6:7], v5, s4 src0_sel:BYTE_3 src1_sel:DWORD
	s_mov_b64 s[4:5], 0
                                        ; implicit-def: $sgpr10
	s_and_saveexec_b64 s[8:9], s[6:7]
	s_xor_b64 s[6:7], exec, s[8:9]
	s_cbranch_execz .LBB1_4861
; %bb.40701:
	s_getpc_b64 s[14:15]
.Lpost_getpc6014:
	s_add_u32 s14, s14, (.LBB1_19197-.Lpost_getpc6014)&4294967295
	s_addc_u32 s15, s15, (.LBB1_19197-.Lpost_getpc6014)>>32
	s_setpc_b64 s[14:15]
.LBB1_4861:
	s_or_saveexec_b64 s[6:7], s[6:7]
	v_mov_b32_e32 v3, s10
	s_xor_b64 exec, exec, s[6:7]
	s_cbranch_execz .LBB1_4862
; %bb.40703:
	s_getpc_b64 s[14:15]
.Lpost_getpc6015:
	s_add_u32 s14, s14, (.LBB1_19200-.Lpost_getpc6015)&4294967295
	s_addc_u32 s15, s15, (.LBB1_19200-.Lpost_getpc6015)>>32
	s_setpc_b64 s[14:15]
.LBB1_4862:
	s_or_b64 exec, exec, s[6:7]
	s_and_saveexec_b64 s[6:7], s[4:5]
	s_cbranch_execz .LBB1_4864
.LBB1_4863:
	v_bfe_u32 v3, v5, 24, 3
	v_ffbh_u32_e32 v8, v3
	v_min_u32_e32 v8, 32, v8
	v_lshrrev_b32_e32 v6, 27, v5
	v_subrev_u32_e32 v9, 28, v8
	v_and_b32_e32 v4, 0x80000000, v5
	v_and_b32_e32 v6, 15, v6
	v_bfe_u32 v7, v5, 27, 4
	v_lshlrev_b32_sdwa v5, v9, v5 dst_sel:DWORD dst_unused:UNUSED_PAD src0_sel:DWORD src1_sel:BYTE_3
	v_sub_u32_e32 v8, 29, v8
	v_and_b32_e32 v5, 7, v5
	v_cmp_eq_u16_e32 vcc, 0, v6
	v_cndmask_b32_e32 v3, v3, v5, vcc
	v_cndmask_b32_e32 v5, v7, v8, vcc
	v_mov_b32_e32 v6, 0x3b800000
	v_lshlrev_b32_e32 v3, 20, v3
	v_lshl_add_u32 v5, v5, 23, v6
	v_or3_b32 v3, v4, v5, v3
.LBB1_4864:
	s_or_b64 exec, exec, s[6:7]
	s_nop 0
	v_mfma_f32_16x16x4f32 a[0:3], v2, v3, a[0:3]
	s_movk_i32 s4, 0x7f
                                        ; implicit-def: $sgpr10
	s_nop 7
	s_nop 1
	flat_store_dwordx4 v[10:11], a[0:3] offset:592
	flat_load_dwordx4 v[12:15], v[0:1]
	s_nop 0
	flat_load_dwordx2 v[10:11], v[0:1] offset:16
	s_waitcnt vmcnt(0) lgkmcnt(0)
	flat_load_dwordx4 v[6:9], v[12:13] offset:64
	flat_load_dwordx4 v[2:5], v[14:15] offset:96
	s_waitcnt vmcnt(0) lgkmcnt(0)
	v_cmp_gt_i16_sdwa s[6:7], v6, s4 src0_sel:BYTE_0 src1_sel:DWORD
	s_mov_b64 s[4:5], 0
	s_and_saveexec_b64 s[8:9], s[6:7]
	s_xor_b64 s[6:7], exec, s[8:9]
	s_cbranch_execz .LBB1_4865
; %bb.40705:
	s_getpc_b64 s[14:15]
.Lpost_getpc6016:
	s_add_u32 s14, s14, (.LBB1_19201-.Lpost_getpc6016)&4294967295
	s_addc_u32 s15, s15, (.LBB1_19201-.Lpost_getpc6016)>>32
	s_setpc_b64 s[14:15]
.LBB1_4865:
	s_or_saveexec_b64 s[6:7], s[6:7]
	v_mov_b32_e32 v12, s10
	s_xor_b64 exec, exec, s[6:7]
	s_cbranch_execz .LBB1_4866
; %bb.40707:
	s_getpc_b64 s[14:15]
.Lpost_getpc6017:
	s_add_u32 s14, s14, (.LBB1_19204-.Lpost_getpc6017)&4294967295
	s_addc_u32 s15, s15, (.LBB1_19204-.Lpost_getpc6017)>>32
	s_setpc_b64 s[14:15]
.LBB1_4866:
	s_or_b64 exec, exec, s[6:7]
	s_and_saveexec_b64 s[6:7], s[4:5]
	s_cbranch_execz .LBB1_4868
.LBB1_4867:
	v_and_b32_e32 v12, 7, v6
	v_ffbh_u32_e32 v14, v12
	v_min_u32_e32 v14, 32, v14
	v_lshrrev_b16_e32 v13, 3, v6
	v_subrev_u32_e32 v15, 28, v14
	v_and_b32_e32 v13, 15, v13
	v_lshlrev_b32_e32 v15, v15, v6
	v_sub_u32_e32 v14, 29, v14
	v_and_b32_e32 v15, 7, v15
	v_cmp_eq_u16_e32 vcc, 0, v13
	v_cndmask_b32_e32 v12, v12, v15, vcc
	v_cndmask_b32_e32 v13, v13, v14, vcc
	v_lshlrev_b32_e32 v14, 24, v6
	v_mov_b32_e32 v15, 0x3b800000
	v_lshlrev_b32_e32 v12, 20, v12
	v_and_b32_e32 v14, 0x80000000, v14
	v_lshl_add_u32 v13, v13, 23, v15
	v_or3_b32 v12, v14, v13, v12
.LBB1_4868:
	s_or_b64 exec, exec, s[6:7]
	s_movk_i32 s4, 0x7f
	v_cmp_gt_i16_sdwa s[6:7], v2, s4 src0_sel:BYTE_0 src1_sel:DWORD
	s_mov_b64 s[4:5], 0
                                        ; implicit-def: $sgpr10
	s_and_saveexec_b64 s[8:9], s[6:7]
	s_xor_b64 s[6:7], exec, s[8:9]
	s_cbranch_execz .LBB1_4869
; %bb.40709:
	s_getpc_b64 s[14:15]
.Lpost_getpc6018:
	s_add_u32 s14, s14, (.LBB1_19205-.Lpost_getpc6018)&4294967295
	s_addc_u32 s15, s15, (.LBB1_19205-.Lpost_getpc6018)>>32
	s_setpc_b64 s[14:15]
.LBB1_4869:
	s_or_saveexec_b64 s[6:7], s[6:7]
	v_mov_b32_e32 v13, s10
	s_xor_b64 exec, exec, s[6:7]
	s_cbranch_execz .LBB1_4870
; %bb.40711:
	s_getpc_b64 s[14:15]
.Lpost_getpc6019:
	s_add_u32 s14, s14, (.LBB1_19208-.Lpost_getpc6019)&4294967295
	s_addc_u32 s15, s15, (.LBB1_19208-.Lpost_getpc6019)>>32
	s_setpc_b64 s[14:15]
.LBB1_4870:
	s_or_b64 exec, exec, s[6:7]
	s_and_saveexec_b64 s[6:7], s[4:5]
	s_cbranch_execz .LBB1_4872
.LBB1_4871:
	v_and_b32_e32 v13, 7, v2
	v_ffbh_u32_e32 v15, v13
	v_min_u32_e32 v15, 32, v15
	v_lshrrev_b16_e32 v14, 3, v2
	v_subrev_u32_e32 v16, 28, v15
	v_and_b32_e32 v14, 15, v14
	v_lshlrev_b32_e32 v16, v16, v2
	v_sub_u32_e32 v15, 29, v15
	v_and_b32_e32 v16, 7, v16
	v_cmp_eq_u16_e32 vcc, 0, v14
	v_cndmask_b32_e32 v13, v13, v16, vcc
	v_cndmask_b32_e32 v14, v14, v15, vcc
	v_lshlrev_b32_e32 v15, 24, v2
	v_mov_b32_e32 v16, 0x3b800000
	v_lshlrev_b32_e32 v13, 20, v13
	v_and_b32_e32 v15, 0x80000000, v15
	v_lshl_add_u32 v14, v14, 23, v16
	v_or3_b32 v13, v15, v14, v13
.LBB1_4872:
	s_or_b64 exec, exec, s[6:7]
	flat_load_dwordx4 a[0:3], v[10:11] offset:608
	s_movk_i32 s4, 0x7f
                                        ; implicit-def: $sgpr10
	s_waitcnt vmcnt(0) lgkmcnt(0)
	v_mfma_f32_16x16x4f32 a[0:3], v12, v13, a[0:3]
	v_lshrrev_b32_e32 v13, 8, v6
	v_cmp_gt_i16_sdwa s[6:7], v13, s4 src0_sel:BYTE_0 src1_sel:DWORD
	s_mov_b64 s[4:5], 0
	s_and_saveexec_b64 s[8:9], s[6:7]
	s_xor_b64 s[6:7], exec, s[8:9]
	s_cbranch_execz .LBB1_4873
; %bb.40713:
	s_getpc_b64 s[14:15]
.Lpost_getpc6020:
	s_add_u32 s14, s14, (.LBB1_19209-.Lpost_getpc6020)&4294967295
	s_addc_u32 s15, s15, (.LBB1_19209-.Lpost_getpc6020)>>32
	s_setpc_b64 s[14:15]
.LBB1_4873:
	s_or_saveexec_b64 s[6:7], s[6:7]
	v_mov_b32_e32 v12, s10
	s_xor_b64 exec, exec, s[6:7]
	s_cbranch_execz .LBB1_4874
; %bb.40715:
	s_getpc_b64 s[14:15]
.Lpost_getpc6021:
	s_add_u32 s14, s14, (.LBB1_19212-.Lpost_getpc6021)&4294967295
	s_addc_u32 s15, s15, (.LBB1_19212-.Lpost_getpc6021)>>32
	s_setpc_b64 s[14:15]
.LBB1_4874:
	s_or_b64 exec, exec, s[6:7]
	s_and_saveexec_b64 s[6:7], s[4:5]
	s_cbranch_execz .LBB1_4876
.LBB1_4875:
	v_bfe_u32 v12, v6, 8, 3
	v_ffbh_u32_e32 v15, v12
	v_min_u32_e32 v15, 32, v15
	v_lshrrev_b16_e32 v14, 3, v13
	v_subrev_u32_e32 v16, 28, v15
	v_and_b32_e32 v14, 15, v14
	v_lshlrev_b32_e32 v13, v16, v13
	v_sub_u32_e32 v15, 29, v15
	v_and_b32_e32 v13, 7, v13
	v_cmp_eq_u16_e32 vcc, 0, v14
	v_cndmask_b32_e32 v12, v12, v13, vcc
	v_cndmask_b32_e32 v13, v14, v15, vcc
	v_lshlrev_b32_e32 v14, 16, v6
	v_mov_b32_e32 v15, 0x3b800000
	v_lshlrev_b32_e32 v12, 20, v12
	v_and_b32_e32 v14, 0x80000000, v14
	v_lshl_add_u32 v13, v13, 23, v15
	v_or3_b32 v12, v14, v13, v12
.LBB1_4876:
	s_or_b64 exec, exec, s[6:7]
	v_lshrrev_b32_e32 v13, 8, v2
	s_movk_i32 s4, 0x7f
	v_cmp_gt_i16_sdwa s[6:7], v13, s4 src0_sel:BYTE_0 src1_sel:DWORD
	s_mov_b64 s[4:5], 0
                                        ; implicit-def: $sgpr10
	s_and_saveexec_b64 s[8:9], s[6:7]
	s_xor_b64 s[6:7], exec, s[8:9]
	s_cbranch_execz .LBB1_4877
; %bb.40717:
	s_getpc_b64 s[14:15]
.Lpost_getpc6022:
	s_add_u32 s14, s14, (.LBB1_19213-.Lpost_getpc6022)&4294967295
	s_addc_u32 s15, s15, (.LBB1_19213-.Lpost_getpc6022)>>32
	s_setpc_b64 s[14:15]
.LBB1_4877:
	s_or_saveexec_b64 s[6:7], s[6:7]
	v_mov_b32_e32 v14, s10
	s_xor_b64 exec, exec, s[6:7]
	s_cbranch_execz .LBB1_4878
; %bb.40719:
	s_getpc_b64 s[14:15]
.Lpost_getpc6023:
	s_add_u32 s14, s14, (.LBB1_19216-.Lpost_getpc6023)&4294967295
	s_addc_u32 s15, s15, (.LBB1_19216-.Lpost_getpc6023)>>32
	s_setpc_b64 s[14:15]
.LBB1_4878:
	s_or_b64 exec, exec, s[6:7]
	s_and_saveexec_b64 s[6:7], s[4:5]
	s_cbranch_execz .LBB1_4880
.LBB1_4879:
	v_bfe_u32 v14, v2, 8, 3
	v_ffbh_u32_e32 v16, v14
	v_min_u32_e32 v16, 32, v16
	v_lshrrev_b16_e32 v15, 3, v13
	v_subrev_u32_e32 v17, 28, v16
	v_and_b32_e32 v15, 15, v15
	v_lshlrev_b32_e32 v13, v17, v13
	v_sub_u32_e32 v16, 29, v16
	v_and_b32_e32 v13, 7, v13
	v_cmp_eq_u16_e32 vcc, 0, v15
	v_cndmask_b32_e32 v13, v14, v13, vcc
	v_cndmask_b32_e32 v14, v15, v16, vcc
	v_lshlrev_b32_e32 v15, 16, v2
	v_mov_b32_e32 v16, 0x3b800000
	v_lshlrev_b32_e32 v13, 20, v13
	v_and_b32_e32 v15, 0x80000000, v15
	v_lshl_add_u32 v14, v14, 23, v16
	v_or3_b32 v14, v15, v14, v13
.LBB1_4880:
	s_or_b64 exec, exec, s[6:7]
	s_nop 0
	v_mfma_f32_16x16x4f32 a[0:3], v12, v14, a[0:3]
	s_movk_i32 s4, 0xff
	v_and_b32_sdwa v13, v6, s4 dst_sel:DWORD dst_unused:UNUSED_PAD src0_sel:WORD_1 src1_sel:DWORD
	s_movk_i32 s4, 0x7f
	v_cmp_lt_i16_e32 vcc, s4, v13
	s_mov_b64 s[4:5], 0
                                        ; implicit-def: $sgpr10
	s_and_saveexec_b64 s[6:7], vcc
	s_xor_b64 s[6:7], exec, s[6:7]
	s_cbranch_execz .LBB1_4881
; %bb.40721:
	s_getpc_b64 s[14:15]
.Lpost_getpc6024:
	s_add_u32 s14, s14, (.LBB1_19217-.Lpost_getpc6024)&4294967295
	s_addc_u32 s15, s15, (.LBB1_19217-.Lpost_getpc6024)>>32
	s_setpc_b64 s[14:15]
.LBB1_4881:
	s_or_saveexec_b64 s[6:7], s[6:7]
	v_mov_b32_e32 v12, s10
	s_xor_b64 exec, exec, s[6:7]
	s_cbranch_execz .LBB1_4882
; %bb.40723:
	s_getpc_b64 s[14:15]
.Lpost_getpc6025:
	s_add_u32 s14, s14, (.LBB1_19220-.Lpost_getpc6025)&4294967295
	s_addc_u32 s15, s15, (.LBB1_19220-.Lpost_getpc6025)>>32
	s_setpc_b64 s[14:15]
.LBB1_4882:
	s_or_b64 exec, exec, s[6:7]
	s_and_saveexec_b64 s[6:7], s[4:5]
	s_cbranch_execz .LBB1_4884
.LBB1_4883:
	v_bfe_u32 v12, v6, 16, 3
	v_ffbh_u32_e32 v15, v12
	v_min_u32_e32 v15, 32, v15
	v_lshrrev_b32_e32 v13, 19, v6
	v_subrev_u32_e32 v16, 28, v15
	v_and_b32_e32 v13, 15, v13
	v_lshlrev_b32_sdwa v16, v16, v6 dst_sel:DWORD dst_unused:UNUSED_PAD src0_sel:DWORD src1_sel:WORD_1
	v_bfe_u32 v14, v6, 19, 4
	v_sub_u32_e32 v15, 29, v15
	v_and_b32_e32 v16, 7, v16
	v_cmp_eq_u16_e32 vcc, 0, v13
	v_cndmask_b32_e32 v12, v12, v16, vcc
	v_cndmask_b32_e32 v13, v14, v15, vcc
	v_lshlrev_b32_e32 v14, 8, v6
	v_mov_b32_e32 v15, 0x3b800000
	v_lshlrev_b32_e32 v12, 20, v12
	v_and_b32_e32 v14, 0x80000000, v14
	v_lshl_add_u32 v13, v13, 23, v15
	v_or3_b32 v12, v14, v13, v12
.LBB1_4884:
	s_or_b64 exec, exec, s[6:7]
	s_movk_i32 s4, 0xff
	v_and_b32_sdwa v13, v2, s4 dst_sel:DWORD dst_unused:UNUSED_PAD src0_sel:WORD_1 src1_sel:DWORD
	s_movk_i32 s4, 0x7f
	v_cmp_lt_i16_e32 vcc, s4, v13
	s_mov_b64 s[4:5], 0
                                        ; implicit-def: $sgpr10
	s_and_saveexec_b64 s[6:7], vcc
	s_xor_b64 s[6:7], exec, s[6:7]
	s_cbranch_execz .LBB1_4885
; %bb.40725:
	s_getpc_b64 s[14:15]
.Lpost_getpc6026:
	s_add_u32 s14, s14, (.LBB1_19221-.Lpost_getpc6026)&4294967295
	s_addc_u32 s15, s15, (.LBB1_19221-.Lpost_getpc6026)>>32
	s_setpc_b64 s[14:15]
.LBB1_4885:
	s_or_saveexec_b64 s[6:7], s[6:7]
	v_mov_b32_e32 v14, s10
	s_xor_b64 exec, exec, s[6:7]
	s_cbranch_execz .LBB1_4886
; %bb.40727:
	s_getpc_b64 s[14:15]
.Lpost_getpc6027:
	s_add_u32 s14, s14, (.LBB1_19224-.Lpost_getpc6027)&4294967295
	s_addc_u32 s15, s15, (.LBB1_19224-.Lpost_getpc6027)>>32
	s_setpc_b64 s[14:15]
.LBB1_4886:
	s_or_b64 exec, exec, s[6:7]
	s_and_saveexec_b64 s[6:7], s[4:5]
	s_cbranch_execz .LBB1_4888
.LBB1_4887:
	v_bfe_u32 v13, v2, 16, 3
	v_ffbh_u32_e32 v16, v13
	v_min_u32_e32 v16, 32, v16
	v_lshrrev_b32_e32 v14, 19, v2
	v_subrev_u32_e32 v17, 28, v16
	v_and_b32_e32 v14, 15, v14
	v_lshlrev_b32_sdwa v17, v17, v2 dst_sel:DWORD dst_unused:UNUSED_PAD src0_sel:DWORD src1_sel:WORD_1
	v_bfe_u32 v15, v2, 19, 4
	v_sub_u32_e32 v16, 29, v16
	v_and_b32_e32 v17, 7, v17
	v_cmp_eq_u16_e32 vcc, 0, v14
	v_cndmask_b32_e32 v13, v13, v17, vcc
	v_cndmask_b32_e32 v14, v15, v16, vcc
	v_lshlrev_b32_e32 v15, 8, v2
	v_mov_b32_e32 v16, 0x3b800000
	v_lshlrev_b32_e32 v13, 20, v13
	v_and_b32_e32 v15, 0x80000000, v15
	v_lshl_add_u32 v14, v14, 23, v16
	v_or3_b32 v14, v15, v14, v13
.LBB1_4888:
	s_or_b64 exec, exec, s[6:7]
	s_nop 0
	v_mfma_f32_16x16x4f32 a[0:3], v12, v14, a[0:3]
	s_movk_i32 s4, 0x7f
	v_cmp_gt_i16_sdwa s[6:7], v6, s4 src0_sel:BYTE_3 src1_sel:DWORD
	s_mov_b64 s[4:5], 0
                                        ; implicit-def: $sgpr10
	s_and_saveexec_b64 s[8:9], s[6:7]
	s_xor_b64 s[6:7], exec, s[8:9]
	s_cbranch_execz .LBB1_4889
; %bb.40729:
	s_getpc_b64 s[14:15]
.Lpost_getpc6028:
	s_add_u32 s14, s14, (.LBB1_19225-.Lpost_getpc6028)&4294967295
	s_addc_u32 s15, s15, (.LBB1_19225-.Lpost_getpc6028)>>32
	s_setpc_b64 s[14:15]
.LBB1_4889:
	s_or_saveexec_b64 s[6:7], s[6:7]
	v_mov_b32_e32 v12, s10
	s_xor_b64 exec, exec, s[6:7]
	s_cbranch_execz .LBB1_4890
; %bb.40731:
	s_getpc_b64 s[14:15]
.Lpost_getpc6029:
	s_add_u32 s14, s14, (.LBB1_19228-.Lpost_getpc6029)&4294967295
	s_addc_u32 s15, s15, (.LBB1_19228-.Lpost_getpc6029)>>32
	s_setpc_b64 s[14:15]
.LBB1_4890:
	s_or_b64 exec, exec, s[6:7]
	s_and_saveexec_b64 s[6:7], s[4:5]
	s_cbranch_execz .LBB1_4892
.LBB1_4891:
	v_bfe_u32 v12, v6, 24, 3
	v_ffbh_u32_e32 v16, v12
	v_min_u32_e32 v16, 32, v16
	v_lshrrev_b32_e32 v14, 27, v6
	v_subrev_u32_e32 v17, 28, v16
	v_and_b32_e32 v13, 0x80000000, v6
	v_and_b32_e32 v14, 15, v14
	v_bfe_u32 v15, v6, 27, 4
	v_lshlrev_b32_sdwa v6, v17, v6 dst_sel:DWORD dst_unused:UNUSED_PAD src0_sel:DWORD src1_sel:BYTE_3
	v_sub_u32_e32 v16, 29, v16
	v_and_b32_e32 v6, 7, v6
	v_cmp_eq_u16_e32 vcc, 0, v14
	v_cndmask_b32_e32 v6, v12, v6, vcc
	v_cndmask_b32_e32 v12, v15, v16, vcc
	v_mov_b32_e32 v14, 0x3b800000
	v_lshlrev_b32_e32 v6, 20, v6
	v_lshl_add_u32 v12, v12, 23, v14
	v_or3_b32 v12, v13, v12, v6
.LBB1_4892:
	s_or_b64 exec, exec, s[6:7]
	s_movk_i32 s4, 0x7f
	v_cmp_gt_i16_sdwa s[6:7], v2, s4 src0_sel:BYTE_3 src1_sel:DWORD
	s_mov_b64 s[4:5], 0
                                        ; implicit-def: $sgpr10
	s_and_saveexec_b64 s[8:9], s[6:7]
	s_xor_b64 s[6:7], exec, s[8:9]
	s_cbranch_execz .LBB1_4893
; %bb.40733:
	s_getpc_b64 s[14:15]
.Lpost_getpc6030:
	s_add_u32 s14, s14, (.LBB1_19229-.Lpost_getpc6030)&4294967295
	s_addc_u32 s15, s15, (.LBB1_19229-.Lpost_getpc6030)>>32
	s_setpc_b64 s[14:15]
.LBB1_4893:
	s_or_saveexec_b64 s[6:7], s[6:7]
	v_mov_b32_e32 v6, s10
	s_xor_b64 exec, exec, s[6:7]
	s_cbranch_execz .LBB1_4894
; %bb.40735:
	s_getpc_b64 s[14:15]
.Lpost_getpc6031:
	s_add_u32 s14, s14, (.LBB1_19232-.Lpost_getpc6031)&4294967295
	s_addc_u32 s15, s15, (.LBB1_19232-.Lpost_getpc6031)>>32
	s_setpc_b64 s[14:15]
.LBB1_4894:
	s_or_b64 exec, exec, s[6:7]
	s_and_saveexec_b64 s[6:7], s[4:5]
	s_cbranch_execz .LBB1_4896
.LBB1_4895:
	v_bfe_u32 v6, v2, 24, 3
	v_ffbh_u32_e32 v16, v6
	v_min_u32_e32 v16, 32, v16
	v_lshrrev_b32_e32 v14, 27, v2
	v_subrev_u32_e32 v17, 28, v16
	v_and_b32_e32 v13, 0x80000000, v2
	v_and_b32_e32 v14, 15, v14
	v_bfe_u32 v15, v2, 27, 4
	v_lshlrev_b32_sdwa v2, v17, v2 dst_sel:DWORD dst_unused:UNUSED_PAD src0_sel:DWORD src1_sel:BYTE_3
	v_sub_u32_e32 v16, 29, v16
	v_and_b32_e32 v2, 7, v2
	v_cmp_eq_u16_e32 vcc, 0, v14
	v_cndmask_b32_e32 v2, v6, v2, vcc
	v_cndmask_b32_e32 v6, v15, v16, vcc
	v_mov_b32_e32 v14, 0x3b800000
	v_lshlrev_b32_e32 v2, 20, v2
	v_lshl_add_u32 v6, v6, 23, v14
	v_or3_b32 v6, v13, v6, v2
.LBB1_4896:
	s_or_b64 exec, exec, s[6:7]
	s_nop 0
	v_mfma_f32_16x16x4f32 a[0:3], v12, v6, a[0:3]
	s_movk_i32 s4, 0x7f
	v_cmp_gt_i16_sdwa s[6:7], v7, s4 src0_sel:BYTE_0 src1_sel:DWORD
	s_mov_b64 s[4:5], 0
                                        ; implicit-def: $sgpr10
	s_and_saveexec_b64 s[8:9], s[6:7]
	s_xor_b64 s[6:7], exec, s[8:9]
	s_cbranch_execz .LBB1_4897
; %bb.40737:
	s_getpc_b64 s[14:15]
.Lpost_getpc6032:
	s_add_u32 s14, s14, (.LBB1_19233-.Lpost_getpc6032)&4294967295
	s_addc_u32 s15, s15, (.LBB1_19233-.Lpost_getpc6032)>>32
	s_setpc_b64 s[14:15]
.LBB1_4897:
	s_or_saveexec_b64 s[6:7], s[6:7]
	v_mov_b32_e32 v2, s10
	s_xor_b64 exec, exec, s[6:7]
	s_cbranch_execz .LBB1_4898
; %bb.40739:
	s_getpc_b64 s[14:15]
.Lpost_getpc6033:
	s_add_u32 s14, s14, (.LBB1_19236-.Lpost_getpc6033)&4294967295
	s_addc_u32 s15, s15, (.LBB1_19236-.Lpost_getpc6033)>>32
	s_setpc_b64 s[14:15]
.LBB1_4898:
	s_or_b64 exec, exec, s[6:7]
	s_and_saveexec_b64 s[6:7], s[4:5]
	s_cbranch_execz .LBB1_4900
.LBB1_4899:
	v_and_b32_e32 v2, 7, v7
	v_ffbh_u32_e32 v12, v2
	v_min_u32_e32 v12, 32, v12
	v_lshrrev_b16_e32 v6, 3, v7
	v_subrev_u32_e32 v13, 28, v12
	v_and_b32_e32 v6, 15, v6
	v_lshlrev_b32_e32 v13, v13, v7
	v_sub_u32_e32 v12, 29, v12
	v_and_b32_e32 v13, 7, v13
	v_cmp_eq_u16_e32 vcc, 0, v6
	v_cndmask_b32_e32 v2, v2, v13, vcc
	v_cndmask_b32_e32 v6, v6, v12, vcc
	v_lshlrev_b32_e32 v12, 24, v7
	v_mov_b32_e32 v13, 0x3b800000
	v_lshlrev_b32_e32 v2, 20, v2
	v_and_b32_e32 v12, 0x80000000, v12
	v_lshl_add_u32 v6, v6, 23, v13
	v_or3_b32 v2, v12, v6, v2
.LBB1_4900:
	s_or_b64 exec, exec, s[6:7]
	s_movk_i32 s4, 0x7f
	v_cmp_gt_i16_sdwa s[6:7], v3, s4 src0_sel:BYTE_0 src1_sel:DWORD
	s_mov_b64 s[4:5], 0
                                        ; implicit-def: $sgpr10
	s_and_saveexec_b64 s[8:9], s[6:7]
	s_xor_b64 s[6:7], exec, s[8:9]
	s_cbranch_execz .LBB1_4901
; %bb.40741:
	s_getpc_b64 s[14:15]
.Lpost_getpc6034:
	s_add_u32 s14, s14, (.LBB1_19237-.Lpost_getpc6034)&4294967295
	s_addc_u32 s15, s15, (.LBB1_19237-.Lpost_getpc6034)>>32
	s_setpc_b64 s[14:15]
.LBB1_4901:
	s_or_saveexec_b64 s[6:7], s[6:7]
	v_mov_b32_e32 v6, s10
	s_xor_b64 exec, exec, s[6:7]
	s_cbranch_execz .LBB1_4902
; %bb.40743:
	s_getpc_b64 s[14:15]
.Lpost_getpc6035:
	s_add_u32 s14, s14, (.LBB1_19240-.Lpost_getpc6035)&4294967295
	s_addc_u32 s15, s15, (.LBB1_19240-.Lpost_getpc6035)>>32
	s_setpc_b64 s[14:15]
.LBB1_4902:
	s_or_b64 exec, exec, s[6:7]
	s_and_saveexec_b64 s[6:7], s[4:5]
	s_cbranch_execz .LBB1_4904
.LBB1_4903:
	v_and_b32_e32 v6, 7, v3
	v_ffbh_u32_e32 v13, v6
	v_min_u32_e32 v13, 32, v13
	v_lshrrev_b16_e32 v12, 3, v3
	v_subrev_u32_e32 v14, 28, v13
	v_and_b32_e32 v12, 15, v12
	v_lshlrev_b32_e32 v14, v14, v3
	v_sub_u32_e32 v13, 29, v13
	v_and_b32_e32 v14, 7, v14
	v_cmp_eq_u16_e32 vcc, 0, v12
	v_cndmask_b32_e32 v6, v6, v14, vcc
	v_cndmask_b32_e32 v12, v12, v13, vcc
	v_lshlrev_b32_e32 v13, 24, v3
	v_mov_b32_e32 v14, 0x3b800000
	v_lshlrev_b32_e32 v6, 20, v6
	v_and_b32_e32 v13, 0x80000000, v13
	v_lshl_add_u32 v12, v12, 23, v14
	v_or3_b32 v6, v13, v12, v6
.LBB1_4904:
	s_or_b64 exec, exec, s[6:7]
	s_nop 0
	v_mfma_f32_16x16x4f32 a[0:3], v2, v6, a[0:3]
	v_lshrrev_b32_e32 v6, 8, v7
	s_movk_i32 s4, 0x7f
	v_cmp_gt_i16_sdwa s[6:7], v6, s4 src0_sel:BYTE_0 src1_sel:DWORD
	s_mov_b64 s[4:5], 0
                                        ; implicit-def: $sgpr10
	s_and_saveexec_b64 s[8:9], s[6:7]
	s_xor_b64 s[6:7], exec, s[8:9]
	s_cbranch_execz .LBB1_4905
; %bb.40745:
	s_getpc_b64 s[14:15]
.Lpost_getpc6036:
	s_add_u32 s14, s14, (.LBB1_19241-.Lpost_getpc6036)&4294967295
	s_addc_u32 s15, s15, (.LBB1_19241-.Lpost_getpc6036)>>32
	s_setpc_b64 s[14:15]
.LBB1_4905:
	s_or_saveexec_b64 s[6:7], s[6:7]
	v_mov_b32_e32 v2, s10
	s_xor_b64 exec, exec, s[6:7]
	s_cbranch_execz .LBB1_4906
; %bb.40747:
	s_getpc_b64 s[14:15]
.Lpost_getpc6037:
	s_add_u32 s14, s14, (.LBB1_19244-.Lpost_getpc6037)&4294967295
	s_addc_u32 s15, s15, (.LBB1_19244-.Lpost_getpc6037)>>32
	s_setpc_b64 s[14:15]
.LBB1_4906:
	s_or_b64 exec, exec, s[6:7]
	s_and_saveexec_b64 s[6:7], s[4:5]
	s_cbranch_execz .LBB1_4908
.LBB1_4907:
	v_bfe_u32 v2, v7, 8, 3
	v_ffbh_u32_e32 v13, v2
	v_min_u32_e32 v13, 32, v13
	v_lshrrev_b16_e32 v12, 3, v6
	v_subrev_u32_e32 v14, 28, v13
	v_and_b32_e32 v12, 15, v12
	v_lshlrev_b32_e32 v6, v14, v6
	v_sub_u32_e32 v13, 29, v13
	v_and_b32_e32 v6, 7, v6
	v_cmp_eq_u16_e32 vcc, 0, v12
	v_cndmask_b32_e32 v2, v2, v6, vcc
	v_cndmask_b32_e32 v6, v12, v13, vcc
	v_lshlrev_b32_e32 v12, 16, v7
	v_mov_b32_e32 v13, 0x3b800000
	v_lshlrev_b32_e32 v2, 20, v2
	v_and_b32_e32 v12, 0x80000000, v12
	v_lshl_add_u32 v6, v6, 23, v13
	v_or3_b32 v2, v12, v6, v2
.LBB1_4908:
	s_or_b64 exec, exec, s[6:7]
	v_lshrrev_b32_e32 v6, 8, v3
	s_movk_i32 s4, 0x7f
	v_cmp_gt_i16_sdwa s[6:7], v6, s4 src0_sel:BYTE_0 src1_sel:DWORD
	s_mov_b64 s[4:5], 0
                                        ; implicit-def: $sgpr10
	s_and_saveexec_b64 s[8:9], s[6:7]
	s_xor_b64 s[6:7], exec, s[8:9]
	s_cbranch_execz .LBB1_4909
; %bb.40749:
	s_getpc_b64 s[14:15]
.Lpost_getpc6038:
	s_add_u32 s14, s14, (.LBB1_19245-.Lpost_getpc6038)&4294967295
	s_addc_u32 s15, s15, (.LBB1_19245-.Lpost_getpc6038)>>32
	s_setpc_b64 s[14:15]
.LBB1_4909:
	s_or_saveexec_b64 s[6:7], s[6:7]
	v_mov_b32_e32 v12, s10
	s_xor_b64 exec, exec, s[6:7]
	s_cbranch_execz .LBB1_4910
; %bb.40751:
	s_getpc_b64 s[14:15]
.Lpost_getpc6039:
	s_add_u32 s14, s14, (.LBB1_19248-.Lpost_getpc6039)&4294967295
	s_addc_u32 s15, s15, (.LBB1_19248-.Lpost_getpc6039)>>32
	s_setpc_b64 s[14:15]
.LBB1_4910:
	s_or_b64 exec, exec, s[6:7]
	s_and_saveexec_b64 s[6:7], s[4:5]
	s_cbranch_execz .LBB1_4912
.LBB1_4911:
	v_bfe_u32 v12, v3, 8, 3
	v_ffbh_u32_e32 v14, v12
	v_min_u32_e32 v14, 32, v14
	v_lshrrev_b16_e32 v13, 3, v6
	v_subrev_u32_e32 v15, 28, v14
	v_and_b32_e32 v13, 15, v13
	v_lshlrev_b32_e32 v6, v15, v6
	v_sub_u32_e32 v14, 29, v14
	v_and_b32_e32 v6, 7, v6
	v_cmp_eq_u16_e32 vcc, 0, v13
	v_cndmask_b32_e32 v6, v12, v6, vcc
	v_cndmask_b32_e32 v12, v13, v14, vcc
	v_lshlrev_b32_e32 v13, 16, v3
	v_mov_b32_e32 v14, 0x3b800000
	v_lshlrev_b32_e32 v6, 20, v6
	v_and_b32_e32 v13, 0x80000000, v13
	v_lshl_add_u32 v12, v12, 23, v14
	v_or3_b32 v12, v13, v12, v6
.LBB1_4912:
	s_or_b64 exec, exec, s[6:7]
	s_nop 0
	v_mfma_f32_16x16x4f32 a[0:3], v2, v12, a[0:3]
	s_movk_i32 s4, 0xff
	v_and_b32_sdwa v6, v7, s4 dst_sel:DWORD dst_unused:UNUSED_PAD src0_sel:WORD_1 src1_sel:DWORD
	s_movk_i32 s4, 0x7f
	v_cmp_lt_i16_e32 vcc, s4, v6
	s_mov_b64 s[4:5], 0
                                        ; implicit-def: $sgpr10
	s_and_saveexec_b64 s[6:7], vcc
	s_xor_b64 s[6:7], exec, s[6:7]
	s_cbranch_execz .LBB1_4913
; %bb.40753:
	s_getpc_b64 s[14:15]
.Lpost_getpc6040:
	s_add_u32 s14, s14, (.LBB1_19249-.Lpost_getpc6040)&4294967295
	s_addc_u32 s15, s15, (.LBB1_19249-.Lpost_getpc6040)>>32
	s_setpc_b64 s[14:15]
.LBB1_4913:
	s_or_saveexec_b64 s[6:7], s[6:7]
	v_mov_b32_e32 v2, s10
	s_xor_b64 exec, exec, s[6:7]
	s_cbranch_execz .LBB1_4914
; %bb.40755:
	s_getpc_b64 s[14:15]
.Lpost_getpc6041:
	s_add_u32 s14, s14, (.LBB1_19252-.Lpost_getpc6041)&4294967295
	s_addc_u32 s15, s15, (.LBB1_19252-.Lpost_getpc6041)>>32
	s_setpc_b64 s[14:15]
.LBB1_4914:
	s_or_b64 exec, exec, s[6:7]
	s_and_saveexec_b64 s[6:7], s[4:5]
	s_cbranch_execz .LBB1_4916
.LBB1_4915:
	v_bfe_u32 v2, v7, 16, 3
	v_ffbh_u32_e32 v13, v2
	v_min_u32_e32 v13, 32, v13
	v_lshrrev_b32_e32 v6, 19, v7
	v_subrev_u32_e32 v14, 28, v13
	v_and_b32_e32 v6, 15, v6
	v_lshlrev_b32_sdwa v14, v14, v7 dst_sel:DWORD dst_unused:UNUSED_PAD src0_sel:DWORD src1_sel:WORD_1
	v_bfe_u32 v12, v7, 19, 4
	v_sub_u32_e32 v13, 29, v13
	v_and_b32_e32 v14, 7, v14
	v_cmp_eq_u16_e32 vcc, 0, v6
	v_cndmask_b32_e32 v2, v2, v14, vcc
	v_cndmask_b32_e32 v6, v12, v13, vcc
	v_lshlrev_b32_e32 v12, 8, v7
	v_mov_b32_e32 v13, 0x3b800000
	v_lshlrev_b32_e32 v2, 20, v2
	v_and_b32_e32 v12, 0x80000000, v12
	v_lshl_add_u32 v6, v6, 23, v13
	v_or3_b32 v2, v12, v6, v2
.LBB1_4916:
	s_or_b64 exec, exec, s[6:7]
	s_movk_i32 s4, 0xff
	v_and_b32_sdwa v6, v3, s4 dst_sel:DWORD dst_unused:UNUSED_PAD src0_sel:WORD_1 src1_sel:DWORD
	s_movk_i32 s4, 0x7f
	v_cmp_lt_i16_e32 vcc, s4, v6
	s_mov_b64 s[4:5], 0
                                        ; implicit-def: $sgpr10
	s_and_saveexec_b64 s[6:7], vcc
	s_xor_b64 s[6:7], exec, s[6:7]
	s_cbranch_execz .LBB1_4917
; %bb.40757:
	s_getpc_b64 s[14:15]
.Lpost_getpc6042:
	s_add_u32 s14, s14, (.LBB1_19253-.Lpost_getpc6042)&4294967295
	s_addc_u32 s15, s15, (.LBB1_19253-.Lpost_getpc6042)>>32
	s_setpc_b64 s[14:15]
.LBB1_4917:
	s_or_saveexec_b64 s[6:7], s[6:7]
	v_mov_b32_e32 v12, s10
	s_xor_b64 exec, exec, s[6:7]
	s_cbranch_execz .LBB1_4918
; %bb.40759:
	s_getpc_b64 s[14:15]
.Lpost_getpc6043:
	s_add_u32 s14, s14, (.LBB1_19256-.Lpost_getpc6043)&4294967295
	s_addc_u32 s15, s15, (.LBB1_19256-.Lpost_getpc6043)>>32
	s_setpc_b64 s[14:15]
.LBB1_4918:
	s_or_b64 exec, exec, s[6:7]
	s_and_saveexec_b64 s[6:7], s[4:5]
	s_cbranch_execz .LBB1_4920
.LBB1_4919:
	v_bfe_u32 v6, v3, 16, 3
	v_ffbh_u32_e32 v14, v6
	v_min_u32_e32 v14, 32, v14
	v_lshrrev_b32_e32 v12, 19, v3
	v_subrev_u32_e32 v15, 28, v14
	v_and_b32_e32 v12, 15, v12
	v_lshlrev_b32_sdwa v15, v15, v3 dst_sel:DWORD dst_unused:UNUSED_PAD src0_sel:DWORD src1_sel:WORD_1
	v_bfe_u32 v13, v3, 19, 4
	v_sub_u32_e32 v14, 29, v14
	v_and_b32_e32 v15, 7, v15
	v_cmp_eq_u16_e32 vcc, 0, v12
	v_cndmask_b32_e32 v6, v6, v15, vcc
	v_cndmask_b32_e32 v12, v13, v14, vcc
	v_lshlrev_b32_e32 v13, 8, v3
	v_mov_b32_e32 v14, 0x3b800000
	v_lshlrev_b32_e32 v6, 20, v6
	v_and_b32_e32 v13, 0x80000000, v13
	v_lshl_add_u32 v12, v12, 23, v14
	v_or3_b32 v12, v13, v12, v6
.LBB1_4920:
	s_or_b64 exec, exec, s[6:7]
	s_nop 0
	v_mfma_f32_16x16x4f32 a[0:3], v2, v12, a[0:3]
	s_movk_i32 s4, 0x7f
	v_cmp_gt_i16_sdwa s[6:7], v7, s4 src0_sel:BYTE_3 src1_sel:DWORD
	s_mov_b64 s[4:5], 0
                                        ; implicit-def: $sgpr10
	s_and_saveexec_b64 s[8:9], s[6:7]
	s_xor_b64 s[6:7], exec, s[8:9]
	s_cbranch_execz .LBB1_4921
; %bb.40761:
	s_getpc_b64 s[14:15]
.Lpost_getpc6044:
	s_add_u32 s14, s14, (.LBB1_19257-.Lpost_getpc6044)&4294967295
	s_addc_u32 s15, s15, (.LBB1_19257-.Lpost_getpc6044)>>32
	s_setpc_b64 s[14:15]
.LBB1_4921:
	s_or_saveexec_b64 s[6:7], s[6:7]
	v_mov_b32_e32 v2, s10
	s_xor_b64 exec, exec, s[6:7]
	s_cbranch_execz .LBB1_4922
; %bb.40763:
	s_getpc_b64 s[14:15]
.Lpost_getpc6045:
	s_add_u32 s14, s14, (.LBB1_19260-.Lpost_getpc6045)&4294967295
	s_addc_u32 s15, s15, (.LBB1_19260-.Lpost_getpc6045)>>32
	s_setpc_b64 s[14:15]
.LBB1_4922:
	s_or_b64 exec, exec, s[6:7]
	s_and_saveexec_b64 s[6:7], s[4:5]
	s_cbranch_execz .LBB1_4924
.LBB1_4923:
	v_bfe_u32 v2, v7, 24, 3
	v_ffbh_u32_e32 v14, v2
	v_min_u32_e32 v14, 32, v14
	v_lshrrev_b32_e32 v12, 27, v7
	v_subrev_u32_e32 v15, 28, v14
	v_and_b32_e32 v6, 0x80000000, v7
	v_and_b32_e32 v12, 15, v12
	v_bfe_u32 v13, v7, 27, 4
	v_lshlrev_b32_sdwa v7, v15, v7 dst_sel:DWORD dst_unused:UNUSED_PAD src0_sel:DWORD src1_sel:BYTE_3
	v_sub_u32_e32 v14, 29, v14
	v_and_b32_e32 v7, 7, v7
	v_cmp_eq_u16_e32 vcc, 0, v12
	v_cndmask_b32_e32 v2, v2, v7, vcc
	v_cndmask_b32_e32 v7, v13, v14, vcc
	v_mov_b32_e32 v12, 0x3b800000
	v_lshlrev_b32_e32 v2, 20, v2
	v_lshl_add_u32 v7, v7, 23, v12
	v_or3_b32 v2, v6, v7, v2
.LBB1_4924:
	s_or_b64 exec, exec, s[6:7]
	s_movk_i32 s4, 0x7f
	v_cmp_gt_i16_sdwa s[6:7], v3, s4 src0_sel:BYTE_3 src1_sel:DWORD
	s_mov_b64 s[4:5], 0
                                        ; implicit-def: $sgpr10
	s_and_saveexec_b64 s[8:9], s[6:7]
	s_xor_b64 s[6:7], exec, s[8:9]
	s_cbranch_execz .LBB1_4925
; %bb.40765:
	s_getpc_b64 s[14:15]
.Lpost_getpc6046:
	s_add_u32 s14, s14, (.LBB1_19261-.Lpost_getpc6046)&4294967295
	s_addc_u32 s15, s15, (.LBB1_19261-.Lpost_getpc6046)>>32
	s_setpc_b64 s[14:15]
.LBB1_4925:
	s_or_saveexec_b64 s[6:7], s[6:7]
	v_mov_b32_e32 v6, s10
	s_xor_b64 exec, exec, s[6:7]
	s_cbranch_execz .LBB1_4926
; %bb.40767:
	s_getpc_b64 s[14:15]
.Lpost_getpc6047:
	s_add_u32 s14, s14, (.LBB1_19264-.Lpost_getpc6047)&4294967295
	s_addc_u32 s15, s15, (.LBB1_19264-.Lpost_getpc6047)>>32
	s_setpc_b64 s[14:15]
.LBB1_4926:
	s_or_b64 exec, exec, s[6:7]
	s_and_saveexec_b64 s[6:7], s[4:5]
	s_cbranch_execz .LBB1_4928
.LBB1_4927:
	v_bfe_u32 v6, v3, 24, 3
	v_ffbh_u32_e32 v14, v6
	v_min_u32_e32 v14, 32, v14
	v_lshrrev_b32_e32 v12, 27, v3
	v_subrev_u32_e32 v15, 28, v14
	v_and_b32_e32 v7, 0x80000000, v3
	v_and_b32_e32 v12, 15, v12
	v_bfe_u32 v13, v3, 27, 4
	v_lshlrev_b32_sdwa v3, v15, v3 dst_sel:DWORD dst_unused:UNUSED_PAD src0_sel:DWORD src1_sel:BYTE_3
	v_sub_u32_e32 v14, 29, v14
	v_and_b32_e32 v3, 7, v3
	v_cmp_eq_u16_e32 vcc, 0, v12
	v_cndmask_b32_e32 v3, v6, v3, vcc
	v_cndmask_b32_e32 v6, v13, v14, vcc
	v_mov_b32_e32 v12, 0x3b800000
	v_lshlrev_b32_e32 v3, 20, v3
	v_lshl_add_u32 v6, v6, 23, v12
	v_or3_b32 v6, v7, v6, v3
.LBB1_4928:
	s_or_b64 exec, exec, s[6:7]
	s_nop 0
	v_mfma_f32_16x16x4f32 a[0:3], v2, v6, a[0:3]
	s_movk_i32 s4, 0x7f
	v_cmp_gt_i16_sdwa s[6:7], v8, s4 src0_sel:BYTE_0 src1_sel:DWORD
	s_mov_b64 s[4:5], 0
                                        ; implicit-def: $sgpr10
	s_and_saveexec_b64 s[8:9], s[6:7]
	s_xor_b64 s[6:7], exec, s[8:9]
	s_cbranch_execz .LBB1_4929
; %bb.40769:
	s_getpc_b64 s[14:15]
.Lpost_getpc6048:
	s_add_u32 s14, s14, (.LBB1_19265-.Lpost_getpc6048)&4294967295
	s_addc_u32 s15, s15, (.LBB1_19265-.Lpost_getpc6048)>>32
	s_setpc_b64 s[14:15]
.LBB1_4929:
	s_or_saveexec_b64 s[6:7], s[6:7]
	v_mov_b32_e32 v2, s10
	s_xor_b64 exec, exec, s[6:7]
	s_cbranch_execz .LBB1_4930
; %bb.40771:
	s_getpc_b64 s[14:15]
.Lpost_getpc6049:
	s_add_u32 s14, s14, (.LBB1_19268-.Lpost_getpc6049)&4294967295
	s_addc_u32 s15, s15, (.LBB1_19268-.Lpost_getpc6049)>>32
	s_setpc_b64 s[14:15]
.LBB1_4930:
	s_or_b64 exec, exec, s[6:7]
	s_and_saveexec_b64 s[6:7], s[4:5]
	s_cbranch_execz .LBB1_4932
.LBB1_4931:
	v_and_b32_e32 v2, 7, v8
	v_ffbh_u32_e32 v6, v2
	v_min_u32_e32 v6, 32, v6
	v_lshrrev_b16_e32 v3, 3, v8
	v_subrev_u32_e32 v7, 28, v6
	v_and_b32_e32 v3, 15, v3
	v_lshlrev_b32_e32 v7, v7, v8
	v_sub_u32_e32 v6, 29, v6
	v_and_b32_e32 v7, 7, v7
	v_cmp_eq_u16_e32 vcc, 0, v3
	v_cndmask_b32_e32 v2, v2, v7, vcc
	v_cndmask_b32_e32 v3, v3, v6, vcc
	v_lshlrev_b32_e32 v6, 24, v8
	v_mov_b32_e32 v7, 0x3b800000
	v_lshlrev_b32_e32 v2, 20, v2
	v_and_b32_e32 v6, 0x80000000, v6
	v_lshl_add_u32 v3, v3, 23, v7
	v_or3_b32 v2, v6, v3, v2
.LBB1_4932:
	s_or_b64 exec, exec, s[6:7]
	s_movk_i32 s4, 0x7f
	v_cmp_gt_i16_sdwa s[6:7], v4, s4 src0_sel:BYTE_0 src1_sel:DWORD
	s_mov_b64 s[4:5], 0
                                        ; implicit-def: $sgpr10
	s_and_saveexec_b64 s[8:9], s[6:7]
	s_xor_b64 s[6:7], exec, s[8:9]
	s_cbranch_execz .LBB1_4933
; %bb.40773:
	s_getpc_b64 s[14:15]
.Lpost_getpc6050:
	s_add_u32 s14, s14, (.LBB1_19269-.Lpost_getpc6050)&4294967295
	s_addc_u32 s15, s15, (.LBB1_19269-.Lpost_getpc6050)>>32
	s_setpc_b64 s[14:15]
.LBB1_4933:
	s_or_saveexec_b64 s[6:7], s[6:7]
	v_mov_b32_e32 v3, s10
	s_xor_b64 exec, exec, s[6:7]
	s_cbranch_execz .LBB1_4934
; %bb.40775:
	s_getpc_b64 s[14:15]
.Lpost_getpc6051:
	s_add_u32 s14, s14, (.LBB1_19272-.Lpost_getpc6051)&4294967295
	s_addc_u32 s15, s15, (.LBB1_19272-.Lpost_getpc6051)>>32
	s_setpc_b64 s[14:15]
.LBB1_4934:
	s_or_b64 exec, exec, s[6:7]
	s_and_saveexec_b64 s[6:7], s[4:5]
	s_cbranch_execz .LBB1_4936
.LBB1_4935:
	v_and_b32_e32 v3, 7, v4
	v_ffbh_u32_e32 v7, v3
	v_min_u32_e32 v7, 32, v7
	v_lshrrev_b16_e32 v6, 3, v4
	v_subrev_u32_e32 v12, 28, v7
	v_and_b32_e32 v6, 15, v6
	v_lshlrev_b32_e32 v12, v12, v4
	v_sub_u32_e32 v7, 29, v7
	v_and_b32_e32 v12, 7, v12
	v_cmp_eq_u16_e32 vcc, 0, v6
	v_cndmask_b32_e32 v3, v3, v12, vcc
	v_cndmask_b32_e32 v6, v6, v7, vcc
	v_lshlrev_b32_e32 v7, 24, v4
	v_mov_b32_e32 v12, 0x3b800000
	v_lshlrev_b32_e32 v3, 20, v3
	v_and_b32_e32 v7, 0x80000000, v7
	v_lshl_add_u32 v6, v6, 23, v12
	v_or3_b32 v3, v7, v6, v3
.LBB1_4936:
	s_or_b64 exec, exec, s[6:7]
	s_nop 0
	v_mfma_f32_16x16x4f32 a[0:3], v2, v3, a[0:3]
	v_lshrrev_b32_e32 v3, 8, v8
	s_movk_i32 s4, 0x7f
	v_cmp_gt_i16_sdwa s[6:7], v3, s4 src0_sel:BYTE_0 src1_sel:DWORD
	s_mov_b64 s[4:5], 0
                                        ; implicit-def: $sgpr10
	s_and_saveexec_b64 s[8:9], s[6:7]
	s_xor_b64 s[6:7], exec, s[8:9]
	s_cbranch_execz .LBB1_4937
; %bb.40777:
	s_getpc_b64 s[14:15]
.Lpost_getpc6052:
	s_add_u32 s14, s14, (.LBB1_19273-.Lpost_getpc6052)&4294967295
	s_addc_u32 s15, s15, (.LBB1_19273-.Lpost_getpc6052)>>32
	s_setpc_b64 s[14:15]
.LBB1_4937:
	s_or_saveexec_b64 s[6:7], s[6:7]
	v_mov_b32_e32 v2, s10
	s_xor_b64 exec, exec, s[6:7]
	s_cbranch_execz .LBB1_4938
; %bb.40779:
	s_getpc_b64 s[14:15]
.Lpost_getpc6053:
	s_add_u32 s14, s14, (.LBB1_19276-.Lpost_getpc6053)&4294967295
	s_addc_u32 s15, s15, (.LBB1_19276-.Lpost_getpc6053)>>32
	s_setpc_b64 s[14:15]
.LBB1_4938:
	s_or_b64 exec, exec, s[6:7]
	s_and_saveexec_b64 s[6:7], s[4:5]
	s_cbranch_execz .LBB1_4940
.LBB1_4939:
	v_bfe_u32 v2, v8, 8, 3
	v_ffbh_u32_e32 v7, v2
	v_min_u32_e32 v7, 32, v7
	v_lshrrev_b16_e32 v6, 3, v3
	v_subrev_u32_e32 v12, 28, v7
	v_and_b32_e32 v6, 15, v6
	v_lshlrev_b32_e32 v3, v12, v3
	v_sub_u32_e32 v7, 29, v7
	v_and_b32_e32 v3, 7, v3
	v_cmp_eq_u16_e32 vcc, 0, v6
	v_cndmask_b32_e32 v2, v2, v3, vcc
	v_cndmask_b32_e32 v3, v6, v7, vcc
	v_lshlrev_b32_e32 v6, 16, v8
	v_mov_b32_e32 v7, 0x3b800000
	v_lshlrev_b32_e32 v2, 20, v2
	v_and_b32_e32 v6, 0x80000000, v6
	v_lshl_add_u32 v3, v3, 23, v7
	v_or3_b32 v2, v6, v3, v2
.LBB1_4940:
	s_or_b64 exec, exec, s[6:7]
	v_lshrrev_b32_e32 v3, 8, v4
	s_movk_i32 s4, 0x7f
	v_cmp_gt_i16_sdwa s[6:7], v3, s4 src0_sel:BYTE_0 src1_sel:DWORD
	s_mov_b64 s[4:5], 0
                                        ; implicit-def: $sgpr10
	s_and_saveexec_b64 s[8:9], s[6:7]
	s_xor_b64 s[6:7], exec, s[8:9]
	s_cbranch_execz .LBB1_4941
; %bb.40781:
	s_getpc_b64 s[14:15]
.Lpost_getpc6054:
	s_add_u32 s14, s14, (.LBB1_19277-.Lpost_getpc6054)&4294967295
	s_addc_u32 s15, s15, (.LBB1_19277-.Lpost_getpc6054)>>32
	s_setpc_b64 s[14:15]
.LBB1_4941:
	s_or_saveexec_b64 s[6:7], s[6:7]
	v_mov_b32_e32 v6, s10
	s_xor_b64 exec, exec, s[6:7]
	s_cbranch_execz .LBB1_4942
; %bb.40783:
	s_getpc_b64 s[14:15]
.Lpost_getpc6055:
	s_add_u32 s14, s14, (.LBB1_19280-.Lpost_getpc6055)&4294967295
	s_addc_u32 s15, s15, (.LBB1_19280-.Lpost_getpc6055)>>32
	s_setpc_b64 s[14:15]
.LBB1_4942:
	s_or_b64 exec, exec, s[6:7]
	s_and_saveexec_b64 s[6:7], s[4:5]
	s_cbranch_execz .LBB1_4944
.LBB1_4943:
	v_bfe_u32 v6, v4, 8, 3
	v_ffbh_u32_e32 v12, v6
	v_min_u32_e32 v12, 32, v12
	v_lshrrev_b16_e32 v7, 3, v3
	v_subrev_u32_e32 v13, 28, v12
	v_and_b32_e32 v7, 15, v7
	v_lshlrev_b32_e32 v3, v13, v3
	v_sub_u32_e32 v12, 29, v12
	v_and_b32_e32 v3, 7, v3
	v_cmp_eq_u16_e32 vcc, 0, v7
	v_cndmask_b32_e32 v3, v6, v3, vcc
	v_cndmask_b32_e32 v6, v7, v12, vcc
	v_lshlrev_b32_e32 v7, 16, v4
	v_mov_b32_e32 v12, 0x3b800000
	v_lshlrev_b32_e32 v3, 20, v3
	v_and_b32_e32 v7, 0x80000000, v7
	v_lshl_add_u32 v6, v6, 23, v12
	v_or3_b32 v6, v7, v6, v3
.LBB1_4944:
	s_or_b64 exec, exec, s[6:7]
	s_nop 0
	v_mfma_f32_16x16x4f32 a[0:3], v2, v6, a[0:3]
	s_movk_i32 s4, 0xff
	v_and_b32_sdwa v3, v8, s4 dst_sel:DWORD dst_unused:UNUSED_PAD src0_sel:WORD_1 src1_sel:DWORD
	s_movk_i32 s4, 0x7f
	v_cmp_lt_i16_e32 vcc, s4, v3
	s_mov_b64 s[4:5], 0
                                        ; implicit-def: $sgpr10
	s_and_saveexec_b64 s[6:7], vcc
	s_xor_b64 s[6:7], exec, s[6:7]
	s_cbranch_execz .LBB1_4945
; %bb.40785:
	s_getpc_b64 s[14:15]
.Lpost_getpc6056:
	s_add_u32 s14, s14, (.LBB1_19281-.Lpost_getpc6056)&4294967295
	s_addc_u32 s15, s15, (.LBB1_19281-.Lpost_getpc6056)>>32
	s_setpc_b64 s[14:15]
.LBB1_4945:
	s_or_saveexec_b64 s[6:7], s[6:7]
	v_mov_b32_e32 v2, s10
	s_xor_b64 exec, exec, s[6:7]
	s_cbranch_execz .LBB1_4946
; %bb.40787:
	s_getpc_b64 s[14:15]
.Lpost_getpc6057:
	s_add_u32 s14, s14, (.LBB1_19284-.Lpost_getpc6057)&4294967295
	s_addc_u32 s15, s15, (.LBB1_19284-.Lpost_getpc6057)>>32
	s_setpc_b64 s[14:15]
.LBB1_4946:
	s_or_b64 exec, exec, s[6:7]
	s_and_saveexec_b64 s[6:7], s[4:5]
	s_cbranch_execz .LBB1_4948
.LBB1_4947:
	v_bfe_u32 v2, v8, 16, 3
	v_ffbh_u32_e32 v7, v2
	v_min_u32_e32 v7, 32, v7
	v_lshrrev_b32_e32 v3, 19, v8
	v_subrev_u32_e32 v12, 28, v7
	v_and_b32_e32 v3, 15, v3
	v_lshlrev_b32_sdwa v12, v12, v8 dst_sel:DWORD dst_unused:UNUSED_PAD src0_sel:DWORD src1_sel:WORD_1
	v_bfe_u32 v6, v8, 19, 4
	v_sub_u32_e32 v7, 29, v7
	v_and_b32_e32 v12, 7, v12
	v_cmp_eq_u16_e32 vcc, 0, v3
	v_cndmask_b32_e32 v2, v2, v12, vcc
	v_cndmask_b32_e32 v3, v6, v7, vcc
	v_lshlrev_b32_e32 v6, 8, v8
	v_mov_b32_e32 v7, 0x3b800000
	v_lshlrev_b32_e32 v2, 20, v2
	v_and_b32_e32 v6, 0x80000000, v6
	v_lshl_add_u32 v3, v3, 23, v7
	v_or3_b32 v2, v6, v3, v2
.LBB1_4948:
	s_or_b64 exec, exec, s[6:7]
	s_movk_i32 s4, 0xff
	v_and_b32_sdwa v3, v4, s4 dst_sel:DWORD dst_unused:UNUSED_PAD src0_sel:WORD_1 src1_sel:DWORD
	s_movk_i32 s4, 0x7f
	v_cmp_lt_i16_e32 vcc, s4, v3
	s_mov_b64 s[4:5], 0
                                        ; implicit-def: $sgpr10
	s_and_saveexec_b64 s[6:7], vcc
	s_xor_b64 s[6:7], exec, s[6:7]
	s_cbranch_execz .LBB1_4949
; %bb.40789:
	s_getpc_b64 s[14:15]
.Lpost_getpc6058:
	s_add_u32 s14, s14, (.LBB1_19285-.Lpost_getpc6058)&4294967295
	s_addc_u32 s15, s15, (.LBB1_19285-.Lpost_getpc6058)>>32
	s_setpc_b64 s[14:15]
.LBB1_4949:
	s_or_saveexec_b64 s[6:7], s[6:7]
	v_mov_b32_e32 v6, s10
	s_xor_b64 exec, exec, s[6:7]
	s_cbranch_execz .LBB1_4950
; %bb.40791:
	s_getpc_b64 s[14:15]
.Lpost_getpc6059:
	s_add_u32 s14, s14, (.LBB1_19288-.Lpost_getpc6059)&4294967295
	s_addc_u32 s15, s15, (.LBB1_19288-.Lpost_getpc6059)>>32
	s_setpc_b64 s[14:15]
.LBB1_4950:
	s_or_b64 exec, exec, s[6:7]
	s_and_saveexec_b64 s[6:7], s[4:5]
	s_cbranch_execz .LBB1_4952
.LBB1_4951:
	v_bfe_u32 v3, v4, 16, 3
	v_ffbh_u32_e32 v12, v3
	v_min_u32_e32 v12, 32, v12
	v_lshrrev_b32_e32 v6, 19, v4
	v_subrev_u32_e32 v13, 28, v12
	v_and_b32_e32 v6, 15, v6
	v_lshlrev_b32_sdwa v13, v13, v4 dst_sel:DWORD dst_unused:UNUSED_PAD src0_sel:DWORD src1_sel:WORD_1
	v_bfe_u32 v7, v4, 19, 4
	v_sub_u32_e32 v12, 29, v12
	v_and_b32_e32 v13, 7, v13
	v_cmp_eq_u16_e32 vcc, 0, v6
	v_cndmask_b32_e32 v3, v3, v13, vcc
	v_cndmask_b32_e32 v6, v7, v12, vcc
	v_lshlrev_b32_e32 v7, 8, v4
	v_mov_b32_e32 v12, 0x3b800000
	v_lshlrev_b32_e32 v3, 20, v3
	v_and_b32_e32 v7, 0x80000000, v7
	v_lshl_add_u32 v6, v6, 23, v12
	v_or3_b32 v6, v7, v6, v3
.LBB1_4952:
	s_or_b64 exec, exec, s[6:7]
	s_nop 0
	v_mfma_f32_16x16x4f32 a[0:3], v2, v6, a[0:3]
	s_movk_i32 s4, 0x7f
	v_cmp_gt_i16_sdwa s[6:7], v8, s4 src0_sel:BYTE_3 src1_sel:DWORD
	s_mov_b64 s[4:5], 0
                                        ; implicit-def: $sgpr10
	s_and_saveexec_b64 s[8:9], s[6:7]
	s_xor_b64 s[6:7], exec, s[8:9]
	s_cbranch_execz .LBB1_4953
; %bb.40793:
	s_getpc_b64 s[14:15]
.Lpost_getpc6060:
	s_add_u32 s14, s14, (.LBB1_19289-.Lpost_getpc6060)&4294967295
	s_addc_u32 s15, s15, (.LBB1_19289-.Lpost_getpc6060)>>32
	s_setpc_b64 s[14:15]
.LBB1_4953:
	s_or_saveexec_b64 s[6:7], s[6:7]
	v_mov_b32_e32 v2, s10
	s_xor_b64 exec, exec, s[6:7]
	s_cbranch_execz .LBB1_4954
; %bb.40795:
	s_getpc_b64 s[14:15]
.Lpost_getpc6061:
	s_add_u32 s14, s14, (.LBB1_19292-.Lpost_getpc6061)&4294967295
	s_addc_u32 s15, s15, (.LBB1_19292-.Lpost_getpc6061)>>32
	s_setpc_b64 s[14:15]
.LBB1_4954:
	s_or_b64 exec, exec, s[6:7]
	s_and_saveexec_b64 s[6:7], s[4:5]
	s_cbranch_execz .LBB1_4956
.LBB1_4955:
	v_bfe_u32 v2, v8, 24, 3
	v_ffbh_u32_e32 v12, v2
	v_min_u32_e32 v12, 32, v12
	v_lshrrev_b32_e32 v6, 27, v8
	v_subrev_u32_e32 v13, 28, v12
	v_and_b32_e32 v3, 0x80000000, v8
	v_and_b32_e32 v6, 15, v6
	v_bfe_u32 v7, v8, 27, 4
	v_lshlrev_b32_sdwa v8, v13, v8 dst_sel:DWORD dst_unused:UNUSED_PAD src0_sel:DWORD src1_sel:BYTE_3
	v_sub_u32_e32 v12, 29, v12
	v_and_b32_e32 v8, 7, v8
	v_cmp_eq_u16_e32 vcc, 0, v6
	v_cndmask_b32_e32 v2, v2, v8, vcc
	v_cndmask_b32_e32 v6, v7, v12, vcc
	v_mov_b32_e32 v7, 0x3b800000
	v_lshlrev_b32_e32 v2, 20, v2
	v_lshl_add_u32 v6, v6, 23, v7
	v_or3_b32 v2, v3, v6, v2
.LBB1_4956:
	s_or_b64 exec, exec, s[6:7]
	s_movk_i32 s4, 0x7f
	v_cmp_gt_i16_sdwa s[6:7], v4, s4 src0_sel:BYTE_3 src1_sel:DWORD
	s_mov_b64 s[4:5], 0
                                        ; implicit-def: $sgpr10
	s_and_saveexec_b64 s[8:9], s[6:7]
	s_xor_b64 s[6:7], exec, s[8:9]
	s_cbranch_execz .LBB1_4957
; %bb.40797:
	s_getpc_b64 s[14:15]
.Lpost_getpc6062:
	s_add_u32 s14, s14, (.LBB1_19293-.Lpost_getpc6062)&4294967295
	s_addc_u32 s15, s15, (.LBB1_19293-.Lpost_getpc6062)>>32
	s_setpc_b64 s[14:15]
.LBB1_4957:
	s_or_saveexec_b64 s[6:7], s[6:7]
	v_mov_b32_e32 v3, s10
	s_xor_b64 exec, exec, s[6:7]
	s_cbranch_execz .LBB1_4958
; %bb.40799:
	s_getpc_b64 s[14:15]
.Lpost_getpc6063:
	s_add_u32 s14, s14, (.LBB1_19296-.Lpost_getpc6063)&4294967295
	s_addc_u32 s15, s15, (.LBB1_19296-.Lpost_getpc6063)>>32
	s_setpc_b64 s[14:15]
.LBB1_4958:
	s_or_b64 exec, exec, s[6:7]
	s_and_saveexec_b64 s[6:7], s[4:5]
	s_cbranch_execz .LBB1_4960
.LBB1_4959:
	v_bfe_u32 v3, v4, 24, 3
	v_ffbh_u32_e32 v12, v3
	v_min_u32_e32 v12, 32, v12
	v_lshrrev_b32_e32 v7, 27, v4
	v_subrev_u32_e32 v13, 28, v12
	v_and_b32_e32 v6, 0x80000000, v4
	v_and_b32_e32 v7, 15, v7
	v_bfe_u32 v8, v4, 27, 4
	v_lshlrev_b32_sdwa v4, v13, v4 dst_sel:DWORD dst_unused:UNUSED_PAD src0_sel:DWORD src1_sel:BYTE_3
	v_sub_u32_e32 v12, 29, v12
	v_and_b32_e32 v4, 7, v4
	v_cmp_eq_u16_e32 vcc, 0, v7
	v_cndmask_b32_e32 v3, v3, v4, vcc
	v_cndmask_b32_e32 v4, v8, v12, vcc
	v_mov_b32_e32 v7, 0x3b800000
	v_lshlrev_b32_e32 v3, 20, v3
	v_lshl_add_u32 v4, v4, 23, v7
	v_or3_b32 v3, v6, v4, v3
.LBB1_4960:
	s_or_b64 exec, exec, s[6:7]
	s_nop 0
	v_mfma_f32_16x16x4f32 a[0:3], v2, v3, a[0:3]
	s_movk_i32 s4, 0x7f
	v_cmp_gt_i16_sdwa s[6:7], v9, s4 src0_sel:BYTE_0 src1_sel:DWORD
	s_mov_b64 s[4:5], 0
                                        ; implicit-def: $sgpr10
	s_and_saveexec_b64 s[8:9], s[6:7]
	s_xor_b64 s[6:7], exec, s[8:9]
	s_cbranch_execz .LBB1_4961
; %bb.40801:
	s_getpc_b64 s[14:15]
.Lpost_getpc6064:
	s_add_u32 s14, s14, (.LBB1_19297-.Lpost_getpc6064)&4294967295
	s_addc_u32 s15, s15, (.LBB1_19297-.Lpost_getpc6064)>>32
	s_setpc_b64 s[14:15]
.LBB1_4961:
	s_or_saveexec_b64 s[6:7], s[6:7]
	v_mov_b32_e32 v2, s10
	s_xor_b64 exec, exec, s[6:7]
	s_cbranch_execz .LBB1_4962
; %bb.40803:
	s_getpc_b64 s[14:15]
.Lpost_getpc6065:
	s_add_u32 s14, s14, (.LBB1_19300-.Lpost_getpc6065)&4294967295
	s_addc_u32 s15, s15, (.LBB1_19300-.Lpost_getpc6065)>>32
	s_setpc_b64 s[14:15]
.LBB1_4962:
	s_or_b64 exec, exec, s[6:7]
	s_and_saveexec_b64 s[6:7], s[4:5]
	s_cbranch_execz .LBB1_4964
.LBB1_4963:
	v_mov_b32_e32 v2, 8
	v_and_b32_e32 v3, 7, v9
	v_lshrrev_b32_sdwa v2, v2, v9 dst_sel:BYTE_1 dst_unused:UNUSED_PAD src0_sel:DWORD src1_sel:DWORD
	v_ffbh_u32_e32 v4, v3
	v_or_b32_sdwa v2, v9, v2 dst_sel:DWORD dst_unused:UNUSED_PAD src0_sel:BYTE_0 src1_sel:DWORD
	v_min_u32_e32 v4, 32, v4
	v_lshrrev_b16_e32 v2, 3, v2
	v_subrev_u32_e32 v6, 28, v4
	v_and_b32_e32 v2, 15, v2
	v_lshlrev_b32_e32 v6, v6, v9
	v_sub_u32_e32 v4, 29, v4
	v_and_b32_e32 v6, 7, v6
	v_cmp_eq_u16_e32 vcc, 0, v2
	v_cndmask_b32_e32 v3, v3, v6, vcc
	v_cndmask_b32_e32 v2, v2, v4, vcc
	v_lshlrev_b32_e32 v4, 24, v9
	v_mov_b32_e32 v6, 0x3b800000
	v_lshlrev_b32_e32 v3, 20, v3
	v_and_b32_e32 v4, 0x80000000, v4
	v_lshl_add_u32 v2, v2, 23, v6
	v_or3_b32 v2, v4, v2, v3
.LBB1_4964:
	s_or_b64 exec, exec, s[6:7]
	s_movk_i32 s4, 0x7f
	v_cmp_gt_i16_sdwa s[6:7], v5, s4 src0_sel:BYTE_0 src1_sel:DWORD
	s_mov_b64 s[4:5], 0
                                        ; implicit-def: $sgpr10
	s_and_saveexec_b64 s[8:9], s[6:7]
	s_xor_b64 s[6:7], exec, s[8:9]
	s_cbranch_execz .LBB1_4965
; %bb.40805:
	s_getpc_b64 s[14:15]
.Lpost_getpc6066:
	s_add_u32 s14, s14, (.LBB1_19301-.Lpost_getpc6066)&4294967295
	s_addc_u32 s15, s15, (.LBB1_19301-.Lpost_getpc6066)>>32
	s_setpc_b64 s[14:15]
.LBB1_4965:
	s_or_saveexec_b64 s[6:7], s[6:7]
	v_mov_b32_e32 v3, s10
	s_xor_b64 exec, exec, s[6:7]
	s_cbranch_execz .LBB1_4966
; %bb.40807:
	s_getpc_b64 s[14:15]
.Lpost_getpc6067:
	s_add_u32 s14, s14, (.LBB1_19304-.Lpost_getpc6067)&4294967295
	s_addc_u32 s15, s15, (.LBB1_19304-.Lpost_getpc6067)>>32
	s_setpc_b64 s[14:15]
.LBB1_4966:
	s_or_b64 exec, exec, s[6:7]
	s_and_saveexec_b64 s[6:7], s[4:5]
	s_cbranch_execz .LBB1_4968
.LBB1_4967:
	v_mov_b32_e32 v3, 8
	v_and_b32_e32 v4, 7, v5
	v_lshrrev_b32_sdwa v3, v3, v5 dst_sel:BYTE_1 dst_unused:UNUSED_PAD src0_sel:DWORD src1_sel:DWORD
	v_ffbh_u32_e32 v6, v4
	v_or_b32_sdwa v3, v5, v3 dst_sel:DWORD dst_unused:UNUSED_PAD src0_sel:BYTE_0 src1_sel:DWORD
	v_min_u32_e32 v6, 32, v6
	v_lshrrev_b16_e32 v3, 3, v3
	v_subrev_u32_e32 v7, 28, v6
	v_and_b32_e32 v3, 15, v3
	v_lshlrev_b32_e32 v7, v7, v5
	v_sub_u32_e32 v6, 29, v6
	v_and_b32_e32 v7, 7, v7
	v_cmp_eq_u16_e32 vcc, 0, v3
	v_cndmask_b32_e32 v4, v4, v7, vcc
	v_cndmask_b32_e32 v3, v3, v6, vcc
	v_lshlrev_b32_e32 v6, 24, v5
	v_mov_b32_e32 v7, 0x3b800000
	v_lshlrev_b32_e32 v4, 20, v4
	v_and_b32_e32 v6, 0x80000000, v6
	v_lshl_add_u32 v3, v3, 23, v7
	v_or3_b32 v3, v6, v3, v4
.LBB1_4968:
	s_or_b64 exec, exec, s[6:7]
	s_nop 0
	v_mfma_f32_16x16x4f32 a[0:3], v2, v3, a[0:3]
	v_lshrrev_b32_e32 v3, 8, v9
	s_movk_i32 s4, 0x7f
	v_cmp_gt_i16_sdwa s[6:7], v3, s4 src0_sel:BYTE_0 src1_sel:DWORD
	s_mov_b64 s[4:5], 0
                                        ; implicit-def: $sgpr10
	s_and_saveexec_b64 s[8:9], s[6:7]
	s_xor_b64 s[6:7], exec, s[8:9]
	s_cbranch_execz .LBB1_4969
; %bb.40809:
	s_getpc_b64 s[14:15]
.Lpost_getpc6068:
	s_add_u32 s14, s14, (.LBB1_19305-.Lpost_getpc6068)&4294967295
	s_addc_u32 s15, s15, (.LBB1_19305-.Lpost_getpc6068)>>32
	s_setpc_b64 s[14:15]
.LBB1_4969:
	s_or_saveexec_b64 s[6:7], s[6:7]
	v_mov_b32_e32 v2, s10
	s_xor_b64 exec, exec, s[6:7]
	s_cbranch_execz .LBB1_4970
; %bb.40811:
	s_getpc_b64 s[14:15]
.Lpost_getpc6069:
	s_add_u32 s14, s14, (.LBB1_19308-.Lpost_getpc6069)&4294967295
	s_addc_u32 s15, s15, (.LBB1_19308-.Lpost_getpc6069)>>32
	s_setpc_b64 s[14:15]
.LBB1_4970:
	s_or_b64 exec, exec, s[6:7]
	s_and_saveexec_b64 s[6:7], s[4:5]
	s_cbranch_execz .LBB1_4972
.LBB1_4971:
	v_bfe_u32 v2, v9, 8, 3
	v_ffbh_u32_e32 v6, v2
	v_min_u32_e32 v6, 32, v6
	v_lshrrev_b16_e32 v4, 3, v3
	v_subrev_u32_e32 v7, 28, v6
	v_and_b32_e32 v4, 15, v4
	v_lshlrev_b32_e32 v3, v7, v3
	v_sub_u32_e32 v6, 29, v6
	v_and_b32_e32 v3, 7, v3
	v_cmp_eq_u16_e32 vcc, 0, v4
	v_cndmask_b32_e32 v2, v2, v3, vcc
	v_cndmask_b32_e32 v3, v4, v6, vcc
	v_lshlrev_b32_e32 v4, 16, v9
	v_mov_b32_e32 v6, 0x3b800000
	v_lshlrev_b32_e32 v2, 20, v2
	v_and_b32_e32 v4, 0x80000000, v4
	v_lshl_add_u32 v3, v3, 23, v6
	v_or3_b32 v2, v4, v3, v2
.LBB1_4972:
	s_or_b64 exec, exec, s[6:7]
	v_lshrrev_b32_e32 v3, 8, v5
	s_movk_i32 s4, 0x7f
	v_cmp_gt_i16_sdwa s[6:7], v3, s4 src0_sel:BYTE_0 src1_sel:DWORD
	s_mov_b64 s[4:5], 0
                                        ; implicit-def: $sgpr10
	s_and_saveexec_b64 s[8:9], s[6:7]
	s_xor_b64 s[6:7], exec, s[8:9]
	s_cbranch_execz .LBB1_4973
; %bb.40813:
	s_getpc_b64 s[14:15]
.Lpost_getpc6070:
	s_add_u32 s14, s14, (.LBB1_19309-.Lpost_getpc6070)&4294967295
	s_addc_u32 s15, s15, (.LBB1_19309-.Lpost_getpc6070)>>32
	s_setpc_b64 s[14:15]
.LBB1_4973:
	s_or_saveexec_b64 s[6:7], s[6:7]
	v_mov_b32_e32 v4, s10
	s_xor_b64 exec, exec, s[6:7]
	s_cbranch_execz .LBB1_4974
; %bb.40815:
	s_getpc_b64 s[14:15]
.Lpost_getpc6071:
	s_add_u32 s14, s14, (.LBB1_19312-.Lpost_getpc6071)&4294967295
	s_addc_u32 s15, s15, (.LBB1_19312-.Lpost_getpc6071)>>32
	s_setpc_b64 s[14:15]
.LBB1_4974:
	s_or_b64 exec, exec, s[6:7]
	s_and_saveexec_b64 s[6:7], s[4:5]
	s_cbranch_execz .LBB1_4976
.LBB1_4975:
	v_bfe_u32 v4, v5, 8, 3
	v_ffbh_u32_e32 v7, v4
	v_min_u32_e32 v7, 32, v7
	v_lshrrev_b16_e32 v6, 3, v3
	v_subrev_u32_e32 v8, 28, v7
	v_and_b32_e32 v6, 15, v6
	v_lshlrev_b32_e32 v3, v8, v3
	v_sub_u32_e32 v7, 29, v7
	v_and_b32_e32 v3, 7, v3
	v_cmp_eq_u16_e32 vcc, 0, v6
	v_cndmask_b32_e32 v3, v4, v3, vcc
	v_cndmask_b32_e32 v4, v6, v7, vcc
	v_lshlrev_b32_e32 v6, 16, v5
	v_mov_b32_e32 v7, 0x3b800000
	v_lshlrev_b32_e32 v3, 20, v3
	v_and_b32_e32 v6, 0x80000000, v6
	v_lshl_add_u32 v4, v4, 23, v7
	v_or3_b32 v4, v6, v4, v3
.LBB1_4976:
	s_or_b64 exec, exec, s[6:7]
	s_nop 0
	v_mfma_f32_16x16x4f32 a[0:3], v2, v4, a[0:3]
	s_movk_i32 s4, 0xff
	v_and_b32_sdwa v3, v9, s4 dst_sel:DWORD dst_unused:UNUSED_PAD src0_sel:WORD_1 src1_sel:DWORD
	s_movk_i32 s4, 0x7f
	v_cmp_lt_i16_e32 vcc, s4, v3
	s_mov_b64 s[4:5], 0
                                        ; implicit-def: $sgpr10
	s_and_saveexec_b64 s[6:7], vcc
	s_xor_b64 s[6:7], exec, s[6:7]
	s_cbranch_execz .LBB1_4977
; %bb.40817:
	s_getpc_b64 s[14:15]
.Lpost_getpc6072:
	s_add_u32 s14, s14, (.LBB1_19313-.Lpost_getpc6072)&4294967295
	s_addc_u32 s15, s15, (.LBB1_19313-.Lpost_getpc6072)>>32
	s_setpc_b64 s[14:15]
.LBB1_4977:
	s_or_saveexec_b64 s[6:7], s[6:7]
	v_mov_b32_e32 v2, s10
	s_xor_b64 exec, exec, s[6:7]
	s_cbranch_execz .LBB1_4978
; %bb.40819:
	s_getpc_b64 s[14:15]
.Lpost_getpc6073:
	s_add_u32 s14, s14, (.LBB1_19316-.Lpost_getpc6073)&4294967295
	s_addc_u32 s15, s15, (.LBB1_19316-.Lpost_getpc6073)>>32
	s_setpc_b64 s[14:15]
.LBB1_4978:
	s_or_b64 exec, exec, s[6:7]
	s_and_saveexec_b64 s[6:7], s[4:5]
	s_cbranch_execz .LBB1_4980
.LBB1_4979:
	v_bfe_u32 v2, v9, 16, 3
	v_ffbh_u32_e32 v6, v2
	v_min_u32_e32 v6, 32, v6
	v_lshrrev_b32_e32 v3, 19, v9
	v_subrev_u32_e32 v7, 28, v6
	v_and_b32_e32 v3, 15, v3
	v_lshlrev_b32_sdwa v7, v7, v9 dst_sel:DWORD dst_unused:UNUSED_PAD src0_sel:DWORD src1_sel:WORD_1
	v_bfe_u32 v4, v9, 19, 4
	v_sub_u32_e32 v6, 29, v6
	v_and_b32_e32 v7, 7, v7
	v_cmp_eq_u16_e32 vcc, 0, v3
	v_cndmask_b32_e32 v2, v2, v7, vcc
	v_cndmask_b32_e32 v3, v4, v6, vcc
	v_lshlrev_b32_e32 v4, 8, v9
	v_mov_b32_e32 v6, 0x3b800000
	v_lshlrev_b32_e32 v2, 20, v2
	v_and_b32_e32 v4, 0x80000000, v4
	v_lshl_add_u32 v3, v3, 23, v6
	v_or3_b32 v2, v4, v3, v2
.LBB1_4980:
	s_or_b64 exec, exec, s[6:7]
	s_movk_i32 s4, 0xff
	v_and_b32_sdwa v3, v5, s4 dst_sel:DWORD dst_unused:UNUSED_PAD src0_sel:WORD_1 src1_sel:DWORD
	s_movk_i32 s4, 0x7f
	v_cmp_lt_i16_e32 vcc, s4, v3
	s_mov_b64 s[4:5], 0
                                        ; implicit-def: $sgpr10
	s_and_saveexec_b64 s[6:7], vcc
	s_xor_b64 s[6:7], exec, s[6:7]
	s_cbranch_execz .LBB1_4981
; %bb.40821:
	s_getpc_b64 s[14:15]
.Lpost_getpc6074:
	s_add_u32 s14, s14, (.LBB1_19317-.Lpost_getpc6074)&4294967295
	s_addc_u32 s15, s15, (.LBB1_19317-.Lpost_getpc6074)>>32
	s_setpc_b64 s[14:15]
.LBB1_4981:
	s_or_saveexec_b64 s[6:7], s[6:7]
	v_mov_b32_e32 v4, s10
	s_xor_b64 exec, exec, s[6:7]
	s_cbranch_execz .LBB1_4982
; %bb.40823:
	s_getpc_b64 s[14:15]
.Lpost_getpc6075:
	s_add_u32 s14, s14, (.LBB1_19320-.Lpost_getpc6075)&4294967295
	s_addc_u32 s15, s15, (.LBB1_19320-.Lpost_getpc6075)>>32
	s_setpc_b64 s[14:15]
.LBB1_4982:
	s_or_b64 exec, exec, s[6:7]
	s_and_saveexec_b64 s[6:7], s[4:5]
	s_cbranch_execz .LBB1_4984
.LBB1_4983:
	v_bfe_u32 v3, v5, 16, 3
	v_ffbh_u32_e32 v7, v3
	v_min_u32_e32 v7, 32, v7
	v_lshrrev_b32_e32 v4, 19, v5
	v_subrev_u32_e32 v8, 28, v7
	v_and_b32_e32 v4, 15, v4
	v_lshlrev_b32_sdwa v8, v8, v5 dst_sel:DWORD dst_unused:UNUSED_PAD src0_sel:DWORD src1_sel:WORD_1
	v_bfe_u32 v6, v5, 19, 4
	v_sub_u32_e32 v7, 29, v7
	v_and_b32_e32 v8, 7, v8
	v_cmp_eq_u16_e32 vcc, 0, v4
	v_cndmask_b32_e32 v3, v3, v8, vcc
	v_cndmask_b32_e32 v4, v6, v7, vcc
	v_lshlrev_b32_e32 v6, 8, v5
	v_mov_b32_e32 v7, 0x3b800000
	v_lshlrev_b32_e32 v3, 20, v3
	v_and_b32_e32 v6, 0x80000000, v6
	v_lshl_add_u32 v4, v4, 23, v7
	v_or3_b32 v4, v6, v4, v3
.LBB1_4984:
	s_or_b64 exec, exec, s[6:7]
	s_nop 0
	v_mfma_f32_16x16x4f32 a[0:3], v2, v4, a[0:3]
	s_movk_i32 s4, 0x7f
	v_cmp_gt_i16_sdwa s[6:7], v9, s4 src0_sel:BYTE_3 src1_sel:DWORD
	s_mov_b64 s[4:5], 0
                                        ; implicit-def: $sgpr10
	s_and_saveexec_b64 s[8:9], s[6:7]
	s_xor_b64 s[6:7], exec, s[8:9]
	s_cbranch_execz .LBB1_4985
; %bb.40825:
	s_getpc_b64 s[14:15]
.Lpost_getpc6076:
	s_add_u32 s14, s14, (.LBB1_19321-.Lpost_getpc6076)&4294967295
	s_addc_u32 s15, s15, (.LBB1_19321-.Lpost_getpc6076)>>32
	s_setpc_b64 s[14:15]
.LBB1_4985:
	s_or_saveexec_b64 s[6:7], s[6:7]
	v_mov_b32_e32 v2, s10
	s_xor_b64 exec, exec, s[6:7]
	s_cbranch_execz .LBB1_4986
; %bb.40827:
	s_getpc_b64 s[14:15]
.Lpost_getpc6077:
	s_add_u32 s14, s14, (.LBB1_19324-.Lpost_getpc6077)&4294967295
	s_addc_u32 s15, s15, (.LBB1_19324-.Lpost_getpc6077)>>32
	s_setpc_b64 s[14:15]
.LBB1_4986:
	s_or_b64 exec, exec, s[6:7]
	s_and_saveexec_b64 s[6:7], s[4:5]
	s_cbranch_execz .LBB1_4988
.LBB1_4987:
	v_bfe_u32 v2, v9, 24, 3
	v_ffbh_u32_e32 v7, v2
	v_min_u32_e32 v7, 32, v7
	v_lshrrev_b32_e32 v4, 27, v9
	v_subrev_u32_e32 v8, 28, v7
	v_and_b32_e32 v4, 15, v4
	v_lshlrev_b32_sdwa v8, v8, v9 dst_sel:DWORD dst_unused:UNUSED_PAD src0_sel:DWORD src1_sel:BYTE_3
	v_bfe_u32 v6, v9, 27, 4
	v_sub_u32_e32 v7, 29, v7
	v_and_b32_e32 v8, 7, v8
	v_cmp_eq_u16_e32 vcc, 0, v4
	v_cndmask_b32_e32 v2, v2, v8, vcc
	v_cndmask_b32_e32 v4, v6, v7, vcc
	v_mov_b32_e32 v6, 0x3b800000
	v_and_b32_e32 v3, 0x80000000, v9
	v_lshlrev_b32_e32 v2, 20, v2
	v_lshl_add_u32 v4, v4, 23, v6
	v_or3_b32 v2, v3, v4, v2
.LBB1_4988:
	s_or_b64 exec, exec, s[6:7]
	s_movk_i32 s4, 0x7f
	v_cmp_gt_i16_sdwa s[6:7], v5, s4 src0_sel:BYTE_3 src1_sel:DWORD
	s_mov_b64 s[4:5], 0
                                        ; implicit-def: $sgpr10
	s_and_saveexec_b64 s[8:9], s[6:7]
	s_xor_b64 s[6:7], exec, s[8:9]
	s_cbranch_execz .LBB1_4989
; %bb.40829:
	s_getpc_b64 s[14:15]
.Lpost_getpc6078:
	s_add_u32 s14, s14, (.LBB1_19325-.Lpost_getpc6078)&4294967295
	s_addc_u32 s15, s15, (.LBB1_19325-.Lpost_getpc6078)>>32
	s_setpc_b64 s[14:15]
.LBB1_4989:
	s_or_saveexec_b64 s[6:7], s[6:7]
	v_mov_b32_e32 v3, s10
	s_xor_b64 exec, exec, s[6:7]
	s_cbranch_execz .LBB1_4990
; %bb.40831:
	s_getpc_b64 s[14:15]
.Lpost_getpc6079:
	s_add_u32 s14, s14, (.LBB1_19328-.Lpost_getpc6079)&4294967295
	s_addc_u32 s15, s15, (.LBB1_19328-.Lpost_getpc6079)>>32
	s_setpc_b64 s[14:15]
.LBB1_4990:
	s_or_b64 exec, exec, s[6:7]
	s_and_saveexec_b64 s[6:7], s[4:5]
	s_cbranch_execz .LBB1_4992
.LBB1_4991:
	v_bfe_u32 v3, v5, 24, 3
	v_ffbh_u32_e32 v8, v3
	v_min_u32_e32 v8, 32, v8
	v_lshrrev_b32_e32 v6, 27, v5
	v_subrev_u32_e32 v9, 28, v8
	v_and_b32_e32 v4, 0x80000000, v5
	v_and_b32_e32 v6, 15, v6
	v_bfe_u32 v7, v5, 27, 4
	v_lshlrev_b32_sdwa v5, v9, v5 dst_sel:DWORD dst_unused:UNUSED_PAD src0_sel:DWORD src1_sel:BYTE_3
	v_sub_u32_e32 v8, 29, v8
	v_and_b32_e32 v5, 7, v5
	v_cmp_eq_u16_e32 vcc, 0, v6
	v_cndmask_b32_e32 v3, v3, v5, vcc
	v_cndmask_b32_e32 v5, v7, v8, vcc
	v_mov_b32_e32 v6, 0x3b800000
	v_lshlrev_b32_e32 v3, 20, v3
	v_lshl_add_u32 v5, v5, 23, v6
	v_or3_b32 v3, v4, v5, v3
.LBB1_4992:
	s_or_b64 exec, exec, s[6:7]
	s_nop 0
	v_mfma_f32_16x16x4f32 a[0:3], v2, v3, a[0:3]
	s_movk_i32 s4, 0x7f
                                        ; implicit-def: $sgpr10
	s_nop 7
	s_nop 1
	flat_store_dwordx4 v[10:11], a[0:3] offset:608
	flat_load_dwordx4 v[12:15], v[0:1]
	s_nop 0
	flat_load_dwordx2 v[10:11], v[0:1] offset:16
	s_waitcnt vmcnt(0) lgkmcnt(0)
	flat_load_dwordx4 v[6:9], v[12:13] offset:64
	flat_load_dwordx4 v[2:5], v[14:15] offset:112
	s_waitcnt vmcnt(0) lgkmcnt(0)
	v_cmp_gt_i16_sdwa s[6:7], v6, s4 src0_sel:BYTE_0 src1_sel:DWORD
	s_mov_b64 s[4:5], 0
	s_and_saveexec_b64 s[8:9], s[6:7]
	s_xor_b64 s[6:7], exec, s[8:9]
	s_cbranch_execz .LBB1_4993
; %bb.40833:
	s_getpc_b64 s[14:15]
.Lpost_getpc6080:
	s_add_u32 s14, s14, (.LBB1_19329-.Lpost_getpc6080)&4294967295
	s_addc_u32 s15, s15, (.LBB1_19329-.Lpost_getpc6080)>>32
	s_setpc_b64 s[14:15]
.LBB1_4993:
	s_or_saveexec_b64 s[6:7], s[6:7]
	v_mov_b32_e32 v12, s10
	s_xor_b64 exec, exec, s[6:7]
	s_cbranch_execz .LBB1_4994
; %bb.40835:
	s_getpc_b64 s[14:15]
.Lpost_getpc6081:
	s_add_u32 s14, s14, (.LBB1_19332-.Lpost_getpc6081)&4294967295
	s_addc_u32 s15, s15, (.LBB1_19332-.Lpost_getpc6081)>>32
	s_setpc_b64 s[14:15]
.LBB1_4994:
	s_or_b64 exec, exec, s[6:7]
	s_and_saveexec_b64 s[6:7], s[4:5]
	s_cbranch_execz .LBB1_4996
.LBB1_4995:
	v_and_b32_e32 v12, 7, v6
	v_ffbh_u32_e32 v14, v12
	v_min_u32_e32 v14, 32, v14
	v_lshrrev_b16_e32 v13, 3, v6
	v_subrev_u32_e32 v15, 28, v14
	v_and_b32_e32 v13, 15, v13
	v_lshlrev_b32_e32 v15, v15, v6
	v_sub_u32_e32 v14, 29, v14
	v_and_b32_e32 v15, 7, v15
	v_cmp_eq_u16_e32 vcc, 0, v13
	v_cndmask_b32_e32 v12, v12, v15, vcc
	v_cndmask_b32_e32 v13, v13, v14, vcc
	v_lshlrev_b32_e32 v14, 24, v6
	v_mov_b32_e32 v15, 0x3b800000
	v_lshlrev_b32_e32 v12, 20, v12
	v_and_b32_e32 v14, 0x80000000, v14
	v_lshl_add_u32 v13, v13, 23, v15
	v_or3_b32 v12, v14, v13, v12
.LBB1_4996:
	s_or_b64 exec, exec, s[6:7]
	s_movk_i32 s4, 0x7f
	v_cmp_gt_i16_sdwa s[6:7], v2, s4 src0_sel:BYTE_0 src1_sel:DWORD
	s_mov_b64 s[4:5], 0
                                        ; implicit-def: $sgpr10
	s_and_saveexec_b64 s[8:9], s[6:7]
	s_xor_b64 s[6:7], exec, s[8:9]
	s_cbranch_execz .LBB1_4997
; %bb.40837:
	s_getpc_b64 s[14:15]
.Lpost_getpc6082:
	s_add_u32 s14, s14, (.LBB1_19333-.Lpost_getpc6082)&4294967295
	s_addc_u32 s15, s15, (.LBB1_19333-.Lpost_getpc6082)>>32
	s_setpc_b64 s[14:15]
.LBB1_4997:
	s_or_saveexec_b64 s[6:7], s[6:7]
	v_mov_b32_e32 v13, s10
	s_xor_b64 exec, exec, s[6:7]
	s_cbranch_execz .LBB1_4998
; %bb.40839:
	s_getpc_b64 s[14:15]
.Lpost_getpc6083:
	s_add_u32 s14, s14, (.LBB1_19336-.Lpost_getpc6083)&4294967295
	s_addc_u32 s15, s15, (.LBB1_19336-.Lpost_getpc6083)>>32
	s_setpc_b64 s[14:15]
.LBB1_4998:
	s_or_b64 exec, exec, s[6:7]
	s_and_saveexec_b64 s[6:7], s[4:5]
	s_cbranch_execz .LBB1_5000
.LBB1_4999:
	v_and_b32_e32 v13, 7, v2
	v_ffbh_u32_e32 v15, v13
	v_min_u32_e32 v15, 32, v15
	v_lshrrev_b16_e32 v14, 3, v2
	v_subrev_u32_e32 v16, 28, v15
	v_and_b32_e32 v14, 15, v14
	v_lshlrev_b32_e32 v16, v16, v2
	v_sub_u32_e32 v15, 29, v15
	v_and_b32_e32 v16, 7, v16
	v_cmp_eq_u16_e32 vcc, 0, v14
	v_cndmask_b32_e32 v13, v13, v16, vcc
	v_cndmask_b32_e32 v14, v14, v15, vcc
	v_lshlrev_b32_e32 v15, 24, v2
	v_mov_b32_e32 v16, 0x3b800000
	v_lshlrev_b32_e32 v13, 20, v13
	v_and_b32_e32 v15, 0x80000000, v15
	v_lshl_add_u32 v14, v14, 23, v16
	v_or3_b32 v13, v15, v14, v13
.LBB1_5000:
	s_or_b64 exec, exec, s[6:7]
	flat_load_dwordx4 a[0:3], v[10:11] offset:624
	s_movk_i32 s4, 0x7f
                                        ; implicit-def: $sgpr10
	s_waitcnt vmcnt(0) lgkmcnt(0)
	v_mfma_f32_16x16x4f32 a[0:3], v12, v13, a[0:3]
	v_lshrrev_b32_e32 v13, 8, v6
	v_cmp_gt_i16_sdwa s[6:7], v13, s4 src0_sel:BYTE_0 src1_sel:DWORD
	s_mov_b64 s[4:5], 0
	s_and_saveexec_b64 s[8:9], s[6:7]
	s_xor_b64 s[6:7], exec, s[8:9]
	s_cbranch_execz .LBB1_5001
; %bb.40841:
	s_getpc_b64 s[14:15]
.Lpost_getpc6084:
	s_add_u32 s14, s14, (.LBB1_19337-.Lpost_getpc6084)&4294967295
	s_addc_u32 s15, s15, (.LBB1_19337-.Lpost_getpc6084)>>32
	s_setpc_b64 s[14:15]
.LBB1_5001:
	s_or_saveexec_b64 s[6:7], s[6:7]
	v_mov_b32_e32 v12, s10
	s_xor_b64 exec, exec, s[6:7]
	s_cbranch_execz .LBB1_5002
; %bb.40843:
	s_getpc_b64 s[14:15]
.Lpost_getpc6085:
	s_add_u32 s14, s14, (.LBB1_19340-.Lpost_getpc6085)&4294967295
	s_addc_u32 s15, s15, (.LBB1_19340-.Lpost_getpc6085)>>32
	s_setpc_b64 s[14:15]
.LBB1_5002:
	s_or_b64 exec, exec, s[6:7]
	s_and_saveexec_b64 s[6:7], s[4:5]
	s_cbranch_execz .LBB1_5004
.LBB1_5003:
	v_bfe_u32 v12, v6, 8, 3
	v_ffbh_u32_e32 v15, v12
	v_min_u32_e32 v15, 32, v15
	v_lshrrev_b16_e32 v14, 3, v13
	v_subrev_u32_e32 v16, 28, v15
	v_and_b32_e32 v14, 15, v14
	v_lshlrev_b32_e32 v13, v16, v13
	v_sub_u32_e32 v15, 29, v15
	v_and_b32_e32 v13, 7, v13
	v_cmp_eq_u16_e32 vcc, 0, v14
	v_cndmask_b32_e32 v12, v12, v13, vcc
	v_cndmask_b32_e32 v13, v14, v15, vcc
	v_lshlrev_b32_e32 v14, 16, v6
	v_mov_b32_e32 v15, 0x3b800000
	v_lshlrev_b32_e32 v12, 20, v12
	v_and_b32_e32 v14, 0x80000000, v14
	v_lshl_add_u32 v13, v13, 23, v15
	v_or3_b32 v12, v14, v13, v12
.LBB1_5004:
	s_or_b64 exec, exec, s[6:7]
	v_lshrrev_b32_e32 v13, 8, v2
	s_movk_i32 s4, 0x7f
	v_cmp_gt_i16_sdwa s[6:7], v13, s4 src0_sel:BYTE_0 src1_sel:DWORD
	s_mov_b64 s[4:5], 0
                                        ; implicit-def: $sgpr10
	s_and_saveexec_b64 s[8:9], s[6:7]
	s_xor_b64 s[6:7], exec, s[8:9]
	s_cbranch_execz .LBB1_5005
; %bb.40845:
	s_getpc_b64 s[14:15]
.Lpost_getpc6086:
	s_add_u32 s14, s14, (.LBB1_19341-.Lpost_getpc6086)&4294967295
	s_addc_u32 s15, s15, (.LBB1_19341-.Lpost_getpc6086)>>32
	s_setpc_b64 s[14:15]
.LBB1_5005:
	s_or_saveexec_b64 s[6:7], s[6:7]
	v_mov_b32_e32 v14, s10
	s_xor_b64 exec, exec, s[6:7]
	s_cbranch_execz .LBB1_5006
; %bb.40847:
	s_getpc_b64 s[14:15]
.Lpost_getpc6087:
	s_add_u32 s14, s14, (.LBB1_19344-.Lpost_getpc6087)&4294967295
	s_addc_u32 s15, s15, (.LBB1_19344-.Lpost_getpc6087)>>32
	s_setpc_b64 s[14:15]
.LBB1_5006:
	s_or_b64 exec, exec, s[6:7]
	s_and_saveexec_b64 s[6:7], s[4:5]
	s_cbranch_execz .LBB1_5008
.LBB1_5007:
	v_bfe_u32 v14, v2, 8, 3
	v_ffbh_u32_e32 v16, v14
	v_min_u32_e32 v16, 32, v16
	v_lshrrev_b16_e32 v15, 3, v13
	v_subrev_u32_e32 v17, 28, v16
	v_and_b32_e32 v15, 15, v15
	v_lshlrev_b32_e32 v13, v17, v13
	v_sub_u32_e32 v16, 29, v16
	v_and_b32_e32 v13, 7, v13
	v_cmp_eq_u16_e32 vcc, 0, v15
	v_cndmask_b32_e32 v13, v14, v13, vcc
	v_cndmask_b32_e32 v14, v15, v16, vcc
	v_lshlrev_b32_e32 v15, 16, v2
	v_mov_b32_e32 v16, 0x3b800000
	v_lshlrev_b32_e32 v13, 20, v13
	v_and_b32_e32 v15, 0x80000000, v15
	v_lshl_add_u32 v14, v14, 23, v16
	v_or3_b32 v14, v15, v14, v13
.LBB1_5008:
	s_or_b64 exec, exec, s[6:7]
	s_nop 0
	v_mfma_f32_16x16x4f32 a[0:3], v12, v14, a[0:3]
	s_movk_i32 s4, 0xff
	v_and_b32_sdwa v13, v6, s4 dst_sel:DWORD dst_unused:UNUSED_PAD src0_sel:WORD_1 src1_sel:DWORD
	s_movk_i32 s4, 0x7f
	v_cmp_lt_i16_e32 vcc, s4, v13
	s_mov_b64 s[4:5], 0
                                        ; implicit-def: $sgpr10
	s_and_saveexec_b64 s[6:7], vcc
	s_xor_b64 s[6:7], exec, s[6:7]
	s_cbranch_execz .LBB1_5009
; %bb.40849:
	s_getpc_b64 s[14:15]
.Lpost_getpc6088:
	s_add_u32 s14, s14, (.LBB1_19345-.Lpost_getpc6088)&4294967295
	s_addc_u32 s15, s15, (.LBB1_19345-.Lpost_getpc6088)>>32
	s_setpc_b64 s[14:15]
.LBB1_5009:
	s_or_saveexec_b64 s[6:7], s[6:7]
	v_mov_b32_e32 v12, s10
	s_xor_b64 exec, exec, s[6:7]
	s_cbranch_execz .LBB1_5010
; %bb.40851:
	s_getpc_b64 s[14:15]
.Lpost_getpc6089:
	s_add_u32 s14, s14, (.LBB1_19348-.Lpost_getpc6089)&4294967295
	s_addc_u32 s15, s15, (.LBB1_19348-.Lpost_getpc6089)>>32
	s_setpc_b64 s[14:15]
.LBB1_5010:
	s_or_b64 exec, exec, s[6:7]
	s_and_saveexec_b64 s[6:7], s[4:5]
	s_cbranch_execz .LBB1_5012
.LBB1_5011:
	v_bfe_u32 v12, v6, 16, 3
	v_ffbh_u32_e32 v15, v12
	v_min_u32_e32 v15, 32, v15
	v_lshrrev_b32_e32 v13, 19, v6
	v_subrev_u32_e32 v16, 28, v15
	v_and_b32_e32 v13, 15, v13
	v_lshlrev_b32_sdwa v16, v16, v6 dst_sel:DWORD dst_unused:UNUSED_PAD src0_sel:DWORD src1_sel:WORD_1
	v_bfe_u32 v14, v6, 19, 4
	v_sub_u32_e32 v15, 29, v15
	v_and_b32_e32 v16, 7, v16
	v_cmp_eq_u16_e32 vcc, 0, v13
	v_cndmask_b32_e32 v12, v12, v16, vcc
	v_cndmask_b32_e32 v13, v14, v15, vcc
	v_lshlrev_b32_e32 v14, 8, v6
	v_mov_b32_e32 v15, 0x3b800000
	v_lshlrev_b32_e32 v12, 20, v12
	v_and_b32_e32 v14, 0x80000000, v14
	v_lshl_add_u32 v13, v13, 23, v15
	v_or3_b32 v12, v14, v13, v12
.LBB1_5012:
	s_or_b64 exec, exec, s[6:7]
	s_movk_i32 s4, 0xff
	v_and_b32_sdwa v13, v2, s4 dst_sel:DWORD dst_unused:UNUSED_PAD src0_sel:WORD_1 src1_sel:DWORD
	s_movk_i32 s4, 0x7f
	v_cmp_lt_i16_e32 vcc, s4, v13
	s_mov_b64 s[4:5], 0
                                        ; implicit-def: $sgpr10
	s_and_saveexec_b64 s[6:7], vcc
	s_xor_b64 s[6:7], exec, s[6:7]
	s_cbranch_execz .LBB1_5013
; %bb.40853:
	s_getpc_b64 s[14:15]
.Lpost_getpc6090:
	s_add_u32 s14, s14, (.LBB1_19349-.Lpost_getpc6090)&4294967295
	s_addc_u32 s15, s15, (.LBB1_19349-.Lpost_getpc6090)>>32
	s_setpc_b64 s[14:15]
.LBB1_5013:
	s_or_saveexec_b64 s[6:7], s[6:7]
	v_mov_b32_e32 v14, s10
	s_xor_b64 exec, exec, s[6:7]
	s_cbranch_execz .LBB1_5014
; %bb.40855:
	s_getpc_b64 s[14:15]
.Lpost_getpc6091:
	s_add_u32 s14, s14, (.LBB1_19352-.Lpost_getpc6091)&4294967295
	s_addc_u32 s15, s15, (.LBB1_19352-.Lpost_getpc6091)>>32
	s_setpc_b64 s[14:15]
.LBB1_5014:
	s_or_b64 exec, exec, s[6:7]
	s_and_saveexec_b64 s[6:7], s[4:5]
	s_cbranch_execz .LBB1_5016
.LBB1_5015:
	v_bfe_u32 v13, v2, 16, 3
	v_ffbh_u32_e32 v16, v13
	v_min_u32_e32 v16, 32, v16
	v_lshrrev_b32_e32 v14, 19, v2
	v_subrev_u32_e32 v17, 28, v16
	v_and_b32_e32 v14, 15, v14
	v_lshlrev_b32_sdwa v17, v17, v2 dst_sel:DWORD dst_unused:UNUSED_PAD src0_sel:DWORD src1_sel:WORD_1
	v_bfe_u32 v15, v2, 19, 4
	v_sub_u32_e32 v16, 29, v16
	v_and_b32_e32 v17, 7, v17
	v_cmp_eq_u16_e32 vcc, 0, v14
	v_cndmask_b32_e32 v13, v13, v17, vcc
	v_cndmask_b32_e32 v14, v15, v16, vcc
	v_lshlrev_b32_e32 v15, 8, v2
	v_mov_b32_e32 v16, 0x3b800000
	v_lshlrev_b32_e32 v13, 20, v13
	v_and_b32_e32 v15, 0x80000000, v15
	v_lshl_add_u32 v14, v14, 23, v16
	v_or3_b32 v14, v15, v14, v13
.LBB1_5016:
	s_or_b64 exec, exec, s[6:7]
	s_nop 0
	v_mfma_f32_16x16x4f32 a[0:3], v12, v14, a[0:3]
	s_movk_i32 s4, 0x7f
	v_cmp_gt_i16_sdwa s[6:7], v6, s4 src0_sel:BYTE_3 src1_sel:DWORD
	s_mov_b64 s[4:5], 0
                                        ; implicit-def: $sgpr10
	s_and_saveexec_b64 s[8:9], s[6:7]
	s_xor_b64 s[6:7], exec, s[8:9]
	s_cbranch_execz .LBB1_5017
; %bb.40857:
	s_getpc_b64 s[14:15]
.Lpost_getpc6092:
	s_add_u32 s14, s14, (.LBB1_19353-.Lpost_getpc6092)&4294967295
	s_addc_u32 s15, s15, (.LBB1_19353-.Lpost_getpc6092)>>32
	s_setpc_b64 s[14:15]
.LBB1_5017:
	s_or_saveexec_b64 s[6:7], s[6:7]
	v_mov_b32_e32 v12, s10
	s_xor_b64 exec, exec, s[6:7]
	s_cbranch_execz .LBB1_5018
; %bb.40859:
	s_getpc_b64 s[14:15]
.Lpost_getpc6093:
	s_add_u32 s14, s14, (.LBB1_19356-.Lpost_getpc6093)&4294967295
	s_addc_u32 s15, s15, (.LBB1_19356-.Lpost_getpc6093)>>32
	s_setpc_b64 s[14:15]
.LBB1_5018:
	s_or_b64 exec, exec, s[6:7]
	s_and_saveexec_b64 s[6:7], s[4:5]
	s_cbranch_execz .LBB1_5020
.LBB1_5019:
	v_bfe_u32 v12, v6, 24, 3
	v_ffbh_u32_e32 v16, v12
	v_min_u32_e32 v16, 32, v16
	v_lshrrev_b32_e32 v14, 27, v6
	v_subrev_u32_e32 v17, 28, v16
	v_and_b32_e32 v13, 0x80000000, v6
	v_and_b32_e32 v14, 15, v14
	v_bfe_u32 v15, v6, 27, 4
	v_lshlrev_b32_sdwa v6, v17, v6 dst_sel:DWORD dst_unused:UNUSED_PAD src0_sel:DWORD src1_sel:BYTE_3
	v_sub_u32_e32 v16, 29, v16
	v_and_b32_e32 v6, 7, v6
	v_cmp_eq_u16_e32 vcc, 0, v14
	v_cndmask_b32_e32 v6, v12, v6, vcc
	v_cndmask_b32_e32 v12, v15, v16, vcc
	v_mov_b32_e32 v14, 0x3b800000
	v_lshlrev_b32_e32 v6, 20, v6
	v_lshl_add_u32 v12, v12, 23, v14
	v_or3_b32 v12, v13, v12, v6
.LBB1_5020:
	s_or_b64 exec, exec, s[6:7]
	s_movk_i32 s4, 0x7f
	v_cmp_gt_i16_sdwa s[6:7], v2, s4 src0_sel:BYTE_3 src1_sel:DWORD
	s_mov_b64 s[4:5], 0
                                        ; implicit-def: $sgpr10
	s_and_saveexec_b64 s[8:9], s[6:7]
	s_xor_b64 s[6:7], exec, s[8:9]
	s_cbranch_execz .LBB1_5021
; %bb.40861:
	s_getpc_b64 s[14:15]
.Lpost_getpc6094:
	s_add_u32 s14, s14, (.LBB1_19357-.Lpost_getpc6094)&4294967295
	s_addc_u32 s15, s15, (.LBB1_19357-.Lpost_getpc6094)>>32
	s_setpc_b64 s[14:15]
.LBB1_5021:
	s_or_saveexec_b64 s[6:7], s[6:7]
	v_mov_b32_e32 v6, s10
	s_xor_b64 exec, exec, s[6:7]
	s_cbranch_execz .LBB1_5022
; %bb.40863:
	s_getpc_b64 s[14:15]
.Lpost_getpc6095:
	s_add_u32 s14, s14, (.LBB1_19360-.Lpost_getpc6095)&4294967295
	s_addc_u32 s15, s15, (.LBB1_19360-.Lpost_getpc6095)>>32
	s_setpc_b64 s[14:15]
.LBB1_5022:
	s_or_b64 exec, exec, s[6:7]
	s_and_saveexec_b64 s[6:7], s[4:5]
	s_cbranch_execz .LBB1_5024
.LBB1_5023:
	v_bfe_u32 v6, v2, 24, 3
	v_ffbh_u32_e32 v16, v6
	v_min_u32_e32 v16, 32, v16
	v_lshrrev_b32_e32 v14, 27, v2
	v_subrev_u32_e32 v17, 28, v16
	v_and_b32_e32 v13, 0x80000000, v2
	v_and_b32_e32 v14, 15, v14
	v_bfe_u32 v15, v2, 27, 4
	v_lshlrev_b32_sdwa v2, v17, v2 dst_sel:DWORD dst_unused:UNUSED_PAD src0_sel:DWORD src1_sel:BYTE_3
	v_sub_u32_e32 v16, 29, v16
	v_and_b32_e32 v2, 7, v2
	v_cmp_eq_u16_e32 vcc, 0, v14
	v_cndmask_b32_e32 v2, v6, v2, vcc
	v_cndmask_b32_e32 v6, v15, v16, vcc
	v_mov_b32_e32 v14, 0x3b800000
	v_lshlrev_b32_e32 v2, 20, v2
	v_lshl_add_u32 v6, v6, 23, v14
	v_or3_b32 v6, v13, v6, v2
.LBB1_5024:
	s_or_b64 exec, exec, s[6:7]
	s_nop 0
	v_mfma_f32_16x16x4f32 a[0:3], v12, v6, a[0:3]
	s_movk_i32 s4, 0x7f
	v_cmp_gt_i16_sdwa s[6:7], v7, s4 src0_sel:BYTE_0 src1_sel:DWORD
	s_mov_b64 s[4:5], 0
                                        ; implicit-def: $sgpr10
	s_and_saveexec_b64 s[8:9], s[6:7]
	s_xor_b64 s[6:7], exec, s[8:9]
	s_cbranch_execz .LBB1_5025
; %bb.40865:
	s_getpc_b64 s[14:15]
.Lpost_getpc6096:
	s_add_u32 s14, s14, (.LBB1_19361-.Lpost_getpc6096)&4294967295
	s_addc_u32 s15, s15, (.LBB1_19361-.Lpost_getpc6096)>>32
	s_setpc_b64 s[14:15]
.LBB1_5025:
	s_or_saveexec_b64 s[6:7], s[6:7]
	v_mov_b32_e32 v2, s10
	s_xor_b64 exec, exec, s[6:7]
	s_cbranch_execz .LBB1_5026
; %bb.40867:
	s_getpc_b64 s[14:15]
.Lpost_getpc6097:
	s_add_u32 s14, s14, (.LBB1_19364-.Lpost_getpc6097)&4294967295
	s_addc_u32 s15, s15, (.LBB1_19364-.Lpost_getpc6097)>>32
	s_setpc_b64 s[14:15]
.LBB1_5026:
	s_or_b64 exec, exec, s[6:7]
	s_and_saveexec_b64 s[6:7], s[4:5]
	s_cbranch_execz .LBB1_5028
.LBB1_5027:
	v_and_b32_e32 v2, 7, v7
	v_ffbh_u32_e32 v12, v2
	v_min_u32_e32 v12, 32, v12
	v_lshrrev_b16_e32 v6, 3, v7
	v_subrev_u32_e32 v13, 28, v12
	v_and_b32_e32 v6, 15, v6
	v_lshlrev_b32_e32 v13, v13, v7
	v_sub_u32_e32 v12, 29, v12
	v_and_b32_e32 v13, 7, v13
	v_cmp_eq_u16_e32 vcc, 0, v6
	v_cndmask_b32_e32 v2, v2, v13, vcc
	v_cndmask_b32_e32 v6, v6, v12, vcc
	v_lshlrev_b32_e32 v12, 24, v7
	v_mov_b32_e32 v13, 0x3b800000
	v_lshlrev_b32_e32 v2, 20, v2
	v_and_b32_e32 v12, 0x80000000, v12
	v_lshl_add_u32 v6, v6, 23, v13
	v_or3_b32 v2, v12, v6, v2
.LBB1_5028:
	s_or_b64 exec, exec, s[6:7]
	s_movk_i32 s4, 0x7f
	v_cmp_gt_i16_sdwa s[6:7], v3, s4 src0_sel:BYTE_0 src1_sel:DWORD
	s_mov_b64 s[4:5], 0
                                        ; implicit-def: $sgpr10
	s_and_saveexec_b64 s[8:9], s[6:7]
	s_xor_b64 s[6:7], exec, s[8:9]
	s_cbranch_execz .LBB1_5029
; %bb.40869:
	s_getpc_b64 s[14:15]
.Lpost_getpc6098:
	s_add_u32 s14, s14, (.LBB1_19365-.Lpost_getpc6098)&4294967295
	s_addc_u32 s15, s15, (.LBB1_19365-.Lpost_getpc6098)>>32
	s_setpc_b64 s[14:15]
.LBB1_5029:
	s_or_saveexec_b64 s[6:7], s[6:7]
	v_mov_b32_e32 v6, s10
	s_xor_b64 exec, exec, s[6:7]
	s_cbranch_execz .LBB1_5030
; %bb.40871:
	s_getpc_b64 s[14:15]
.Lpost_getpc6099:
	s_add_u32 s14, s14, (.LBB1_19368-.Lpost_getpc6099)&4294967295
	s_addc_u32 s15, s15, (.LBB1_19368-.Lpost_getpc6099)>>32
	s_setpc_b64 s[14:15]
.LBB1_5030:
	s_or_b64 exec, exec, s[6:7]
	s_and_saveexec_b64 s[6:7], s[4:5]
	s_cbranch_execz .LBB1_5032
.LBB1_5031:
	v_and_b32_e32 v6, 7, v3
	v_ffbh_u32_e32 v13, v6
	v_min_u32_e32 v13, 32, v13
	v_lshrrev_b16_e32 v12, 3, v3
	v_subrev_u32_e32 v14, 28, v13
	v_and_b32_e32 v12, 15, v12
	v_lshlrev_b32_e32 v14, v14, v3
	v_sub_u32_e32 v13, 29, v13
	v_and_b32_e32 v14, 7, v14
	v_cmp_eq_u16_e32 vcc, 0, v12
	v_cndmask_b32_e32 v6, v6, v14, vcc
	v_cndmask_b32_e32 v12, v12, v13, vcc
	v_lshlrev_b32_e32 v13, 24, v3
	v_mov_b32_e32 v14, 0x3b800000
	v_lshlrev_b32_e32 v6, 20, v6
	v_and_b32_e32 v13, 0x80000000, v13
	v_lshl_add_u32 v12, v12, 23, v14
	v_or3_b32 v6, v13, v12, v6
.LBB1_5032:
	s_or_b64 exec, exec, s[6:7]
	s_nop 0
	v_mfma_f32_16x16x4f32 a[0:3], v2, v6, a[0:3]
	v_lshrrev_b32_e32 v6, 8, v7
	s_movk_i32 s4, 0x7f
	v_cmp_gt_i16_sdwa s[6:7], v6, s4 src0_sel:BYTE_0 src1_sel:DWORD
	s_mov_b64 s[4:5], 0
                                        ; implicit-def: $sgpr10
	s_and_saveexec_b64 s[8:9], s[6:7]
	s_xor_b64 s[6:7], exec, s[8:9]
	s_cbranch_execz .LBB1_5033
; %bb.40873:
	s_getpc_b64 s[14:15]
.Lpost_getpc6100:
	s_add_u32 s14, s14, (.LBB1_19369-.Lpost_getpc6100)&4294967295
	s_addc_u32 s15, s15, (.LBB1_19369-.Lpost_getpc6100)>>32
	s_setpc_b64 s[14:15]
.LBB1_5033:
	s_or_saveexec_b64 s[6:7], s[6:7]
	v_mov_b32_e32 v2, s10
	s_xor_b64 exec, exec, s[6:7]
	s_cbranch_execz .LBB1_5034
; %bb.40875:
	s_getpc_b64 s[14:15]
.Lpost_getpc6101:
	s_add_u32 s14, s14, (.LBB1_19372-.Lpost_getpc6101)&4294967295
	s_addc_u32 s15, s15, (.LBB1_19372-.Lpost_getpc6101)>>32
	s_setpc_b64 s[14:15]
.LBB1_5034:
	s_or_b64 exec, exec, s[6:7]
	s_and_saveexec_b64 s[6:7], s[4:5]
	s_cbranch_execz .LBB1_5036
.LBB1_5035:
	v_bfe_u32 v2, v7, 8, 3
	v_ffbh_u32_e32 v13, v2
	v_min_u32_e32 v13, 32, v13
	v_lshrrev_b16_e32 v12, 3, v6
	v_subrev_u32_e32 v14, 28, v13
	v_and_b32_e32 v12, 15, v12
	v_lshlrev_b32_e32 v6, v14, v6
	v_sub_u32_e32 v13, 29, v13
	v_and_b32_e32 v6, 7, v6
	v_cmp_eq_u16_e32 vcc, 0, v12
	v_cndmask_b32_e32 v2, v2, v6, vcc
	v_cndmask_b32_e32 v6, v12, v13, vcc
	v_lshlrev_b32_e32 v12, 16, v7
	v_mov_b32_e32 v13, 0x3b800000
	v_lshlrev_b32_e32 v2, 20, v2
	v_and_b32_e32 v12, 0x80000000, v12
	v_lshl_add_u32 v6, v6, 23, v13
	v_or3_b32 v2, v12, v6, v2
.LBB1_5036:
	s_or_b64 exec, exec, s[6:7]
	v_lshrrev_b32_e32 v6, 8, v3
	s_movk_i32 s4, 0x7f
	v_cmp_gt_i16_sdwa s[6:7], v6, s4 src0_sel:BYTE_0 src1_sel:DWORD
	s_mov_b64 s[4:5], 0
                                        ; implicit-def: $sgpr10
	s_and_saveexec_b64 s[8:9], s[6:7]
	s_xor_b64 s[6:7], exec, s[8:9]
	s_cbranch_execz .LBB1_5037
; %bb.40877:
	s_getpc_b64 s[14:15]
.Lpost_getpc6102:
	s_add_u32 s14, s14, (.LBB1_19373-.Lpost_getpc6102)&4294967295
	s_addc_u32 s15, s15, (.LBB1_19373-.Lpost_getpc6102)>>32
	s_setpc_b64 s[14:15]
.LBB1_5037:
	s_or_saveexec_b64 s[6:7], s[6:7]
	v_mov_b32_e32 v12, s10
	s_xor_b64 exec, exec, s[6:7]
	s_cbranch_execz .LBB1_5038
; %bb.40879:
	s_getpc_b64 s[14:15]
.Lpost_getpc6103:
	s_add_u32 s14, s14, (.LBB1_19376-.Lpost_getpc6103)&4294967295
	s_addc_u32 s15, s15, (.LBB1_19376-.Lpost_getpc6103)>>32
	s_setpc_b64 s[14:15]
.LBB1_5038:
	s_or_b64 exec, exec, s[6:7]
	s_and_saveexec_b64 s[6:7], s[4:5]
	s_cbranch_execz .LBB1_5040
.LBB1_5039:
	v_bfe_u32 v12, v3, 8, 3
	v_ffbh_u32_e32 v14, v12
	v_min_u32_e32 v14, 32, v14
	v_lshrrev_b16_e32 v13, 3, v6
	v_subrev_u32_e32 v15, 28, v14
	v_and_b32_e32 v13, 15, v13
	v_lshlrev_b32_e32 v6, v15, v6
	v_sub_u32_e32 v14, 29, v14
	v_and_b32_e32 v6, 7, v6
	v_cmp_eq_u16_e32 vcc, 0, v13
	v_cndmask_b32_e32 v6, v12, v6, vcc
	v_cndmask_b32_e32 v12, v13, v14, vcc
	v_lshlrev_b32_e32 v13, 16, v3
	v_mov_b32_e32 v14, 0x3b800000
	v_lshlrev_b32_e32 v6, 20, v6
	v_and_b32_e32 v13, 0x80000000, v13
	v_lshl_add_u32 v12, v12, 23, v14
	v_or3_b32 v12, v13, v12, v6
.LBB1_5040:
	s_or_b64 exec, exec, s[6:7]
	s_nop 0
	v_mfma_f32_16x16x4f32 a[0:3], v2, v12, a[0:3]
	s_movk_i32 s4, 0xff
	v_and_b32_sdwa v6, v7, s4 dst_sel:DWORD dst_unused:UNUSED_PAD src0_sel:WORD_1 src1_sel:DWORD
	s_movk_i32 s4, 0x7f
	v_cmp_lt_i16_e32 vcc, s4, v6
	s_mov_b64 s[4:5], 0
                                        ; implicit-def: $sgpr10
	s_and_saveexec_b64 s[6:7], vcc
	s_xor_b64 s[6:7], exec, s[6:7]
	s_cbranch_execz .LBB1_5041
; %bb.40881:
	s_getpc_b64 s[14:15]
.Lpost_getpc6104:
	s_add_u32 s14, s14, (.LBB1_19377-.Lpost_getpc6104)&4294967295
	s_addc_u32 s15, s15, (.LBB1_19377-.Lpost_getpc6104)>>32
	s_setpc_b64 s[14:15]
.LBB1_5041:
	s_or_saveexec_b64 s[6:7], s[6:7]
	v_mov_b32_e32 v2, s10
	s_xor_b64 exec, exec, s[6:7]
	s_cbranch_execz .LBB1_5042
; %bb.40883:
	s_getpc_b64 s[14:15]
.Lpost_getpc6105:
	s_add_u32 s14, s14, (.LBB1_19380-.Lpost_getpc6105)&4294967295
	s_addc_u32 s15, s15, (.LBB1_19380-.Lpost_getpc6105)>>32
	s_setpc_b64 s[14:15]
.LBB1_5042:
	s_or_b64 exec, exec, s[6:7]
	s_and_saveexec_b64 s[6:7], s[4:5]
	s_cbranch_execz .LBB1_5044
.LBB1_5043:
	v_bfe_u32 v2, v7, 16, 3
	v_ffbh_u32_e32 v13, v2
	v_min_u32_e32 v13, 32, v13
	v_lshrrev_b32_e32 v6, 19, v7
	v_subrev_u32_e32 v14, 28, v13
	v_and_b32_e32 v6, 15, v6
	v_lshlrev_b32_sdwa v14, v14, v7 dst_sel:DWORD dst_unused:UNUSED_PAD src0_sel:DWORD src1_sel:WORD_1
	v_bfe_u32 v12, v7, 19, 4
	v_sub_u32_e32 v13, 29, v13
	v_and_b32_e32 v14, 7, v14
	v_cmp_eq_u16_e32 vcc, 0, v6
	v_cndmask_b32_e32 v2, v2, v14, vcc
	v_cndmask_b32_e32 v6, v12, v13, vcc
	v_lshlrev_b32_e32 v12, 8, v7
	v_mov_b32_e32 v13, 0x3b800000
	v_lshlrev_b32_e32 v2, 20, v2
	v_and_b32_e32 v12, 0x80000000, v12
	v_lshl_add_u32 v6, v6, 23, v13
	v_or3_b32 v2, v12, v6, v2
.LBB1_5044:
	s_or_b64 exec, exec, s[6:7]
	s_movk_i32 s4, 0xff
	v_and_b32_sdwa v6, v3, s4 dst_sel:DWORD dst_unused:UNUSED_PAD src0_sel:WORD_1 src1_sel:DWORD
	s_movk_i32 s4, 0x7f
	v_cmp_lt_i16_e32 vcc, s4, v6
	s_mov_b64 s[4:5], 0
                                        ; implicit-def: $sgpr10
	s_and_saveexec_b64 s[6:7], vcc
	s_xor_b64 s[6:7], exec, s[6:7]
	s_cbranch_execz .LBB1_5045
; %bb.40885:
	s_getpc_b64 s[14:15]
.Lpost_getpc6106:
	s_add_u32 s14, s14, (.LBB1_19381-.Lpost_getpc6106)&4294967295
	s_addc_u32 s15, s15, (.LBB1_19381-.Lpost_getpc6106)>>32
	s_setpc_b64 s[14:15]
.LBB1_5045:
	s_or_saveexec_b64 s[6:7], s[6:7]
	v_mov_b32_e32 v12, s10
	s_xor_b64 exec, exec, s[6:7]
	s_cbranch_execz .LBB1_5046
; %bb.40887:
	s_getpc_b64 s[14:15]
.Lpost_getpc6107:
	s_add_u32 s14, s14, (.LBB1_19384-.Lpost_getpc6107)&4294967295
	s_addc_u32 s15, s15, (.LBB1_19384-.Lpost_getpc6107)>>32
	s_setpc_b64 s[14:15]
.LBB1_5046:
	s_or_b64 exec, exec, s[6:7]
	s_and_saveexec_b64 s[6:7], s[4:5]
	s_cbranch_execz .LBB1_5048
.LBB1_5047:
	v_bfe_u32 v6, v3, 16, 3
	v_ffbh_u32_e32 v14, v6
	v_min_u32_e32 v14, 32, v14
	v_lshrrev_b32_e32 v12, 19, v3
	v_subrev_u32_e32 v15, 28, v14
	v_and_b32_e32 v12, 15, v12
	v_lshlrev_b32_sdwa v15, v15, v3 dst_sel:DWORD dst_unused:UNUSED_PAD src0_sel:DWORD src1_sel:WORD_1
	v_bfe_u32 v13, v3, 19, 4
	v_sub_u32_e32 v14, 29, v14
	v_and_b32_e32 v15, 7, v15
	v_cmp_eq_u16_e32 vcc, 0, v12
	v_cndmask_b32_e32 v6, v6, v15, vcc
	v_cndmask_b32_e32 v12, v13, v14, vcc
	v_lshlrev_b32_e32 v13, 8, v3
	v_mov_b32_e32 v14, 0x3b800000
	v_lshlrev_b32_e32 v6, 20, v6
	v_and_b32_e32 v13, 0x80000000, v13
	v_lshl_add_u32 v12, v12, 23, v14
	v_or3_b32 v12, v13, v12, v6
.LBB1_5048:
	s_or_b64 exec, exec, s[6:7]
	s_nop 0
	v_mfma_f32_16x16x4f32 a[0:3], v2, v12, a[0:3]
	s_movk_i32 s4, 0x7f
	v_cmp_gt_i16_sdwa s[6:7], v7, s4 src0_sel:BYTE_3 src1_sel:DWORD
	s_mov_b64 s[4:5], 0
                                        ; implicit-def: $sgpr10
	s_and_saveexec_b64 s[8:9], s[6:7]
	s_xor_b64 s[6:7], exec, s[8:9]
	s_cbranch_execz .LBB1_5049
; %bb.40889:
	s_getpc_b64 s[14:15]
.Lpost_getpc6108:
	s_add_u32 s14, s14, (.LBB1_19385-.Lpost_getpc6108)&4294967295
	s_addc_u32 s15, s15, (.LBB1_19385-.Lpost_getpc6108)>>32
	s_setpc_b64 s[14:15]
.LBB1_5049:
	s_or_saveexec_b64 s[6:7], s[6:7]
	v_mov_b32_e32 v2, s10
	s_xor_b64 exec, exec, s[6:7]
	s_cbranch_execz .LBB1_5050
; %bb.40891:
	s_getpc_b64 s[14:15]
.Lpost_getpc6109:
	s_add_u32 s14, s14, (.LBB1_19388-.Lpost_getpc6109)&4294967295
	s_addc_u32 s15, s15, (.LBB1_19388-.Lpost_getpc6109)>>32
	s_setpc_b64 s[14:15]
.LBB1_5050:
	s_or_b64 exec, exec, s[6:7]
	s_and_saveexec_b64 s[6:7], s[4:5]
	s_cbranch_execz .LBB1_5052
.LBB1_5051:
	v_bfe_u32 v2, v7, 24, 3
	v_ffbh_u32_e32 v14, v2
	v_min_u32_e32 v14, 32, v14
	v_lshrrev_b32_e32 v12, 27, v7
	v_subrev_u32_e32 v15, 28, v14
	v_and_b32_e32 v6, 0x80000000, v7
	v_and_b32_e32 v12, 15, v12
	v_bfe_u32 v13, v7, 27, 4
	v_lshlrev_b32_sdwa v7, v15, v7 dst_sel:DWORD dst_unused:UNUSED_PAD src0_sel:DWORD src1_sel:BYTE_3
	v_sub_u32_e32 v14, 29, v14
	v_and_b32_e32 v7, 7, v7
	v_cmp_eq_u16_e32 vcc, 0, v12
	v_cndmask_b32_e32 v2, v2, v7, vcc
	v_cndmask_b32_e32 v7, v13, v14, vcc
	v_mov_b32_e32 v12, 0x3b800000
	v_lshlrev_b32_e32 v2, 20, v2
	v_lshl_add_u32 v7, v7, 23, v12
	v_or3_b32 v2, v6, v7, v2
.LBB1_5052:
	s_or_b64 exec, exec, s[6:7]
	s_movk_i32 s4, 0x7f
	v_cmp_gt_i16_sdwa s[6:7], v3, s4 src0_sel:BYTE_3 src1_sel:DWORD
	s_mov_b64 s[4:5], 0
                                        ; implicit-def: $sgpr10
	s_and_saveexec_b64 s[8:9], s[6:7]
	s_xor_b64 s[6:7], exec, s[8:9]
	s_cbranch_execz .LBB1_5053
; %bb.40893:
	s_getpc_b64 s[14:15]
.Lpost_getpc6110:
	s_add_u32 s14, s14, (.LBB1_19389-.Lpost_getpc6110)&4294967295
	s_addc_u32 s15, s15, (.LBB1_19389-.Lpost_getpc6110)>>32
	s_setpc_b64 s[14:15]
.LBB1_5053:
	s_or_saveexec_b64 s[6:7], s[6:7]
	v_mov_b32_e32 v6, s10
	s_xor_b64 exec, exec, s[6:7]
	s_cbranch_execz .LBB1_5054
; %bb.40895:
	s_getpc_b64 s[14:15]
.Lpost_getpc6111:
	s_add_u32 s14, s14, (.LBB1_19392-.Lpost_getpc6111)&4294967295
	s_addc_u32 s15, s15, (.LBB1_19392-.Lpost_getpc6111)>>32
	s_setpc_b64 s[14:15]
.LBB1_5054:
	s_or_b64 exec, exec, s[6:7]
	s_and_saveexec_b64 s[6:7], s[4:5]
	s_cbranch_execz .LBB1_5056
.LBB1_5055:
	v_bfe_u32 v6, v3, 24, 3
	v_ffbh_u32_e32 v14, v6
	v_min_u32_e32 v14, 32, v14
	v_lshrrev_b32_e32 v12, 27, v3
	v_subrev_u32_e32 v15, 28, v14
	v_and_b32_e32 v7, 0x80000000, v3
	v_and_b32_e32 v12, 15, v12
	v_bfe_u32 v13, v3, 27, 4
	v_lshlrev_b32_sdwa v3, v15, v3 dst_sel:DWORD dst_unused:UNUSED_PAD src0_sel:DWORD src1_sel:BYTE_3
	v_sub_u32_e32 v14, 29, v14
	v_and_b32_e32 v3, 7, v3
	v_cmp_eq_u16_e32 vcc, 0, v12
	v_cndmask_b32_e32 v3, v6, v3, vcc
	v_cndmask_b32_e32 v6, v13, v14, vcc
	v_mov_b32_e32 v12, 0x3b800000
	v_lshlrev_b32_e32 v3, 20, v3
	v_lshl_add_u32 v6, v6, 23, v12
	v_or3_b32 v6, v7, v6, v3
.LBB1_5056:
	s_or_b64 exec, exec, s[6:7]
	s_nop 0
	v_mfma_f32_16x16x4f32 a[0:3], v2, v6, a[0:3]
	s_movk_i32 s4, 0x7f
	v_cmp_gt_i16_sdwa s[6:7], v8, s4 src0_sel:BYTE_0 src1_sel:DWORD
	s_mov_b64 s[4:5], 0
                                        ; implicit-def: $sgpr10
	s_and_saveexec_b64 s[8:9], s[6:7]
	s_xor_b64 s[6:7], exec, s[8:9]
	s_cbranch_execz .LBB1_5057
; %bb.40897:
	s_getpc_b64 s[14:15]
.Lpost_getpc6112:
	s_add_u32 s14, s14, (.LBB1_19393-.Lpost_getpc6112)&4294967295
	s_addc_u32 s15, s15, (.LBB1_19393-.Lpost_getpc6112)>>32
	s_setpc_b64 s[14:15]
.LBB1_5057:
	s_or_saveexec_b64 s[6:7], s[6:7]
	v_mov_b32_e32 v2, s10
	s_xor_b64 exec, exec, s[6:7]
	s_cbranch_execz .LBB1_5058
; %bb.40899:
	s_getpc_b64 s[14:15]
.Lpost_getpc6113:
	s_add_u32 s14, s14, (.LBB1_19396-.Lpost_getpc6113)&4294967295
	s_addc_u32 s15, s15, (.LBB1_19396-.Lpost_getpc6113)>>32
	s_setpc_b64 s[14:15]
.LBB1_5058:
	s_or_b64 exec, exec, s[6:7]
	s_and_saveexec_b64 s[6:7], s[4:5]
	s_cbranch_execz .LBB1_5060
.LBB1_5059:
	v_and_b32_e32 v2, 7, v8
	v_ffbh_u32_e32 v6, v2
	v_min_u32_e32 v6, 32, v6
	v_lshrrev_b16_e32 v3, 3, v8
	v_subrev_u32_e32 v7, 28, v6
	v_and_b32_e32 v3, 15, v3
	v_lshlrev_b32_e32 v7, v7, v8
	v_sub_u32_e32 v6, 29, v6
	v_and_b32_e32 v7, 7, v7
	v_cmp_eq_u16_e32 vcc, 0, v3
	v_cndmask_b32_e32 v2, v2, v7, vcc
	v_cndmask_b32_e32 v3, v3, v6, vcc
	v_lshlrev_b32_e32 v6, 24, v8
	v_mov_b32_e32 v7, 0x3b800000
	v_lshlrev_b32_e32 v2, 20, v2
	v_and_b32_e32 v6, 0x80000000, v6
	v_lshl_add_u32 v3, v3, 23, v7
	v_or3_b32 v2, v6, v3, v2
.LBB1_5060:
	s_or_b64 exec, exec, s[6:7]
	s_movk_i32 s4, 0x7f
	v_cmp_gt_i16_sdwa s[6:7], v4, s4 src0_sel:BYTE_0 src1_sel:DWORD
	s_mov_b64 s[4:5], 0
                                        ; implicit-def: $sgpr10
	s_and_saveexec_b64 s[8:9], s[6:7]
	s_xor_b64 s[6:7], exec, s[8:9]
	s_cbranch_execz .LBB1_5061
; %bb.40901:
	s_getpc_b64 s[14:15]
.Lpost_getpc6114:
	s_add_u32 s14, s14, (.LBB1_19397-.Lpost_getpc6114)&4294967295
	s_addc_u32 s15, s15, (.LBB1_19397-.Lpost_getpc6114)>>32
	s_setpc_b64 s[14:15]
.LBB1_5061:
	s_or_saveexec_b64 s[6:7], s[6:7]
	v_mov_b32_e32 v3, s10
	s_xor_b64 exec, exec, s[6:7]
	s_cbranch_execz .LBB1_5062
; %bb.40903:
	s_getpc_b64 s[14:15]
.Lpost_getpc6115:
	s_add_u32 s14, s14, (.LBB1_19400-.Lpost_getpc6115)&4294967295
	s_addc_u32 s15, s15, (.LBB1_19400-.Lpost_getpc6115)>>32
	s_setpc_b64 s[14:15]
.LBB1_5062:
	s_or_b64 exec, exec, s[6:7]
	s_and_saveexec_b64 s[6:7], s[4:5]
	s_cbranch_execz .LBB1_5064
.LBB1_5063:
	v_and_b32_e32 v3, 7, v4
	v_ffbh_u32_e32 v7, v3
	v_min_u32_e32 v7, 32, v7
	v_lshrrev_b16_e32 v6, 3, v4
	v_subrev_u32_e32 v12, 28, v7
	v_and_b32_e32 v6, 15, v6
	v_lshlrev_b32_e32 v12, v12, v4
	v_sub_u32_e32 v7, 29, v7
	v_and_b32_e32 v12, 7, v12
	v_cmp_eq_u16_e32 vcc, 0, v6
	v_cndmask_b32_e32 v3, v3, v12, vcc
	v_cndmask_b32_e32 v6, v6, v7, vcc
	v_lshlrev_b32_e32 v7, 24, v4
	v_mov_b32_e32 v12, 0x3b800000
	v_lshlrev_b32_e32 v3, 20, v3
	v_and_b32_e32 v7, 0x80000000, v7
	v_lshl_add_u32 v6, v6, 23, v12
	v_or3_b32 v3, v7, v6, v3
.LBB1_5064:
	s_or_b64 exec, exec, s[6:7]
	s_nop 0
	v_mfma_f32_16x16x4f32 a[0:3], v2, v3, a[0:3]
	v_lshrrev_b32_e32 v3, 8, v8
	s_movk_i32 s4, 0x7f
	v_cmp_gt_i16_sdwa s[6:7], v3, s4 src0_sel:BYTE_0 src1_sel:DWORD
	s_mov_b64 s[4:5], 0
                                        ; implicit-def: $sgpr10
	s_and_saveexec_b64 s[8:9], s[6:7]
	s_xor_b64 s[6:7], exec, s[8:9]
	s_cbranch_execz .LBB1_5065
; %bb.40905:
	s_getpc_b64 s[14:15]
.Lpost_getpc6116:
	s_add_u32 s14, s14, (.LBB1_19401-.Lpost_getpc6116)&4294967295
	s_addc_u32 s15, s15, (.LBB1_19401-.Lpost_getpc6116)>>32
	s_setpc_b64 s[14:15]
.LBB1_5065:
	s_or_saveexec_b64 s[6:7], s[6:7]
	v_mov_b32_e32 v2, s10
	s_xor_b64 exec, exec, s[6:7]
	s_cbranch_execz .LBB1_5066
; %bb.40907:
	s_getpc_b64 s[14:15]
.Lpost_getpc6117:
	s_add_u32 s14, s14, (.LBB1_19404-.Lpost_getpc6117)&4294967295
	s_addc_u32 s15, s15, (.LBB1_19404-.Lpost_getpc6117)>>32
	s_setpc_b64 s[14:15]
.LBB1_5066:
	s_or_b64 exec, exec, s[6:7]
	s_and_saveexec_b64 s[6:7], s[4:5]
	s_cbranch_execz .LBB1_5068
.LBB1_5067:
	v_bfe_u32 v2, v8, 8, 3
	v_ffbh_u32_e32 v7, v2
	v_min_u32_e32 v7, 32, v7
	v_lshrrev_b16_e32 v6, 3, v3
	v_subrev_u32_e32 v12, 28, v7
	v_and_b32_e32 v6, 15, v6
	v_lshlrev_b32_e32 v3, v12, v3
	v_sub_u32_e32 v7, 29, v7
	v_and_b32_e32 v3, 7, v3
	v_cmp_eq_u16_e32 vcc, 0, v6
	v_cndmask_b32_e32 v2, v2, v3, vcc
	v_cndmask_b32_e32 v3, v6, v7, vcc
	v_lshlrev_b32_e32 v6, 16, v8
	v_mov_b32_e32 v7, 0x3b800000
	v_lshlrev_b32_e32 v2, 20, v2
	v_and_b32_e32 v6, 0x80000000, v6
	v_lshl_add_u32 v3, v3, 23, v7
	v_or3_b32 v2, v6, v3, v2
.LBB1_5068:
	s_or_b64 exec, exec, s[6:7]
	v_lshrrev_b32_e32 v3, 8, v4
	s_movk_i32 s4, 0x7f
	v_cmp_gt_i16_sdwa s[6:7], v3, s4 src0_sel:BYTE_0 src1_sel:DWORD
	s_mov_b64 s[4:5], 0
                                        ; implicit-def: $sgpr10
	s_and_saveexec_b64 s[8:9], s[6:7]
	s_xor_b64 s[6:7], exec, s[8:9]
	s_cbranch_execz .LBB1_5069
; %bb.40909:
	s_getpc_b64 s[14:15]
.Lpost_getpc6118:
	s_add_u32 s14, s14, (.LBB1_19405-.Lpost_getpc6118)&4294967295
	s_addc_u32 s15, s15, (.LBB1_19405-.Lpost_getpc6118)>>32
	s_setpc_b64 s[14:15]
.LBB1_5069:
	s_or_saveexec_b64 s[6:7], s[6:7]
	v_mov_b32_e32 v6, s10
	s_xor_b64 exec, exec, s[6:7]
	s_cbranch_execz .LBB1_5070
; %bb.40911:
	s_getpc_b64 s[14:15]
.Lpost_getpc6119:
	s_add_u32 s14, s14, (.LBB1_19408-.Lpost_getpc6119)&4294967295
	s_addc_u32 s15, s15, (.LBB1_19408-.Lpost_getpc6119)>>32
	s_setpc_b64 s[14:15]
.LBB1_5070:
	s_or_b64 exec, exec, s[6:7]
	s_and_saveexec_b64 s[6:7], s[4:5]
	s_cbranch_execz .LBB1_5072
.LBB1_5071:
	v_bfe_u32 v6, v4, 8, 3
	v_ffbh_u32_e32 v12, v6
	v_min_u32_e32 v12, 32, v12
	v_lshrrev_b16_e32 v7, 3, v3
	v_subrev_u32_e32 v13, 28, v12
	v_and_b32_e32 v7, 15, v7
	v_lshlrev_b32_e32 v3, v13, v3
	v_sub_u32_e32 v12, 29, v12
	v_and_b32_e32 v3, 7, v3
	v_cmp_eq_u16_e32 vcc, 0, v7
	v_cndmask_b32_e32 v3, v6, v3, vcc
	v_cndmask_b32_e32 v6, v7, v12, vcc
	v_lshlrev_b32_e32 v7, 16, v4
	v_mov_b32_e32 v12, 0x3b800000
	v_lshlrev_b32_e32 v3, 20, v3
	v_and_b32_e32 v7, 0x80000000, v7
	v_lshl_add_u32 v6, v6, 23, v12
	v_or3_b32 v6, v7, v6, v3
.LBB1_5072:
	s_or_b64 exec, exec, s[6:7]
	s_nop 0
	v_mfma_f32_16x16x4f32 a[0:3], v2, v6, a[0:3]
	s_movk_i32 s4, 0xff
	v_and_b32_sdwa v3, v8, s4 dst_sel:DWORD dst_unused:UNUSED_PAD src0_sel:WORD_1 src1_sel:DWORD
	s_movk_i32 s4, 0x7f
	v_cmp_lt_i16_e32 vcc, s4, v3
	s_mov_b64 s[4:5], 0
                                        ; implicit-def: $sgpr10
	s_and_saveexec_b64 s[6:7], vcc
	s_xor_b64 s[6:7], exec, s[6:7]
	s_cbranch_execz .LBB1_5073
; %bb.40913:
	s_getpc_b64 s[14:15]
.Lpost_getpc6120:
	s_add_u32 s14, s14, (.LBB1_19409-.Lpost_getpc6120)&4294967295
	s_addc_u32 s15, s15, (.LBB1_19409-.Lpost_getpc6120)>>32
	s_setpc_b64 s[14:15]
.LBB1_5073:
	s_or_saveexec_b64 s[6:7], s[6:7]
	v_mov_b32_e32 v2, s10
	s_xor_b64 exec, exec, s[6:7]
	s_cbranch_execz .LBB1_5074
; %bb.40915:
	s_getpc_b64 s[14:15]
.Lpost_getpc6121:
	s_add_u32 s14, s14, (.LBB1_19412-.Lpost_getpc6121)&4294967295
	s_addc_u32 s15, s15, (.LBB1_19412-.Lpost_getpc6121)>>32
	s_setpc_b64 s[14:15]
.LBB1_5074:
	s_or_b64 exec, exec, s[6:7]
	s_and_saveexec_b64 s[6:7], s[4:5]
	s_cbranch_execz .LBB1_5076
.LBB1_5075:
	v_bfe_u32 v2, v8, 16, 3
	v_ffbh_u32_e32 v7, v2
	v_min_u32_e32 v7, 32, v7
	v_lshrrev_b32_e32 v3, 19, v8
	v_subrev_u32_e32 v12, 28, v7
	v_and_b32_e32 v3, 15, v3
	v_lshlrev_b32_sdwa v12, v12, v8 dst_sel:DWORD dst_unused:UNUSED_PAD src0_sel:DWORD src1_sel:WORD_1
	v_bfe_u32 v6, v8, 19, 4
	v_sub_u32_e32 v7, 29, v7
	v_and_b32_e32 v12, 7, v12
	v_cmp_eq_u16_e32 vcc, 0, v3
	v_cndmask_b32_e32 v2, v2, v12, vcc
	v_cndmask_b32_e32 v3, v6, v7, vcc
	v_lshlrev_b32_e32 v6, 8, v8
	v_mov_b32_e32 v7, 0x3b800000
	v_lshlrev_b32_e32 v2, 20, v2
	v_and_b32_e32 v6, 0x80000000, v6
	v_lshl_add_u32 v3, v3, 23, v7
	v_or3_b32 v2, v6, v3, v2
.LBB1_5076:
	s_or_b64 exec, exec, s[6:7]
	s_movk_i32 s4, 0xff
	v_and_b32_sdwa v3, v4, s4 dst_sel:DWORD dst_unused:UNUSED_PAD src0_sel:WORD_1 src1_sel:DWORD
	s_movk_i32 s4, 0x7f
	v_cmp_lt_i16_e32 vcc, s4, v3
	s_mov_b64 s[4:5], 0
                                        ; implicit-def: $sgpr10
	s_and_saveexec_b64 s[6:7], vcc
	s_xor_b64 s[6:7], exec, s[6:7]
	s_cbranch_execz .LBB1_5077
; %bb.40917:
	s_getpc_b64 s[14:15]
.Lpost_getpc6122:
	s_add_u32 s14, s14, (.LBB1_19413-.Lpost_getpc6122)&4294967295
	s_addc_u32 s15, s15, (.LBB1_19413-.Lpost_getpc6122)>>32
	s_setpc_b64 s[14:15]
.LBB1_5077:
	s_or_saveexec_b64 s[6:7], s[6:7]
	v_mov_b32_e32 v6, s10
	s_xor_b64 exec, exec, s[6:7]
	s_cbranch_execz .LBB1_5078
; %bb.40919:
	s_getpc_b64 s[14:15]
.Lpost_getpc6123:
	s_add_u32 s14, s14, (.LBB1_19416-.Lpost_getpc6123)&4294967295
	s_addc_u32 s15, s15, (.LBB1_19416-.Lpost_getpc6123)>>32
	s_setpc_b64 s[14:15]
.LBB1_5078:
	s_or_b64 exec, exec, s[6:7]
	s_and_saveexec_b64 s[6:7], s[4:5]
	s_cbranch_execz .LBB1_5080
.LBB1_5079:
	v_bfe_u32 v3, v4, 16, 3
	v_ffbh_u32_e32 v12, v3
	v_min_u32_e32 v12, 32, v12
	v_lshrrev_b32_e32 v6, 19, v4
	v_subrev_u32_e32 v13, 28, v12
	v_and_b32_e32 v6, 15, v6
	v_lshlrev_b32_sdwa v13, v13, v4 dst_sel:DWORD dst_unused:UNUSED_PAD src0_sel:DWORD src1_sel:WORD_1
	v_bfe_u32 v7, v4, 19, 4
	v_sub_u32_e32 v12, 29, v12
	v_and_b32_e32 v13, 7, v13
	v_cmp_eq_u16_e32 vcc, 0, v6
	v_cndmask_b32_e32 v3, v3, v13, vcc
	v_cndmask_b32_e32 v6, v7, v12, vcc
	v_lshlrev_b32_e32 v7, 8, v4
	v_mov_b32_e32 v12, 0x3b800000
	v_lshlrev_b32_e32 v3, 20, v3
	v_and_b32_e32 v7, 0x80000000, v7
	v_lshl_add_u32 v6, v6, 23, v12
	v_or3_b32 v6, v7, v6, v3
.LBB1_5080:
	s_or_b64 exec, exec, s[6:7]
	s_nop 0
	v_mfma_f32_16x16x4f32 a[0:3], v2, v6, a[0:3]
	s_movk_i32 s4, 0x7f
	v_cmp_gt_i16_sdwa s[6:7], v8, s4 src0_sel:BYTE_3 src1_sel:DWORD
	s_mov_b64 s[4:5], 0
                                        ; implicit-def: $sgpr10
	s_and_saveexec_b64 s[8:9], s[6:7]
	s_xor_b64 s[6:7], exec, s[8:9]
	s_cbranch_execz .LBB1_5081
; %bb.40921:
	s_getpc_b64 s[14:15]
.Lpost_getpc6124:
	s_add_u32 s14, s14, (.LBB1_19417-.Lpost_getpc6124)&4294967295
	s_addc_u32 s15, s15, (.LBB1_19417-.Lpost_getpc6124)>>32
	s_setpc_b64 s[14:15]
.LBB1_5081:
	s_or_saveexec_b64 s[6:7], s[6:7]
	v_mov_b32_e32 v2, s10
	s_xor_b64 exec, exec, s[6:7]
	s_cbranch_execz .LBB1_5082
; %bb.40923:
	s_getpc_b64 s[14:15]
.Lpost_getpc6125:
	s_add_u32 s14, s14, (.LBB1_19420-.Lpost_getpc6125)&4294967295
	s_addc_u32 s15, s15, (.LBB1_19420-.Lpost_getpc6125)>>32
	s_setpc_b64 s[14:15]
.LBB1_5082:
	s_or_b64 exec, exec, s[6:7]
	s_and_saveexec_b64 s[6:7], s[4:5]
	s_cbranch_execz .LBB1_5084
.LBB1_5083:
	v_bfe_u32 v2, v8, 24, 3
	v_ffbh_u32_e32 v12, v2
	v_min_u32_e32 v12, 32, v12
	v_lshrrev_b32_e32 v6, 27, v8
	v_subrev_u32_e32 v13, 28, v12
	v_and_b32_e32 v3, 0x80000000, v8
	v_and_b32_e32 v6, 15, v6
	v_bfe_u32 v7, v8, 27, 4
	v_lshlrev_b32_sdwa v8, v13, v8 dst_sel:DWORD dst_unused:UNUSED_PAD src0_sel:DWORD src1_sel:BYTE_3
	v_sub_u32_e32 v12, 29, v12
	v_and_b32_e32 v8, 7, v8
	v_cmp_eq_u16_e32 vcc, 0, v6
	v_cndmask_b32_e32 v2, v2, v8, vcc
	v_cndmask_b32_e32 v6, v7, v12, vcc
	v_mov_b32_e32 v7, 0x3b800000
	v_lshlrev_b32_e32 v2, 20, v2
	v_lshl_add_u32 v6, v6, 23, v7
	v_or3_b32 v2, v3, v6, v2
.LBB1_5084:
	s_or_b64 exec, exec, s[6:7]
	s_movk_i32 s4, 0x7f
	v_cmp_gt_i16_sdwa s[6:7], v4, s4 src0_sel:BYTE_3 src1_sel:DWORD
	s_mov_b64 s[4:5], 0
                                        ; implicit-def: $sgpr10
	s_and_saveexec_b64 s[8:9], s[6:7]
	s_xor_b64 s[6:7], exec, s[8:9]
	s_cbranch_execz .LBB1_5085
; %bb.40925:
	s_getpc_b64 s[14:15]
.Lpost_getpc6126:
	s_add_u32 s14, s14, (.LBB1_19421-.Lpost_getpc6126)&4294967295
	s_addc_u32 s15, s15, (.LBB1_19421-.Lpost_getpc6126)>>32
	s_setpc_b64 s[14:15]
.LBB1_5085:
	s_or_saveexec_b64 s[6:7], s[6:7]
	v_mov_b32_e32 v3, s10
	s_xor_b64 exec, exec, s[6:7]
	s_cbranch_execz .LBB1_5086
; %bb.40927:
	s_getpc_b64 s[14:15]
.Lpost_getpc6127:
	s_add_u32 s14, s14, (.LBB1_19424-.Lpost_getpc6127)&4294967295
	s_addc_u32 s15, s15, (.LBB1_19424-.Lpost_getpc6127)>>32
	s_setpc_b64 s[14:15]
.LBB1_5086:
	s_or_b64 exec, exec, s[6:7]
	s_and_saveexec_b64 s[6:7], s[4:5]
	s_cbranch_execz .LBB1_5088
.LBB1_5087:
	v_bfe_u32 v3, v4, 24, 3
	v_ffbh_u32_e32 v12, v3
	v_min_u32_e32 v12, 32, v12
	v_lshrrev_b32_e32 v7, 27, v4
	v_subrev_u32_e32 v13, 28, v12
	v_and_b32_e32 v6, 0x80000000, v4
	v_and_b32_e32 v7, 15, v7
	v_bfe_u32 v8, v4, 27, 4
	v_lshlrev_b32_sdwa v4, v13, v4 dst_sel:DWORD dst_unused:UNUSED_PAD src0_sel:DWORD src1_sel:BYTE_3
	v_sub_u32_e32 v12, 29, v12
	v_and_b32_e32 v4, 7, v4
	v_cmp_eq_u16_e32 vcc, 0, v7
	v_cndmask_b32_e32 v3, v3, v4, vcc
	v_cndmask_b32_e32 v4, v8, v12, vcc
	v_mov_b32_e32 v7, 0x3b800000
	v_lshlrev_b32_e32 v3, 20, v3
	v_lshl_add_u32 v4, v4, 23, v7
	v_or3_b32 v3, v6, v4, v3
.LBB1_5088:
	s_or_b64 exec, exec, s[6:7]
	s_nop 0
	v_mfma_f32_16x16x4f32 a[0:3], v2, v3, a[0:3]
	s_movk_i32 s4, 0x7f
	v_cmp_gt_i16_sdwa s[6:7], v9, s4 src0_sel:BYTE_0 src1_sel:DWORD
	s_mov_b64 s[4:5], 0
                                        ; implicit-def: $sgpr10
	s_and_saveexec_b64 s[8:9], s[6:7]
	s_xor_b64 s[6:7], exec, s[8:9]
	s_cbranch_execz .LBB1_5089
; %bb.40929:
	s_getpc_b64 s[14:15]
.Lpost_getpc6128:
	s_add_u32 s14, s14, (.LBB1_19425-.Lpost_getpc6128)&4294967295
	s_addc_u32 s15, s15, (.LBB1_19425-.Lpost_getpc6128)>>32
	s_setpc_b64 s[14:15]
.LBB1_5089:
	s_or_saveexec_b64 s[6:7], s[6:7]
	v_mov_b32_e32 v2, s10
	s_xor_b64 exec, exec, s[6:7]
	s_cbranch_execz .LBB1_5090
; %bb.40931:
	s_getpc_b64 s[14:15]
.Lpost_getpc6129:
	s_add_u32 s14, s14, (.LBB1_19428-.Lpost_getpc6129)&4294967295
	s_addc_u32 s15, s15, (.LBB1_19428-.Lpost_getpc6129)>>32
	s_setpc_b64 s[14:15]
.LBB1_5090:
	s_or_b64 exec, exec, s[6:7]
	s_and_saveexec_b64 s[6:7], s[4:5]
	s_cbranch_execz .LBB1_5092
.LBB1_5091:
	v_mov_b32_e32 v2, 8
	v_and_b32_e32 v3, 7, v9
	v_lshrrev_b32_sdwa v2, v2, v9 dst_sel:BYTE_1 dst_unused:UNUSED_PAD src0_sel:DWORD src1_sel:DWORD
	v_ffbh_u32_e32 v4, v3
	v_or_b32_sdwa v2, v9, v2 dst_sel:DWORD dst_unused:UNUSED_PAD src0_sel:BYTE_0 src1_sel:DWORD
	v_min_u32_e32 v4, 32, v4
	v_lshrrev_b16_e32 v2, 3, v2
	v_subrev_u32_e32 v6, 28, v4
	v_and_b32_e32 v2, 15, v2
	v_lshlrev_b32_e32 v6, v6, v9
	v_sub_u32_e32 v4, 29, v4
	v_and_b32_e32 v6, 7, v6
	v_cmp_eq_u16_e32 vcc, 0, v2
	v_cndmask_b32_e32 v3, v3, v6, vcc
	v_cndmask_b32_e32 v2, v2, v4, vcc
	v_lshlrev_b32_e32 v4, 24, v9
	v_mov_b32_e32 v6, 0x3b800000
	v_lshlrev_b32_e32 v3, 20, v3
	v_and_b32_e32 v4, 0x80000000, v4
	v_lshl_add_u32 v2, v2, 23, v6
	v_or3_b32 v2, v4, v2, v3
.LBB1_5092:
	s_or_b64 exec, exec, s[6:7]
	s_movk_i32 s4, 0x7f
	v_cmp_gt_i16_sdwa s[6:7], v5, s4 src0_sel:BYTE_0 src1_sel:DWORD
	s_mov_b64 s[4:5], 0
                                        ; implicit-def: $sgpr10
	s_and_saveexec_b64 s[8:9], s[6:7]
	s_xor_b64 s[6:7], exec, s[8:9]
	s_cbranch_execz .LBB1_5093
; %bb.40933:
	s_getpc_b64 s[14:15]
.Lpost_getpc6130:
	s_add_u32 s14, s14, (.LBB1_19429-.Lpost_getpc6130)&4294967295
	s_addc_u32 s15, s15, (.LBB1_19429-.Lpost_getpc6130)>>32
	s_setpc_b64 s[14:15]
.LBB1_5093:
	s_or_saveexec_b64 s[6:7], s[6:7]
	v_mov_b32_e32 v3, s10
	s_xor_b64 exec, exec, s[6:7]
	s_cbranch_execz .LBB1_5094
; %bb.40935:
	s_getpc_b64 s[14:15]
.Lpost_getpc6131:
	s_add_u32 s14, s14, (.LBB1_19432-.Lpost_getpc6131)&4294967295
	s_addc_u32 s15, s15, (.LBB1_19432-.Lpost_getpc6131)>>32
	s_setpc_b64 s[14:15]
.LBB1_5094:
	s_or_b64 exec, exec, s[6:7]
	s_and_saveexec_b64 s[6:7], s[4:5]
	s_cbranch_execz .LBB1_5096
.LBB1_5095:
	v_mov_b32_e32 v3, 8
	v_and_b32_e32 v4, 7, v5
	v_lshrrev_b32_sdwa v3, v3, v5 dst_sel:BYTE_1 dst_unused:UNUSED_PAD src0_sel:DWORD src1_sel:DWORD
	v_ffbh_u32_e32 v6, v4
	v_or_b32_sdwa v3, v5, v3 dst_sel:DWORD dst_unused:UNUSED_PAD src0_sel:BYTE_0 src1_sel:DWORD
	v_min_u32_e32 v6, 32, v6
	v_lshrrev_b16_e32 v3, 3, v3
	v_subrev_u32_e32 v7, 28, v6
	v_and_b32_e32 v3, 15, v3
	v_lshlrev_b32_e32 v7, v7, v5
	v_sub_u32_e32 v6, 29, v6
	v_and_b32_e32 v7, 7, v7
	v_cmp_eq_u16_e32 vcc, 0, v3
	v_cndmask_b32_e32 v4, v4, v7, vcc
	v_cndmask_b32_e32 v3, v3, v6, vcc
	v_lshlrev_b32_e32 v6, 24, v5
	v_mov_b32_e32 v7, 0x3b800000
	v_lshlrev_b32_e32 v4, 20, v4
	v_and_b32_e32 v6, 0x80000000, v6
	v_lshl_add_u32 v3, v3, 23, v7
	v_or3_b32 v3, v6, v3, v4
.LBB1_5096:
	s_or_b64 exec, exec, s[6:7]
	s_nop 0
	v_mfma_f32_16x16x4f32 a[0:3], v2, v3, a[0:3]
	v_lshrrev_b32_e32 v3, 8, v9
	s_movk_i32 s4, 0x7f
	v_cmp_gt_i16_sdwa s[6:7], v3, s4 src0_sel:BYTE_0 src1_sel:DWORD
	s_mov_b64 s[4:5], 0
                                        ; implicit-def: $sgpr10
	s_and_saveexec_b64 s[8:9], s[6:7]
	s_xor_b64 s[6:7], exec, s[8:9]
	s_cbranch_execz .LBB1_5097
; %bb.40937:
	s_getpc_b64 s[14:15]
.Lpost_getpc6132:
	s_add_u32 s14, s14, (.LBB1_19433-.Lpost_getpc6132)&4294967295
	s_addc_u32 s15, s15, (.LBB1_19433-.Lpost_getpc6132)>>32
	s_setpc_b64 s[14:15]
.LBB1_5097:
	s_or_saveexec_b64 s[6:7], s[6:7]
	v_mov_b32_e32 v2, s10
	s_xor_b64 exec, exec, s[6:7]
	s_cbranch_execz .LBB1_5098
; %bb.40939:
	s_getpc_b64 s[14:15]
.Lpost_getpc6133:
	s_add_u32 s14, s14, (.LBB1_19436-.Lpost_getpc6133)&4294967295
	s_addc_u32 s15, s15, (.LBB1_19436-.Lpost_getpc6133)>>32
	s_setpc_b64 s[14:15]
.LBB1_5098:
	s_or_b64 exec, exec, s[6:7]
	s_and_saveexec_b64 s[6:7], s[4:5]
	s_cbranch_execz .LBB1_5100
.LBB1_5099:
	v_bfe_u32 v2, v9, 8, 3
	v_ffbh_u32_e32 v6, v2
	v_min_u32_e32 v6, 32, v6
	v_lshrrev_b16_e32 v4, 3, v3
	v_subrev_u32_e32 v7, 28, v6
	v_and_b32_e32 v4, 15, v4
	v_lshlrev_b32_e32 v3, v7, v3
	v_sub_u32_e32 v6, 29, v6
	v_and_b32_e32 v3, 7, v3
	v_cmp_eq_u16_e32 vcc, 0, v4
	v_cndmask_b32_e32 v2, v2, v3, vcc
	v_cndmask_b32_e32 v3, v4, v6, vcc
	v_lshlrev_b32_e32 v4, 16, v9
	v_mov_b32_e32 v6, 0x3b800000
	v_lshlrev_b32_e32 v2, 20, v2
	v_and_b32_e32 v4, 0x80000000, v4
	v_lshl_add_u32 v3, v3, 23, v6
	v_or3_b32 v2, v4, v3, v2
.LBB1_5100:
	s_or_b64 exec, exec, s[6:7]
	v_lshrrev_b32_e32 v3, 8, v5
	s_movk_i32 s4, 0x7f
	v_cmp_gt_i16_sdwa s[6:7], v3, s4 src0_sel:BYTE_0 src1_sel:DWORD
	s_mov_b64 s[4:5], 0
                                        ; implicit-def: $sgpr10
	s_and_saveexec_b64 s[8:9], s[6:7]
	s_xor_b64 s[6:7], exec, s[8:9]
	s_cbranch_execz .LBB1_5101
; %bb.40941:
	s_getpc_b64 s[14:15]
.Lpost_getpc6134:
	s_add_u32 s14, s14, (.LBB1_19437-.Lpost_getpc6134)&4294967295
	s_addc_u32 s15, s15, (.LBB1_19437-.Lpost_getpc6134)>>32
	s_setpc_b64 s[14:15]
.LBB1_5101:
	s_or_saveexec_b64 s[6:7], s[6:7]
	v_mov_b32_e32 v4, s10
	s_xor_b64 exec, exec, s[6:7]
	s_cbranch_execz .LBB1_5102
; %bb.40943:
	s_getpc_b64 s[14:15]
.Lpost_getpc6135:
	s_add_u32 s14, s14, (.LBB1_19440-.Lpost_getpc6135)&4294967295
	s_addc_u32 s15, s15, (.LBB1_19440-.Lpost_getpc6135)>>32
	s_setpc_b64 s[14:15]
.LBB1_5102:
	s_or_b64 exec, exec, s[6:7]
	s_and_saveexec_b64 s[6:7], s[4:5]
	s_cbranch_execz .LBB1_5104
.LBB1_5103:
	v_bfe_u32 v4, v5, 8, 3
	v_ffbh_u32_e32 v7, v4
	v_min_u32_e32 v7, 32, v7
	v_lshrrev_b16_e32 v6, 3, v3
	v_subrev_u32_e32 v8, 28, v7
	v_and_b32_e32 v6, 15, v6
	v_lshlrev_b32_e32 v3, v8, v3
	v_sub_u32_e32 v7, 29, v7
	v_and_b32_e32 v3, 7, v3
	v_cmp_eq_u16_e32 vcc, 0, v6
	v_cndmask_b32_e32 v3, v4, v3, vcc
	v_cndmask_b32_e32 v4, v6, v7, vcc
	v_lshlrev_b32_e32 v6, 16, v5
	v_mov_b32_e32 v7, 0x3b800000
	v_lshlrev_b32_e32 v3, 20, v3
	v_and_b32_e32 v6, 0x80000000, v6
	v_lshl_add_u32 v4, v4, 23, v7
	v_or3_b32 v4, v6, v4, v3
.LBB1_5104:
	s_or_b64 exec, exec, s[6:7]
	s_nop 0
	v_mfma_f32_16x16x4f32 a[0:3], v2, v4, a[0:3]
	s_movk_i32 s4, 0xff
	v_and_b32_sdwa v3, v9, s4 dst_sel:DWORD dst_unused:UNUSED_PAD src0_sel:WORD_1 src1_sel:DWORD
	s_movk_i32 s4, 0x7f
	v_cmp_lt_i16_e32 vcc, s4, v3
	s_mov_b64 s[4:5], 0
                                        ; implicit-def: $sgpr10
	s_and_saveexec_b64 s[6:7], vcc
	s_xor_b64 s[6:7], exec, s[6:7]
	s_cbranch_execz .LBB1_5105
; %bb.40945:
	s_getpc_b64 s[14:15]
.Lpost_getpc6136:
	s_add_u32 s14, s14, (.LBB1_19441-.Lpost_getpc6136)&4294967295
	s_addc_u32 s15, s15, (.LBB1_19441-.Lpost_getpc6136)>>32
	s_setpc_b64 s[14:15]
.LBB1_5105:
	s_or_saveexec_b64 s[6:7], s[6:7]
	v_mov_b32_e32 v2, s10
	s_xor_b64 exec, exec, s[6:7]
	s_cbranch_execz .LBB1_5106
; %bb.40947:
	s_getpc_b64 s[14:15]
.Lpost_getpc6137:
	s_add_u32 s14, s14, (.LBB1_19444-.Lpost_getpc6137)&4294967295
	s_addc_u32 s15, s15, (.LBB1_19444-.Lpost_getpc6137)>>32
	s_setpc_b64 s[14:15]
.LBB1_5106:
	s_or_b64 exec, exec, s[6:7]
	s_and_saveexec_b64 s[6:7], s[4:5]
	s_cbranch_execz .LBB1_5108
.LBB1_5107:
	v_bfe_u32 v2, v9, 16, 3
	v_ffbh_u32_e32 v6, v2
	v_min_u32_e32 v6, 32, v6
	v_lshrrev_b32_e32 v3, 19, v9
	v_subrev_u32_e32 v7, 28, v6
	v_and_b32_e32 v3, 15, v3
	v_lshlrev_b32_sdwa v7, v7, v9 dst_sel:DWORD dst_unused:UNUSED_PAD src0_sel:DWORD src1_sel:WORD_1
	v_bfe_u32 v4, v9, 19, 4
	v_sub_u32_e32 v6, 29, v6
	v_and_b32_e32 v7, 7, v7
	v_cmp_eq_u16_e32 vcc, 0, v3
	v_cndmask_b32_e32 v2, v2, v7, vcc
	v_cndmask_b32_e32 v3, v4, v6, vcc
	v_lshlrev_b32_e32 v4, 8, v9
	v_mov_b32_e32 v6, 0x3b800000
	v_lshlrev_b32_e32 v2, 20, v2
	v_and_b32_e32 v4, 0x80000000, v4
	v_lshl_add_u32 v3, v3, 23, v6
	v_or3_b32 v2, v4, v3, v2
.LBB1_5108:
	s_or_b64 exec, exec, s[6:7]
	s_movk_i32 s4, 0xff
	v_and_b32_sdwa v3, v5, s4 dst_sel:DWORD dst_unused:UNUSED_PAD src0_sel:WORD_1 src1_sel:DWORD
	s_movk_i32 s4, 0x7f
	v_cmp_lt_i16_e32 vcc, s4, v3
	s_mov_b64 s[4:5], 0
                                        ; implicit-def: $sgpr10
	s_and_saveexec_b64 s[6:7], vcc
	s_xor_b64 s[6:7], exec, s[6:7]
	s_cbranch_execz .LBB1_5109
; %bb.40949:
	s_getpc_b64 s[14:15]
.Lpost_getpc6138:
	s_add_u32 s14, s14, (.LBB1_19445-.Lpost_getpc6138)&4294967295
	s_addc_u32 s15, s15, (.LBB1_19445-.Lpost_getpc6138)>>32
	s_setpc_b64 s[14:15]
.LBB1_5109:
	s_or_saveexec_b64 s[6:7], s[6:7]
	v_mov_b32_e32 v4, s10
	s_xor_b64 exec, exec, s[6:7]
	s_cbranch_execz .LBB1_5110
; %bb.40951:
	s_getpc_b64 s[14:15]
.Lpost_getpc6139:
	s_add_u32 s14, s14, (.LBB1_19448-.Lpost_getpc6139)&4294967295
	s_addc_u32 s15, s15, (.LBB1_19448-.Lpost_getpc6139)>>32
	s_setpc_b64 s[14:15]
.LBB1_5110:
	s_or_b64 exec, exec, s[6:7]
	s_and_saveexec_b64 s[6:7], s[4:5]
	s_cbranch_execz .LBB1_5112
.LBB1_5111:
	v_bfe_u32 v3, v5, 16, 3
	v_ffbh_u32_e32 v7, v3
	v_min_u32_e32 v7, 32, v7
	v_lshrrev_b32_e32 v4, 19, v5
	v_subrev_u32_e32 v8, 28, v7
	v_and_b32_e32 v4, 15, v4
	v_lshlrev_b32_sdwa v8, v8, v5 dst_sel:DWORD dst_unused:UNUSED_PAD src0_sel:DWORD src1_sel:WORD_1
	v_bfe_u32 v6, v5, 19, 4
	v_sub_u32_e32 v7, 29, v7
	v_and_b32_e32 v8, 7, v8
	v_cmp_eq_u16_e32 vcc, 0, v4
	v_cndmask_b32_e32 v3, v3, v8, vcc
	v_cndmask_b32_e32 v4, v6, v7, vcc
	v_lshlrev_b32_e32 v6, 8, v5
	v_mov_b32_e32 v7, 0x3b800000
	v_lshlrev_b32_e32 v3, 20, v3
	v_and_b32_e32 v6, 0x80000000, v6
	v_lshl_add_u32 v4, v4, 23, v7
	v_or3_b32 v4, v6, v4, v3
.LBB1_5112:
	s_or_b64 exec, exec, s[6:7]
	s_nop 0
	v_mfma_f32_16x16x4f32 a[0:3], v2, v4, a[0:3]
	s_movk_i32 s4, 0x7f
	v_cmp_gt_i16_sdwa s[6:7], v9, s4 src0_sel:BYTE_3 src1_sel:DWORD
	s_mov_b64 s[4:5], 0
                                        ; implicit-def: $sgpr10
	s_and_saveexec_b64 s[8:9], s[6:7]
	s_xor_b64 s[6:7], exec, s[8:9]
	s_cbranch_execz .LBB1_5113
; %bb.40953:
	s_getpc_b64 s[14:15]
.Lpost_getpc6140:
	s_add_u32 s14, s14, (.LBB1_19449-.Lpost_getpc6140)&4294967295
	s_addc_u32 s15, s15, (.LBB1_19449-.Lpost_getpc6140)>>32
	s_setpc_b64 s[14:15]
.LBB1_5113:
	s_or_saveexec_b64 s[6:7], s[6:7]
	v_mov_b32_e32 v2, s10
	s_xor_b64 exec, exec, s[6:7]
	s_cbranch_execz .LBB1_5114
; %bb.40955:
	s_getpc_b64 s[14:15]
.Lpost_getpc6141:
	s_add_u32 s14, s14, (.LBB1_19452-.Lpost_getpc6141)&4294967295
	s_addc_u32 s15, s15, (.LBB1_19452-.Lpost_getpc6141)>>32
	s_setpc_b64 s[14:15]
.LBB1_5114:
	s_or_b64 exec, exec, s[6:7]
	s_and_saveexec_b64 s[6:7], s[4:5]
	s_cbranch_execz .LBB1_5116
.LBB1_5115:
	v_bfe_u32 v2, v9, 24, 3
	v_ffbh_u32_e32 v7, v2
	v_min_u32_e32 v7, 32, v7
	v_lshrrev_b32_e32 v4, 27, v9
	v_subrev_u32_e32 v8, 28, v7
	v_and_b32_e32 v4, 15, v4
	v_lshlrev_b32_sdwa v8, v8, v9 dst_sel:DWORD dst_unused:UNUSED_PAD src0_sel:DWORD src1_sel:BYTE_3
	v_bfe_u32 v6, v9, 27, 4
	v_sub_u32_e32 v7, 29, v7
	v_and_b32_e32 v8, 7, v8
	v_cmp_eq_u16_e32 vcc, 0, v4
	v_cndmask_b32_e32 v2, v2, v8, vcc
	v_cndmask_b32_e32 v4, v6, v7, vcc
	v_mov_b32_e32 v6, 0x3b800000
	v_and_b32_e32 v3, 0x80000000, v9
	v_lshlrev_b32_e32 v2, 20, v2
	v_lshl_add_u32 v4, v4, 23, v6
	v_or3_b32 v2, v3, v4, v2
.LBB1_5116:
	s_or_b64 exec, exec, s[6:7]
	s_movk_i32 s4, 0x7f
	v_cmp_gt_i16_sdwa s[6:7], v5, s4 src0_sel:BYTE_3 src1_sel:DWORD
	s_mov_b64 s[4:5], 0
                                        ; implicit-def: $sgpr10
	s_and_saveexec_b64 s[8:9], s[6:7]
	s_xor_b64 s[6:7], exec, s[8:9]
	s_cbranch_execz .LBB1_5117
; %bb.40957:
	s_getpc_b64 s[14:15]
.Lpost_getpc6142:
	s_add_u32 s14, s14, (.LBB1_19453-.Lpost_getpc6142)&4294967295
	s_addc_u32 s15, s15, (.LBB1_19453-.Lpost_getpc6142)>>32
	s_setpc_b64 s[14:15]
.LBB1_5117:
	s_or_saveexec_b64 s[6:7], s[6:7]
	v_mov_b32_e32 v3, s10
	s_xor_b64 exec, exec, s[6:7]
	s_cbranch_execz .LBB1_5118
; %bb.40959:
	s_getpc_b64 s[14:15]
.Lpost_getpc6143:
	s_add_u32 s14, s14, (.LBB1_19456-.Lpost_getpc6143)&4294967295
	s_addc_u32 s15, s15, (.LBB1_19456-.Lpost_getpc6143)>>32
	s_setpc_b64 s[14:15]
.LBB1_5118:
	s_or_b64 exec, exec, s[6:7]
	s_and_saveexec_b64 s[6:7], s[4:5]
	s_cbranch_execz .LBB1_5120
.LBB1_5119:
	v_bfe_u32 v3, v5, 24, 3
	v_ffbh_u32_e32 v8, v3
	v_min_u32_e32 v8, 32, v8
	v_lshrrev_b32_e32 v6, 27, v5
	v_subrev_u32_e32 v9, 28, v8
	v_and_b32_e32 v4, 0x80000000, v5
	v_and_b32_e32 v6, 15, v6
	v_bfe_u32 v7, v5, 27, 4
	v_lshlrev_b32_sdwa v5, v9, v5 dst_sel:DWORD dst_unused:UNUSED_PAD src0_sel:DWORD src1_sel:BYTE_3
	v_sub_u32_e32 v8, 29, v8
	v_and_b32_e32 v5, 7, v5
	v_cmp_eq_u16_e32 vcc, 0, v6
	v_cndmask_b32_e32 v3, v3, v5, vcc
	v_cndmask_b32_e32 v5, v7, v8, vcc
	v_mov_b32_e32 v6, 0x3b800000
	v_lshlrev_b32_e32 v3, 20, v3
	v_lshl_add_u32 v5, v5, 23, v6
	v_or3_b32 v3, v4, v5, v3
.LBB1_5120:
	s_or_b64 exec, exec, s[6:7]
	s_nop 0
	v_mfma_f32_16x16x4f32 a[0:3], v2, v3, a[0:3]
	s_movk_i32 s4, 0x7f
                                        ; implicit-def: $sgpr10
	s_nop 7
	s_nop 1
	flat_store_dwordx4 v[10:11], a[0:3] offset:624
	flat_load_dwordx4 v[12:15], v[0:1]
	s_nop 0
	flat_load_dwordx2 v[10:11], v[0:1] offset:16
	s_waitcnt vmcnt(0) lgkmcnt(0)
	flat_load_dwordx4 v[6:9], v[12:13] offset:80
	flat_load_dwordx4 v[2:5], v[14:15]
	s_waitcnt vmcnt(0) lgkmcnt(0)
	v_cmp_gt_i16_sdwa s[6:7], v6, s4 src0_sel:BYTE_0 src1_sel:DWORD
	s_mov_b64 s[4:5], 0
	s_and_saveexec_b64 s[8:9], s[6:7]
	s_xor_b64 s[6:7], exec, s[8:9]
	s_cbranch_execz .LBB1_5121
; %bb.40961:
	s_getpc_b64 s[14:15]
.Lpost_getpc6144:
	s_add_u32 s14, s14, (.LBB1_19457-.Lpost_getpc6144)&4294967295
	s_addc_u32 s15, s15, (.LBB1_19457-.Lpost_getpc6144)>>32
	s_setpc_b64 s[14:15]
.LBB1_5121:
	s_or_saveexec_b64 s[6:7], s[6:7]
	v_mov_b32_e32 v12, s10
	s_xor_b64 exec, exec, s[6:7]
	s_cbranch_execz .LBB1_5122
; %bb.40963:
	s_getpc_b64 s[14:15]
.Lpost_getpc6145:
	s_add_u32 s14, s14, (.LBB1_19460-.Lpost_getpc6145)&4294967295
	s_addc_u32 s15, s15, (.LBB1_19460-.Lpost_getpc6145)>>32
	s_setpc_b64 s[14:15]
.LBB1_5122:
	s_or_b64 exec, exec, s[6:7]
	s_and_saveexec_b64 s[6:7], s[4:5]
	s_cbranch_execz .LBB1_5124
.LBB1_5123:
	v_and_b32_e32 v12, 7, v6
	v_ffbh_u32_e32 v14, v12
	v_min_u32_e32 v14, 32, v14
	v_lshrrev_b16_e32 v13, 3, v6
	v_subrev_u32_e32 v15, 28, v14
	v_and_b32_e32 v13, 15, v13
	v_lshlrev_b32_e32 v15, v15, v6
	v_sub_u32_e32 v14, 29, v14
	v_and_b32_e32 v15, 7, v15
	v_cmp_eq_u16_e32 vcc, 0, v13
	v_cndmask_b32_e32 v12, v12, v15, vcc
	v_cndmask_b32_e32 v13, v13, v14, vcc
	v_lshlrev_b32_e32 v14, 24, v6
	v_mov_b32_e32 v15, 0x3b800000
	v_lshlrev_b32_e32 v12, 20, v12
	v_and_b32_e32 v14, 0x80000000, v14
	v_lshl_add_u32 v13, v13, 23, v15
	v_or3_b32 v12, v14, v13, v12
.LBB1_5124:
	s_or_b64 exec, exec, s[6:7]
	s_movk_i32 s4, 0x7f
	v_cmp_gt_i16_sdwa s[6:7], v2, s4 src0_sel:BYTE_0 src1_sel:DWORD
	s_mov_b64 s[4:5], 0
                                        ; implicit-def: $sgpr10
	s_and_saveexec_b64 s[8:9], s[6:7]
	s_xor_b64 s[6:7], exec, s[8:9]
	s_cbranch_execz .LBB1_5125
; %bb.40965:
	s_getpc_b64 s[14:15]
.Lpost_getpc6146:
	s_add_u32 s14, s14, (.LBB1_19461-.Lpost_getpc6146)&4294967295
	s_addc_u32 s15, s15, (.LBB1_19461-.Lpost_getpc6146)>>32
	s_setpc_b64 s[14:15]
.LBB1_5125:
	s_or_saveexec_b64 s[6:7], s[6:7]
	v_mov_b32_e32 v13, s10
	s_xor_b64 exec, exec, s[6:7]
	s_cbranch_execz .LBB1_5126
; %bb.40967:
	s_getpc_b64 s[14:15]
.Lpost_getpc6147:
	s_add_u32 s14, s14, (.LBB1_19464-.Lpost_getpc6147)&4294967295
	s_addc_u32 s15, s15, (.LBB1_19464-.Lpost_getpc6147)>>32
	s_setpc_b64 s[14:15]
.LBB1_5126:
	s_or_b64 exec, exec, s[6:7]
	s_and_saveexec_b64 s[6:7], s[4:5]
	s_cbranch_execz .LBB1_5128
.LBB1_5127:
	v_and_b32_e32 v13, 7, v2
	v_ffbh_u32_e32 v15, v13
	v_min_u32_e32 v15, 32, v15
	v_lshrrev_b16_e32 v14, 3, v2
	v_subrev_u32_e32 v16, 28, v15
	v_and_b32_e32 v14, 15, v14
	v_lshlrev_b32_e32 v16, v16, v2
	v_sub_u32_e32 v15, 29, v15
	v_and_b32_e32 v16, 7, v16
	v_cmp_eq_u16_e32 vcc, 0, v14
	v_cndmask_b32_e32 v13, v13, v16, vcc
	v_cndmask_b32_e32 v14, v14, v15, vcc
	v_lshlrev_b32_e32 v15, 24, v2
	v_mov_b32_e32 v16, 0x3b800000
	v_lshlrev_b32_e32 v13, 20, v13
	v_and_b32_e32 v15, 0x80000000, v15
	v_lshl_add_u32 v14, v14, 23, v16
	v_or3_b32 v13, v15, v14, v13
.LBB1_5128:
	s_or_b64 exec, exec, s[6:7]
	flat_load_dwordx4 a[0:3], v[10:11] offset:640
	s_movk_i32 s4, 0x7f
                                        ; implicit-def: $sgpr10
	s_waitcnt vmcnt(0) lgkmcnt(0)
	v_mfma_f32_16x16x4f32 a[0:3], v12, v13, a[0:3]
	v_lshrrev_b32_e32 v13, 8, v6
	v_cmp_gt_i16_sdwa s[6:7], v13, s4 src0_sel:BYTE_0 src1_sel:DWORD
	s_mov_b64 s[4:5], 0
	s_and_saveexec_b64 s[8:9], s[6:7]
	s_xor_b64 s[6:7], exec, s[8:9]
	s_cbranch_execz .LBB1_5129
; %bb.40969:
	s_getpc_b64 s[14:15]
.Lpost_getpc6148:
	s_add_u32 s14, s14, (.LBB1_19465-.Lpost_getpc6148)&4294967295
	s_addc_u32 s15, s15, (.LBB1_19465-.Lpost_getpc6148)>>32
	s_setpc_b64 s[14:15]
.LBB1_5129:
	s_or_saveexec_b64 s[6:7], s[6:7]
	v_mov_b32_e32 v12, s10
	s_xor_b64 exec, exec, s[6:7]
	s_cbranch_execz .LBB1_5130
; %bb.40971:
	s_getpc_b64 s[14:15]
.Lpost_getpc6149:
	s_add_u32 s14, s14, (.LBB1_19468-.Lpost_getpc6149)&4294967295
	s_addc_u32 s15, s15, (.LBB1_19468-.Lpost_getpc6149)>>32
	s_setpc_b64 s[14:15]
.LBB1_5130:
	s_or_b64 exec, exec, s[6:7]
	s_and_saveexec_b64 s[6:7], s[4:5]
	s_cbranch_execz .LBB1_5132
.LBB1_5131:
	v_bfe_u32 v12, v6, 8, 3
	v_ffbh_u32_e32 v15, v12
	v_min_u32_e32 v15, 32, v15
	v_lshrrev_b16_e32 v14, 3, v13
	v_subrev_u32_e32 v16, 28, v15
	v_and_b32_e32 v14, 15, v14
	v_lshlrev_b32_e32 v13, v16, v13
	v_sub_u32_e32 v15, 29, v15
	v_and_b32_e32 v13, 7, v13
	v_cmp_eq_u16_e32 vcc, 0, v14
	v_cndmask_b32_e32 v12, v12, v13, vcc
	v_cndmask_b32_e32 v13, v14, v15, vcc
	v_lshlrev_b32_e32 v14, 16, v6
	v_mov_b32_e32 v15, 0x3b800000
	v_lshlrev_b32_e32 v12, 20, v12
	v_and_b32_e32 v14, 0x80000000, v14
	v_lshl_add_u32 v13, v13, 23, v15
	v_or3_b32 v12, v14, v13, v12
.LBB1_5132:
	s_or_b64 exec, exec, s[6:7]
	v_lshrrev_b32_e32 v13, 8, v2
	s_movk_i32 s4, 0x7f
	v_cmp_gt_i16_sdwa s[6:7], v13, s4 src0_sel:BYTE_0 src1_sel:DWORD
	s_mov_b64 s[4:5], 0
                                        ; implicit-def: $sgpr10
	s_and_saveexec_b64 s[8:9], s[6:7]
	s_xor_b64 s[6:7], exec, s[8:9]
	s_cbranch_execz .LBB1_5133
; %bb.40973:
	s_getpc_b64 s[14:15]
.Lpost_getpc6150:
	s_add_u32 s14, s14, (.LBB1_19469-.Lpost_getpc6150)&4294967295
	s_addc_u32 s15, s15, (.LBB1_19469-.Lpost_getpc6150)>>32
	s_setpc_b64 s[14:15]
.LBB1_5133:
	s_or_saveexec_b64 s[6:7], s[6:7]
	v_mov_b32_e32 v14, s10
	s_xor_b64 exec, exec, s[6:7]
	s_cbranch_execz .LBB1_5134
; %bb.40975:
	s_getpc_b64 s[14:15]
.Lpost_getpc6151:
	s_add_u32 s14, s14, (.LBB1_19472-.Lpost_getpc6151)&4294967295
	s_addc_u32 s15, s15, (.LBB1_19472-.Lpost_getpc6151)>>32
	s_setpc_b64 s[14:15]
.LBB1_5134:
	s_or_b64 exec, exec, s[6:7]
	s_and_saveexec_b64 s[6:7], s[4:5]
	s_cbranch_execz .LBB1_5136
.LBB1_5135:
	v_bfe_u32 v14, v2, 8, 3
	v_ffbh_u32_e32 v16, v14
	v_min_u32_e32 v16, 32, v16
	v_lshrrev_b16_e32 v15, 3, v13
	v_subrev_u32_e32 v17, 28, v16
	v_and_b32_e32 v15, 15, v15
	v_lshlrev_b32_e32 v13, v17, v13
	v_sub_u32_e32 v16, 29, v16
	v_and_b32_e32 v13, 7, v13
	v_cmp_eq_u16_e32 vcc, 0, v15
	v_cndmask_b32_e32 v13, v14, v13, vcc
	v_cndmask_b32_e32 v14, v15, v16, vcc
	v_lshlrev_b32_e32 v15, 16, v2
	v_mov_b32_e32 v16, 0x3b800000
	v_lshlrev_b32_e32 v13, 20, v13
	v_and_b32_e32 v15, 0x80000000, v15
	v_lshl_add_u32 v14, v14, 23, v16
	v_or3_b32 v14, v15, v14, v13
.LBB1_5136:
	s_or_b64 exec, exec, s[6:7]
	s_nop 0
	v_mfma_f32_16x16x4f32 a[0:3], v12, v14, a[0:3]
	s_movk_i32 s4, 0xff
	v_and_b32_sdwa v13, v6, s4 dst_sel:DWORD dst_unused:UNUSED_PAD src0_sel:WORD_1 src1_sel:DWORD
	s_movk_i32 s4, 0x7f
	v_cmp_lt_i16_e32 vcc, s4, v13
	s_mov_b64 s[4:5], 0
                                        ; implicit-def: $sgpr10
	s_and_saveexec_b64 s[6:7], vcc
	s_xor_b64 s[6:7], exec, s[6:7]
	s_cbranch_execz .LBB1_5137
; %bb.40977:
	s_getpc_b64 s[14:15]
.Lpost_getpc6152:
	s_add_u32 s14, s14, (.LBB1_19473-.Lpost_getpc6152)&4294967295
	s_addc_u32 s15, s15, (.LBB1_19473-.Lpost_getpc6152)>>32
	s_setpc_b64 s[14:15]
.LBB1_5137:
	s_or_saveexec_b64 s[6:7], s[6:7]
	v_mov_b32_e32 v12, s10
	s_xor_b64 exec, exec, s[6:7]
	s_cbranch_execz .LBB1_5138
; %bb.40979:
	s_getpc_b64 s[14:15]
.Lpost_getpc6153:
	s_add_u32 s14, s14, (.LBB1_19476-.Lpost_getpc6153)&4294967295
	s_addc_u32 s15, s15, (.LBB1_19476-.Lpost_getpc6153)>>32
	s_setpc_b64 s[14:15]
.LBB1_5138:
	s_or_b64 exec, exec, s[6:7]
	s_and_saveexec_b64 s[6:7], s[4:5]
	s_cbranch_execz .LBB1_5140
.LBB1_5139:
	v_bfe_u32 v12, v6, 16, 3
	v_ffbh_u32_e32 v15, v12
	v_min_u32_e32 v15, 32, v15
	v_lshrrev_b32_e32 v13, 19, v6
	v_subrev_u32_e32 v16, 28, v15
	v_and_b32_e32 v13, 15, v13
	v_lshlrev_b32_sdwa v16, v16, v6 dst_sel:DWORD dst_unused:UNUSED_PAD src0_sel:DWORD src1_sel:WORD_1
	v_bfe_u32 v14, v6, 19, 4
	v_sub_u32_e32 v15, 29, v15
	v_and_b32_e32 v16, 7, v16
	v_cmp_eq_u16_e32 vcc, 0, v13
	v_cndmask_b32_e32 v12, v12, v16, vcc
	v_cndmask_b32_e32 v13, v14, v15, vcc
	v_lshlrev_b32_e32 v14, 8, v6
	v_mov_b32_e32 v15, 0x3b800000
	v_lshlrev_b32_e32 v12, 20, v12
	v_and_b32_e32 v14, 0x80000000, v14
	v_lshl_add_u32 v13, v13, 23, v15
	v_or3_b32 v12, v14, v13, v12
.LBB1_5140:
	s_or_b64 exec, exec, s[6:7]
	s_movk_i32 s4, 0xff
	v_and_b32_sdwa v13, v2, s4 dst_sel:DWORD dst_unused:UNUSED_PAD src0_sel:WORD_1 src1_sel:DWORD
	s_movk_i32 s4, 0x7f
	v_cmp_lt_i16_e32 vcc, s4, v13
	s_mov_b64 s[4:5], 0
                                        ; implicit-def: $sgpr10
	s_and_saveexec_b64 s[6:7], vcc
	s_xor_b64 s[6:7], exec, s[6:7]
	s_cbranch_execz .LBB1_5141
; %bb.40981:
	s_getpc_b64 s[14:15]
.Lpost_getpc6154:
	s_add_u32 s14, s14, (.LBB1_19477-.Lpost_getpc6154)&4294967295
	s_addc_u32 s15, s15, (.LBB1_19477-.Lpost_getpc6154)>>32
	s_setpc_b64 s[14:15]
.LBB1_5141:
	s_or_saveexec_b64 s[6:7], s[6:7]
	v_mov_b32_e32 v14, s10
	s_xor_b64 exec, exec, s[6:7]
	s_cbranch_execz .LBB1_5142
; %bb.40983:
	s_getpc_b64 s[14:15]
.Lpost_getpc6155:
	s_add_u32 s14, s14, (.LBB1_19480-.Lpost_getpc6155)&4294967295
	s_addc_u32 s15, s15, (.LBB1_19480-.Lpost_getpc6155)>>32
	s_setpc_b64 s[14:15]
.LBB1_5142:
	s_or_b64 exec, exec, s[6:7]
	s_and_saveexec_b64 s[6:7], s[4:5]
	s_cbranch_execz .LBB1_5144
.LBB1_5143:
	v_bfe_u32 v13, v2, 16, 3
	v_ffbh_u32_e32 v16, v13
	v_min_u32_e32 v16, 32, v16
	v_lshrrev_b32_e32 v14, 19, v2
	v_subrev_u32_e32 v17, 28, v16
	v_and_b32_e32 v14, 15, v14
	v_lshlrev_b32_sdwa v17, v17, v2 dst_sel:DWORD dst_unused:UNUSED_PAD src0_sel:DWORD src1_sel:WORD_1
	v_bfe_u32 v15, v2, 19, 4
	v_sub_u32_e32 v16, 29, v16
	v_and_b32_e32 v17, 7, v17
	v_cmp_eq_u16_e32 vcc, 0, v14
	v_cndmask_b32_e32 v13, v13, v17, vcc
	v_cndmask_b32_e32 v14, v15, v16, vcc
	v_lshlrev_b32_e32 v15, 8, v2
	v_mov_b32_e32 v16, 0x3b800000
	v_lshlrev_b32_e32 v13, 20, v13
	v_and_b32_e32 v15, 0x80000000, v15
	v_lshl_add_u32 v14, v14, 23, v16
	v_or3_b32 v14, v15, v14, v13
.LBB1_5144:
	s_or_b64 exec, exec, s[6:7]
	s_nop 0
	v_mfma_f32_16x16x4f32 a[0:3], v12, v14, a[0:3]
	s_movk_i32 s4, 0x7f
	v_cmp_gt_i16_sdwa s[6:7], v6, s4 src0_sel:BYTE_3 src1_sel:DWORD
	s_mov_b64 s[4:5], 0
                                        ; implicit-def: $sgpr10
	s_and_saveexec_b64 s[8:9], s[6:7]
	s_xor_b64 s[6:7], exec, s[8:9]
	s_cbranch_execz .LBB1_5145
; %bb.40985:
	s_getpc_b64 s[14:15]
.Lpost_getpc6156:
	s_add_u32 s14, s14, (.LBB1_19481-.Lpost_getpc6156)&4294967295
	s_addc_u32 s15, s15, (.LBB1_19481-.Lpost_getpc6156)>>32
	s_setpc_b64 s[14:15]
.LBB1_5145:
	s_or_saveexec_b64 s[6:7], s[6:7]
	v_mov_b32_e32 v12, s10
	s_xor_b64 exec, exec, s[6:7]
	s_cbranch_execz .LBB1_5146
; %bb.40987:
	s_getpc_b64 s[14:15]
.Lpost_getpc6157:
	s_add_u32 s14, s14, (.LBB1_19484-.Lpost_getpc6157)&4294967295
	s_addc_u32 s15, s15, (.LBB1_19484-.Lpost_getpc6157)>>32
	s_setpc_b64 s[14:15]
.LBB1_5146:
	s_or_b64 exec, exec, s[6:7]
	s_and_saveexec_b64 s[6:7], s[4:5]
	s_cbranch_execz .LBB1_5148
.LBB1_5147:
	v_bfe_u32 v12, v6, 24, 3
	v_ffbh_u32_e32 v16, v12
	v_min_u32_e32 v16, 32, v16
	v_lshrrev_b32_e32 v14, 27, v6
	v_subrev_u32_e32 v17, 28, v16
	v_and_b32_e32 v13, 0x80000000, v6
	v_and_b32_e32 v14, 15, v14
	v_bfe_u32 v15, v6, 27, 4
	v_lshlrev_b32_sdwa v6, v17, v6 dst_sel:DWORD dst_unused:UNUSED_PAD src0_sel:DWORD src1_sel:BYTE_3
	v_sub_u32_e32 v16, 29, v16
	v_and_b32_e32 v6, 7, v6
	v_cmp_eq_u16_e32 vcc, 0, v14
	v_cndmask_b32_e32 v6, v12, v6, vcc
	v_cndmask_b32_e32 v12, v15, v16, vcc
	v_mov_b32_e32 v14, 0x3b800000
	v_lshlrev_b32_e32 v6, 20, v6
	v_lshl_add_u32 v12, v12, 23, v14
	v_or3_b32 v12, v13, v12, v6
.LBB1_5148:
	s_or_b64 exec, exec, s[6:7]
	s_movk_i32 s4, 0x7f
	v_cmp_gt_i16_sdwa s[6:7], v2, s4 src0_sel:BYTE_3 src1_sel:DWORD
	s_mov_b64 s[4:5], 0
                                        ; implicit-def: $sgpr10
	s_and_saveexec_b64 s[8:9], s[6:7]
	s_xor_b64 s[6:7], exec, s[8:9]
	s_cbranch_execz .LBB1_5149
; %bb.40989:
	s_getpc_b64 s[14:15]
.Lpost_getpc6158:
	s_add_u32 s14, s14, (.LBB1_19485-.Lpost_getpc6158)&4294967295
	s_addc_u32 s15, s15, (.LBB1_19485-.Lpost_getpc6158)>>32
	s_setpc_b64 s[14:15]
.LBB1_5149:
	s_or_saveexec_b64 s[6:7], s[6:7]
	v_mov_b32_e32 v6, s10
	s_xor_b64 exec, exec, s[6:7]
	s_cbranch_execz .LBB1_5150
; %bb.40991:
	s_getpc_b64 s[14:15]
.Lpost_getpc6159:
	s_add_u32 s14, s14, (.LBB1_19488-.Lpost_getpc6159)&4294967295
	s_addc_u32 s15, s15, (.LBB1_19488-.Lpost_getpc6159)>>32
	s_setpc_b64 s[14:15]
.LBB1_5150:
	s_or_b64 exec, exec, s[6:7]
	s_and_saveexec_b64 s[6:7], s[4:5]
	s_cbranch_execz .LBB1_5152
.LBB1_5151:
	v_bfe_u32 v6, v2, 24, 3
	v_ffbh_u32_e32 v16, v6
	v_min_u32_e32 v16, 32, v16
	v_lshrrev_b32_e32 v14, 27, v2
	v_subrev_u32_e32 v17, 28, v16
	v_and_b32_e32 v13, 0x80000000, v2
	v_and_b32_e32 v14, 15, v14
	v_bfe_u32 v15, v2, 27, 4
	v_lshlrev_b32_sdwa v2, v17, v2 dst_sel:DWORD dst_unused:UNUSED_PAD src0_sel:DWORD src1_sel:BYTE_3
	v_sub_u32_e32 v16, 29, v16
	v_and_b32_e32 v2, 7, v2
	v_cmp_eq_u16_e32 vcc, 0, v14
	v_cndmask_b32_e32 v2, v6, v2, vcc
	v_cndmask_b32_e32 v6, v15, v16, vcc
	v_mov_b32_e32 v14, 0x3b800000
	v_lshlrev_b32_e32 v2, 20, v2
	v_lshl_add_u32 v6, v6, 23, v14
	v_or3_b32 v6, v13, v6, v2
.LBB1_5152:
	s_or_b64 exec, exec, s[6:7]
	s_nop 0
	v_mfma_f32_16x16x4f32 a[0:3], v12, v6, a[0:3]
	s_movk_i32 s4, 0x7f
	v_cmp_gt_i16_sdwa s[6:7], v7, s4 src0_sel:BYTE_0 src1_sel:DWORD
	s_mov_b64 s[4:5], 0
                                        ; implicit-def: $sgpr10
	s_and_saveexec_b64 s[8:9], s[6:7]
	s_xor_b64 s[6:7], exec, s[8:9]
	s_cbranch_execz .LBB1_5153
; %bb.40993:
	s_getpc_b64 s[14:15]
.Lpost_getpc6160:
	s_add_u32 s14, s14, (.LBB1_19489-.Lpost_getpc6160)&4294967295
	s_addc_u32 s15, s15, (.LBB1_19489-.Lpost_getpc6160)>>32
	s_setpc_b64 s[14:15]
.LBB1_5153:
	s_or_saveexec_b64 s[6:7], s[6:7]
	v_mov_b32_e32 v2, s10
	s_xor_b64 exec, exec, s[6:7]
	s_cbranch_execz .LBB1_5154
; %bb.40995:
	s_getpc_b64 s[14:15]
.Lpost_getpc6161:
	s_add_u32 s14, s14, (.LBB1_19492-.Lpost_getpc6161)&4294967295
	s_addc_u32 s15, s15, (.LBB1_19492-.Lpost_getpc6161)>>32
	s_setpc_b64 s[14:15]
.LBB1_5154:
	s_or_b64 exec, exec, s[6:7]
	s_and_saveexec_b64 s[6:7], s[4:5]
	s_cbranch_execz .LBB1_5156
.LBB1_5155:
	v_and_b32_e32 v2, 7, v7
	v_ffbh_u32_e32 v12, v2
	v_min_u32_e32 v12, 32, v12
	v_lshrrev_b16_e32 v6, 3, v7
	v_subrev_u32_e32 v13, 28, v12
	v_and_b32_e32 v6, 15, v6
	v_lshlrev_b32_e32 v13, v13, v7
	v_sub_u32_e32 v12, 29, v12
	v_and_b32_e32 v13, 7, v13
	v_cmp_eq_u16_e32 vcc, 0, v6
	v_cndmask_b32_e32 v2, v2, v13, vcc
	v_cndmask_b32_e32 v6, v6, v12, vcc
	v_lshlrev_b32_e32 v12, 24, v7
	v_mov_b32_e32 v13, 0x3b800000
	v_lshlrev_b32_e32 v2, 20, v2
	v_and_b32_e32 v12, 0x80000000, v12
	v_lshl_add_u32 v6, v6, 23, v13
	v_or3_b32 v2, v12, v6, v2
.LBB1_5156:
	s_or_b64 exec, exec, s[6:7]
	s_movk_i32 s4, 0x7f
	v_cmp_gt_i16_sdwa s[6:7], v3, s4 src0_sel:BYTE_0 src1_sel:DWORD
	s_mov_b64 s[4:5], 0
                                        ; implicit-def: $sgpr10
	s_and_saveexec_b64 s[8:9], s[6:7]
	s_xor_b64 s[6:7], exec, s[8:9]
	s_cbranch_execz .LBB1_5157
; %bb.40997:
	s_getpc_b64 s[14:15]
.Lpost_getpc6162:
	s_add_u32 s14, s14, (.LBB1_19493-.Lpost_getpc6162)&4294967295
	s_addc_u32 s15, s15, (.LBB1_19493-.Lpost_getpc6162)>>32
	s_setpc_b64 s[14:15]
.LBB1_5157:
	s_or_saveexec_b64 s[6:7], s[6:7]
	v_mov_b32_e32 v6, s10
	s_xor_b64 exec, exec, s[6:7]
	s_cbranch_execz .LBB1_5158
; %bb.40999:
	s_getpc_b64 s[14:15]
.Lpost_getpc6163:
	s_add_u32 s14, s14, (.LBB1_19496-.Lpost_getpc6163)&4294967295
	s_addc_u32 s15, s15, (.LBB1_19496-.Lpost_getpc6163)>>32
	s_setpc_b64 s[14:15]
.LBB1_5158:
	s_or_b64 exec, exec, s[6:7]
	s_and_saveexec_b64 s[6:7], s[4:5]
	s_cbranch_execz .LBB1_5160
.LBB1_5159:
	v_and_b32_e32 v6, 7, v3
	v_ffbh_u32_e32 v13, v6
	v_min_u32_e32 v13, 32, v13
	v_lshrrev_b16_e32 v12, 3, v3
	v_subrev_u32_e32 v14, 28, v13
	v_and_b32_e32 v12, 15, v12
	v_lshlrev_b32_e32 v14, v14, v3
	v_sub_u32_e32 v13, 29, v13
	v_and_b32_e32 v14, 7, v14
	v_cmp_eq_u16_e32 vcc, 0, v12
	v_cndmask_b32_e32 v6, v6, v14, vcc
	v_cndmask_b32_e32 v12, v12, v13, vcc
	v_lshlrev_b32_e32 v13, 24, v3
	v_mov_b32_e32 v14, 0x3b800000
	v_lshlrev_b32_e32 v6, 20, v6
	v_and_b32_e32 v13, 0x80000000, v13
	v_lshl_add_u32 v12, v12, 23, v14
	v_or3_b32 v6, v13, v12, v6
.LBB1_5160:
	s_or_b64 exec, exec, s[6:7]
	s_nop 0
	v_mfma_f32_16x16x4f32 a[0:3], v2, v6, a[0:3]
	v_lshrrev_b32_e32 v6, 8, v7
	s_movk_i32 s4, 0x7f
	v_cmp_gt_i16_sdwa s[6:7], v6, s4 src0_sel:BYTE_0 src1_sel:DWORD
	s_mov_b64 s[4:5], 0
                                        ; implicit-def: $sgpr10
	s_and_saveexec_b64 s[8:9], s[6:7]
	s_xor_b64 s[6:7], exec, s[8:9]
	s_cbranch_execz .LBB1_5161
; %bb.41001:
	s_getpc_b64 s[14:15]
.Lpost_getpc6164:
	s_add_u32 s14, s14, (.LBB1_19497-.Lpost_getpc6164)&4294967295
	s_addc_u32 s15, s15, (.LBB1_19497-.Lpost_getpc6164)>>32
	s_setpc_b64 s[14:15]
.LBB1_5161:
	s_or_saveexec_b64 s[6:7], s[6:7]
	v_mov_b32_e32 v2, s10
	s_xor_b64 exec, exec, s[6:7]
	s_cbranch_execz .LBB1_5162
; %bb.41003:
	s_getpc_b64 s[14:15]
.Lpost_getpc6165:
	s_add_u32 s14, s14, (.LBB1_19500-.Lpost_getpc6165)&4294967295
	s_addc_u32 s15, s15, (.LBB1_19500-.Lpost_getpc6165)>>32
	s_setpc_b64 s[14:15]
.LBB1_5162:
	s_or_b64 exec, exec, s[6:7]
	s_and_saveexec_b64 s[6:7], s[4:5]
	s_cbranch_execz .LBB1_5164
.LBB1_5163:
	v_bfe_u32 v2, v7, 8, 3
	v_ffbh_u32_e32 v13, v2
	v_min_u32_e32 v13, 32, v13
	v_lshrrev_b16_e32 v12, 3, v6
	v_subrev_u32_e32 v14, 28, v13
	v_and_b32_e32 v12, 15, v12
	v_lshlrev_b32_e32 v6, v14, v6
	v_sub_u32_e32 v13, 29, v13
	v_and_b32_e32 v6, 7, v6
	v_cmp_eq_u16_e32 vcc, 0, v12
	v_cndmask_b32_e32 v2, v2, v6, vcc
	v_cndmask_b32_e32 v6, v12, v13, vcc
	v_lshlrev_b32_e32 v12, 16, v7
	v_mov_b32_e32 v13, 0x3b800000
	v_lshlrev_b32_e32 v2, 20, v2
	v_and_b32_e32 v12, 0x80000000, v12
	v_lshl_add_u32 v6, v6, 23, v13
	v_or3_b32 v2, v12, v6, v2
.LBB1_5164:
	s_or_b64 exec, exec, s[6:7]
	v_lshrrev_b32_e32 v6, 8, v3
	s_movk_i32 s4, 0x7f
	v_cmp_gt_i16_sdwa s[6:7], v6, s4 src0_sel:BYTE_0 src1_sel:DWORD
	s_mov_b64 s[4:5], 0
                                        ; implicit-def: $sgpr10
	s_and_saveexec_b64 s[8:9], s[6:7]
	s_xor_b64 s[6:7], exec, s[8:9]
	s_cbranch_execz .LBB1_5165
; %bb.41005:
	s_getpc_b64 s[14:15]
.Lpost_getpc6166:
	s_add_u32 s14, s14, (.LBB1_19501-.Lpost_getpc6166)&4294967295
	s_addc_u32 s15, s15, (.LBB1_19501-.Lpost_getpc6166)>>32
	s_setpc_b64 s[14:15]
.LBB1_5165:
	s_or_saveexec_b64 s[6:7], s[6:7]
	v_mov_b32_e32 v12, s10
	s_xor_b64 exec, exec, s[6:7]
	s_cbranch_execz .LBB1_5166
; %bb.41007:
	s_getpc_b64 s[14:15]
.Lpost_getpc6167:
	s_add_u32 s14, s14, (.LBB1_19504-.Lpost_getpc6167)&4294967295
	s_addc_u32 s15, s15, (.LBB1_19504-.Lpost_getpc6167)>>32
	s_setpc_b64 s[14:15]
.LBB1_5166:
	s_or_b64 exec, exec, s[6:7]
	s_and_saveexec_b64 s[6:7], s[4:5]
	s_cbranch_execz .LBB1_5168
.LBB1_5167:
	v_bfe_u32 v12, v3, 8, 3
	v_ffbh_u32_e32 v14, v12
	v_min_u32_e32 v14, 32, v14
	v_lshrrev_b16_e32 v13, 3, v6
	v_subrev_u32_e32 v15, 28, v14
	v_and_b32_e32 v13, 15, v13
	v_lshlrev_b32_e32 v6, v15, v6
	v_sub_u32_e32 v14, 29, v14
	v_and_b32_e32 v6, 7, v6
	v_cmp_eq_u16_e32 vcc, 0, v13
	v_cndmask_b32_e32 v6, v12, v6, vcc
	v_cndmask_b32_e32 v12, v13, v14, vcc
	v_lshlrev_b32_e32 v13, 16, v3
	v_mov_b32_e32 v14, 0x3b800000
	v_lshlrev_b32_e32 v6, 20, v6
	v_and_b32_e32 v13, 0x80000000, v13
	v_lshl_add_u32 v12, v12, 23, v14
	v_or3_b32 v12, v13, v12, v6
.LBB1_5168:
	s_or_b64 exec, exec, s[6:7]
	s_nop 0
	v_mfma_f32_16x16x4f32 a[0:3], v2, v12, a[0:3]
	s_movk_i32 s4, 0xff
	v_and_b32_sdwa v6, v7, s4 dst_sel:DWORD dst_unused:UNUSED_PAD src0_sel:WORD_1 src1_sel:DWORD
	s_movk_i32 s4, 0x7f
	v_cmp_lt_i16_e32 vcc, s4, v6
	s_mov_b64 s[4:5], 0
                                        ; implicit-def: $sgpr10
	s_and_saveexec_b64 s[6:7], vcc
	s_xor_b64 s[6:7], exec, s[6:7]
	s_cbranch_execz .LBB1_5169
; %bb.41009:
	s_getpc_b64 s[14:15]
.Lpost_getpc6168:
	s_add_u32 s14, s14, (.LBB1_19505-.Lpost_getpc6168)&4294967295
	s_addc_u32 s15, s15, (.LBB1_19505-.Lpost_getpc6168)>>32
	s_setpc_b64 s[14:15]
.LBB1_5169:
	s_or_saveexec_b64 s[6:7], s[6:7]
	v_mov_b32_e32 v2, s10
	s_xor_b64 exec, exec, s[6:7]
	s_cbranch_execz .LBB1_5170
; %bb.41011:
	s_getpc_b64 s[14:15]
.Lpost_getpc6169:
	s_add_u32 s14, s14, (.LBB1_19508-.Lpost_getpc6169)&4294967295
	s_addc_u32 s15, s15, (.LBB1_19508-.Lpost_getpc6169)>>32
	s_setpc_b64 s[14:15]
.LBB1_5170:
	s_or_b64 exec, exec, s[6:7]
	s_and_saveexec_b64 s[6:7], s[4:5]
	s_cbranch_execz .LBB1_5172
.LBB1_5171:
	v_bfe_u32 v2, v7, 16, 3
	v_ffbh_u32_e32 v13, v2
	v_min_u32_e32 v13, 32, v13
	v_lshrrev_b32_e32 v6, 19, v7
	v_subrev_u32_e32 v14, 28, v13
	v_and_b32_e32 v6, 15, v6
	v_lshlrev_b32_sdwa v14, v14, v7 dst_sel:DWORD dst_unused:UNUSED_PAD src0_sel:DWORD src1_sel:WORD_1
	v_bfe_u32 v12, v7, 19, 4
	v_sub_u32_e32 v13, 29, v13
	v_and_b32_e32 v14, 7, v14
	v_cmp_eq_u16_e32 vcc, 0, v6
	v_cndmask_b32_e32 v2, v2, v14, vcc
	v_cndmask_b32_e32 v6, v12, v13, vcc
	v_lshlrev_b32_e32 v12, 8, v7
	v_mov_b32_e32 v13, 0x3b800000
	v_lshlrev_b32_e32 v2, 20, v2
	v_and_b32_e32 v12, 0x80000000, v12
	v_lshl_add_u32 v6, v6, 23, v13
	v_or3_b32 v2, v12, v6, v2
.LBB1_5172:
	s_or_b64 exec, exec, s[6:7]
	s_movk_i32 s4, 0xff
	v_and_b32_sdwa v6, v3, s4 dst_sel:DWORD dst_unused:UNUSED_PAD src0_sel:WORD_1 src1_sel:DWORD
	s_movk_i32 s4, 0x7f
	v_cmp_lt_i16_e32 vcc, s4, v6
	s_mov_b64 s[4:5], 0
                                        ; implicit-def: $sgpr10
	s_and_saveexec_b64 s[6:7], vcc
	s_xor_b64 s[6:7], exec, s[6:7]
	s_cbranch_execz .LBB1_5173
; %bb.41013:
	s_getpc_b64 s[14:15]
.Lpost_getpc6170:
	s_add_u32 s14, s14, (.LBB1_19509-.Lpost_getpc6170)&4294967295
	s_addc_u32 s15, s15, (.LBB1_19509-.Lpost_getpc6170)>>32
	s_setpc_b64 s[14:15]
.LBB1_5173:
	s_or_saveexec_b64 s[6:7], s[6:7]
	v_mov_b32_e32 v12, s10
	s_xor_b64 exec, exec, s[6:7]
	s_cbranch_execz .LBB1_5174
; %bb.41015:
	s_getpc_b64 s[14:15]
.Lpost_getpc6171:
	s_add_u32 s14, s14, (.LBB1_19512-.Lpost_getpc6171)&4294967295
	s_addc_u32 s15, s15, (.LBB1_19512-.Lpost_getpc6171)>>32
	s_setpc_b64 s[14:15]
.LBB1_5174:
	s_or_b64 exec, exec, s[6:7]
	s_and_saveexec_b64 s[6:7], s[4:5]
	s_cbranch_execz .LBB1_5176
.LBB1_5175:
	v_bfe_u32 v6, v3, 16, 3
	v_ffbh_u32_e32 v14, v6
	v_min_u32_e32 v14, 32, v14
	v_lshrrev_b32_e32 v12, 19, v3
	v_subrev_u32_e32 v15, 28, v14
	v_and_b32_e32 v12, 15, v12
	v_lshlrev_b32_sdwa v15, v15, v3 dst_sel:DWORD dst_unused:UNUSED_PAD src0_sel:DWORD src1_sel:WORD_1
	v_bfe_u32 v13, v3, 19, 4
	v_sub_u32_e32 v14, 29, v14
	v_and_b32_e32 v15, 7, v15
	v_cmp_eq_u16_e32 vcc, 0, v12
	v_cndmask_b32_e32 v6, v6, v15, vcc
	v_cndmask_b32_e32 v12, v13, v14, vcc
	v_lshlrev_b32_e32 v13, 8, v3
	v_mov_b32_e32 v14, 0x3b800000
	v_lshlrev_b32_e32 v6, 20, v6
	v_and_b32_e32 v13, 0x80000000, v13
	v_lshl_add_u32 v12, v12, 23, v14
	v_or3_b32 v12, v13, v12, v6
.LBB1_5176:
	s_or_b64 exec, exec, s[6:7]
	s_nop 0
	v_mfma_f32_16x16x4f32 a[0:3], v2, v12, a[0:3]
	s_movk_i32 s4, 0x7f
	v_cmp_gt_i16_sdwa s[6:7], v7, s4 src0_sel:BYTE_3 src1_sel:DWORD
	s_mov_b64 s[4:5], 0
                                        ; implicit-def: $sgpr10
	s_and_saveexec_b64 s[8:9], s[6:7]
	s_xor_b64 s[6:7], exec, s[8:9]
	s_cbranch_execz .LBB1_5177
; %bb.41017:
	s_getpc_b64 s[14:15]
.Lpost_getpc6172:
	s_add_u32 s14, s14, (.LBB1_19513-.Lpost_getpc6172)&4294967295
	s_addc_u32 s15, s15, (.LBB1_19513-.Lpost_getpc6172)>>32
	s_setpc_b64 s[14:15]
.LBB1_5177:
	s_or_saveexec_b64 s[6:7], s[6:7]
	v_mov_b32_e32 v2, s10
	s_xor_b64 exec, exec, s[6:7]
	s_cbranch_execz .LBB1_5178
; %bb.41019:
	s_getpc_b64 s[14:15]
.Lpost_getpc6173:
	s_add_u32 s14, s14, (.LBB1_19516-.Lpost_getpc6173)&4294967295
	s_addc_u32 s15, s15, (.LBB1_19516-.Lpost_getpc6173)>>32
	s_setpc_b64 s[14:15]
.LBB1_5178:
	s_or_b64 exec, exec, s[6:7]
	s_and_saveexec_b64 s[6:7], s[4:5]
	s_cbranch_execz .LBB1_5180
.LBB1_5179:
	v_bfe_u32 v2, v7, 24, 3
	v_ffbh_u32_e32 v14, v2
	v_min_u32_e32 v14, 32, v14
	v_lshrrev_b32_e32 v12, 27, v7
	v_subrev_u32_e32 v15, 28, v14
	v_and_b32_e32 v6, 0x80000000, v7
	v_and_b32_e32 v12, 15, v12
	v_bfe_u32 v13, v7, 27, 4
	v_lshlrev_b32_sdwa v7, v15, v7 dst_sel:DWORD dst_unused:UNUSED_PAD src0_sel:DWORD src1_sel:BYTE_3
	v_sub_u32_e32 v14, 29, v14
	v_and_b32_e32 v7, 7, v7
	v_cmp_eq_u16_e32 vcc, 0, v12
	v_cndmask_b32_e32 v2, v2, v7, vcc
	v_cndmask_b32_e32 v7, v13, v14, vcc
	v_mov_b32_e32 v12, 0x3b800000
	v_lshlrev_b32_e32 v2, 20, v2
	v_lshl_add_u32 v7, v7, 23, v12
	v_or3_b32 v2, v6, v7, v2
.LBB1_5180:
	s_or_b64 exec, exec, s[6:7]
	s_movk_i32 s4, 0x7f
	v_cmp_gt_i16_sdwa s[6:7], v3, s4 src0_sel:BYTE_3 src1_sel:DWORD
	s_mov_b64 s[4:5], 0
                                        ; implicit-def: $sgpr10
	s_and_saveexec_b64 s[8:9], s[6:7]
	s_xor_b64 s[6:7], exec, s[8:9]
	s_cbranch_execz .LBB1_5181
; %bb.41021:
	s_getpc_b64 s[14:15]
.Lpost_getpc6174:
	s_add_u32 s14, s14, (.LBB1_19517-.Lpost_getpc6174)&4294967295
	s_addc_u32 s15, s15, (.LBB1_19517-.Lpost_getpc6174)>>32
	s_setpc_b64 s[14:15]
.LBB1_5181:
	s_or_saveexec_b64 s[6:7], s[6:7]
	v_mov_b32_e32 v6, s10
	s_xor_b64 exec, exec, s[6:7]
	s_cbranch_execz .LBB1_5182
; %bb.41023:
	s_getpc_b64 s[14:15]
.Lpost_getpc6175:
	s_add_u32 s14, s14, (.LBB1_19520-.Lpost_getpc6175)&4294967295
	s_addc_u32 s15, s15, (.LBB1_19520-.Lpost_getpc6175)>>32
	s_setpc_b64 s[14:15]
.LBB1_5182:
	s_or_b64 exec, exec, s[6:7]
	s_and_saveexec_b64 s[6:7], s[4:5]
	s_cbranch_execz .LBB1_5184
.LBB1_5183:
	v_bfe_u32 v6, v3, 24, 3
	v_ffbh_u32_e32 v14, v6
	v_min_u32_e32 v14, 32, v14
	v_lshrrev_b32_e32 v12, 27, v3
	v_subrev_u32_e32 v15, 28, v14
	v_and_b32_e32 v7, 0x80000000, v3
	v_and_b32_e32 v12, 15, v12
	v_bfe_u32 v13, v3, 27, 4
	v_lshlrev_b32_sdwa v3, v15, v3 dst_sel:DWORD dst_unused:UNUSED_PAD src0_sel:DWORD src1_sel:BYTE_3
	v_sub_u32_e32 v14, 29, v14
	v_and_b32_e32 v3, 7, v3
	v_cmp_eq_u16_e32 vcc, 0, v12
	v_cndmask_b32_e32 v3, v6, v3, vcc
	v_cndmask_b32_e32 v6, v13, v14, vcc
	v_mov_b32_e32 v12, 0x3b800000
	v_lshlrev_b32_e32 v3, 20, v3
	v_lshl_add_u32 v6, v6, 23, v12
	v_or3_b32 v6, v7, v6, v3
.LBB1_5184:
	s_or_b64 exec, exec, s[6:7]
	s_nop 0
	v_mfma_f32_16x16x4f32 a[0:3], v2, v6, a[0:3]
	s_movk_i32 s4, 0x7f
	v_cmp_gt_i16_sdwa s[6:7], v8, s4 src0_sel:BYTE_0 src1_sel:DWORD
	s_mov_b64 s[4:5], 0
                                        ; implicit-def: $sgpr10
	s_and_saveexec_b64 s[8:9], s[6:7]
	s_xor_b64 s[6:7], exec, s[8:9]
	s_cbranch_execz .LBB1_5185
; %bb.41025:
	s_getpc_b64 s[14:15]
.Lpost_getpc6176:
	s_add_u32 s14, s14, (.LBB1_19521-.Lpost_getpc6176)&4294967295
	s_addc_u32 s15, s15, (.LBB1_19521-.Lpost_getpc6176)>>32
	s_setpc_b64 s[14:15]
.LBB1_5185:
	s_or_saveexec_b64 s[6:7], s[6:7]
	v_mov_b32_e32 v2, s10
	s_xor_b64 exec, exec, s[6:7]
	s_cbranch_execz .LBB1_5186
; %bb.41027:
	s_getpc_b64 s[14:15]
.Lpost_getpc6177:
	s_add_u32 s14, s14, (.LBB1_19524-.Lpost_getpc6177)&4294967295
	s_addc_u32 s15, s15, (.LBB1_19524-.Lpost_getpc6177)>>32
	s_setpc_b64 s[14:15]
.LBB1_5186:
	s_or_b64 exec, exec, s[6:7]
	s_and_saveexec_b64 s[6:7], s[4:5]
	s_cbranch_execz .LBB1_5188
.LBB1_5187:
	v_and_b32_e32 v2, 7, v8
	v_ffbh_u32_e32 v6, v2
	v_min_u32_e32 v6, 32, v6
	v_lshrrev_b16_e32 v3, 3, v8
	v_subrev_u32_e32 v7, 28, v6
	v_and_b32_e32 v3, 15, v3
	v_lshlrev_b32_e32 v7, v7, v8
	v_sub_u32_e32 v6, 29, v6
	v_and_b32_e32 v7, 7, v7
	v_cmp_eq_u16_e32 vcc, 0, v3
	v_cndmask_b32_e32 v2, v2, v7, vcc
	v_cndmask_b32_e32 v3, v3, v6, vcc
	v_lshlrev_b32_e32 v6, 24, v8
	v_mov_b32_e32 v7, 0x3b800000
	v_lshlrev_b32_e32 v2, 20, v2
	v_and_b32_e32 v6, 0x80000000, v6
	v_lshl_add_u32 v3, v3, 23, v7
	v_or3_b32 v2, v6, v3, v2
.LBB1_5188:
	s_or_b64 exec, exec, s[6:7]
	s_movk_i32 s4, 0x7f
	v_cmp_gt_i16_sdwa s[6:7], v4, s4 src0_sel:BYTE_0 src1_sel:DWORD
	s_mov_b64 s[4:5], 0
                                        ; implicit-def: $sgpr10
	s_and_saveexec_b64 s[8:9], s[6:7]
	s_xor_b64 s[6:7], exec, s[8:9]
	s_cbranch_execz .LBB1_5189
; %bb.41029:
	s_getpc_b64 s[14:15]
.Lpost_getpc6178:
	s_add_u32 s14, s14, (.LBB1_19525-.Lpost_getpc6178)&4294967295
	s_addc_u32 s15, s15, (.LBB1_19525-.Lpost_getpc6178)>>32
	s_setpc_b64 s[14:15]
.LBB1_5189:
	s_or_saveexec_b64 s[6:7], s[6:7]
	v_mov_b32_e32 v3, s10
	s_xor_b64 exec, exec, s[6:7]
	s_cbranch_execz .LBB1_5190
; %bb.41031:
	s_getpc_b64 s[14:15]
.Lpost_getpc6179:
	s_add_u32 s14, s14, (.LBB1_19528-.Lpost_getpc6179)&4294967295
	s_addc_u32 s15, s15, (.LBB1_19528-.Lpost_getpc6179)>>32
	s_setpc_b64 s[14:15]
.LBB1_5190:
	s_or_b64 exec, exec, s[6:7]
	s_and_saveexec_b64 s[6:7], s[4:5]
	s_cbranch_execz .LBB1_5192
.LBB1_5191:
	v_and_b32_e32 v3, 7, v4
	v_ffbh_u32_e32 v7, v3
	v_min_u32_e32 v7, 32, v7
	v_lshrrev_b16_e32 v6, 3, v4
	v_subrev_u32_e32 v12, 28, v7
	v_and_b32_e32 v6, 15, v6
	v_lshlrev_b32_e32 v12, v12, v4
	v_sub_u32_e32 v7, 29, v7
	v_and_b32_e32 v12, 7, v12
	v_cmp_eq_u16_e32 vcc, 0, v6
	v_cndmask_b32_e32 v3, v3, v12, vcc
	v_cndmask_b32_e32 v6, v6, v7, vcc
	v_lshlrev_b32_e32 v7, 24, v4
	v_mov_b32_e32 v12, 0x3b800000
	v_lshlrev_b32_e32 v3, 20, v3
	v_and_b32_e32 v7, 0x80000000, v7
	v_lshl_add_u32 v6, v6, 23, v12
	v_or3_b32 v3, v7, v6, v3
.LBB1_5192:
	s_or_b64 exec, exec, s[6:7]
	s_nop 0
	v_mfma_f32_16x16x4f32 a[0:3], v2, v3, a[0:3]
	v_lshrrev_b32_e32 v3, 8, v8
	s_movk_i32 s4, 0x7f
	v_cmp_gt_i16_sdwa s[6:7], v3, s4 src0_sel:BYTE_0 src1_sel:DWORD
	s_mov_b64 s[4:5], 0
                                        ; implicit-def: $sgpr10
	s_and_saveexec_b64 s[8:9], s[6:7]
	s_xor_b64 s[6:7], exec, s[8:9]
	s_cbranch_execz .LBB1_5193
; %bb.41033:
	s_getpc_b64 s[14:15]
.Lpost_getpc6180:
	s_add_u32 s14, s14, (.LBB1_19529-.Lpost_getpc6180)&4294967295
	s_addc_u32 s15, s15, (.LBB1_19529-.Lpost_getpc6180)>>32
	s_setpc_b64 s[14:15]
.LBB1_5193:
	s_or_saveexec_b64 s[6:7], s[6:7]
	v_mov_b32_e32 v2, s10
	s_xor_b64 exec, exec, s[6:7]
	s_cbranch_execz .LBB1_5194
; %bb.41035:
	s_getpc_b64 s[14:15]
.Lpost_getpc6181:
	s_add_u32 s14, s14, (.LBB1_19532-.Lpost_getpc6181)&4294967295
	s_addc_u32 s15, s15, (.LBB1_19532-.Lpost_getpc6181)>>32
	s_setpc_b64 s[14:15]
.LBB1_5194:
	s_or_b64 exec, exec, s[6:7]
	s_and_saveexec_b64 s[6:7], s[4:5]
	s_cbranch_execz .LBB1_5196
.LBB1_5195:
	v_bfe_u32 v2, v8, 8, 3
	v_ffbh_u32_e32 v7, v2
	v_min_u32_e32 v7, 32, v7
	v_lshrrev_b16_e32 v6, 3, v3
	v_subrev_u32_e32 v12, 28, v7
	v_and_b32_e32 v6, 15, v6
	v_lshlrev_b32_e32 v3, v12, v3
	v_sub_u32_e32 v7, 29, v7
	v_and_b32_e32 v3, 7, v3
	v_cmp_eq_u16_e32 vcc, 0, v6
	v_cndmask_b32_e32 v2, v2, v3, vcc
	v_cndmask_b32_e32 v3, v6, v7, vcc
	v_lshlrev_b32_e32 v6, 16, v8
	v_mov_b32_e32 v7, 0x3b800000
	v_lshlrev_b32_e32 v2, 20, v2
	v_and_b32_e32 v6, 0x80000000, v6
	v_lshl_add_u32 v3, v3, 23, v7
	v_or3_b32 v2, v6, v3, v2
.LBB1_5196:
	s_or_b64 exec, exec, s[6:7]
	v_lshrrev_b32_e32 v3, 8, v4
	s_movk_i32 s4, 0x7f
	v_cmp_gt_i16_sdwa s[6:7], v3, s4 src0_sel:BYTE_0 src1_sel:DWORD
	s_mov_b64 s[4:5], 0
                                        ; implicit-def: $sgpr10
	s_and_saveexec_b64 s[8:9], s[6:7]
	s_xor_b64 s[6:7], exec, s[8:9]
	s_cbranch_execz .LBB1_5197
; %bb.41037:
	s_getpc_b64 s[14:15]
.Lpost_getpc6182:
	s_add_u32 s14, s14, (.LBB1_19533-.Lpost_getpc6182)&4294967295
	s_addc_u32 s15, s15, (.LBB1_19533-.Lpost_getpc6182)>>32
	s_setpc_b64 s[14:15]
.LBB1_5197:
	s_or_saveexec_b64 s[6:7], s[6:7]
	v_mov_b32_e32 v6, s10
	s_xor_b64 exec, exec, s[6:7]
	s_cbranch_execz .LBB1_5198
; %bb.41039:
	s_getpc_b64 s[14:15]
.Lpost_getpc6183:
	s_add_u32 s14, s14, (.LBB1_19536-.Lpost_getpc6183)&4294967295
	s_addc_u32 s15, s15, (.LBB1_19536-.Lpost_getpc6183)>>32
	s_setpc_b64 s[14:15]
.LBB1_5198:
	s_or_b64 exec, exec, s[6:7]
	s_and_saveexec_b64 s[6:7], s[4:5]
	s_cbranch_execz .LBB1_5200
.LBB1_5199:
	v_bfe_u32 v6, v4, 8, 3
	v_ffbh_u32_e32 v12, v6
	v_min_u32_e32 v12, 32, v12
	v_lshrrev_b16_e32 v7, 3, v3
	v_subrev_u32_e32 v13, 28, v12
	v_and_b32_e32 v7, 15, v7
	v_lshlrev_b32_e32 v3, v13, v3
	v_sub_u32_e32 v12, 29, v12
	v_and_b32_e32 v3, 7, v3
	v_cmp_eq_u16_e32 vcc, 0, v7
	v_cndmask_b32_e32 v3, v6, v3, vcc
	v_cndmask_b32_e32 v6, v7, v12, vcc
	v_lshlrev_b32_e32 v7, 16, v4
	v_mov_b32_e32 v12, 0x3b800000
	v_lshlrev_b32_e32 v3, 20, v3
	v_and_b32_e32 v7, 0x80000000, v7
	v_lshl_add_u32 v6, v6, 23, v12
	v_or3_b32 v6, v7, v6, v3
.LBB1_5200:
	s_or_b64 exec, exec, s[6:7]
	s_nop 0
	v_mfma_f32_16x16x4f32 a[0:3], v2, v6, a[0:3]
	s_movk_i32 s4, 0xff
	v_and_b32_sdwa v3, v8, s4 dst_sel:DWORD dst_unused:UNUSED_PAD src0_sel:WORD_1 src1_sel:DWORD
	s_movk_i32 s4, 0x7f
	v_cmp_lt_i16_e32 vcc, s4, v3
	s_mov_b64 s[4:5], 0
                                        ; implicit-def: $sgpr10
	s_and_saveexec_b64 s[6:7], vcc
	s_xor_b64 s[6:7], exec, s[6:7]
	s_cbranch_execz .LBB1_5201
; %bb.41041:
	s_getpc_b64 s[14:15]
.Lpost_getpc6184:
	s_add_u32 s14, s14, (.LBB1_19537-.Lpost_getpc6184)&4294967295
	s_addc_u32 s15, s15, (.LBB1_19537-.Lpost_getpc6184)>>32
	s_setpc_b64 s[14:15]
.LBB1_5201:
	s_or_saveexec_b64 s[6:7], s[6:7]
	v_mov_b32_e32 v2, s10
	s_xor_b64 exec, exec, s[6:7]
	s_cbranch_execz .LBB1_5202
; %bb.41043:
	s_getpc_b64 s[14:15]
.Lpost_getpc6185:
	s_add_u32 s14, s14, (.LBB1_19540-.Lpost_getpc6185)&4294967295
	s_addc_u32 s15, s15, (.LBB1_19540-.Lpost_getpc6185)>>32
	s_setpc_b64 s[14:15]
.LBB1_5202:
	s_or_b64 exec, exec, s[6:7]
	s_and_saveexec_b64 s[6:7], s[4:5]
	s_cbranch_execz .LBB1_5204
.LBB1_5203:
	v_bfe_u32 v2, v8, 16, 3
	v_ffbh_u32_e32 v7, v2
	v_min_u32_e32 v7, 32, v7
	v_lshrrev_b32_e32 v3, 19, v8
	v_subrev_u32_e32 v12, 28, v7
	v_and_b32_e32 v3, 15, v3
	v_lshlrev_b32_sdwa v12, v12, v8 dst_sel:DWORD dst_unused:UNUSED_PAD src0_sel:DWORD src1_sel:WORD_1
	v_bfe_u32 v6, v8, 19, 4
	v_sub_u32_e32 v7, 29, v7
	v_and_b32_e32 v12, 7, v12
	v_cmp_eq_u16_e32 vcc, 0, v3
	v_cndmask_b32_e32 v2, v2, v12, vcc
	v_cndmask_b32_e32 v3, v6, v7, vcc
	v_lshlrev_b32_e32 v6, 8, v8
	v_mov_b32_e32 v7, 0x3b800000
	v_lshlrev_b32_e32 v2, 20, v2
	v_and_b32_e32 v6, 0x80000000, v6
	v_lshl_add_u32 v3, v3, 23, v7
	v_or3_b32 v2, v6, v3, v2
.LBB1_5204:
	s_or_b64 exec, exec, s[6:7]
	s_movk_i32 s4, 0xff
	v_and_b32_sdwa v3, v4, s4 dst_sel:DWORD dst_unused:UNUSED_PAD src0_sel:WORD_1 src1_sel:DWORD
	s_movk_i32 s4, 0x7f
	v_cmp_lt_i16_e32 vcc, s4, v3
	s_mov_b64 s[4:5], 0
                                        ; implicit-def: $sgpr10
	s_and_saveexec_b64 s[6:7], vcc
	s_xor_b64 s[6:7], exec, s[6:7]
	s_cbranch_execz .LBB1_5205
; %bb.41045:
	s_getpc_b64 s[14:15]
.Lpost_getpc6186:
	s_add_u32 s14, s14, (.LBB1_19541-.Lpost_getpc6186)&4294967295
	s_addc_u32 s15, s15, (.LBB1_19541-.Lpost_getpc6186)>>32
	s_setpc_b64 s[14:15]
.LBB1_5205:
	s_or_saveexec_b64 s[6:7], s[6:7]
	v_mov_b32_e32 v6, s10
	s_xor_b64 exec, exec, s[6:7]
	s_cbranch_execz .LBB1_5206
; %bb.41047:
	s_getpc_b64 s[14:15]
.Lpost_getpc6187:
	s_add_u32 s14, s14, (.LBB1_19544-.Lpost_getpc6187)&4294967295
	s_addc_u32 s15, s15, (.LBB1_19544-.Lpost_getpc6187)>>32
	s_setpc_b64 s[14:15]
.LBB1_5206:
	s_or_b64 exec, exec, s[6:7]
	s_and_saveexec_b64 s[6:7], s[4:5]
	s_cbranch_execz .LBB1_5208
.LBB1_5207:
	v_bfe_u32 v3, v4, 16, 3
	v_ffbh_u32_e32 v12, v3
	v_min_u32_e32 v12, 32, v12
	v_lshrrev_b32_e32 v6, 19, v4
	v_subrev_u32_e32 v13, 28, v12
	v_and_b32_e32 v6, 15, v6
	v_lshlrev_b32_sdwa v13, v13, v4 dst_sel:DWORD dst_unused:UNUSED_PAD src0_sel:DWORD src1_sel:WORD_1
	v_bfe_u32 v7, v4, 19, 4
	v_sub_u32_e32 v12, 29, v12
	v_and_b32_e32 v13, 7, v13
	v_cmp_eq_u16_e32 vcc, 0, v6
	v_cndmask_b32_e32 v3, v3, v13, vcc
	v_cndmask_b32_e32 v6, v7, v12, vcc
	v_lshlrev_b32_e32 v7, 8, v4
	v_mov_b32_e32 v12, 0x3b800000
	v_lshlrev_b32_e32 v3, 20, v3
	v_and_b32_e32 v7, 0x80000000, v7
	v_lshl_add_u32 v6, v6, 23, v12
	v_or3_b32 v6, v7, v6, v3
.LBB1_5208:
	s_or_b64 exec, exec, s[6:7]
	s_nop 0
	v_mfma_f32_16x16x4f32 a[0:3], v2, v6, a[0:3]
	s_movk_i32 s4, 0x7f
	v_cmp_gt_i16_sdwa s[6:7], v8, s4 src0_sel:BYTE_3 src1_sel:DWORD
	s_mov_b64 s[4:5], 0
                                        ; implicit-def: $sgpr10
	s_and_saveexec_b64 s[8:9], s[6:7]
	s_xor_b64 s[6:7], exec, s[8:9]
	s_cbranch_execz .LBB1_5209
; %bb.41049:
	s_getpc_b64 s[14:15]
.Lpost_getpc6188:
	s_add_u32 s14, s14, (.LBB1_19545-.Lpost_getpc6188)&4294967295
	s_addc_u32 s15, s15, (.LBB1_19545-.Lpost_getpc6188)>>32
	s_setpc_b64 s[14:15]
.LBB1_5209:
	s_or_saveexec_b64 s[6:7], s[6:7]
	v_mov_b32_e32 v2, s10
	s_xor_b64 exec, exec, s[6:7]
	s_cbranch_execz .LBB1_5210
; %bb.41051:
	s_getpc_b64 s[14:15]
.Lpost_getpc6189:
	s_add_u32 s14, s14, (.LBB1_19548-.Lpost_getpc6189)&4294967295
	s_addc_u32 s15, s15, (.LBB1_19548-.Lpost_getpc6189)>>32
	s_setpc_b64 s[14:15]
.LBB1_5210:
	s_or_b64 exec, exec, s[6:7]
	s_and_saveexec_b64 s[6:7], s[4:5]
	s_cbranch_execz .LBB1_5212
.LBB1_5211:
	v_bfe_u32 v2, v8, 24, 3
	v_ffbh_u32_e32 v12, v2
	v_min_u32_e32 v12, 32, v12
	v_lshrrev_b32_e32 v6, 27, v8
	v_subrev_u32_e32 v13, 28, v12
	v_and_b32_e32 v3, 0x80000000, v8
	v_and_b32_e32 v6, 15, v6
	v_bfe_u32 v7, v8, 27, 4
	v_lshlrev_b32_sdwa v8, v13, v8 dst_sel:DWORD dst_unused:UNUSED_PAD src0_sel:DWORD src1_sel:BYTE_3
	v_sub_u32_e32 v12, 29, v12
	v_and_b32_e32 v8, 7, v8
	v_cmp_eq_u16_e32 vcc, 0, v6
	v_cndmask_b32_e32 v2, v2, v8, vcc
	v_cndmask_b32_e32 v6, v7, v12, vcc
	v_mov_b32_e32 v7, 0x3b800000
	v_lshlrev_b32_e32 v2, 20, v2
	v_lshl_add_u32 v6, v6, 23, v7
	v_or3_b32 v2, v3, v6, v2
.LBB1_5212:
	s_or_b64 exec, exec, s[6:7]
	s_movk_i32 s4, 0x7f
	v_cmp_gt_i16_sdwa s[6:7], v4, s4 src0_sel:BYTE_3 src1_sel:DWORD
	s_mov_b64 s[4:5], 0
                                        ; implicit-def: $sgpr10
	s_and_saveexec_b64 s[8:9], s[6:7]
	s_xor_b64 s[6:7], exec, s[8:9]
	s_cbranch_execz .LBB1_5213
; %bb.41053:
	s_getpc_b64 s[14:15]
.Lpost_getpc6190:
	s_add_u32 s14, s14, (.LBB1_19549-.Lpost_getpc6190)&4294967295
	s_addc_u32 s15, s15, (.LBB1_19549-.Lpost_getpc6190)>>32
	s_setpc_b64 s[14:15]
.LBB1_5213:
	s_or_saveexec_b64 s[6:7], s[6:7]
	v_mov_b32_e32 v3, s10
	s_xor_b64 exec, exec, s[6:7]
	s_cbranch_execz .LBB1_5214
; %bb.41055:
	s_getpc_b64 s[14:15]
.Lpost_getpc6191:
	s_add_u32 s14, s14, (.LBB1_19552-.Lpost_getpc6191)&4294967295
	s_addc_u32 s15, s15, (.LBB1_19552-.Lpost_getpc6191)>>32
	s_setpc_b64 s[14:15]
.LBB1_5214:
	s_or_b64 exec, exec, s[6:7]
	s_and_saveexec_b64 s[6:7], s[4:5]
	s_cbranch_execz .LBB1_5216
.LBB1_5215:
	v_bfe_u32 v3, v4, 24, 3
	v_ffbh_u32_e32 v12, v3
	v_min_u32_e32 v12, 32, v12
	v_lshrrev_b32_e32 v7, 27, v4
	v_subrev_u32_e32 v13, 28, v12
	v_and_b32_e32 v6, 0x80000000, v4
	v_and_b32_e32 v7, 15, v7
	v_bfe_u32 v8, v4, 27, 4
	v_lshlrev_b32_sdwa v4, v13, v4 dst_sel:DWORD dst_unused:UNUSED_PAD src0_sel:DWORD src1_sel:BYTE_3
	v_sub_u32_e32 v12, 29, v12
	v_and_b32_e32 v4, 7, v4
	v_cmp_eq_u16_e32 vcc, 0, v7
	v_cndmask_b32_e32 v3, v3, v4, vcc
	v_cndmask_b32_e32 v4, v8, v12, vcc
	v_mov_b32_e32 v7, 0x3b800000
	v_lshlrev_b32_e32 v3, 20, v3
	v_lshl_add_u32 v4, v4, 23, v7
	v_or3_b32 v3, v6, v4, v3
.LBB1_5216:
	s_or_b64 exec, exec, s[6:7]
	s_nop 0
	v_mfma_f32_16x16x4f32 a[0:3], v2, v3, a[0:3]
	s_movk_i32 s4, 0x7f
	v_cmp_gt_i16_sdwa s[6:7], v9, s4 src0_sel:BYTE_0 src1_sel:DWORD
	s_mov_b64 s[4:5], 0
                                        ; implicit-def: $sgpr10
	s_and_saveexec_b64 s[8:9], s[6:7]
	s_xor_b64 s[6:7], exec, s[8:9]
	s_cbranch_execz .LBB1_5217
; %bb.41057:
	s_getpc_b64 s[14:15]
.Lpost_getpc6192:
	s_add_u32 s14, s14, (.LBB1_19553-.Lpost_getpc6192)&4294967295
	s_addc_u32 s15, s15, (.LBB1_19553-.Lpost_getpc6192)>>32
	s_setpc_b64 s[14:15]
.LBB1_5217:
	s_or_saveexec_b64 s[6:7], s[6:7]
	v_mov_b32_e32 v2, s10
	s_xor_b64 exec, exec, s[6:7]
	s_cbranch_execz .LBB1_5218
; %bb.41059:
	s_getpc_b64 s[14:15]
.Lpost_getpc6193:
	s_add_u32 s14, s14, (.LBB1_19556-.Lpost_getpc6193)&4294967295
	s_addc_u32 s15, s15, (.LBB1_19556-.Lpost_getpc6193)>>32
	s_setpc_b64 s[14:15]
.LBB1_5218:
	s_or_b64 exec, exec, s[6:7]
	s_and_saveexec_b64 s[6:7], s[4:5]
	s_cbranch_execz .LBB1_5220
.LBB1_5219:
	v_mov_b32_e32 v2, 8
	v_and_b32_e32 v3, 7, v9
	v_lshrrev_b32_sdwa v2, v2, v9 dst_sel:BYTE_1 dst_unused:UNUSED_PAD src0_sel:DWORD src1_sel:DWORD
	v_ffbh_u32_e32 v4, v3
	v_or_b32_sdwa v2, v9, v2 dst_sel:DWORD dst_unused:UNUSED_PAD src0_sel:BYTE_0 src1_sel:DWORD
	v_min_u32_e32 v4, 32, v4
	v_lshrrev_b16_e32 v2, 3, v2
	v_subrev_u32_e32 v6, 28, v4
	v_and_b32_e32 v2, 15, v2
	v_lshlrev_b32_e32 v6, v6, v9
	v_sub_u32_e32 v4, 29, v4
	v_and_b32_e32 v6, 7, v6
	v_cmp_eq_u16_e32 vcc, 0, v2
	v_cndmask_b32_e32 v3, v3, v6, vcc
	v_cndmask_b32_e32 v2, v2, v4, vcc
	v_lshlrev_b32_e32 v4, 24, v9
	v_mov_b32_e32 v6, 0x3b800000
	v_lshlrev_b32_e32 v3, 20, v3
	v_and_b32_e32 v4, 0x80000000, v4
	v_lshl_add_u32 v2, v2, 23, v6
	v_or3_b32 v2, v4, v2, v3
.LBB1_5220:
	s_or_b64 exec, exec, s[6:7]
	s_movk_i32 s4, 0x7f
	v_cmp_gt_i16_sdwa s[6:7], v5, s4 src0_sel:BYTE_0 src1_sel:DWORD
	s_mov_b64 s[4:5], 0
                                        ; implicit-def: $sgpr10
	s_and_saveexec_b64 s[8:9], s[6:7]
	s_xor_b64 s[6:7], exec, s[8:9]
	s_cbranch_execz .LBB1_5221
; %bb.41061:
	s_getpc_b64 s[14:15]
.Lpost_getpc6194:
	s_add_u32 s14, s14, (.LBB1_19557-.Lpost_getpc6194)&4294967295
	s_addc_u32 s15, s15, (.LBB1_19557-.Lpost_getpc6194)>>32
	s_setpc_b64 s[14:15]
.LBB1_5221:
	s_or_saveexec_b64 s[6:7], s[6:7]
	v_mov_b32_e32 v3, s10
	s_xor_b64 exec, exec, s[6:7]
	s_cbranch_execz .LBB1_5222
; %bb.41063:
	s_getpc_b64 s[14:15]
.Lpost_getpc6195:
	s_add_u32 s14, s14, (.LBB1_19560-.Lpost_getpc6195)&4294967295
	s_addc_u32 s15, s15, (.LBB1_19560-.Lpost_getpc6195)>>32
	s_setpc_b64 s[14:15]
.LBB1_5222:
	s_or_b64 exec, exec, s[6:7]
	s_and_saveexec_b64 s[6:7], s[4:5]
	s_cbranch_execz .LBB1_5224
.LBB1_5223:
	v_mov_b32_e32 v3, 8
	v_and_b32_e32 v4, 7, v5
	v_lshrrev_b32_sdwa v3, v3, v5 dst_sel:BYTE_1 dst_unused:UNUSED_PAD src0_sel:DWORD src1_sel:DWORD
	v_ffbh_u32_e32 v6, v4
	v_or_b32_sdwa v3, v5, v3 dst_sel:DWORD dst_unused:UNUSED_PAD src0_sel:BYTE_0 src1_sel:DWORD
	v_min_u32_e32 v6, 32, v6
	v_lshrrev_b16_e32 v3, 3, v3
	v_subrev_u32_e32 v7, 28, v6
	v_and_b32_e32 v3, 15, v3
	v_lshlrev_b32_e32 v7, v7, v5
	v_sub_u32_e32 v6, 29, v6
	v_and_b32_e32 v7, 7, v7
	v_cmp_eq_u16_e32 vcc, 0, v3
	v_cndmask_b32_e32 v4, v4, v7, vcc
	v_cndmask_b32_e32 v3, v3, v6, vcc
	v_lshlrev_b32_e32 v6, 24, v5
	v_mov_b32_e32 v7, 0x3b800000
	v_lshlrev_b32_e32 v4, 20, v4
	v_and_b32_e32 v6, 0x80000000, v6
	v_lshl_add_u32 v3, v3, 23, v7
	v_or3_b32 v3, v6, v3, v4
.LBB1_5224:
	s_or_b64 exec, exec, s[6:7]
	s_nop 0
	v_mfma_f32_16x16x4f32 a[0:3], v2, v3, a[0:3]
	v_lshrrev_b32_e32 v3, 8, v9
	s_movk_i32 s4, 0x7f
	v_cmp_gt_i16_sdwa s[6:7], v3, s4 src0_sel:BYTE_0 src1_sel:DWORD
	s_mov_b64 s[4:5], 0
                                        ; implicit-def: $sgpr10
	s_and_saveexec_b64 s[8:9], s[6:7]
	s_xor_b64 s[6:7], exec, s[8:9]
	s_cbranch_execz .LBB1_5225
; %bb.41065:
	s_getpc_b64 s[14:15]
.Lpost_getpc6196:
	s_add_u32 s14, s14, (.LBB1_19561-.Lpost_getpc6196)&4294967295
	s_addc_u32 s15, s15, (.LBB1_19561-.Lpost_getpc6196)>>32
	s_setpc_b64 s[14:15]
.LBB1_5225:
	s_or_saveexec_b64 s[6:7], s[6:7]
	v_mov_b32_e32 v2, s10
	s_xor_b64 exec, exec, s[6:7]
	s_cbranch_execz .LBB1_5226
; %bb.41067:
	s_getpc_b64 s[14:15]
.Lpost_getpc6197:
	s_add_u32 s14, s14, (.LBB1_19564-.Lpost_getpc6197)&4294967295
	s_addc_u32 s15, s15, (.LBB1_19564-.Lpost_getpc6197)>>32
	s_setpc_b64 s[14:15]
.LBB1_5226:
	s_or_b64 exec, exec, s[6:7]
	s_and_saveexec_b64 s[6:7], s[4:5]
	s_cbranch_execz .LBB1_5228
.LBB1_5227:
	v_bfe_u32 v2, v9, 8, 3
	v_ffbh_u32_e32 v6, v2
	v_min_u32_e32 v6, 32, v6
	v_lshrrev_b16_e32 v4, 3, v3
	v_subrev_u32_e32 v7, 28, v6
	v_and_b32_e32 v4, 15, v4
	v_lshlrev_b32_e32 v3, v7, v3
	v_sub_u32_e32 v6, 29, v6
	v_and_b32_e32 v3, 7, v3
	v_cmp_eq_u16_e32 vcc, 0, v4
	v_cndmask_b32_e32 v2, v2, v3, vcc
	v_cndmask_b32_e32 v3, v4, v6, vcc
	v_lshlrev_b32_e32 v4, 16, v9
	v_mov_b32_e32 v6, 0x3b800000
	v_lshlrev_b32_e32 v2, 20, v2
	v_and_b32_e32 v4, 0x80000000, v4
	v_lshl_add_u32 v3, v3, 23, v6
	v_or3_b32 v2, v4, v3, v2
.LBB1_5228:
	s_or_b64 exec, exec, s[6:7]
	v_lshrrev_b32_e32 v3, 8, v5
	s_movk_i32 s4, 0x7f
	v_cmp_gt_i16_sdwa s[6:7], v3, s4 src0_sel:BYTE_0 src1_sel:DWORD
	s_mov_b64 s[4:5], 0
                                        ; implicit-def: $sgpr10
	s_and_saveexec_b64 s[8:9], s[6:7]
	s_xor_b64 s[6:7], exec, s[8:9]
	s_cbranch_execz .LBB1_5229
; %bb.41069:
	s_getpc_b64 s[14:15]
.Lpost_getpc6198:
	s_add_u32 s14, s14, (.LBB1_19565-.Lpost_getpc6198)&4294967295
	s_addc_u32 s15, s15, (.LBB1_19565-.Lpost_getpc6198)>>32
	s_setpc_b64 s[14:15]
.LBB1_5229:
	s_or_saveexec_b64 s[6:7], s[6:7]
	v_mov_b32_e32 v4, s10
	s_xor_b64 exec, exec, s[6:7]
	s_cbranch_execz .LBB1_5230
; %bb.41071:
	s_getpc_b64 s[14:15]
.Lpost_getpc6199:
	s_add_u32 s14, s14, (.LBB1_19568-.Lpost_getpc6199)&4294967295
	s_addc_u32 s15, s15, (.LBB1_19568-.Lpost_getpc6199)>>32
	s_setpc_b64 s[14:15]
.LBB1_5230:
	s_or_b64 exec, exec, s[6:7]
	s_and_saveexec_b64 s[6:7], s[4:5]
	s_cbranch_execz .LBB1_5232
.LBB1_5231:
	v_bfe_u32 v4, v5, 8, 3
	v_ffbh_u32_e32 v7, v4
	v_min_u32_e32 v7, 32, v7
	v_lshrrev_b16_e32 v6, 3, v3
	v_subrev_u32_e32 v8, 28, v7
	v_and_b32_e32 v6, 15, v6
	v_lshlrev_b32_e32 v3, v8, v3
	v_sub_u32_e32 v7, 29, v7
	v_and_b32_e32 v3, 7, v3
	v_cmp_eq_u16_e32 vcc, 0, v6
	v_cndmask_b32_e32 v3, v4, v3, vcc
	v_cndmask_b32_e32 v4, v6, v7, vcc
	v_lshlrev_b32_e32 v6, 16, v5
	v_mov_b32_e32 v7, 0x3b800000
	v_lshlrev_b32_e32 v3, 20, v3
	v_and_b32_e32 v6, 0x80000000, v6
	v_lshl_add_u32 v4, v4, 23, v7
	v_or3_b32 v4, v6, v4, v3
.LBB1_5232:
	s_or_b64 exec, exec, s[6:7]
	s_nop 0
	v_mfma_f32_16x16x4f32 a[0:3], v2, v4, a[0:3]
	s_movk_i32 s4, 0xff
	v_and_b32_sdwa v3, v9, s4 dst_sel:DWORD dst_unused:UNUSED_PAD src0_sel:WORD_1 src1_sel:DWORD
	s_movk_i32 s4, 0x7f
	v_cmp_lt_i16_e32 vcc, s4, v3
	s_mov_b64 s[4:5], 0
                                        ; implicit-def: $sgpr10
	s_and_saveexec_b64 s[6:7], vcc
	s_xor_b64 s[6:7], exec, s[6:7]
	s_cbranch_execz .LBB1_5233
; %bb.41073:
	s_getpc_b64 s[14:15]
.Lpost_getpc6200:
	s_add_u32 s14, s14, (.LBB1_19569-.Lpost_getpc6200)&4294967295
	s_addc_u32 s15, s15, (.LBB1_19569-.Lpost_getpc6200)>>32
	s_setpc_b64 s[14:15]
.LBB1_5233:
	s_or_saveexec_b64 s[6:7], s[6:7]
	v_mov_b32_e32 v2, s10
	s_xor_b64 exec, exec, s[6:7]
	s_cbranch_execz .LBB1_5234
; %bb.41075:
	s_getpc_b64 s[14:15]
.Lpost_getpc6201:
	s_add_u32 s14, s14, (.LBB1_19572-.Lpost_getpc6201)&4294967295
	s_addc_u32 s15, s15, (.LBB1_19572-.Lpost_getpc6201)>>32
	s_setpc_b64 s[14:15]
.LBB1_5234:
	s_or_b64 exec, exec, s[6:7]
	s_and_saveexec_b64 s[6:7], s[4:5]
	s_cbranch_execz .LBB1_5236
.LBB1_5235:
	v_bfe_u32 v2, v9, 16, 3
	v_ffbh_u32_e32 v6, v2
	v_min_u32_e32 v6, 32, v6
	v_lshrrev_b32_e32 v3, 19, v9
	v_subrev_u32_e32 v7, 28, v6
	v_and_b32_e32 v3, 15, v3
	v_lshlrev_b32_sdwa v7, v7, v9 dst_sel:DWORD dst_unused:UNUSED_PAD src0_sel:DWORD src1_sel:WORD_1
	v_bfe_u32 v4, v9, 19, 4
	v_sub_u32_e32 v6, 29, v6
	v_and_b32_e32 v7, 7, v7
	v_cmp_eq_u16_e32 vcc, 0, v3
	v_cndmask_b32_e32 v2, v2, v7, vcc
	v_cndmask_b32_e32 v3, v4, v6, vcc
	v_lshlrev_b32_e32 v4, 8, v9
	v_mov_b32_e32 v6, 0x3b800000
	v_lshlrev_b32_e32 v2, 20, v2
	v_and_b32_e32 v4, 0x80000000, v4
	v_lshl_add_u32 v3, v3, 23, v6
	v_or3_b32 v2, v4, v3, v2
.LBB1_5236:
	s_or_b64 exec, exec, s[6:7]
	s_movk_i32 s4, 0xff
	v_and_b32_sdwa v3, v5, s4 dst_sel:DWORD dst_unused:UNUSED_PAD src0_sel:WORD_1 src1_sel:DWORD
	s_movk_i32 s4, 0x7f
	v_cmp_lt_i16_e32 vcc, s4, v3
	s_mov_b64 s[4:5], 0
                                        ; implicit-def: $sgpr10
	s_and_saveexec_b64 s[6:7], vcc
	s_xor_b64 s[6:7], exec, s[6:7]
	s_cbranch_execz .LBB1_5237
; %bb.41077:
	s_getpc_b64 s[14:15]
.Lpost_getpc6202:
	s_add_u32 s14, s14, (.LBB1_19573-.Lpost_getpc6202)&4294967295
	s_addc_u32 s15, s15, (.LBB1_19573-.Lpost_getpc6202)>>32
	s_setpc_b64 s[14:15]
.LBB1_5237:
	s_or_saveexec_b64 s[6:7], s[6:7]
	v_mov_b32_e32 v4, s10
	s_xor_b64 exec, exec, s[6:7]
	s_cbranch_execz .LBB1_5238
; %bb.41079:
	s_getpc_b64 s[14:15]
.Lpost_getpc6203:
	s_add_u32 s14, s14, (.LBB1_19576-.Lpost_getpc6203)&4294967295
	s_addc_u32 s15, s15, (.LBB1_19576-.Lpost_getpc6203)>>32
	s_setpc_b64 s[14:15]
.LBB1_5238:
	s_or_b64 exec, exec, s[6:7]
	s_and_saveexec_b64 s[6:7], s[4:5]
	s_cbranch_execz .LBB1_5240
.LBB1_5239:
	v_bfe_u32 v3, v5, 16, 3
	v_ffbh_u32_e32 v7, v3
	v_min_u32_e32 v7, 32, v7
	v_lshrrev_b32_e32 v4, 19, v5
	v_subrev_u32_e32 v8, 28, v7
	v_and_b32_e32 v4, 15, v4
	v_lshlrev_b32_sdwa v8, v8, v5 dst_sel:DWORD dst_unused:UNUSED_PAD src0_sel:DWORD src1_sel:WORD_1
	v_bfe_u32 v6, v5, 19, 4
	v_sub_u32_e32 v7, 29, v7
	v_and_b32_e32 v8, 7, v8
	v_cmp_eq_u16_e32 vcc, 0, v4
	v_cndmask_b32_e32 v3, v3, v8, vcc
	v_cndmask_b32_e32 v4, v6, v7, vcc
	v_lshlrev_b32_e32 v6, 8, v5
	v_mov_b32_e32 v7, 0x3b800000
	v_lshlrev_b32_e32 v3, 20, v3
	v_and_b32_e32 v6, 0x80000000, v6
	v_lshl_add_u32 v4, v4, 23, v7
	v_or3_b32 v4, v6, v4, v3
.LBB1_5240:
	s_or_b64 exec, exec, s[6:7]
	s_nop 0
	v_mfma_f32_16x16x4f32 a[0:3], v2, v4, a[0:3]
	s_movk_i32 s4, 0x7f
	v_cmp_gt_i16_sdwa s[6:7], v9, s4 src0_sel:BYTE_3 src1_sel:DWORD
	s_mov_b64 s[4:5], 0
                                        ; implicit-def: $sgpr10
	s_and_saveexec_b64 s[8:9], s[6:7]
	s_xor_b64 s[6:7], exec, s[8:9]
	s_cbranch_execz .LBB1_5241
; %bb.41081:
	s_getpc_b64 s[14:15]
.Lpost_getpc6204:
	s_add_u32 s14, s14, (.LBB1_19577-.Lpost_getpc6204)&4294967295
	s_addc_u32 s15, s15, (.LBB1_19577-.Lpost_getpc6204)>>32
	s_setpc_b64 s[14:15]
.LBB1_5241:
	s_or_saveexec_b64 s[6:7], s[6:7]
	v_mov_b32_e32 v2, s10
	s_xor_b64 exec, exec, s[6:7]
	s_cbranch_execz .LBB1_5242
; %bb.41083:
	s_getpc_b64 s[14:15]
.Lpost_getpc6205:
	s_add_u32 s14, s14, (.LBB1_19580-.Lpost_getpc6205)&4294967295
	s_addc_u32 s15, s15, (.LBB1_19580-.Lpost_getpc6205)>>32
	s_setpc_b64 s[14:15]
.LBB1_5242:
	s_or_b64 exec, exec, s[6:7]
	s_and_saveexec_b64 s[6:7], s[4:5]
	s_cbranch_execz .LBB1_5244
.LBB1_5243:
	v_bfe_u32 v2, v9, 24, 3
	v_ffbh_u32_e32 v7, v2
	v_min_u32_e32 v7, 32, v7
	v_lshrrev_b32_e32 v4, 27, v9
	v_subrev_u32_e32 v8, 28, v7
	v_and_b32_e32 v4, 15, v4
	v_lshlrev_b32_sdwa v8, v8, v9 dst_sel:DWORD dst_unused:UNUSED_PAD src0_sel:DWORD src1_sel:BYTE_3
	v_bfe_u32 v6, v9, 27, 4
	v_sub_u32_e32 v7, 29, v7
	v_and_b32_e32 v8, 7, v8
	v_cmp_eq_u16_e32 vcc, 0, v4
	v_cndmask_b32_e32 v2, v2, v8, vcc
	v_cndmask_b32_e32 v4, v6, v7, vcc
	v_mov_b32_e32 v6, 0x3b800000
	v_and_b32_e32 v3, 0x80000000, v9
	v_lshlrev_b32_e32 v2, 20, v2
	v_lshl_add_u32 v4, v4, 23, v6
	v_or3_b32 v2, v3, v4, v2
.LBB1_5244:
	s_or_b64 exec, exec, s[6:7]
	s_movk_i32 s4, 0x7f
	v_cmp_gt_i16_sdwa s[6:7], v5, s4 src0_sel:BYTE_3 src1_sel:DWORD
	s_mov_b64 s[4:5], 0
                                        ; implicit-def: $sgpr10
	s_and_saveexec_b64 s[8:9], s[6:7]
	s_xor_b64 s[6:7], exec, s[8:9]
	s_cbranch_execz .LBB1_5245
; %bb.41085:
	s_getpc_b64 s[14:15]
.Lpost_getpc6206:
	s_add_u32 s14, s14, (.LBB1_19581-.Lpost_getpc6206)&4294967295
	s_addc_u32 s15, s15, (.LBB1_19581-.Lpost_getpc6206)>>32
	s_setpc_b64 s[14:15]
.LBB1_5245:
	s_or_saveexec_b64 s[6:7], s[6:7]
	v_mov_b32_e32 v3, s10
	s_xor_b64 exec, exec, s[6:7]
	s_cbranch_execz .LBB1_5246
; %bb.41087:
	s_getpc_b64 s[14:15]
.Lpost_getpc6207:
	s_add_u32 s14, s14, (.LBB1_19584-.Lpost_getpc6207)&4294967295
	s_addc_u32 s15, s15, (.LBB1_19584-.Lpost_getpc6207)>>32
	s_setpc_b64 s[14:15]
.LBB1_5246:
	s_or_b64 exec, exec, s[6:7]
	s_and_saveexec_b64 s[6:7], s[4:5]
	s_cbranch_execz .LBB1_5248
.LBB1_5247:
	v_bfe_u32 v3, v5, 24, 3
	v_ffbh_u32_e32 v8, v3
	v_min_u32_e32 v8, 32, v8
	v_lshrrev_b32_e32 v6, 27, v5
	v_subrev_u32_e32 v9, 28, v8
	v_and_b32_e32 v4, 0x80000000, v5
	v_and_b32_e32 v6, 15, v6
	v_bfe_u32 v7, v5, 27, 4
	v_lshlrev_b32_sdwa v5, v9, v5 dst_sel:DWORD dst_unused:UNUSED_PAD src0_sel:DWORD src1_sel:BYTE_3
	v_sub_u32_e32 v8, 29, v8
	v_and_b32_e32 v5, 7, v5
	v_cmp_eq_u16_e32 vcc, 0, v6
	v_cndmask_b32_e32 v3, v3, v5, vcc
	v_cndmask_b32_e32 v5, v7, v8, vcc
	v_mov_b32_e32 v6, 0x3b800000
	v_lshlrev_b32_e32 v3, 20, v3
	v_lshl_add_u32 v5, v5, 23, v6
	v_or3_b32 v3, v4, v5, v3
.LBB1_5248:
	s_or_b64 exec, exec, s[6:7]
	s_nop 0
	v_mfma_f32_16x16x4f32 a[0:3], v2, v3, a[0:3]
	s_movk_i32 s4, 0x7f
                                        ; implicit-def: $sgpr10
	s_nop 7
	s_nop 1
	flat_store_dwordx4 v[10:11], a[0:3] offset:640
	flat_load_dwordx4 v[12:15], v[0:1]
	s_nop 0
	flat_load_dwordx2 v[10:11], v[0:1] offset:16
	s_waitcnt vmcnt(0) lgkmcnt(0)
	flat_load_dwordx4 v[6:9], v[12:13] offset:80
	flat_load_dwordx4 v[2:5], v[14:15] offset:16
	s_waitcnt vmcnt(0) lgkmcnt(0)
	v_cmp_gt_i16_sdwa s[6:7], v6, s4 src0_sel:BYTE_0 src1_sel:DWORD
	s_mov_b64 s[4:5], 0
	s_and_saveexec_b64 s[8:9], s[6:7]
	s_xor_b64 s[6:7], exec, s[8:9]
	s_cbranch_execz .LBB1_5249
; %bb.41089:
	s_getpc_b64 s[14:15]
.Lpost_getpc6208:
	s_add_u32 s14, s14, (.LBB1_19585-.Lpost_getpc6208)&4294967295
	s_addc_u32 s15, s15, (.LBB1_19585-.Lpost_getpc6208)>>32
	s_setpc_b64 s[14:15]
.LBB1_5249:
	s_or_saveexec_b64 s[6:7], s[6:7]
	v_mov_b32_e32 v12, s10
	s_xor_b64 exec, exec, s[6:7]
	s_cbranch_execz .LBB1_5250
; %bb.41091:
	s_getpc_b64 s[14:15]
.Lpost_getpc6209:
	s_add_u32 s14, s14, (.LBB1_19588-.Lpost_getpc6209)&4294967295
	s_addc_u32 s15, s15, (.LBB1_19588-.Lpost_getpc6209)>>32
	s_setpc_b64 s[14:15]
.LBB1_5250:
	s_or_b64 exec, exec, s[6:7]
	s_and_saveexec_b64 s[6:7], s[4:5]
	s_cbranch_execz .LBB1_5252
.LBB1_5251:
	v_and_b32_e32 v12, 7, v6
	v_ffbh_u32_e32 v14, v12
	v_min_u32_e32 v14, 32, v14
	v_lshrrev_b16_e32 v13, 3, v6
	v_subrev_u32_e32 v15, 28, v14
	v_and_b32_e32 v13, 15, v13
	v_lshlrev_b32_e32 v15, v15, v6
	v_sub_u32_e32 v14, 29, v14
	v_and_b32_e32 v15, 7, v15
	v_cmp_eq_u16_e32 vcc, 0, v13
	v_cndmask_b32_e32 v12, v12, v15, vcc
	v_cndmask_b32_e32 v13, v13, v14, vcc
	v_lshlrev_b32_e32 v14, 24, v6
	v_mov_b32_e32 v15, 0x3b800000
	v_lshlrev_b32_e32 v12, 20, v12
	v_and_b32_e32 v14, 0x80000000, v14
	v_lshl_add_u32 v13, v13, 23, v15
	v_or3_b32 v12, v14, v13, v12
.LBB1_5252:
	s_or_b64 exec, exec, s[6:7]
	s_movk_i32 s4, 0x7f
	v_cmp_gt_i16_sdwa s[6:7], v2, s4 src0_sel:BYTE_0 src1_sel:DWORD
	s_mov_b64 s[4:5], 0
                                        ; implicit-def: $sgpr10
	s_and_saveexec_b64 s[8:9], s[6:7]
	s_xor_b64 s[6:7], exec, s[8:9]
	s_cbranch_execz .LBB1_5253
; %bb.41093:
	s_getpc_b64 s[14:15]
.Lpost_getpc6210:
	s_add_u32 s14, s14, (.LBB1_19589-.Lpost_getpc6210)&4294967295
	s_addc_u32 s15, s15, (.LBB1_19589-.Lpost_getpc6210)>>32
	s_setpc_b64 s[14:15]
.LBB1_5253:
	s_or_saveexec_b64 s[6:7], s[6:7]
	v_mov_b32_e32 v13, s10
	s_xor_b64 exec, exec, s[6:7]
	s_cbranch_execz .LBB1_5254
; %bb.41095:
	s_getpc_b64 s[14:15]
.Lpost_getpc6211:
	s_add_u32 s14, s14, (.LBB1_19592-.Lpost_getpc6211)&4294967295
	s_addc_u32 s15, s15, (.LBB1_19592-.Lpost_getpc6211)>>32
	s_setpc_b64 s[14:15]
.LBB1_5254:
	s_or_b64 exec, exec, s[6:7]
	s_and_saveexec_b64 s[6:7], s[4:5]
	s_cbranch_execz .LBB1_5256
.LBB1_5255:
	v_and_b32_e32 v13, 7, v2
	v_ffbh_u32_e32 v15, v13
	v_min_u32_e32 v15, 32, v15
	v_lshrrev_b16_e32 v14, 3, v2
	v_subrev_u32_e32 v16, 28, v15
	v_and_b32_e32 v14, 15, v14
	v_lshlrev_b32_e32 v16, v16, v2
	v_sub_u32_e32 v15, 29, v15
	v_and_b32_e32 v16, 7, v16
	v_cmp_eq_u16_e32 vcc, 0, v14
	v_cndmask_b32_e32 v13, v13, v16, vcc
	v_cndmask_b32_e32 v14, v14, v15, vcc
	v_lshlrev_b32_e32 v15, 24, v2
	v_mov_b32_e32 v16, 0x3b800000
	v_lshlrev_b32_e32 v13, 20, v13
	v_and_b32_e32 v15, 0x80000000, v15
	v_lshl_add_u32 v14, v14, 23, v16
	v_or3_b32 v13, v15, v14, v13
.LBB1_5256:
	s_or_b64 exec, exec, s[6:7]
	flat_load_dwordx4 a[0:3], v[10:11] offset:656
	s_movk_i32 s4, 0x7f
                                        ; implicit-def: $sgpr10
	s_waitcnt vmcnt(0) lgkmcnt(0)
	v_mfma_f32_16x16x4f32 a[0:3], v12, v13, a[0:3]
	v_lshrrev_b32_e32 v13, 8, v6
	v_cmp_gt_i16_sdwa s[6:7], v13, s4 src0_sel:BYTE_0 src1_sel:DWORD
	s_mov_b64 s[4:5], 0
	s_and_saveexec_b64 s[8:9], s[6:7]
	s_xor_b64 s[6:7], exec, s[8:9]
	s_cbranch_execz .LBB1_5257
; %bb.41097:
	s_getpc_b64 s[14:15]
.Lpost_getpc6212:
	s_add_u32 s14, s14, (.LBB1_19593-.Lpost_getpc6212)&4294967295
	s_addc_u32 s15, s15, (.LBB1_19593-.Lpost_getpc6212)>>32
	s_setpc_b64 s[14:15]
.LBB1_5257:
	s_or_saveexec_b64 s[6:7], s[6:7]
	v_mov_b32_e32 v12, s10
	s_xor_b64 exec, exec, s[6:7]
	s_cbranch_execz .LBB1_5258
; %bb.41099:
	s_getpc_b64 s[14:15]
.Lpost_getpc6213:
	s_add_u32 s14, s14, (.LBB1_19596-.Lpost_getpc6213)&4294967295
	s_addc_u32 s15, s15, (.LBB1_19596-.Lpost_getpc6213)>>32
	s_setpc_b64 s[14:15]
.LBB1_5258:
	s_or_b64 exec, exec, s[6:7]
	s_and_saveexec_b64 s[6:7], s[4:5]
	s_cbranch_execz .LBB1_5260
.LBB1_5259:
	v_bfe_u32 v12, v6, 8, 3
	v_ffbh_u32_e32 v15, v12
	v_min_u32_e32 v15, 32, v15
	v_lshrrev_b16_e32 v14, 3, v13
	v_subrev_u32_e32 v16, 28, v15
	v_and_b32_e32 v14, 15, v14
	v_lshlrev_b32_e32 v13, v16, v13
	v_sub_u32_e32 v15, 29, v15
	v_and_b32_e32 v13, 7, v13
	v_cmp_eq_u16_e32 vcc, 0, v14
	v_cndmask_b32_e32 v12, v12, v13, vcc
	v_cndmask_b32_e32 v13, v14, v15, vcc
	v_lshlrev_b32_e32 v14, 16, v6
	v_mov_b32_e32 v15, 0x3b800000
	v_lshlrev_b32_e32 v12, 20, v12
	v_and_b32_e32 v14, 0x80000000, v14
	v_lshl_add_u32 v13, v13, 23, v15
	v_or3_b32 v12, v14, v13, v12
.LBB1_5260:
	s_or_b64 exec, exec, s[6:7]
	v_lshrrev_b32_e32 v13, 8, v2
	s_movk_i32 s4, 0x7f
	v_cmp_gt_i16_sdwa s[6:7], v13, s4 src0_sel:BYTE_0 src1_sel:DWORD
	s_mov_b64 s[4:5], 0
                                        ; implicit-def: $sgpr10
	s_and_saveexec_b64 s[8:9], s[6:7]
	s_xor_b64 s[6:7], exec, s[8:9]
	s_cbranch_execz .LBB1_5261
; %bb.41101:
	s_getpc_b64 s[14:15]
.Lpost_getpc6214:
	s_add_u32 s14, s14, (.LBB1_19597-.Lpost_getpc6214)&4294967295
	s_addc_u32 s15, s15, (.LBB1_19597-.Lpost_getpc6214)>>32
	s_setpc_b64 s[14:15]
.LBB1_5261:
	s_or_saveexec_b64 s[6:7], s[6:7]
	v_mov_b32_e32 v14, s10
	s_xor_b64 exec, exec, s[6:7]
	s_cbranch_execz .LBB1_5262
; %bb.41103:
	s_getpc_b64 s[14:15]
.Lpost_getpc6215:
	s_add_u32 s14, s14, (.LBB1_19600-.Lpost_getpc6215)&4294967295
	s_addc_u32 s15, s15, (.LBB1_19600-.Lpost_getpc6215)>>32
	s_setpc_b64 s[14:15]
.LBB1_5262:
	s_or_b64 exec, exec, s[6:7]
	s_and_saveexec_b64 s[6:7], s[4:5]
	s_cbranch_execz .LBB1_5264
.LBB1_5263:
	v_bfe_u32 v14, v2, 8, 3
	v_ffbh_u32_e32 v16, v14
	v_min_u32_e32 v16, 32, v16
	v_lshrrev_b16_e32 v15, 3, v13
	v_subrev_u32_e32 v17, 28, v16
	v_and_b32_e32 v15, 15, v15
	v_lshlrev_b32_e32 v13, v17, v13
	v_sub_u32_e32 v16, 29, v16
	v_and_b32_e32 v13, 7, v13
	v_cmp_eq_u16_e32 vcc, 0, v15
	v_cndmask_b32_e32 v13, v14, v13, vcc
	v_cndmask_b32_e32 v14, v15, v16, vcc
	v_lshlrev_b32_e32 v15, 16, v2
	v_mov_b32_e32 v16, 0x3b800000
	v_lshlrev_b32_e32 v13, 20, v13
	v_and_b32_e32 v15, 0x80000000, v15
	v_lshl_add_u32 v14, v14, 23, v16
	v_or3_b32 v14, v15, v14, v13
.LBB1_5264:
	s_or_b64 exec, exec, s[6:7]
	s_nop 0
	v_mfma_f32_16x16x4f32 a[0:3], v12, v14, a[0:3]
	s_movk_i32 s4, 0xff
	v_and_b32_sdwa v13, v6, s4 dst_sel:DWORD dst_unused:UNUSED_PAD src0_sel:WORD_1 src1_sel:DWORD
	s_movk_i32 s4, 0x7f
	v_cmp_lt_i16_e32 vcc, s4, v13
	s_mov_b64 s[4:5], 0
                                        ; implicit-def: $sgpr10
	s_and_saveexec_b64 s[6:7], vcc
	s_xor_b64 s[6:7], exec, s[6:7]
	s_cbranch_execz .LBB1_5265
; %bb.41105:
	s_getpc_b64 s[14:15]
.Lpost_getpc6216:
	s_add_u32 s14, s14, (.LBB1_19601-.Lpost_getpc6216)&4294967295
	s_addc_u32 s15, s15, (.LBB1_19601-.Lpost_getpc6216)>>32
	s_setpc_b64 s[14:15]
.LBB1_5265:
	s_or_saveexec_b64 s[6:7], s[6:7]
	v_mov_b32_e32 v12, s10
	s_xor_b64 exec, exec, s[6:7]
	s_cbranch_execz .LBB1_5266
; %bb.41107:
	s_getpc_b64 s[14:15]
.Lpost_getpc6217:
	s_add_u32 s14, s14, (.LBB1_19604-.Lpost_getpc6217)&4294967295
	s_addc_u32 s15, s15, (.LBB1_19604-.Lpost_getpc6217)>>32
	s_setpc_b64 s[14:15]
.LBB1_5266:
	s_or_b64 exec, exec, s[6:7]
	s_and_saveexec_b64 s[6:7], s[4:5]
	s_cbranch_execz .LBB1_5268
.LBB1_5267:
	v_bfe_u32 v12, v6, 16, 3
	v_ffbh_u32_e32 v15, v12
	v_min_u32_e32 v15, 32, v15
	v_lshrrev_b32_e32 v13, 19, v6
	v_subrev_u32_e32 v16, 28, v15
	v_and_b32_e32 v13, 15, v13
	v_lshlrev_b32_sdwa v16, v16, v6 dst_sel:DWORD dst_unused:UNUSED_PAD src0_sel:DWORD src1_sel:WORD_1
	v_bfe_u32 v14, v6, 19, 4
	v_sub_u32_e32 v15, 29, v15
	v_and_b32_e32 v16, 7, v16
	v_cmp_eq_u16_e32 vcc, 0, v13
	v_cndmask_b32_e32 v12, v12, v16, vcc
	v_cndmask_b32_e32 v13, v14, v15, vcc
	v_lshlrev_b32_e32 v14, 8, v6
	v_mov_b32_e32 v15, 0x3b800000
	v_lshlrev_b32_e32 v12, 20, v12
	v_and_b32_e32 v14, 0x80000000, v14
	v_lshl_add_u32 v13, v13, 23, v15
	v_or3_b32 v12, v14, v13, v12
.LBB1_5268:
	s_or_b64 exec, exec, s[6:7]
	s_movk_i32 s4, 0xff
	v_and_b32_sdwa v13, v2, s4 dst_sel:DWORD dst_unused:UNUSED_PAD src0_sel:WORD_1 src1_sel:DWORD
	s_movk_i32 s4, 0x7f
	v_cmp_lt_i16_e32 vcc, s4, v13
	s_mov_b64 s[4:5], 0
                                        ; implicit-def: $sgpr10
	s_and_saveexec_b64 s[6:7], vcc
	s_xor_b64 s[6:7], exec, s[6:7]
	s_cbranch_execz .LBB1_5269
; %bb.41109:
	s_getpc_b64 s[14:15]
.Lpost_getpc6218:
	s_add_u32 s14, s14, (.LBB1_19605-.Lpost_getpc6218)&4294967295
	s_addc_u32 s15, s15, (.LBB1_19605-.Lpost_getpc6218)>>32
	s_setpc_b64 s[14:15]
.LBB1_5269:
	s_or_saveexec_b64 s[6:7], s[6:7]
	v_mov_b32_e32 v14, s10
	s_xor_b64 exec, exec, s[6:7]
	s_cbranch_execz .LBB1_5270
; %bb.41111:
	s_getpc_b64 s[14:15]
.Lpost_getpc6219:
	s_add_u32 s14, s14, (.LBB1_19608-.Lpost_getpc6219)&4294967295
	s_addc_u32 s15, s15, (.LBB1_19608-.Lpost_getpc6219)>>32
	s_setpc_b64 s[14:15]
.LBB1_5270:
	s_or_b64 exec, exec, s[6:7]
	s_and_saveexec_b64 s[6:7], s[4:5]
	s_cbranch_execz .LBB1_5272
.LBB1_5271:
	v_bfe_u32 v13, v2, 16, 3
	v_ffbh_u32_e32 v16, v13
	v_min_u32_e32 v16, 32, v16
	v_lshrrev_b32_e32 v14, 19, v2
	v_subrev_u32_e32 v17, 28, v16
	v_and_b32_e32 v14, 15, v14
	v_lshlrev_b32_sdwa v17, v17, v2 dst_sel:DWORD dst_unused:UNUSED_PAD src0_sel:DWORD src1_sel:WORD_1
	v_bfe_u32 v15, v2, 19, 4
	v_sub_u32_e32 v16, 29, v16
	v_and_b32_e32 v17, 7, v17
	v_cmp_eq_u16_e32 vcc, 0, v14
	v_cndmask_b32_e32 v13, v13, v17, vcc
	v_cndmask_b32_e32 v14, v15, v16, vcc
	v_lshlrev_b32_e32 v15, 8, v2
	v_mov_b32_e32 v16, 0x3b800000
	v_lshlrev_b32_e32 v13, 20, v13
	v_and_b32_e32 v15, 0x80000000, v15
	v_lshl_add_u32 v14, v14, 23, v16
	v_or3_b32 v14, v15, v14, v13
.LBB1_5272:
	s_or_b64 exec, exec, s[6:7]
	s_nop 0
	v_mfma_f32_16x16x4f32 a[0:3], v12, v14, a[0:3]
	s_movk_i32 s4, 0x7f
	v_cmp_gt_i16_sdwa s[6:7], v6, s4 src0_sel:BYTE_3 src1_sel:DWORD
	s_mov_b64 s[4:5], 0
                                        ; implicit-def: $sgpr10
	s_and_saveexec_b64 s[8:9], s[6:7]
	s_xor_b64 s[6:7], exec, s[8:9]
	s_cbranch_execz .LBB1_5273
; %bb.41113:
	s_getpc_b64 s[14:15]
.Lpost_getpc6220:
	s_add_u32 s14, s14, (.LBB1_19609-.Lpost_getpc6220)&4294967295
	s_addc_u32 s15, s15, (.LBB1_19609-.Lpost_getpc6220)>>32
	s_setpc_b64 s[14:15]
.LBB1_5273:
	s_or_saveexec_b64 s[6:7], s[6:7]
	v_mov_b32_e32 v12, s10
	s_xor_b64 exec, exec, s[6:7]
	s_cbranch_execz .LBB1_5274
; %bb.41115:
	s_getpc_b64 s[14:15]
.Lpost_getpc6221:
	s_add_u32 s14, s14, (.LBB1_19612-.Lpost_getpc6221)&4294967295
	s_addc_u32 s15, s15, (.LBB1_19612-.Lpost_getpc6221)>>32
	s_setpc_b64 s[14:15]
.LBB1_5274:
	s_or_b64 exec, exec, s[6:7]
	s_and_saveexec_b64 s[6:7], s[4:5]
	s_cbranch_execz .LBB1_5276
.LBB1_5275:
	v_bfe_u32 v12, v6, 24, 3
	v_ffbh_u32_e32 v16, v12
	v_min_u32_e32 v16, 32, v16
	v_lshrrev_b32_e32 v14, 27, v6
	v_subrev_u32_e32 v17, 28, v16
	v_and_b32_e32 v13, 0x80000000, v6
	v_and_b32_e32 v14, 15, v14
	v_bfe_u32 v15, v6, 27, 4
	v_lshlrev_b32_sdwa v6, v17, v6 dst_sel:DWORD dst_unused:UNUSED_PAD src0_sel:DWORD src1_sel:BYTE_3
	v_sub_u32_e32 v16, 29, v16
	v_and_b32_e32 v6, 7, v6
	v_cmp_eq_u16_e32 vcc, 0, v14
	v_cndmask_b32_e32 v6, v12, v6, vcc
	v_cndmask_b32_e32 v12, v15, v16, vcc
	v_mov_b32_e32 v14, 0x3b800000
	v_lshlrev_b32_e32 v6, 20, v6
	v_lshl_add_u32 v12, v12, 23, v14
	v_or3_b32 v12, v13, v12, v6
.LBB1_5276:
	s_or_b64 exec, exec, s[6:7]
	s_movk_i32 s4, 0x7f
	v_cmp_gt_i16_sdwa s[6:7], v2, s4 src0_sel:BYTE_3 src1_sel:DWORD
	s_mov_b64 s[4:5], 0
                                        ; implicit-def: $sgpr10
	s_and_saveexec_b64 s[8:9], s[6:7]
	s_xor_b64 s[6:7], exec, s[8:9]
	s_cbranch_execz .LBB1_5277
; %bb.41117:
	s_getpc_b64 s[14:15]
.Lpost_getpc6222:
	s_add_u32 s14, s14, (.LBB1_19613-.Lpost_getpc6222)&4294967295
	s_addc_u32 s15, s15, (.LBB1_19613-.Lpost_getpc6222)>>32
	s_setpc_b64 s[14:15]
.LBB1_5277:
	s_or_saveexec_b64 s[6:7], s[6:7]
	v_mov_b32_e32 v6, s10
	s_xor_b64 exec, exec, s[6:7]
	s_cbranch_execz .LBB1_5278
; %bb.41119:
	s_getpc_b64 s[14:15]
.Lpost_getpc6223:
	s_add_u32 s14, s14, (.LBB1_19616-.Lpost_getpc6223)&4294967295
	s_addc_u32 s15, s15, (.LBB1_19616-.Lpost_getpc6223)>>32
	s_setpc_b64 s[14:15]
.LBB1_5278:
	s_or_b64 exec, exec, s[6:7]
	s_and_saveexec_b64 s[6:7], s[4:5]
	s_cbranch_execz .LBB1_5280
.LBB1_5279:
	v_bfe_u32 v6, v2, 24, 3
	v_ffbh_u32_e32 v16, v6
	v_min_u32_e32 v16, 32, v16
	v_lshrrev_b32_e32 v14, 27, v2
	v_subrev_u32_e32 v17, 28, v16
	v_and_b32_e32 v13, 0x80000000, v2
	v_and_b32_e32 v14, 15, v14
	v_bfe_u32 v15, v2, 27, 4
	v_lshlrev_b32_sdwa v2, v17, v2 dst_sel:DWORD dst_unused:UNUSED_PAD src0_sel:DWORD src1_sel:BYTE_3
	v_sub_u32_e32 v16, 29, v16
	v_and_b32_e32 v2, 7, v2
	v_cmp_eq_u16_e32 vcc, 0, v14
	v_cndmask_b32_e32 v2, v6, v2, vcc
	v_cndmask_b32_e32 v6, v15, v16, vcc
	v_mov_b32_e32 v14, 0x3b800000
	v_lshlrev_b32_e32 v2, 20, v2
	v_lshl_add_u32 v6, v6, 23, v14
	v_or3_b32 v6, v13, v6, v2
.LBB1_5280:
	s_or_b64 exec, exec, s[6:7]
	s_nop 0
	v_mfma_f32_16x16x4f32 a[0:3], v12, v6, a[0:3]
	s_movk_i32 s4, 0x7f
	v_cmp_gt_i16_sdwa s[6:7], v7, s4 src0_sel:BYTE_0 src1_sel:DWORD
	s_mov_b64 s[4:5], 0
                                        ; implicit-def: $sgpr10
	s_and_saveexec_b64 s[8:9], s[6:7]
	s_xor_b64 s[6:7], exec, s[8:9]
	s_cbranch_execz .LBB1_5281
; %bb.41121:
	s_getpc_b64 s[14:15]
.Lpost_getpc6224:
	s_add_u32 s14, s14, (.LBB1_19617-.Lpost_getpc6224)&4294967295
	s_addc_u32 s15, s15, (.LBB1_19617-.Lpost_getpc6224)>>32
	s_setpc_b64 s[14:15]
.LBB1_5281:
	s_or_saveexec_b64 s[6:7], s[6:7]
	v_mov_b32_e32 v2, s10
	s_xor_b64 exec, exec, s[6:7]
	s_cbranch_execz .LBB1_5282
; %bb.41123:
	s_getpc_b64 s[14:15]
.Lpost_getpc6225:
	s_add_u32 s14, s14, (.LBB1_19620-.Lpost_getpc6225)&4294967295
	s_addc_u32 s15, s15, (.LBB1_19620-.Lpost_getpc6225)>>32
	s_setpc_b64 s[14:15]
.LBB1_5282:
	s_or_b64 exec, exec, s[6:7]
	s_and_saveexec_b64 s[6:7], s[4:5]
	s_cbranch_execz .LBB1_5284
.LBB1_5283:
	v_and_b32_e32 v2, 7, v7
	v_ffbh_u32_e32 v12, v2
	v_min_u32_e32 v12, 32, v12
	v_lshrrev_b16_e32 v6, 3, v7
	v_subrev_u32_e32 v13, 28, v12
	v_and_b32_e32 v6, 15, v6
	v_lshlrev_b32_e32 v13, v13, v7
	v_sub_u32_e32 v12, 29, v12
	v_and_b32_e32 v13, 7, v13
	v_cmp_eq_u16_e32 vcc, 0, v6
	v_cndmask_b32_e32 v2, v2, v13, vcc
	v_cndmask_b32_e32 v6, v6, v12, vcc
	v_lshlrev_b32_e32 v12, 24, v7
	v_mov_b32_e32 v13, 0x3b800000
	v_lshlrev_b32_e32 v2, 20, v2
	v_and_b32_e32 v12, 0x80000000, v12
	v_lshl_add_u32 v6, v6, 23, v13
	v_or3_b32 v2, v12, v6, v2
.LBB1_5284:
	s_or_b64 exec, exec, s[6:7]
	s_movk_i32 s4, 0x7f
	v_cmp_gt_i16_sdwa s[6:7], v3, s4 src0_sel:BYTE_0 src1_sel:DWORD
	s_mov_b64 s[4:5], 0
                                        ; implicit-def: $sgpr10
	s_and_saveexec_b64 s[8:9], s[6:7]
	s_xor_b64 s[6:7], exec, s[8:9]
	s_cbranch_execz .LBB1_5285
; %bb.41125:
	s_getpc_b64 s[14:15]
.Lpost_getpc6226:
	s_add_u32 s14, s14, (.LBB1_19621-.Lpost_getpc6226)&4294967295
	s_addc_u32 s15, s15, (.LBB1_19621-.Lpost_getpc6226)>>32
	s_setpc_b64 s[14:15]
.LBB1_5285:
	s_or_saveexec_b64 s[6:7], s[6:7]
	v_mov_b32_e32 v6, s10
	s_xor_b64 exec, exec, s[6:7]
	s_cbranch_execz .LBB1_5286
; %bb.41127:
	s_getpc_b64 s[14:15]
.Lpost_getpc6227:
	s_add_u32 s14, s14, (.LBB1_19624-.Lpost_getpc6227)&4294967295
	s_addc_u32 s15, s15, (.LBB1_19624-.Lpost_getpc6227)>>32
	s_setpc_b64 s[14:15]
.LBB1_5286:
	s_or_b64 exec, exec, s[6:7]
	s_and_saveexec_b64 s[6:7], s[4:5]
	s_cbranch_execz .LBB1_5288
.LBB1_5287:
	v_and_b32_e32 v6, 7, v3
	v_ffbh_u32_e32 v13, v6
	v_min_u32_e32 v13, 32, v13
	v_lshrrev_b16_e32 v12, 3, v3
	v_subrev_u32_e32 v14, 28, v13
	v_and_b32_e32 v12, 15, v12
	v_lshlrev_b32_e32 v14, v14, v3
	v_sub_u32_e32 v13, 29, v13
	v_and_b32_e32 v14, 7, v14
	v_cmp_eq_u16_e32 vcc, 0, v12
	v_cndmask_b32_e32 v6, v6, v14, vcc
	v_cndmask_b32_e32 v12, v12, v13, vcc
	v_lshlrev_b32_e32 v13, 24, v3
	v_mov_b32_e32 v14, 0x3b800000
	v_lshlrev_b32_e32 v6, 20, v6
	v_and_b32_e32 v13, 0x80000000, v13
	v_lshl_add_u32 v12, v12, 23, v14
	v_or3_b32 v6, v13, v12, v6
.LBB1_5288:
	s_or_b64 exec, exec, s[6:7]
	s_nop 0
	v_mfma_f32_16x16x4f32 a[0:3], v2, v6, a[0:3]
	v_lshrrev_b32_e32 v6, 8, v7
	s_movk_i32 s4, 0x7f
	v_cmp_gt_i16_sdwa s[6:7], v6, s4 src0_sel:BYTE_0 src1_sel:DWORD
	s_mov_b64 s[4:5], 0
                                        ; implicit-def: $sgpr10
	s_and_saveexec_b64 s[8:9], s[6:7]
	s_xor_b64 s[6:7], exec, s[8:9]
	s_cbranch_execz .LBB1_5289
; %bb.41129:
	s_getpc_b64 s[14:15]
.Lpost_getpc6228:
	s_add_u32 s14, s14, (.LBB1_19625-.Lpost_getpc6228)&4294967295
	s_addc_u32 s15, s15, (.LBB1_19625-.Lpost_getpc6228)>>32
	s_setpc_b64 s[14:15]
.LBB1_5289:
	s_or_saveexec_b64 s[6:7], s[6:7]
	v_mov_b32_e32 v2, s10
	s_xor_b64 exec, exec, s[6:7]
	s_cbranch_execz .LBB1_5290
; %bb.41131:
	s_getpc_b64 s[14:15]
.Lpost_getpc6229:
	s_add_u32 s14, s14, (.LBB1_19628-.Lpost_getpc6229)&4294967295
	s_addc_u32 s15, s15, (.LBB1_19628-.Lpost_getpc6229)>>32
	s_setpc_b64 s[14:15]
.LBB1_5290:
	s_or_b64 exec, exec, s[6:7]
	s_and_saveexec_b64 s[6:7], s[4:5]
	s_cbranch_execz .LBB1_5292
.LBB1_5291:
	v_bfe_u32 v2, v7, 8, 3
	v_ffbh_u32_e32 v13, v2
	v_min_u32_e32 v13, 32, v13
	v_lshrrev_b16_e32 v12, 3, v6
	v_subrev_u32_e32 v14, 28, v13
	v_and_b32_e32 v12, 15, v12
	v_lshlrev_b32_e32 v6, v14, v6
	v_sub_u32_e32 v13, 29, v13
	v_and_b32_e32 v6, 7, v6
	v_cmp_eq_u16_e32 vcc, 0, v12
	v_cndmask_b32_e32 v2, v2, v6, vcc
	v_cndmask_b32_e32 v6, v12, v13, vcc
	v_lshlrev_b32_e32 v12, 16, v7
	v_mov_b32_e32 v13, 0x3b800000
	v_lshlrev_b32_e32 v2, 20, v2
	v_and_b32_e32 v12, 0x80000000, v12
	v_lshl_add_u32 v6, v6, 23, v13
	v_or3_b32 v2, v12, v6, v2
.LBB1_5292:
	s_or_b64 exec, exec, s[6:7]
	v_lshrrev_b32_e32 v6, 8, v3
	s_movk_i32 s4, 0x7f
	v_cmp_gt_i16_sdwa s[6:7], v6, s4 src0_sel:BYTE_0 src1_sel:DWORD
	s_mov_b64 s[4:5], 0
                                        ; implicit-def: $sgpr10
	s_and_saveexec_b64 s[8:9], s[6:7]
	s_xor_b64 s[6:7], exec, s[8:9]
	s_cbranch_execz .LBB1_5293
; %bb.41133:
	s_getpc_b64 s[14:15]
.Lpost_getpc6230:
	s_add_u32 s14, s14, (.LBB1_19629-.Lpost_getpc6230)&4294967295
	s_addc_u32 s15, s15, (.LBB1_19629-.Lpost_getpc6230)>>32
	s_setpc_b64 s[14:15]
.LBB1_5293:
	s_or_saveexec_b64 s[6:7], s[6:7]
	v_mov_b32_e32 v12, s10
	s_xor_b64 exec, exec, s[6:7]
	s_cbranch_execz .LBB1_5294
; %bb.41135:
	s_getpc_b64 s[14:15]
.Lpost_getpc6231:
	s_add_u32 s14, s14, (.LBB1_19632-.Lpost_getpc6231)&4294967295
	s_addc_u32 s15, s15, (.LBB1_19632-.Lpost_getpc6231)>>32
	s_setpc_b64 s[14:15]
.LBB1_5294:
	s_or_b64 exec, exec, s[6:7]
	s_and_saveexec_b64 s[6:7], s[4:5]
	s_cbranch_execz .LBB1_5296
.LBB1_5295:
	v_bfe_u32 v12, v3, 8, 3
	v_ffbh_u32_e32 v14, v12
	v_min_u32_e32 v14, 32, v14
	v_lshrrev_b16_e32 v13, 3, v6
	v_subrev_u32_e32 v15, 28, v14
	v_and_b32_e32 v13, 15, v13
	v_lshlrev_b32_e32 v6, v15, v6
	v_sub_u32_e32 v14, 29, v14
	v_and_b32_e32 v6, 7, v6
	v_cmp_eq_u16_e32 vcc, 0, v13
	v_cndmask_b32_e32 v6, v12, v6, vcc
	v_cndmask_b32_e32 v12, v13, v14, vcc
	v_lshlrev_b32_e32 v13, 16, v3
	v_mov_b32_e32 v14, 0x3b800000
	v_lshlrev_b32_e32 v6, 20, v6
	v_and_b32_e32 v13, 0x80000000, v13
	v_lshl_add_u32 v12, v12, 23, v14
	v_or3_b32 v12, v13, v12, v6
.LBB1_5296:
	s_or_b64 exec, exec, s[6:7]
	s_nop 0
	v_mfma_f32_16x16x4f32 a[0:3], v2, v12, a[0:3]
	s_movk_i32 s4, 0xff
	v_and_b32_sdwa v6, v7, s4 dst_sel:DWORD dst_unused:UNUSED_PAD src0_sel:WORD_1 src1_sel:DWORD
	s_movk_i32 s4, 0x7f
	v_cmp_lt_i16_e32 vcc, s4, v6
	s_mov_b64 s[4:5], 0
                                        ; implicit-def: $sgpr10
	s_and_saveexec_b64 s[6:7], vcc
	s_xor_b64 s[6:7], exec, s[6:7]
	s_cbranch_execz .LBB1_5297
; %bb.41137:
	s_getpc_b64 s[14:15]
.Lpost_getpc6232:
	s_add_u32 s14, s14, (.LBB1_19633-.Lpost_getpc6232)&4294967295
	s_addc_u32 s15, s15, (.LBB1_19633-.Lpost_getpc6232)>>32
	s_setpc_b64 s[14:15]
.LBB1_5297:
	s_or_saveexec_b64 s[6:7], s[6:7]
	v_mov_b32_e32 v2, s10
	s_xor_b64 exec, exec, s[6:7]
	s_cbranch_execz .LBB1_5298
; %bb.41139:
	s_getpc_b64 s[14:15]
.Lpost_getpc6233:
	s_add_u32 s14, s14, (.LBB1_19636-.Lpost_getpc6233)&4294967295
	s_addc_u32 s15, s15, (.LBB1_19636-.Lpost_getpc6233)>>32
	s_setpc_b64 s[14:15]
.LBB1_5298:
	s_or_b64 exec, exec, s[6:7]
	s_and_saveexec_b64 s[6:7], s[4:5]
	s_cbranch_execz .LBB1_5300
.LBB1_5299:
	v_bfe_u32 v2, v7, 16, 3
	v_ffbh_u32_e32 v13, v2
	v_min_u32_e32 v13, 32, v13
	v_lshrrev_b32_e32 v6, 19, v7
	v_subrev_u32_e32 v14, 28, v13
	v_and_b32_e32 v6, 15, v6
	v_lshlrev_b32_sdwa v14, v14, v7 dst_sel:DWORD dst_unused:UNUSED_PAD src0_sel:DWORD src1_sel:WORD_1
	v_bfe_u32 v12, v7, 19, 4
	v_sub_u32_e32 v13, 29, v13
	v_and_b32_e32 v14, 7, v14
	v_cmp_eq_u16_e32 vcc, 0, v6
	v_cndmask_b32_e32 v2, v2, v14, vcc
	v_cndmask_b32_e32 v6, v12, v13, vcc
	v_lshlrev_b32_e32 v12, 8, v7
	v_mov_b32_e32 v13, 0x3b800000
	v_lshlrev_b32_e32 v2, 20, v2
	v_and_b32_e32 v12, 0x80000000, v12
	v_lshl_add_u32 v6, v6, 23, v13
	v_or3_b32 v2, v12, v6, v2
.LBB1_5300:
	s_or_b64 exec, exec, s[6:7]
	s_movk_i32 s4, 0xff
	v_and_b32_sdwa v6, v3, s4 dst_sel:DWORD dst_unused:UNUSED_PAD src0_sel:WORD_1 src1_sel:DWORD
	s_movk_i32 s4, 0x7f
	v_cmp_lt_i16_e32 vcc, s4, v6
	s_mov_b64 s[4:5], 0
                                        ; implicit-def: $sgpr10
	s_and_saveexec_b64 s[6:7], vcc
	s_xor_b64 s[6:7], exec, s[6:7]
	s_cbranch_execz .LBB1_5301
; %bb.41141:
	s_getpc_b64 s[14:15]
.Lpost_getpc6234:
	s_add_u32 s14, s14, (.LBB1_19637-.Lpost_getpc6234)&4294967295
	s_addc_u32 s15, s15, (.LBB1_19637-.Lpost_getpc6234)>>32
	s_setpc_b64 s[14:15]
.LBB1_5301:
	s_or_saveexec_b64 s[6:7], s[6:7]
	v_mov_b32_e32 v12, s10
	s_xor_b64 exec, exec, s[6:7]
	s_cbranch_execz .LBB1_5302
; %bb.41143:
	s_getpc_b64 s[14:15]
.Lpost_getpc6235:
	s_add_u32 s14, s14, (.LBB1_19640-.Lpost_getpc6235)&4294967295
	s_addc_u32 s15, s15, (.LBB1_19640-.Lpost_getpc6235)>>32
	s_setpc_b64 s[14:15]
.LBB1_5302:
	s_or_b64 exec, exec, s[6:7]
	s_and_saveexec_b64 s[6:7], s[4:5]
	s_cbranch_execz .LBB1_5304
.LBB1_5303:
	v_bfe_u32 v6, v3, 16, 3
	v_ffbh_u32_e32 v14, v6
	v_min_u32_e32 v14, 32, v14
	v_lshrrev_b32_e32 v12, 19, v3
	v_subrev_u32_e32 v15, 28, v14
	v_and_b32_e32 v12, 15, v12
	v_lshlrev_b32_sdwa v15, v15, v3 dst_sel:DWORD dst_unused:UNUSED_PAD src0_sel:DWORD src1_sel:WORD_1
	v_bfe_u32 v13, v3, 19, 4
	v_sub_u32_e32 v14, 29, v14
	v_and_b32_e32 v15, 7, v15
	v_cmp_eq_u16_e32 vcc, 0, v12
	v_cndmask_b32_e32 v6, v6, v15, vcc
	v_cndmask_b32_e32 v12, v13, v14, vcc
	v_lshlrev_b32_e32 v13, 8, v3
	v_mov_b32_e32 v14, 0x3b800000
	v_lshlrev_b32_e32 v6, 20, v6
	v_and_b32_e32 v13, 0x80000000, v13
	v_lshl_add_u32 v12, v12, 23, v14
	v_or3_b32 v12, v13, v12, v6
.LBB1_5304:
	s_or_b64 exec, exec, s[6:7]
	s_nop 0
	v_mfma_f32_16x16x4f32 a[0:3], v2, v12, a[0:3]
	s_movk_i32 s4, 0x7f
	v_cmp_gt_i16_sdwa s[6:7], v7, s4 src0_sel:BYTE_3 src1_sel:DWORD
	s_mov_b64 s[4:5], 0
                                        ; implicit-def: $sgpr10
	s_and_saveexec_b64 s[8:9], s[6:7]
	s_xor_b64 s[6:7], exec, s[8:9]
	s_cbranch_execz .LBB1_5305
; %bb.41145:
	s_getpc_b64 s[14:15]
.Lpost_getpc6236:
	s_add_u32 s14, s14, (.LBB1_19641-.Lpost_getpc6236)&4294967295
	s_addc_u32 s15, s15, (.LBB1_19641-.Lpost_getpc6236)>>32
	s_setpc_b64 s[14:15]
.LBB1_5305:
	s_or_saveexec_b64 s[6:7], s[6:7]
	v_mov_b32_e32 v2, s10
	s_xor_b64 exec, exec, s[6:7]
	s_cbranch_execz .LBB1_5306
; %bb.41147:
	s_getpc_b64 s[14:15]
.Lpost_getpc6237:
	s_add_u32 s14, s14, (.LBB1_19644-.Lpost_getpc6237)&4294967295
	s_addc_u32 s15, s15, (.LBB1_19644-.Lpost_getpc6237)>>32
	s_setpc_b64 s[14:15]
.LBB1_5306:
	s_or_b64 exec, exec, s[6:7]
	s_and_saveexec_b64 s[6:7], s[4:5]
	s_cbranch_execz .LBB1_5308
.LBB1_5307:
	v_bfe_u32 v2, v7, 24, 3
	v_ffbh_u32_e32 v14, v2
	v_min_u32_e32 v14, 32, v14
	v_lshrrev_b32_e32 v12, 27, v7
	v_subrev_u32_e32 v15, 28, v14
	v_and_b32_e32 v6, 0x80000000, v7
	v_and_b32_e32 v12, 15, v12
	v_bfe_u32 v13, v7, 27, 4
	v_lshlrev_b32_sdwa v7, v15, v7 dst_sel:DWORD dst_unused:UNUSED_PAD src0_sel:DWORD src1_sel:BYTE_3
	v_sub_u32_e32 v14, 29, v14
	v_and_b32_e32 v7, 7, v7
	v_cmp_eq_u16_e32 vcc, 0, v12
	v_cndmask_b32_e32 v2, v2, v7, vcc
	v_cndmask_b32_e32 v7, v13, v14, vcc
	v_mov_b32_e32 v12, 0x3b800000
	v_lshlrev_b32_e32 v2, 20, v2
	v_lshl_add_u32 v7, v7, 23, v12
	v_or3_b32 v2, v6, v7, v2
.LBB1_5308:
	s_or_b64 exec, exec, s[6:7]
	s_movk_i32 s4, 0x7f
	v_cmp_gt_i16_sdwa s[6:7], v3, s4 src0_sel:BYTE_3 src1_sel:DWORD
	s_mov_b64 s[4:5], 0
                                        ; implicit-def: $sgpr10
	s_and_saveexec_b64 s[8:9], s[6:7]
	s_xor_b64 s[6:7], exec, s[8:9]
	s_cbranch_execz .LBB1_5309
; %bb.41149:
	s_getpc_b64 s[14:15]
.Lpost_getpc6238:
	s_add_u32 s14, s14, (.LBB1_19645-.Lpost_getpc6238)&4294967295
	s_addc_u32 s15, s15, (.LBB1_19645-.Lpost_getpc6238)>>32
	s_setpc_b64 s[14:15]
.LBB1_5309:
	s_or_saveexec_b64 s[6:7], s[6:7]
	v_mov_b32_e32 v6, s10
	s_xor_b64 exec, exec, s[6:7]
	s_cbranch_execz .LBB1_5310
; %bb.41151:
	s_getpc_b64 s[14:15]
.Lpost_getpc6239:
	s_add_u32 s14, s14, (.LBB1_19648-.Lpost_getpc6239)&4294967295
	s_addc_u32 s15, s15, (.LBB1_19648-.Lpost_getpc6239)>>32
	s_setpc_b64 s[14:15]
.LBB1_5310:
	s_or_b64 exec, exec, s[6:7]
	s_and_saveexec_b64 s[6:7], s[4:5]
	s_cbranch_execz .LBB1_5312
.LBB1_5311:
	v_bfe_u32 v6, v3, 24, 3
	v_ffbh_u32_e32 v14, v6
	v_min_u32_e32 v14, 32, v14
	v_lshrrev_b32_e32 v12, 27, v3
	v_subrev_u32_e32 v15, 28, v14
	v_and_b32_e32 v7, 0x80000000, v3
	v_and_b32_e32 v12, 15, v12
	v_bfe_u32 v13, v3, 27, 4
	v_lshlrev_b32_sdwa v3, v15, v3 dst_sel:DWORD dst_unused:UNUSED_PAD src0_sel:DWORD src1_sel:BYTE_3
	v_sub_u32_e32 v14, 29, v14
	v_and_b32_e32 v3, 7, v3
	v_cmp_eq_u16_e32 vcc, 0, v12
	v_cndmask_b32_e32 v3, v6, v3, vcc
	v_cndmask_b32_e32 v6, v13, v14, vcc
	v_mov_b32_e32 v12, 0x3b800000
	v_lshlrev_b32_e32 v3, 20, v3
	v_lshl_add_u32 v6, v6, 23, v12
	v_or3_b32 v6, v7, v6, v3
.LBB1_5312:
	s_or_b64 exec, exec, s[6:7]
	s_nop 0
	v_mfma_f32_16x16x4f32 a[0:3], v2, v6, a[0:3]
	s_movk_i32 s4, 0x7f
	v_cmp_gt_i16_sdwa s[6:7], v8, s4 src0_sel:BYTE_0 src1_sel:DWORD
	s_mov_b64 s[4:5], 0
                                        ; implicit-def: $sgpr10
	s_and_saveexec_b64 s[8:9], s[6:7]
	s_xor_b64 s[6:7], exec, s[8:9]
	s_cbranch_execz .LBB1_5313
; %bb.41153:
	s_getpc_b64 s[14:15]
.Lpost_getpc6240:
	s_add_u32 s14, s14, (.LBB1_19649-.Lpost_getpc6240)&4294967295
	s_addc_u32 s15, s15, (.LBB1_19649-.Lpost_getpc6240)>>32
	s_setpc_b64 s[14:15]
.LBB1_5313:
	s_or_saveexec_b64 s[6:7], s[6:7]
	v_mov_b32_e32 v2, s10
	s_xor_b64 exec, exec, s[6:7]
	s_cbranch_execz .LBB1_5314
; %bb.41155:
	s_getpc_b64 s[14:15]
.Lpost_getpc6241:
	s_add_u32 s14, s14, (.LBB1_19652-.Lpost_getpc6241)&4294967295
	s_addc_u32 s15, s15, (.LBB1_19652-.Lpost_getpc6241)>>32
	s_setpc_b64 s[14:15]
.LBB1_5314:
	s_or_b64 exec, exec, s[6:7]
	s_and_saveexec_b64 s[6:7], s[4:5]
	s_cbranch_execz .LBB1_5316
.LBB1_5315:
	v_and_b32_e32 v2, 7, v8
	v_ffbh_u32_e32 v6, v2
	v_min_u32_e32 v6, 32, v6
	v_lshrrev_b16_e32 v3, 3, v8
	v_subrev_u32_e32 v7, 28, v6
	v_and_b32_e32 v3, 15, v3
	v_lshlrev_b32_e32 v7, v7, v8
	v_sub_u32_e32 v6, 29, v6
	v_and_b32_e32 v7, 7, v7
	v_cmp_eq_u16_e32 vcc, 0, v3
	v_cndmask_b32_e32 v2, v2, v7, vcc
	v_cndmask_b32_e32 v3, v3, v6, vcc
	v_lshlrev_b32_e32 v6, 24, v8
	v_mov_b32_e32 v7, 0x3b800000
	v_lshlrev_b32_e32 v2, 20, v2
	v_and_b32_e32 v6, 0x80000000, v6
	v_lshl_add_u32 v3, v3, 23, v7
	v_or3_b32 v2, v6, v3, v2
.LBB1_5316:
	s_or_b64 exec, exec, s[6:7]
	s_movk_i32 s4, 0x7f
	v_cmp_gt_i16_sdwa s[6:7], v4, s4 src0_sel:BYTE_0 src1_sel:DWORD
	s_mov_b64 s[4:5], 0
                                        ; implicit-def: $sgpr10
	s_and_saveexec_b64 s[8:9], s[6:7]
	s_xor_b64 s[6:7], exec, s[8:9]
	s_cbranch_execz .LBB1_5317
; %bb.41157:
	s_getpc_b64 s[14:15]
.Lpost_getpc6242:
	s_add_u32 s14, s14, (.LBB1_19653-.Lpost_getpc6242)&4294967295
	s_addc_u32 s15, s15, (.LBB1_19653-.Lpost_getpc6242)>>32
	s_setpc_b64 s[14:15]
.LBB1_5317:
	s_or_saveexec_b64 s[6:7], s[6:7]
	v_mov_b32_e32 v3, s10
	s_xor_b64 exec, exec, s[6:7]
	s_cbranch_execz .LBB1_5318
; %bb.41159:
	s_getpc_b64 s[14:15]
.Lpost_getpc6243:
	s_add_u32 s14, s14, (.LBB1_19656-.Lpost_getpc6243)&4294967295
	s_addc_u32 s15, s15, (.LBB1_19656-.Lpost_getpc6243)>>32
	s_setpc_b64 s[14:15]
.LBB1_5318:
	s_or_b64 exec, exec, s[6:7]
	s_and_saveexec_b64 s[6:7], s[4:5]
	s_cbranch_execz .LBB1_5320
.LBB1_5319:
	v_and_b32_e32 v3, 7, v4
	v_ffbh_u32_e32 v7, v3
	v_min_u32_e32 v7, 32, v7
	v_lshrrev_b16_e32 v6, 3, v4
	v_subrev_u32_e32 v12, 28, v7
	v_and_b32_e32 v6, 15, v6
	v_lshlrev_b32_e32 v12, v12, v4
	v_sub_u32_e32 v7, 29, v7
	v_and_b32_e32 v12, 7, v12
	v_cmp_eq_u16_e32 vcc, 0, v6
	v_cndmask_b32_e32 v3, v3, v12, vcc
	v_cndmask_b32_e32 v6, v6, v7, vcc
	v_lshlrev_b32_e32 v7, 24, v4
	v_mov_b32_e32 v12, 0x3b800000
	v_lshlrev_b32_e32 v3, 20, v3
	v_and_b32_e32 v7, 0x80000000, v7
	v_lshl_add_u32 v6, v6, 23, v12
	v_or3_b32 v3, v7, v6, v3
.LBB1_5320:
	s_or_b64 exec, exec, s[6:7]
	s_nop 0
	v_mfma_f32_16x16x4f32 a[0:3], v2, v3, a[0:3]
	v_lshrrev_b32_e32 v3, 8, v8
	s_movk_i32 s4, 0x7f
	v_cmp_gt_i16_sdwa s[6:7], v3, s4 src0_sel:BYTE_0 src1_sel:DWORD
	s_mov_b64 s[4:5], 0
                                        ; implicit-def: $sgpr10
	s_and_saveexec_b64 s[8:9], s[6:7]
	s_xor_b64 s[6:7], exec, s[8:9]
	s_cbranch_execz .LBB1_5321
; %bb.41161:
	s_getpc_b64 s[14:15]
.Lpost_getpc6244:
	s_add_u32 s14, s14, (.LBB1_19657-.Lpost_getpc6244)&4294967295
	s_addc_u32 s15, s15, (.LBB1_19657-.Lpost_getpc6244)>>32
	s_setpc_b64 s[14:15]
.LBB1_5321:
	s_or_saveexec_b64 s[6:7], s[6:7]
	v_mov_b32_e32 v2, s10
	s_xor_b64 exec, exec, s[6:7]
	s_cbranch_execz .LBB1_5322
; %bb.41163:
	s_getpc_b64 s[14:15]
.Lpost_getpc6245:
	s_add_u32 s14, s14, (.LBB1_19660-.Lpost_getpc6245)&4294967295
	s_addc_u32 s15, s15, (.LBB1_19660-.Lpost_getpc6245)>>32
	s_setpc_b64 s[14:15]
.LBB1_5322:
	s_or_b64 exec, exec, s[6:7]
	s_and_saveexec_b64 s[6:7], s[4:5]
	s_cbranch_execz .LBB1_5324
.LBB1_5323:
	v_bfe_u32 v2, v8, 8, 3
	v_ffbh_u32_e32 v7, v2
	v_min_u32_e32 v7, 32, v7
	v_lshrrev_b16_e32 v6, 3, v3
	v_subrev_u32_e32 v12, 28, v7
	v_and_b32_e32 v6, 15, v6
	v_lshlrev_b32_e32 v3, v12, v3
	v_sub_u32_e32 v7, 29, v7
	v_and_b32_e32 v3, 7, v3
	v_cmp_eq_u16_e32 vcc, 0, v6
	v_cndmask_b32_e32 v2, v2, v3, vcc
	v_cndmask_b32_e32 v3, v6, v7, vcc
	v_lshlrev_b32_e32 v6, 16, v8
	v_mov_b32_e32 v7, 0x3b800000
	v_lshlrev_b32_e32 v2, 20, v2
	v_and_b32_e32 v6, 0x80000000, v6
	v_lshl_add_u32 v3, v3, 23, v7
	v_or3_b32 v2, v6, v3, v2
.LBB1_5324:
	s_or_b64 exec, exec, s[6:7]
	v_lshrrev_b32_e32 v3, 8, v4
	s_movk_i32 s4, 0x7f
	v_cmp_gt_i16_sdwa s[6:7], v3, s4 src0_sel:BYTE_0 src1_sel:DWORD
	s_mov_b64 s[4:5], 0
                                        ; implicit-def: $sgpr10
	s_and_saveexec_b64 s[8:9], s[6:7]
	s_xor_b64 s[6:7], exec, s[8:9]
	s_cbranch_execz .LBB1_5325
; %bb.41165:
	s_getpc_b64 s[14:15]
.Lpost_getpc6246:
	s_add_u32 s14, s14, (.LBB1_19661-.Lpost_getpc6246)&4294967295
	s_addc_u32 s15, s15, (.LBB1_19661-.Lpost_getpc6246)>>32
	s_setpc_b64 s[14:15]
.LBB1_5325:
	s_or_saveexec_b64 s[6:7], s[6:7]
	v_mov_b32_e32 v6, s10
	s_xor_b64 exec, exec, s[6:7]
	s_cbranch_execz .LBB1_5326
; %bb.41167:
	s_getpc_b64 s[14:15]
.Lpost_getpc6247:
	s_add_u32 s14, s14, (.LBB1_19664-.Lpost_getpc6247)&4294967295
	s_addc_u32 s15, s15, (.LBB1_19664-.Lpost_getpc6247)>>32
	s_setpc_b64 s[14:15]
.LBB1_5326:
	s_or_b64 exec, exec, s[6:7]
	s_and_saveexec_b64 s[6:7], s[4:5]
	s_cbranch_execz .LBB1_5328
.LBB1_5327:
	v_bfe_u32 v6, v4, 8, 3
	v_ffbh_u32_e32 v12, v6
	v_min_u32_e32 v12, 32, v12
	v_lshrrev_b16_e32 v7, 3, v3
	v_subrev_u32_e32 v13, 28, v12
	v_and_b32_e32 v7, 15, v7
	v_lshlrev_b32_e32 v3, v13, v3
	v_sub_u32_e32 v12, 29, v12
	v_and_b32_e32 v3, 7, v3
	v_cmp_eq_u16_e32 vcc, 0, v7
	v_cndmask_b32_e32 v3, v6, v3, vcc
	v_cndmask_b32_e32 v6, v7, v12, vcc
	v_lshlrev_b32_e32 v7, 16, v4
	v_mov_b32_e32 v12, 0x3b800000
	v_lshlrev_b32_e32 v3, 20, v3
	v_and_b32_e32 v7, 0x80000000, v7
	v_lshl_add_u32 v6, v6, 23, v12
	v_or3_b32 v6, v7, v6, v3
.LBB1_5328:
	s_or_b64 exec, exec, s[6:7]
	s_nop 0
	v_mfma_f32_16x16x4f32 a[0:3], v2, v6, a[0:3]
	s_movk_i32 s4, 0xff
	v_and_b32_sdwa v3, v8, s4 dst_sel:DWORD dst_unused:UNUSED_PAD src0_sel:WORD_1 src1_sel:DWORD
	s_movk_i32 s4, 0x7f
	v_cmp_lt_i16_e32 vcc, s4, v3
	s_mov_b64 s[4:5], 0
                                        ; implicit-def: $sgpr10
	s_and_saveexec_b64 s[6:7], vcc
	s_xor_b64 s[6:7], exec, s[6:7]
	s_cbranch_execz .LBB1_5329
; %bb.41169:
	s_getpc_b64 s[14:15]
.Lpost_getpc6248:
	s_add_u32 s14, s14, (.LBB1_19665-.Lpost_getpc6248)&4294967295
	s_addc_u32 s15, s15, (.LBB1_19665-.Lpost_getpc6248)>>32
	s_setpc_b64 s[14:15]
.LBB1_5329:
	s_or_saveexec_b64 s[6:7], s[6:7]
	v_mov_b32_e32 v2, s10
	s_xor_b64 exec, exec, s[6:7]
	s_cbranch_execz .LBB1_5330
; %bb.41171:
	s_getpc_b64 s[14:15]
.Lpost_getpc6249:
	s_add_u32 s14, s14, (.LBB1_19668-.Lpost_getpc6249)&4294967295
	s_addc_u32 s15, s15, (.LBB1_19668-.Lpost_getpc6249)>>32
	s_setpc_b64 s[14:15]
.LBB1_5330:
	s_or_b64 exec, exec, s[6:7]
	s_and_saveexec_b64 s[6:7], s[4:5]
	s_cbranch_execz .LBB1_5332
.LBB1_5331:
	v_bfe_u32 v2, v8, 16, 3
	v_ffbh_u32_e32 v7, v2
	v_min_u32_e32 v7, 32, v7
	v_lshrrev_b32_e32 v3, 19, v8
	v_subrev_u32_e32 v12, 28, v7
	v_and_b32_e32 v3, 15, v3
	v_lshlrev_b32_sdwa v12, v12, v8 dst_sel:DWORD dst_unused:UNUSED_PAD src0_sel:DWORD src1_sel:WORD_1
	v_bfe_u32 v6, v8, 19, 4
	v_sub_u32_e32 v7, 29, v7
	v_and_b32_e32 v12, 7, v12
	v_cmp_eq_u16_e32 vcc, 0, v3
	v_cndmask_b32_e32 v2, v2, v12, vcc
	v_cndmask_b32_e32 v3, v6, v7, vcc
	v_lshlrev_b32_e32 v6, 8, v8
	v_mov_b32_e32 v7, 0x3b800000
	v_lshlrev_b32_e32 v2, 20, v2
	v_and_b32_e32 v6, 0x80000000, v6
	v_lshl_add_u32 v3, v3, 23, v7
	v_or3_b32 v2, v6, v3, v2
.LBB1_5332:
	s_or_b64 exec, exec, s[6:7]
	s_movk_i32 s4, 0xff
	v_and_b32_sdwa v3, v4, s4 dst_sel:DWORD dst_unused:UNUSED_PAD src0_sel:WORD_1 src1_sel:DWORD
	s_movk_i32 s4, 0x7f
	v_cmp_lt_i16_e32 vcc, s4, v3
	s_mov_b64 s[4:5], 0
                                        ; implicit-def: $sgpr10
	s_and_saveexec_b64 s[6:7], vcc
	s_xor_b64 s[6:7], exec, s[6:7]
	s_cbranch_execz .LBB1_5333
; %bb.41173:
	s_getpc_b64 s[14:15]
.Lpost_getpc6250:
	s_add_u32 s14, s14, (.LBB1_19669-.Lpost_getpc6250)&4294967295
	s_addc_u32 s15, s15, (.LBB1_19669-.Lpost_getpc6250)>>32
	s_setpc_b64 s[14:15]
.LBB1_5333:
	s_or_saveexec_b64 s[6:7], s[6:7]
	v_mov_b32_e32 v6, s10
	s_xor_b64 exec, exec, s[6:7]
	s_cbranch_execz .LBB1_5334
; %bb.41175:
	s_getpc_b64 s[14:15]
.Lpost_getpc6251:
	s_add_u32 s14, s14, (.LBB1_19672-.Lpost_getpc6251)&4294967295
	s_addc_u32 s15, s15, (.LBB1_19672-.Lpost_getpc6251)>>32
	s_setpc_b64 s[14:15]
.LBB1_5334:
	s_or_b64 exec, exec, s[6:7]
	s_and_saveexec_b64 s[6:7], s[4:5]
	s_cbranch_execz .LBB1_5336
.LBB1_5335:
	v_bfe_u32 v3, v4, 16, 3
	v_ffbh_u32_e32 v12, v3
	v_min_u32_e32 v12, 32, v12
	v_lshrrev_b32_e32 v6, 19, v4
	v_subrev_u32_e32 v13, 28, v12
	v_and_b32_e32 v6, 15, v6
	v_lshlrev_b32_sdwa v13, v13, v4 dst_sel:DWORD dst_unused:UNUSED_PAD src0_sel:DWORD src1_sel:WORD_1
	v_bfe_u32 v7, v4, 19, 4
	v_sub_u32_e32 v12, 29, v12
	v_and_b32_e32 v13, 7, v13
	v_cmp_eq_u16_e32 vcc, 0, v6
	v_cndmask_b32_e32 v3, v3, v13, vcc
	v_cndmask_b32_e32 v6, v7, v12, vcc
	v_lshlrev_b32_e32 v7, 8, v4
	v_mov_b32_e32 v12, 0x3b800000
	v_lshlrev_b32_e32 v3, 20, v3
	v_and_b32_e32 v7, 0x80000000, v7
	v_lshl_add_u32 v6, v6, 23, v12
	v_or3_b32 v6, v7, v6, v3
.LBB1_5336:
	s_or_b64 exec, exec, s[6:7]
	s_nop 0
	v_mfma_f32_16x16x4f32 a[0:3], v2, v6, a[0:3]
	s_movk_i32 s4, 0x7f
	v_cmp_gt_i16_sdwa s[6:7], v8, s4 src0_sel:BYTE_3 src1_sel:DWORD
	s_mov_b64 s[4:5], 0
                                        ; implicit-def: $sgpr10
	s_and_saveexec_b64 s[8:9], s[6:7]
	s_xor_b64 s[6:7], exec, s[8:9]
	s_cbranch_execz .LBB1_5337
; %bb.41177:
	s_getpc_b64 s[14:15]
.Lpost_getpc6252:
	s_add_u32 s14, s14, (.LBB1_19673-.Lpost_getpc6252)&4294967295
	s_addc_u32 s15, s15, (.LBB1_19673-.Lpost_getpc6252)>>32
	s_setpc_b64 s[14:15]
.LBB1_5337:
	s_or_saveexec_b64 s[6:7], s[6:7]
	v_mov_b32_e32 v2, s10
	s_xor_b64 exec, exec, s[6:7]
	s_cbranch_execz .LBB1_5338
; %bb.41179:
	s_getpc_b64 s[14:15]
.Lpost_getpc6253:
	s_add_u32 s14, s14, (.LBB1_19676-.Lpost_getpc6253)&4294967295
	s_addc_u32 s15, s15, (.LBB1_19676-.Lpost_getpc6253)>>32
	s_setpc_b64 s[14:15]
.LBB1_5338:
	s_or_b64 exec, exec, s[6:7]
	s_and_saveexec_b64 s[6:7], s[4:5]
	s_cbranch_execz .LBB1_5340
.LBB1_5339:
	v_bfe_u32 v2, v8, 24, 3
	v_ffbh_u32_e32 v12, v2
	v_min_u32_e32 v12, 32, v12
	v_lshrrev_b32_e32 v6, 27, v8
	v_subrev_u32_e32 v13, 28, v12
	v_and_b32_e32 v3, 0x80000000, v8
	v_and_b32_e32 v6, 15, v6
	v_bfe_u32 v7, v8, 27, 4
	v_lshlrev_b32_sdwa v8, v13, v8 dst_sel:DWORD dst_unused:UNUSED_PAD src0_sel:DWORD src1_sel:BYTE_3
	v_sub_u32_e32 v12, 29, v12
	v_and_b32_e32 v8, 7, v8
	v_cmp_eq_u16_e32 vcc, 0, v6
	v_cndmask_b32_e32 v2, v2, v8, vcc
	v_cndmask_b32_e32 v6, v7, v12, vcc
	v_mov_b32_e32 v7, 0x3b800000
	v_lshlrev_b32_e32 v2, 20, v2
	v_lshl_add_u32 v6, v6, 23, v7
	v_or3_b32 v2, v3, v6, v2
.LBB1_5340:
	s_or_b64 exec, exec, s[6:7]
	s_movk_i32 s4, 0x7f
	v_cmp_gt_i16_sdwa s[6:7], v4, s4 src0_sel:BYTE_3 src1_sel:DWORD
	s_mov_b64 s[4:5], 0
                                        ; implicit-def: $sgpr10
	s_and_saveexec_b64 s[8:9], s[6:7]
	s_xor_b64 s[6:7], exec, s[8:9]
	s_cbranch_execz .LBB1_5341
; %bb.41181:
	s_getpc_b64 s[14:15]
.Lpost_getpc6254:
	s_add_u32 s14, s14, (.LBB1_19677-.Lpost_getpc6254)&4294967295
	s_addc_u32 s15, s15, (.LBB1_19677-.Lpost_getpc6254)>>32
	s_setpc_b64 s[14:15]
.LBB1_5341:
	s_or_saveexec_b64 s[6:7], s[6:7]
	v_mov_b32_e32 v3, s10
	s_xor_b64 exec, exec, s[6:7]
	s_cbranch_execz .LBB1_5342
; %bb.41183:
	s_getpc_b64 s[14:15]
.Lpost_getpc6255:
	s_add_u32 s14, s14, (.LBB1_19680-.Lpost_getpc6255)&4294967295
	s_addc_u32 s15, s15, (.LBB1_19680-.Lpost_getpc6255)>>32
	s_setpc_b64 s[14:15]
.LBB1_5342:
	s_or_b64 exec, exec, s[6:7]
	s_and_saveexec_b64 s[6:7], s[4:5]
	s_cbranch_execz .LBB1_5344
.LBB1_5343:
	v_bfe_u32 v3, v4, 24, 3
	v_ffbh_u32_e32 v12, v3
	v_min_u32_e32 v12, 32, v12
	v_lshrrev_b32_e32 v7, 27, v4
	v_subrev_u32_e32 v13, 28, v12
	v_and_b32_e32 v6, 0x80000000, v4
	v_and_b32_e32 v7, 15, v7
	v_bfe_u32 v8, v4, 27, 4
	v_lshlrev_b32_sdwa v4, v13, v4 dst_sel:DWORD dst_unused:UNUSED_PAD src0_sel:DWORD src1_sel:BYTE_3
	v_sub_u32_e32 v12, 29, v12
	v_and_b32_e32 v4, 7, v4
	v_cmp_eq_u16_e32 vcc, 0, v7
	v_cndmask_b32_e32 v3, v3, v4, vcc
	v_cndmask_b32_e32 v4, v8, v12, vcc
	v_mov_b32_e32 v7, 0x3b800000
	v_lshlrev_b32_e32 v3, 20, v3
	v_lshl_add_u32 v4, v4, 23, v7
	v_or3_b32 v3, v6, v4, v3
.LBB1_5344:
	s_or_b64 exec, exec, s[6:7]
	s_nop 0
	v_mfma_f32_16x16x4f32 a[0:3], v2, v3, a[0:3]
	s_movk_i32 s4, 0x7f
	v_cmp_gt_i16_sdwa s[6:7], v9, s4 src0_sel:BYTE_0 src1_sel:DWORD
	s_mov_b64 s[4:5], 0
                                        ; implicit-def: $sgpr10
	s_and_saveexec_b64 s[8:9], s[6:7]
	s_xor_b64 s[6:7], exec, s[8:9]
	s_cbranch_execz .LBB1_5345
; %bb.41185:
	s_getpc_b64 s[14:15]
.Lpost_getpc6256:
	s_add_u32 s14, s14, (.LBB1_19681-.Lpost_getpc6256)&4294967295
	s_addc_u32 s15, s15, (.LBB1_19681-.Lpost_getpc6256)>>32
	s_setpc_b64 s[14:15]
.LBB1_5345:
	s_or_saveexec_b64 s[6:7], s[6:7]
	v_mov_b32_e32 v2, s10
	s_xor_b64 exec, exec, s[6:7]
	s_cbranch_execz .LBB1_5346
; %bb.41187:
	s_getpc_b64 s[14:15]
.Lpost_getpc6257:
	s_add_u32 s14, s14, (.LBB1_19684-.Lpost_getpc6257)&4294967295
	s_addc_u32 s15, s15, (.LBB1_19684-.Lpost_getpc6257)>>32
	s_setpc_b64 s[14:15]
.LBB1_5346:
	s_or_b64 exec, exec, s[6:7]
	s_and_saveexec_b64 s[6:7], s[4:5]
	s_cbranch_execz .LBB1_5348
.LBB1_5347:
	v_mov_b32_e32 v2, 8
	v_and_b32_e32 v3, 7, v9
	v_lshrrev_b32_sdwa v2, v2, v9 dst_sel:BYTE_1 dst_unused:UNUSED_PAD src0_sel:DWORD src1_sel:DWORD
	v_ffbh_u32_e32 v4, v3
	v_or_b32_sdwa v2, v9, v2 dst_sel:DWORD dst_unused:UNUSED_PAD src0_sel:BYTE_0 src1_sel:DWORD
	v_min_u32_e32 v4, 32, v4
	v_lshrrev_b16_e32 v2, 3, v2
	v_subrev_u32_e32 v6, 28, v4
	v_and_b32_e32 v2, 15, v2
	v_lshlrev_b32_e32 v6, v6, v9
	v_sub_u32_e32 v4, 29, v4
	v_and_b32_e32 v6, 7, v6
	v_cmp_eq_u16_e32 vcc, 0, v2
	v_cndmask_b32_e32 v3, v3, v6, vcc
	v_cndmask_b32_e32 v2, v2, v4, vcc
	v_lshlrev_b32_e32 v4, 24, v9
	v_mov_b32_e32 v6, 0x3b800000
	v_lshlrev_b32_e32 v3, 20, v3
	v_and_b32_e32 v4, 0x80000000, v4
	v_lshl_add_u32 v2, v2, 23, v6
	v_or3_b32 v2, v4, v2, v3
.LBB1_5348:
	s_or_b64 exec, exec, s[6:7]
	s_movk_i32 s4, 0x7f
	v_cmp_gt_i16_sdwa s[6:7], v5, s4 src0_sel:BYTE_0 src1_sel:DWORD
	s_mov_b64 s[4:5], 0
                                        ; implicit-def: $sgpr10
	s_and_saveexec_b64 s[8:9], s[6:7]
	s_xor_b64 s[6:7], exec, s[8:9]
	s_cbranch_execz .LBB1_5349
; %bb.41189:
	s_getpc_b64 s[14:15]
.Lpost_getpc6258:
	s_add_u32 s14, s14, (.LBB1_19685-.Lpost_getpc6258)&4294967295
	s_addc_u32 s15, s15, (.LBB1_19685-.Lpost_getpc6258)>>32
	s_setpc_b64 s[14:15]
.LBB1_5349:
	s_or_saveexec_b64 s[6:7], s[6:7]
	v_mov_b32_e32 v3, s10
	s_xor_b64 exec, exec, s[6:7]
	s_cbranch_execz .LBB1_5350
; %bb.41191:
	s_getpc_b64 s[14:15]
.Lpost_getpc6259:
	s_add_u32 s14, s14, (.LBB1_19688-.Lpost_getpc6259)&4294967295
	s_addc_u32 s15, s15, (.LBB1_19688-.Lpost_getpc6259)>>32
	s_setpc_b64 s[14:15]
.LBB1_5350:
	s_or_b64 exec, exec, s[6:7]
	s_and_saveexec_b64 s[6:7], s[4:5]
	s_cbranch_execz .LBB1_5352
.LBB1_5351:
	v_mov_b32_e32 v3, 8
	v_and_b32_e32 v4, 7, v5
	v_lshrrev_b32_sdwa v3, v3, v5 dst_sel:BYTE_1 dst_unused:UNUSED_PAD src0_sel:DWORD src1_sel:DWORD
	v_ffbh_u32_e32 v6, v4
	v_or_b32_sdwa v3, v5, v3 dst_sel:DWORD dst_unused:UNUSED_PAD src0_sel:BYTE_0 src1_sel:DWORD
	v_min_u32_e32 v6, 32, v6
	v_lshrrev_b16_e32 v3, 3, v3
	v_subrev_u32_e32 v7, 28, v6
	v_and_b32_e32 v3, 15, v3
	v_lshlrev_b32_e32 v7, v7, v5
	v_sub_u32_e32 v6, 29, v6
	v_and_b32_e32 v7, 7, v7
	v_cmp_eq_u16_e32 vcc, 0, v3
	v_cndmask_b32_e32 v4, v4, v7, vcc
	v_cndmask_b32_e32 v3, v3, v6, vcc
	v_lshlrev_b32_e32 v6, 24, v5
	v_mov_b32_e32 v7, 0x3b800000
	v_lshlrev_b32_e32 v4, 20, v4
	v_and_b32_e32 v6, 0x80000000, v6
	v_lshl_add_u32 v3, v3, 23, v7
	v_or3_b32 v3, v6, v3, v4
.LBB1_5352:
	s_or_b64 exec, exec, s[6:7]
	s_nop 0
	v_mfma_f32_16x16x4f32 a[0:3], v2, v3, a[0:3]
	v_lshrrev_b32_e32 v3, 8, v9
	s_movk_i32 s4, 0x7f
	v_cmp_gt_i16_sdwa s[6:7], v3, s4 src0_sel:BYTE_0 src1_sel:DWORD
	s_mov_b64 s[4:5], 0
                                        ; implicit-def: $sgpr10
	s_and_saveexec_b64 s[8:9], s[6:7]
	s_xor_b64 s[6:7], exec, s[8:9]
	s_cbranch_execz .LBB1_5353
; %bb.41193:
	s_getpc_b64 s[14:15]
.Lpost_getpc6260:
	s_add_u32 s14, s14, (.LBB1_19689-.Lpost_getpc6260)&4294967295
	s_addc_u32 s15, s15, (.LBB1_19689-.Lpost_getpc6260)>>32
	s_setpc_b64 s[14:15]
.LBB1_5353:
	s_or_saveexec_b64 s[6:7], s[6:7]
	v_mov_b32_e32 v2, s10
	s_xor_b64 exec, exec, s[6:7]
	s_cbranch_execz .LBB1_5354
; %bb.41195:
	s_getpc_b64 s[14:15]
.Lpost_getpc6261:
	s_add_u32 s14, s14, (.LBB1_19692-.Lpost_getpc6261)&4294967295
	s_addc_u32 s15, s15, (.LBB1_19692-.Lpost_getpc6261)>>32
	s_setpc_b64 s[14:15]
.LBB1_5354:
	s_or_b64 exec, exec, s[6:7]
	s_and_saveexec_b64 s[6:7], s[4:5]
	s_cbranch_execz .LBB1_5356
.LBB1_5355:
	v_bfe_u32 v2, v9, 8, 3
	v_ffbh_u32_e32 v6, v2
	v_min_u32_e32 v6, 32, v6
	v_lshrrev_b16_e32 v4, 3, v3
	v_subrev_u32_e32 v7, 28, v6
	v_and_b32_e32 v4, 15, v4
	v_lshlrev_b32_e32 v3, v7, v3
	v_sub_u32_e32 v6, 29, v6
	v_and_b32_e32 v3, 7, v3
	v_cmp_eq_u16_e32 vcc, 0, v4
	v_cndmask_b32_e32 v2, v2, v3, vcc
	v_cndmask_b32_e32 v3, v4, v6, vcc
	v_lshlrev_b32_e32 v4, 16, v9
	v_mov_b32_e32 v6, 0x3b800000
	v_lshlrev_b32_e32 v2, 20, v2
	v_and_b32_e32 v4, 0x80000000, v4
	v_lshl_add_u32 v3, v3, 23, v6
	v_or3_b32 v2, v4, v3, v2
.LBB1_5356:
	s_or_b64 exec, exec, s[6:7]
	v_lshrrev_b32_e32 v3, 8, v5
	s_movk_i32 s4, 0x7f
	v_cmp_gt_i16_sdwa s[6:7], v3, s4 src0_sel:BYTE_0 src1_sel:DWORD
	s_mov_b64 s[4:5], 0
                                        ; implicit-def: $sgpr10
	s_and_saveexec_b64 s[8:9], s[6:7]
	s_xor_b64 s[6:7], exec, s[8:9]
	s_cbranch_execz .LBB1_5357
; %bb.41197:
	s_getpc_b64 s[14:15]
.Lpost_getpc6262:
	s_add_u32 s14, s14, (.LBB1_19693-.Lpost_getpc6262)&4294967295
	s_addc_u32 s15, s15, (.LBB1_19693-.Lpost_getpc6262)>>32
	s_setpc_b64 s[14:15]
.LBB1_5357:
	s_or_saveexec_b64 s[6:7], s[6:7]
	v_mov_b32_e32 v4, s10
	s_xor_b64 exec, exec, s[6:7]
	s_cbranch_execz .LBB1_5358
; %bb.41199:
	s_getpc_b64 s[14:15]
.Lpost_getpc6263:
	s_add_u32 s14, s14, (.LBB1_19696-.Lpost_getpc6263)&4294967295
	s_addc_u32 s15, s15, (.LBB1_19696-.Lpost_getpc6263)>>32
	s_setpc_b64 s[14:15]
.LBB1_5358:
	s_or_b64 exec, exec, s[6:7]
	s_and_saveexec_b64 s[6:7], s[4:5]
	s_cbranch_execz .LBB1_5360
.LBB1_5359:
	v_bfe_u32 v4, v5, 8, 3
	v_ffbh_u32_e32 v7, v4
	v_min_u32_e32 v7, 32, v7
	v_lshrrev_b16_e32 v6, 3, v3
	v_subrev_u32_e32 v8, 28, v7
	v_and_b32_e32 v6, 15, v6
	v_lshlrev_b32_e32 v3, v8, v3
	v_sub_u32_e32 v7, 29, v7
	v_and_b32_e32 v3, 7, v3
	v_cmp_eq_u16_e32 vcc, 0, v6
	v_cndmask_b32_e32 v3, v4, v3, vcc
	v_cndmask_b32_e32 v4, v6, v7, vcc
	v_lshlrev_b32_e32 v6, 16, v5
	v_mov_b32_e32 v7, 0x3b800000
	v_lshlrev_b32_e32 v3, 20, v3
	v_and_b32_e32 v6, 0x80000000, v6
	v_lshl_add_u32 v4, v4, 23, v7
	v_or3_b32 v4, v6, v4, v3
.LBB1_5360:
	s_or_b64 exec, exec, s[6:7]
	s_nop 0
	v_mfma_f32_16x16x4f32 a[0:3], v2, v4, a[0:3]
	s_movk_i32 s4, 0xff
	v_and_b32_sdwa v3, v9, s4 dst_sel:DWORD dst_unused:UNUSED_PAD src0_sel:WORD_1 src1_sel:DWORD
	s_movk_i32 s4, 0x7f
	v_cmp_lt_i16_e32 vcc, s4, v3
	s_mov_b64 s[4:5], 0
                                        ; implicit-def: $sgpr10
	s_and_saveexec_b64 s[6:7], vcc
	s_xor_b64 s[6:7], exec, s[6:7]
	s_cbranch_execz .LBB1_5361
; %bb.41201:
	s_getpc_b64 s[14:15]
.Lpost_getpc6264:
	s_add_u32 s14, s14, (.LBB1_19697-.Lpost_getpc6264)&4294967295
	s_addc_u32 s15, s15, (.LBB1_19697-.Lpost_getpc6264)>>32
	s_setpc_b64 s[14:15]
.LBB1_5361:
	s_or_saveexec_b64 s[6:7], s[6:7]
	v_mov_b32_e32 v2, s10
	s_xor_b64 exec, exec, s[6:7]
	s_cbranch_execz .LBB1_5362
; %bb.41203:
	s_getpc_b64 s[14:15]
.Lpost_getpc6265:
	s_add_u32 s14, s14, (.LBB1_19700-.Lpost_getpc6265)&4294967295
	s_addc_u32 s15, s15, (.LBB1_19700-.Lpost_getpc6265)>>32
	s_setpc_b64 s[14:15]
.LBB1_5362:
	s_or_b64 exec, exec, s[6:7]
	s_and_saveexec_b64 s[6:7], s[4:5]
	s_cbranch_execz .LBB1_5364
.LBB1_5363:
	v_bfe_u32 v2, v9, 16, 3
	v_ffbh_u32_e32 v6, v2
	v_min_u32_e32 v6, 32, v6
	v_lshrrev_b32_e32 v3, 19, v9
	v_subrev_u32_e32 v7, 28, v6
	v_and_b32_e32 v3, 15, v3
	v_lshlrev_b32_sdwa v7, v7, v9 dst_sel:DWORD dst_unused:UNUSED_PAD src0_sel:DWORD src1_sel:WORD_1
	v_bfe_u32 v4, v9, 19, 4
	v_sub_u32_e32 v6, 29, v6
	v_and_b32_e32 v7, 7, v7
	v_cmp_eq_u16_e32 vcc, 0, v3
	v_cndmask_b32_e32 v2, v2, v7, vcc
	v_cndmask_b32_e32 v3, v4, v6, vcc
	v_lshlrev_b32_e32 v4, 8, v9
	v_mov_b32_e32 v6, 0x3b800000
	v_lshlrev_b32_e32 v2, 20, v2
	v_and_b32_e32 v4, 0x80000000, v4
	v_lshl_add_u32 v3, v3, 23, v6
	v_or3_b32 v2, v4, v3, v2
.LBB1_5364:
	s_or_b64 exec, exec, s[6:7]
	s_movk_i32 s4, 0xff
	v_and_b32_sdwa v3, v5, s4 dst_sel:DWORD dst_unused:UNUSED_PAD src0_sel:WORD_1 src1_sel:DWORD
	s_movk_i32 s4, 0x7f
	v_cmp_lt_i16_e32 vcc, s4, v3
	s_mov_b64 s[4:5], 0
                                        ; implicit-def: $sgpr10
	s_and_saveexec_b64 s[6:7], vcc
	s_xor_b64 s[6:7], exec, s[6:7]
	s_cbranch_execz .LBB1_5365
; %bb.41205:
	s_getpc_b64 s[14:15]
.Lpost_getpc6266:
	s_add_u32 s14, s14, (.LBB1_19701-.Lpost_getpc6266)&4294967295
	s_addc_u32 s15, s15, (.LBB1_19701-.Lpost_getpc6266)>>32
	s_setpc_b64 s[14:15]
.LBB1_5365:
	s_or_saveexec_b64 s[6:7], s[6:7]
	v_mov_b32_e32 v4, s10
	s_xor_b64 exec, exec, s[6:7]
	s_cbranch_execz .LBB1_5366
; %bb.41207:
	s_getpc_b64 s[14:15]
.Lpost_getpc6267:
	s_add_u32 s14, s14, (.LBB1_19704-.Lpost_getpc6267)&4294967295
	s_addc_u32 s15, s15, (.LBB1_19704-.Lpost_getpc6267)>>32
	s_setpc_b64 s[14:15]
.LBB1_5366:
	s_or_b64 exec, exec, s[6:7]
	s_and_saveexec_b64 s[6:7], s[4:5]
	s_cbranch_execz .LBB1_5368
.LBB1_5367:
	v_bfe_u32 v3, v5, 16, 3
	v_ffbh_u32_e32 v7, v3
	v_min_u32_e32 v7, 32, v7
	v_lshrrev_b32_e32 v4, 19, v5
	v_subrev_u32_e32 v8, 28, v7
	v_and_b32_e32 v4, 15, v4
	v_lshlrev_b32_sdwa v8, v8, v5 dst_sel:DWORD dst_unused:UNUSED_PAD src0_sel:DWORD src1_sel:WORD_1
	v_bfe_u32 v6, v5, 19, 4
	v_sub_u32_e32 v7, 29, v7
	v_and_b32_e32 v8, 7, v8
	v_cmp_eq_u16_e32 vcc, 0, v4
	v_cndmask_b32_e32 v3, v3, v8, vcc
	v_cndmask_b32_e32 v4, v6, v7, vcc
	v_lshlrev_b32_e32 v6, 8, v5
	v_mov_b32_e32 v7, 0x3b800000
	v_lshlrev_b32_e32 v3, 20, v3
	v_and_b32_e32 v6, 0x80000000, v6
	v_lshl_add_u32 v4, v4, 23, v7
	v_or3_b32 v4, v6, v4, v3
.LBB1_5368:
	s_or_b64 exec, exec, s[6:7]
	s_nop 0
	v_mfma_f32_16x16x4f32 a[0:3], v2, v4, a[0:3]
	s_movk_i32 s4, 0x7f
	v_cmp_gt_i16_sdwa s[6:7], v9, s4 src0_sel:BYTE_3 src1_sel:DWORD
	s_mov_b64 s[4:5], 0
                                        ; implicit-def: $sgpr10
	s_and_saveexec_b64 s[8:9], s[6:7]
	s_xor_b64 s[6:7], exec, s[8:9]
	s_cbranch_execz .LBB1_5369
; %bb.41209:
	s_getpc_b64 s[14:15]
.Lpost_getpc6268:
	s_add_u32 s14, s14, (.LBB1_19705-.Lpost_getpc6268)&4294967295
	s_addc_u32 s15, s15, (.LBB1_19705-.Lpost_getpc6268)>>32
	s_setpc_b64 s[14:15]
.LBB1_5369:
	s_or_saveexec_b64 s[6:7], s[6:7]
	v_mov_b32_e32 v2, s10
	s_xor_b64 exec, exec, s[6:7]
	s_cbranch_execz .LBB1_5370
; %bb.41211:
	s_getpc_b64 s[14:15]
.Lpost_getpc6269:
	s_add_u32 s14, s14, (.LBB1_19708-.Lpost_getpc6269)&4294967295
	s_addc_u32 s15, s15, (.LBB1_19708-.Lpost_getpc6269)>>32
	s_setpc_b64 s[14:15]
.LBB1_5370:
	s_or_b64 exec, exec, s[6:7]
	s_and_saveexec_b64 s[6:7], s[4:5]
	s_cbranch_execz .LBB1_5372
.LBB1_5371:
	v_bfe_u32 v2, v9, 24, 3
	v_ffbh_u32_e32 v7, v2
	v_min_u32_e32 v7, 32, v7
	v_lshrrev_b32_e32 v4, 27, v9
	v_subrev_u32_e32 v8, 28, v7
	v_and_b32_e32 v4, 15, v4
	v_lshlrev_b32_sdwa v8, v8, v9 dst_sel:DWORD dst_unused:UNUSED_PAD src0_sel:DWORD src1_sel:BYTE_3
	v_bfe_u32 v6, v9, 27, 4
	v_sub_u32_e32 v7, 29, v7
	v_and_b32_e32 v8, 7, v8
	v_cmp_eq_u16_e32 vcc, 0, v4
	v_cndmask_b32_e32 v2, v2, v8, vcc
	v_cndmask_b32_e32 v4, v6, v7, vcc
	v_mov_b32_e32 v6, 0x3b800000
	v_and_b32_e32 v3, 0x80000000, v9
	v_lshlrev_b32_e32 v2, 20, v2
	v_lshl_add_u32 v4, v4, 23, v6
	v_or3_b32 v2, v3, v4, v2
.LBB1_5372:
	s_or_b64 exec, exec, s[6:7]
	s_movk_i32 s4, 0x7f
	v_cmp_gt_i16_sdwa s[6:7], v5, s4 src0_sel:BYTE_3 src1_sel:DWORD
	s_mov_b64 s[4:5], 0
                                        ; implicit-def: $sgpr10
	s_and_saveexec_b64 s[8:9], s[6:7]
	s_xor_b64 s[6:7], exec, s[8:9]
	s_cbranch_execz .LBB1_5373
; %bb.41213:
	s_getpc_b64 s[14:15]
.Lpost_getpc6270:
	s_add_u32 s14, s14, (.LBB1_19709-.Lpost_getpc6270)&4294967295
	s_addc_u32 s15, s15, (.LBB1_19709-.Lpost_getpc6270)>>32
	s_setpc_b64 s[14:15]
.LBB1_5373:
	s_or_saveexec_b64 s[6:7], s[6:7]
	v_mov_b32_e32 v3, s10
	s_xor_b64 exec, exec, s[6:7]
	s_cbranch_execz .LBB1_5374
; %bb.41215:
	s_getpc_b64 s[14:15]
.Lpost_getpc6271:
	s_add_u32 s14, s14, (.LBB1_19712-.Lpost_getpc6271)&4294967295
	s_addc_u32 s15, s15, (.LBB1_19712-.Lpost_getpc6271)>>32
	s_setpc_b64 s[14:15]
.LBB1_5374:
	s_or_b64 exec, exec, s[6:7]
	s_and_saveexec_b64 s[6:7], s[4:5]
	s_cbranch_execz .LBB1_5376
.LBB1_5375:
	v_bfe_u32 v3, v5, 24, 3
	v_ffbh_u32_e32 v8, v3
	v_min_u32_e32 v8, 32, v8
	v_lshrrev_b32_e32 v6, 27, v5
	v_subrev_u32_e32 v9, 28, v8
	v_and_b32_e32 v4, 0x80000000, v5
	v_and_b32_e32 v6, 15, v6
	v_bfe_u32 v7, v5, 27, 4
	v_lshlrev_b32_sdwa v5, v9, v5 dst_sel:DWORD dst_unused:UNUSED_PAD src0_sel:DWORD src1_sel:BYTE_3
	v_sub_u32_e32 v8, 29, v8
	v_and_b32_e32 v5, 7, v5
	v_cmp_eq_u16_e32 vcc, 0, v6
	v_cndmask_b32_e32 v3, v3, v5, vcc
	v_cndmask_b32_e32 v5, v7, v8, vcc
	v_mov_b32_e32 v6, 0x3b800000
	v_lshlrev_b32_e32 v3, 20, v3
	v_lshl_add_u32 v5, v5, 23, v6
	v_or3_b32 v3, v4, v5, v3
.LBB1_5376:
	s_or_b64 exec, exec, s[6:7]
	s_nop 0
	v_mfma_f32_16x16x4f32 a[0:3], v2, v3, a[0:3]
	s_movk_i32 s4, 0x7f
                                        ; implicit-def: $sgpr10
	s_nop 7
	s_nop 1
	flat_store_dwordx4 v[10:11], a[0:3] offset:656
	flat_load_dwordx4 v[12:15], v[0:1]
	s_nop 0
	flat_load_dwordx2 v[10:11], v[0:1] offset:16
	s_waitcnt vmcnt(0) lgkmcnt(0)
	flat_load_dwordx4 v[6:9], v[12:13] offset:80
	flat_load_dwordx4 v[2:5], v[14:15] offset:32
	s_waitcnt vmcnt(0) lgkmcnt(0)
	v_cmp_gt_i16_sdwa s[6:7], v6, s4 src0_sel:BYTE_0 src1_sel:DWORD
	s_mov_b64 s[4:5], 0
	s_and_saveexec_b64 s[8:9], s[6:7]
	s_xor_b64 s[6:7], exec, s[8:9]
	s_cbranch_execz .LBB1_5377
; %bb.41217:
	s_getpc_b64 s[14:15]
.Lpost_getpc6272:
	s_add_u32 s14, s14, (.LBB1_19713-.Lpost_getpc6272)&4294967295
	s_addc_u32 s15, s15, (.LBB1_19713-.Lpost_getpc6272)>>32
	s_setpc_b64 s[14:15]
.LBB1_5377:
	s_or_saveexec_b64 s[6:7], s[6:7]
	v_mov_b32_e32 v12, s10
	s_xor_b64 exec, exec, s[6:7]
	s_cbranch_execz .LBB1_5378
; %bb.41219:
	s_getpc_b64 s[14:15]
.Lpost_getpc6273:
	s_add_u32 s14, s14, (.LBB1_19716-.Lpost_getpc6273)&4294967295
	s_addc_u32 s15, s15, (.LBB1_19716-.Lpost_getpc6273)>>32
	s_setpc_b64 s[14:15]
.LBB1_5378:
	s_or_b64 exec, exec, s[6:7]
	s_and_saveexec_b64 s[6:7], s[4:5]
	s_cbranch_execz .LBB1_5380
.LBB1_5379:
	v_and_b32_e32 v12, 7, v6
	v_ffbh_u32_e32 v14, v12
	v_min_u32_e32 v14, 32, v14
	v_lshrrev_b16_e32 v13, 3, v6
	v_subrev_u32_e32 v15, 28, v14
	v_and_b32_e32 v13, 15, v13
	v_lshlrev_b32_e32 v15, v15, v6
	v_sub_u32_e32 v14, 29, v14
	v_and_b32_e32 v15, 7, v15
	v_cmp_eq_u16_e32 vcc, 0, v13
	v_cndmask_b32_e32 v12, v12, v15, vcc
	v_cndmask_b32_e32 v13, v13, v14, vcc
	v_lshlrev_b32_e32 v14, 24, v6
	v_mov_b32_e32 v15, 0x3b800000
	v_lshlrev_b32_e32 v12, 20, v12
	v_and_b32_e32 v14, 0x80000000, v14
	v_lshl_add_u32 v13, v13, 23, v15
	v_or3_b32 v12, v14, v13, v12
.LBB1_5380:
	s_or_b64 exec, exec, s[6:7]
	s_movk_i32 s4, 0x7f
	v_cmp_gt_i16_sdwa s[6:7], v2, s4 src0_sel:BYTE_0 src1_sel:DWORD
	s_mov_b64 s[4:5], 0
                                        ; implicit-def: $sgpr10
	s_and_saveexec_b64 s[8:9], s[6:7]
	s_xor_b64 s[6:7], exec, s[8:9]
	s_cbranch_execz .LBB1_5381
; %bb.41221:
	s_getpc_b64 s[14:15]
.Lpost_getpc6274:
	s_add_u32 s14, s14, (.LBB1_19717-.Lpost_getpc6274)&4294967295
	s_addc_u32 s15, s15, (.LBB1_19717-.Lpost_getpc6274)>>32
	s_setpc_b64 s[14:15]
.LBB1_5381:
	s_or_saveexec_b64 s[6:7], s[6:7]
	v_mov_b32_e32 v13, s10
	s_xor_b64 exec, exec, s[6:7]
	s_cbranch_execz .LBB1_5382
; %bb.41223:
	s_getpc_b64 s[14:15]
.Lpost_getpc6275:
	s_add_u32 s14, s14, (.LBB1_19720-.Lpost_getpc6275)&4294967295
	s_addc_u32 s15, s15, (.LBB1_19720-.Lpost_getpc6275)>>32
	s_setpc_b64 s[14:15]
.LBB1_5382:
	s_or_b64 exec, exec, s[6:7]
	s_and_saveexec_b64 s[6:7], s[4:5]
	s_cbranch_execz .LBB1_5384
.LBB1_5383:
	v_and_b32_e32 v13, 7, v2
	v_ffbh_u32_e32 v15, v13
	v_min_u32_e32 v15, 32, v15
	v_lshrrev_b16_e32 v14, 3, v2
	v_subrev_u32_e32 v16, 28, v15
	v_and_b32_e32 v14, 15, v14
	v_lshlrev_b32_e32 v16, v16, v2
	v_sub_u32_e32 v15, 29, v15
	v_and_b32_e32 v16, 7, v16
	v_cmp_eq_u16_e32 vcc, 0, v14
	v_cndmask_b32_e32 v13, v13, v16, vcc
	v_cndmask_b32_e32 v14, v14, v15, vcc
	v_lshlrev_b32_e32 v15, 24, v2
	v_mov_b32_e32 v16, 0x3b800000
	v_lshlrev_b32_e32 v13, 20, v13
	v_and_b32_e32 v15, 0x80000000, v15
	v_lshl_add_u32 v14, v14, 23, v16
	v_or3_b32 v13, v15, v14, v13
.LBB1_5384:
	s_or_b64 exec, exec, s[6:7]
	flat_load_dwordx4 a[0:3], v[10:11] offset:672
	s_movk_i32 s4, 0x7f
                                        ; implicit-def: $sgpr10
	s_waitcnt vmcnt(0) lgkmcnt(0)
	v_mfma_f32_16x16x4f32 a[0:3], v12, v13, a[0:3]
	v_lshrrev_b32_e32 v13, 8, v6
	v_cmp_gt_i16_sdwa s[6:7], v13, s4 src0_sel:BYTE_0 src1_sel:DWORD
	s_mov_b64 s[4:5], 0
	s_and_saveexec_b64 s[8:9], s[6:7]
	s_xor_b64 s[6:7], exec, s[8:9]
	s_cbranch_execz .LBB1_5385
; %bb.41225:
	s_getpc_b64 s[14:15]
.Lpost_getpc6276:
	s_add_u32 s14, s14, (.LBB1_19721-.Lpost_getpc6276)&4294967295
	s_addc_u32 s15, s15, (.LBB1_19721-.Lpost_getpc6276)>>32
	s_setpc_b64 s[14:15]
.LBB1_5385:
	s_or_saveexec_b64 s[6:7], s[6:7]
	v_mov_b32_e32 v12, s10
	s_xor_b64 exec, exec, s[6:7]
	s_cbranch_execz .LBB1_5386
; %bb.41227:
	s_getpc_b64 s[14:15]
.Lpost_getpc6277:
	s_add_u32 s14, s14, (.LBB1_19724-.Lpost_getpc6277)&4294967295
	s_addc_u32 s15, s15, (.LBB1_19724-.Lpost_getpc6277)>>32
	s_setpc_b64 s[14:15]
.LBB1_5386:
	s_or_b64 exec, exec, s[6:7]
	s_and_saveexec_b64 s[6:7], s[4:5]
	s_cbranch_execz .LBB1_5388
.LBB1_5387:
	v_bfe_u32 v12, v6, 8, 3
	v_ffbh_u32_e32 v15, v12
	v_min_u32_e32 v15, 32, v15
	v_lshrrev_b16_e32 v14, 3, v13
	v_subrev_u32_e32 v16, 28, v15
	v_and_b32_e32 v14, 15, v14
	v_lshlrev_b32_e32 v13, v16, v13
	v_sub_u32_e32 v15, 29, v15
	v_and_b32_e32 v13, 7, v13
	v_cmp_eq_u16_e32 vcc, 0, v14
	v_cndmask_b32_e32 v12, v12, v13, vcc
	v_cndmask_b32_e32 v13, v14, v15, vcc
	v_lshlrev_b32_e32 v14, 16, v6
	v_mov_b32_e32 v15, 0x3b800000
	v_lshlrev_b32_e32 v12, 20, v12
	v_and_b32_e32 v14, 0x80000000, v14
	v_lshl_add_u32 v13, v13, 23, v15
	v_or3_b32 v12, v14, v13, v12
.LBB1_5388:
	s_or_b64 exec, exec, s[6:7]
	v_lshrrev_b32_e32 v13, 8, v2
	s_movk_i32 s4, 0x7f
	v_cmp_gt_i16_sdwa s[6:7], v13, s4 src0_sel:BYTE_0 src1_sel:DWORD
	s_mov_b64 s[4:5], 0
                                        ; implicit-def: $sgpr10
	s_and_saveexec_b64 s[8:9], s[6:7]
	s_xor_b64 s[6:7], exec, s[8:9]
	s_cbranch_execz .LBB1_5389
; %bb.41229:
	s_getpc_b64 s[14:15]
.Lpost_getpc6278:
	s_add_u32 s14, s14, (.LBB1_19725-.Lpost_getpc6278)&4294967295
	s_addc_u32 s15, s15, (.LBB1_19725-.Lpost_getpc6278)>>32
	s_setpc_b64 s[14:15]
.LBB1_5389:
	s_or_saveexec_b64 s[6:7], s[6:7]
	v_mov_b32_e32 v14, s10
	s_xor_b64 exec, exec, s[6:7]
	s_cbranch_execz .LBB1_5390
; %bb.41231:
	s_getpc_b64 s[14:15]
.Lpost_getpc6279:
	s_add_u32 s14, s14, (.LBB1_19728-.Lpost_getpc6279)&4294967295
	s_addc_u32 s15, s15, (.LBB1_19728-.Lpost_getpc6279)>>32
	s_setpc_b64 s[14:15]
.LBB1_5390:
	s_or_b64 exec, exec, s[6:7]
	s_and_saveexec_b64 s[6:7], s[4:5]
	s_cbranch_execz .LBB1_5392
.LBB1_5391:
	v_bfe_u32 v14, v2, 8, 3
	v_ffbh_u32_e32 v16, v14
	v_min_u32_e32 v16, 32, v16
	v_lshrrev_b16_e32 v15, 3, v13
	v_subrev_u32_e32 v17, 28, v16
	v_and_b32_e32 v15, 15, v15
	v_lshlrev_b32_e32 v13, v17, v13
	v_sub_u32_e32 v16, 29, v16
	v_and_b32_e32 v13, 7, v13
	v_cmp_eq_u16_e32 vcc, 0, v15
	v_cndmask_b32_e32 v13, v14, v13, vcc
	v_cndmask_b32_e32 v14, v15, v16, vcc
	v_lshlrev_b32_e32 v15, 16, v2
	v_mov_b32_e32 v16, 0x3b800000
	v_lshlrev_b32_e32 v13, 20, v13
	v_and_b32_e32 v15, 0x80000000, v15
	v_lshl_add_u32 v14, v14, 23, v16
	v_or3_b32 v14, v15, v14, v13
.LBB1_5392:
	s_or_b64 exec, exec, s[6:7]
	s_nop 0
	v_mfma_f32_16x16x4f32 a[0:3], v12, v14, a[0:3]
	s_movk_i32 s4, 0xff
	v_and_b32_sdwa v13, v6, s4 dst_sel:DWORD dst_unused:UNUSED_PAD src0_sel:WORD_1 src1_sel:DWORD
	s_movk_i32 s4, 0x7f
	v_cmp_lt_i16_e32 vcc, s4, v13
	s_mov_b64 s[4:5], 0
                                        ; implicit-def: $sgpr10
	s_and_saveexec_b64 s[6:7], vcc
	s_xor_b64 s[6:7], exec, s[6:7]
	s_cbranch_execz .LBB1_5393
; %bb.41233:
	s_getpc_b64 s[14:15]
.Lpost_getpc6280:
	s_add_u32 s14, s14, (.LBB1_19729-.Lpost_getpc6280)&4294967295
	s_addc_u32 s15, s15, (.LBB1_19729-.Lpost_getpc6280)>>32
	s_setpc_b64 s[14:15]
.LBB1_5393:
	s_or_saveexec_b64 s[6:7], s[6:7]
	v_mov_b32_e32 v12, s10
	s_xor_b64 exec, exec, s[6:7]
	s_cbranch_execz .LBB1_5394
; %bb.41235:
	s_getpc_b64 s[14:15]
.Lpost_getpc6281:
	s_add_u32 s14, s14, (.LBB1_19732-.Lpost_getpc6281)&4294967295
	s_addc_u32 s15, s15, (.LBB1_19732-.Lpost_getpc6281)>>32
	s_setpc_b64 s[14:15]
.LBB1_5394:
	s_or_b64 exec, exec, s[6:7]
	s_and_saveexec_b64 s[6:7], s[4:5]
	s_cbranch_execz .LBB1_5396
.LBB1_5395:
	v_bfe_u32 v12, v6, 16, 3
	v_ffbh_u32_e32 v15, v12
	v_min_u32_e32 v15, 32, v15
	v_lshrrev_b32_e32 v13, 19, v6
	v_subrev_u32_e32 v16, 28, v15
	v_and_b32_e32 v13, 15, v13
	v_lshlrev_b32_sdwa v16, v16, v6 dst_sel:DWORD dst_unused:UNUSED_PAD src0_sel:DWORD src1_sel:WORD_1
	v_bfe_u32 v14, v6, 19, 4
	v_sub_u32_e32 v15, 29, v15
	v_and_b32_e32 v16, 7, v16
	v_cmp_eq_u16_e32 vcc, 0, v13
	v_cndmask_b32_e32 v12, v12, v16, vcc
	v_cndmask_b32_e32 v13, v14, v15, vcc
	v_lshlrev_b32_e32 v14, 8, v6
	v_mov_b32_e32 v15, 0x3b800000
	v_lshlrev_b32_e32 v12, 20, v12
	v_and_b32_e32 v14, 0x80000000, v14
	v_lshl_add_u32 v13, v13, 23, v15
	v_or3_b32 v12, v14, v13, v12
.LBB1_5396:
	s_or_b64 exec, exec, s[6:7]
	s_movk_i32 s4, 0xff
	v_and_b32_sdwa v13, v2, s4 dst_sel:DWORD dst_unused:UNUSED_PAD src0_sel:WORD_1 src1_sel:DWORD
	s_movk_i32 s4, 0x7f
	v_cmp_lt_i16_e32 vcc, s4, v13
	s_mov_b64 s[4:5], 0
                                        ; implicit-def: $sgpr10
	s_and_saveexec_b64 s[6:7], vcc
	s_xor_b64 s[6:7], exec, s[6:7]
	s_cbranch_execz .LBB1_5397
; %bb.41237:
	s_getpc_b64 s[14:15]
.Lpost_getpc6282:
	s_add_u32 s14, s14, (.LBB1_19733-.Lpost_getpc6282)&4294967295
	s_addc_u32 s15, s15, (.LBB1_19733-.Lpost_getpc6282)>>32
	s_setpc_b64 s[14:15]
.LBB1_5397:
	s_or_saveexec_b64 s[6:7], s[6:7]
	v_mov_b32_e32 v14, s10
	s_xor_b64 exec, exec, s[6:7]
	s_cbranch_execz .LBB1_5398
; %bb.41239:
	s_getpc_b64 s[14:15]
.Lpost_getpc6283:
	s_add_u32 s14, s14, (.LBB1_19736-.Lpost_getpc6283)&4294967295
	s_addc_u32 s15, s15, (.LBB1_19736-.Lpost_getpc6283)>>32
	s_setpc_b64 s[14:15]
.LBB1_5398:
	s_or_b64 exec, exec, s[6:7]
	s_and_saveexec_b64 s[6:7], s[4:5]
	s_cbranch_execz .LBB1_5400
.LBB1_5399:
	v_bfe_u32 v13, v2, 16, 3
	v_ffbh_u32_e32 v16, v13
	v_min_u32_e32 v16, 32, v16
	v_lshrrev_b32_e32 v14, 19, v2
	v_subrev_u32_e32 v17, 28, v16
	v_and_b32_e32 v14, 15, v14
	v_lshlrev_b32_sdwa v17, v17, v2 dst_sel:DWORD dst_unused:UNUSED_PAD src0_sel:DWORD src1_sel:WORD_1
	v_bfe_u32 v15, v2, 19, 4
	v_sub_u32_e32 v16, 29, v16
	v_and_b32_e32 v17, 7, v17
	v_cmp_eq_u16_e32 vcc, 0, v14
	v_cndmask_b32_e32 v13, v13, v17, vcc
	v_cndmask_b32_e32 v14, v15, v16, vcc
	v_lshlrev_b32_e32 v15, 8, v2
	v_mov_b32_e32 v16, 0x3b800000
	v_lshlrev_b32_e32 v13, 20, v13
	v_and_b32_e32 v15, 0x80000000, v15
	v_lshl_add_u32 v14, v14, 23, v16
	v_or3_b32 v14, v15, v14, v13
.LBB1_5400:
	s_or_b64 exec, exec, s[6:7]
	s_nop 0
	v_mfma_f32_16x16x4f32 a[0:3], v12, v14, a[0:3]
	s_movk_i32 s4, 0x7f
	v_cmp_gt_i16_sdwa s[6:7], v6, s4 src0_sel:BYTE_3 src1_sel:DWORD
	s_mov_b64 s[4:5], 0
                                        ; implicit-def: $sgpr10
	s_and_saveexec_b64 s[8:9], s[6:7]
	s_xor_b64 s[6:7], exec, s[8:9]
	s_cbranch_execz .LBB1_5401
; %bb.41241:
	s_getpc_b64 s[14:15]
.Lpost_getpc6284:
	s_add_u32 s14, s14, (.LBB1_19737-.Lpost_getpc6284)&4294967295
	s_addc_u32 s15, s15, (.LBB1_19737-.Lpost_getpc6284)>>32
	s_setpc_b64 s[14:15]
.LBB1_5401:
	s_or_saveexec_b64 s[6:7], s[6:7]
	v_mov_b32_e32 v12, s10
	s_xor_b64 exec, exec, s[6:7]
	s_cbranch_execz .LBB1_5402
; %bb.41243:
	s_getpc_b64 s[14:15]
.Lpost_getpc6285:
	s_add_u32 s14, s14, (.LBB1_19740-.Lpost_getpc6285)&4294967295
	s_addc_u32 s15, s15, (.LBB1_19740-.Lpost_getpc6285)>>32
	s_setpc_b64 s[14:15]
.LBB1_5402:
	s_or_b64 exec, exec, s[6:7]
	s_and_saveexec_b64 s[6:7], s[4:5]
	s_cbranch_execz .LBB1_5404
.LBB1_5403:
	v_bfe_u32 v12, v6, 24, 3
	v_ffbh_u32_e32 v16, v12
	v_min_u32_e32 v16, 32, v16
	v_lshrrev_b32_e32 v14, 27, v6
	v_subrev_u32_e32 v17, 28, v16
	v_and_b32_e32 v13, 0x80000000, v6
	v_and_b32_e32 v14, 15, v14
	v_bfe_u32 v15, v6, 27, 4
	v_lshlrev_b32_sdwa v6, v17, v6 dst_sel:DWORD dst_unused:UNUSED_PAD src0_sel:DWORD src1_sel:BYTE_3
	v_sub_u32_e32 v16, 29, v16
	v_and_b32_e32 v6, 7, v6
	v_cmp_eq_u16_e32 vcc, 0, v14
	v_cndmask_b32_e32 v6, v12, v6, vcc
	v_cndmask_b32_e32 v12, v15, v16, vcc
	v_mov_b32_e32 v14, 0x3b800000
	v_lshlrev_b32_e32 v6, 20, v6
	v_lshl_add_u32 v12, v12, 23, v14
	v_or3_b32 v12, v13, v12, v6
.LBB1_5404:
	s_or_b64 exec, exec, s[6:7]
	s_movk_i32 s4, 0x7f
	v_cmp_gt_i16_sdwa s[6:7], v2, s4 src0_sel:BYTE_3 src1_sel:DWORD
	s_mov_b64 s[4:5], 0
                                        ; implicit-def: $sgpr10
	s_and_saveexec_b64 s[8:9], s[6:7]
	s_xor_b64 s[6:7], exec, s[8:9]
	s_cbranch_execz .LBB1_5405
; %bb.41245:
	s_getpc_b64 s[14:15]
.Lpost_getpc6286:
	s_add_u32 s14, s14, (.LBB1_19741-.Lpost_getpc6286)&4294967295
	s_addc_u32 s15, s15, (.LBB1_19741-.Lpost_getpc6286)>>32
	s_setpc_b64 s[14:15]
.LBB1_5405:
	s_or_saveexec_b64 s[6:7], s[6:7]
	v_mov_b32_e32 v6, s10
	s_xor_b64 exec, exec, s[6:7]
	s_cbranch_execz .LBB1_5406
; %bb.41247:
	s_getpc_b64 s[14:15]
.Lpost_getpc6287:
	s_add_u32 s14, s14, (.LBB1_19744-.Lpost_getpc6287)&4294967295
	s_addc_u32 s15, s15, (.LBB1_19744-.Lpost_getpc6287)>>32
	s_setpc_b64 s[14:15]
.LBB1_5406:
	s_or_b64 exec, exec, s[6:7]
	s_and_saveexec_b64 s[6:7], s[4:5]
	s_cbranch_execz .LBB1_5408
.LBB1_5407:
	v_bfe_u32 v6, v2, 24, 3
	v_ffbh_u32_e32 v16, v6
	v_min_u32_e32 v16, 32, v16
	v_lshrrev_b32_e32 v14, 27, v2
	v_subrev_u32_e32 v17, 28, v16
	v_and_b32_e32 v13, 0x80000000, v2
	v_and_b32_e32 v14, 15, v14
	v_bfe_u32 v15, v2, 27, 4
	v_lshlrev_b32_sdwa v2, v17, v2 dst_sel:DWORD dst_unused:UNUSED_PAD src0_sel:DWORD src1_sel:BYTE_3
	v_sub_u32_e32 v16, 29, v16
	v_and_b32_e32 v2, 7, v2
	v_cmp_eq_u16_e32 vcc, 0, v14
	v_cndmask_b32_e32 v2, v6, v2, vcc
	v_cndmask_b32_e32 v6, v15, v16, vcc
	v_mov_b32_e32 v14, 0x3b800000
	v_lshlrev_b32_e32 v2, 20, v2
	v_lshl_add_u32 v6, v6, 23, v14
	v_or3_b32 v6, v13, v6, v2
.LBB1_5408:
	s_or_b64 exec, exec, s[6:7]
	s_nop 0
	v_mfma_f32_16x16x4f32 a[0:3], v12, v6, a[0:3]
	s_movk_i32 s4, 0x7f
	v_cmp_gt_i16_sdwa s[6:7], v7, s4 src0_sel:BYTE_0 src1_sel:DWORD
	s_mov_b64 s[4:5], 0
                                        ; implicit-def: $sgpr10
	s_and_saveexec_b64 s[8:9], s[6:7]
	s_xor_b64 s[6:7], exec, s[8:9]
	s_cbranch_execz .LBB1_5409
; %bb.41249:
	s_getpc_b64 s[14:15]
.Lpost_getpc6288:
	s_add_u32 s14, s14, (.LBB1_19745-.Lpost_getpc6288)&4294967295
	s_addc_u32 s15, s15, (.LBB1_19745-.Lpost_getpc6288)>>32
	s_setpc_b64 s[14:15]
.LBB1_5409:
	s_or_saveexec_b64 s[6:7], s[6:7]
	v_mov_b32_e32 v2, s10
	s_xor_b64 exec, exec, s[6:7]
	s_cbranch_execz .LBB1_5410
; %bb.41251:
	s_getpc_b64 s[14:15]
.Lpost_getpc6289:
	s_add_u32 s14, s14, (.LBB1_19748-.Lpost_getpc6289)&4294967295
	s_addc_u32 s15, s15, (.LBB1_19748-.Lpost_getpc6289)>>32
	s_setpc_b64 s[14:15]
.LBB1_5410:
	s_or_b64 exec, exec, s[6:7]
	s_and_saveexec_b64 s[6:7], s[4:5]
	s_cbranch_execz .LBB1_5412
.LBB1_5411:
	v_and_b32_e32 v2, 7, v7
	v_ffbh_u32_e32 v12, v2
	v_min_u32_e32 v12, 32, v12
	v_lshrrev_b16_e32 v6, 3, v7
	v_subrev_u32_e32 v13, 28, v12
	v_and_b32_e32 v6, 15, v6
	v_lshlrev_b32_e32 v13, v13, v7
	v_sub_u32_e32 v12, 29, v12
	v_and_b32_e32 v13, 7, v13
	v_cmp_eq_u16_e32 vcc, 0, v6
	v_cndmask_b32_e32 v2, v2, v13, vcc
	v_cndmask_b32_e32 v6, v6, v12, vcc
	v_lshlrev_b32_e32 v12, 24, v7
	v_mov_b32_e32 v13, 0x3b800000
	v_lshlrev_b32_e32 v2, 20, v2
	v_and_b32_e32 v12, 0x80000000, v12
	v_lshl_add_u32 v6, v6, 23, v13
	v_or3_b32 v2, v12, v6, v2
.LBB1_5412:
	s_or_b64 exec, exec, s[6:7]
	s_movk_i32 s4, 0x7f
	v_cmp_gt_i16_sdwa s[6:7], v3, s4 src0_sel:BYTE_0 src1_sel:DWORD
	s_mov_b64 s[4:5], 0
                                        ; implicit-def: $sgpr10
	s_and_saveexec_b64 s[8:9], s[6:7]
	s_xor_b64 s[6:7], exec, s[8:9]
	s_cbranch_execz .LBB1_5413
; %bb.41253:
	s_getpc_b64 s[14:15]
.Lpost_getpc6290:
	s_add_u32 s14, s14, (.LBB1_19749-.Lpost_getpc6290)&4294967295
	s_addc_u32 s15, s15, (.LBB1_19749-.Lpost_getpc6290)>>32
	s_setpc_b64 s[14:15]
.LBB1_5413:
	s_or_saveexec_b64 s[6:7], s[6:7]
	v_mov_b32_e32 v6, s10
	s_xor_b64 exec, exec, s[6:7]
	s_cbranch_execz .LBB1_5414
; %bb.41255:
	s_getpc_b64 s[14:15]
.Lpost_getpc6291:
	s_add_u32 s14, s14, (.LBB1_19752-.Lpost_getpc6291)&4294967295
	s_addc_u32 s15, s15, (.LBB1_19752-.Lpost_getpc6291)>>32
	s_setpc_b64 s[14:15]
.LBB1_5414:
	s_or_b64 exec, exec, s[6:7]
	s_and_saveexec_b64 s[6:7], s[4:5]
	s_cbranch_execz .LBB1_5416
.LBB1_5415:
	v_and_b32_e32 v6, 7, v3
	v_ffbh_u32_e32 v13, v6
	v_min_u32_e32 v13, 32, v13
	v_lshrrev_b16_e32 v12, 3, v3
	v_subrev_u32_e32 v14, 28, v13
	v_and_b32_e32 v12, 15, v12
	v_lshlrev_b32_e32 v14, v14, v3
	v_sub_u32_e32 v13, 29, v13
	v_and_b32_e32 v14, 7, v14
	v_cmp_eq_u16_e32 vcc, 0, v12
	v_cndmask_b32_e32 v6, v6, v14, vcc
	v_cndmask_b32_e32 v12, v12, v13, vcc
	v_lshlrev_b32_e32 v13, 24, v3
	v_mov_b32_e32 v14, 0x3b800000
	v_lshlrev_b32_e32 v6, 20, v6
	v_and_b32_e32 v13, 0x80000000, v13
	v_lshl_add_u32 v12, v12, 23, v14
	v_or3_b32 v6, v13, v12, v6
.LBB1_5416:
	s_or_b64 exec, exec, s[6:7]
	s_nop 0
	v_mfma_f32_16x16x4f32 a[0:3], v2, v6, a[0:3]
	v_lshrrev_b32_e32 v6, 8, v7
	s_movk_i32 s4, 0x7f
	v_cmp_gt_i16_sdwa s[6:7], v6, s4 src0_sel:BYTE_0 src1_sel:DWORD
	s_mov_b64 s[4:5], 0
                                        ; implicit-def: $sgpr10
	s_and_saveexec_b64 s[8:9], s[6:7]
	s_xor_b64 s[6:7], exec, s[8:9]
	s_cbranch_execz .LBB1_5417
; %bb.41257:
	s_getpc_b64 s[14:15]
.Lpost_getpc6292:
	s_add_u32 s14, s14, (.LBB1_19753-.Lpost_getpc6292)&4294967295
	s_addc_u32 s15, s15, (.LBB1_19753-.Lpost_getpc6292)>>32
	s_setpc_b64 s[14:15]
.LBB1_5417:
	s_or_saveexec_b64 s[6:7], s[6:7]
	v_mov_b32_e32 v2, s10
	s_xor_b64 exec, exec, s[6:7]
	s_cbranch_execz .LBB1_5418
; %bb.41259:
	s_getpc_b64 s[14:15]
.Lpost_getpc6293:
	s_add_u32 s14, s14, (.LBB1_19756-.Lpost_getpc6293)&4294967295
	s_addc_u32 s15, s15, (.LBB1_19756-.Lpost_getpc6293)>>32
	s_setpc_b64 s[14:15]
.LBB1_5418:
	s_or_b64 exec, exec, s[6:7]
	s_and_saveexec_b64 s[6:7], s[4:5]
	s_cbranch_execz .LBB1_5420
.LBB1_5419:
	v_bfe_u32 v2, v7, 8, 3
	v_ffbh_u32_e32 v13, v2
	v_min_u32_e32 v13, 32, v13
	v_lshrrev_b16_e32 v12, 3, v6
	v_subrev_u32_e32 v14, 28, v13
	v_and_b32_e32 v12, 15, v12
	v_lshlrev_b32_e32 v6, v14, v6
	v_sub_u32_e32 v13, 29, v13
	v_and_b32_e32 v6, 7, v6
	v_cmp_eq_u16_e32 vcc, 0, v12
	v_cndmask_b32_e32 v2, v2, v6, vcc
	v_cndmask_b32_e32 v6, v12, v13, vcc
	v_lshlrev_b32_e32 v12, 16, v7
	v_mov_b32_e32 v13, 0x3b800000
	v_lshlrev_b32_e32 v2, 20, v2
	v_and_b32_e32 v12, 0x80000000, v12
	v_lshl_add_u32 v6, v6, 23, v13
	v_or3_b32 v2, v12, v6, v2
.LBB1_5420:
	s_or_b64 exec, exec, s[6:7]
	v_lshrrev_b32_e32 v6, 8, v3
	s_movk_i32 s4, 0x7f
	v_cmp_gt_i16_sdwa s[6:7], v6, s4 src0_sel:BYTE_0 src1_sel:DWORD
	s_mov_b64 s[4:5], 0
                                        ; implicit-def: $sgpr10
	s_and_saveexec_b64 s[8:9], s[6:7]
	s_xor_b64 s[6:7], exec, s[8:9]
	s_cbranch_execz .LBB1_5421
; %bb.41261:
	s_getpc_b64 s[14:15]
.Lpost_getpc6294:
	s_add_u32 s14, s14, (.LBB1_19757-.Lpost_getpc6294)&4294967295
	s_addc_u32 s15, s15, (.LBB1_19757-.Lpost_getpc6294)>>32
	s_setpc_b64 s[14:15]
.LBB1_5421:
	s_or_saveexec_b64 s[6:7], s[6:7]
	v_mov_b32_e32 v12, s10
	s_xor_b64 exec, exec, s[6:7]
	s_cbranch_execz .LBB1_5422
; %bb.41263:
	s_getpc_b64 s[14:15]
.Lpost_getpc6295:
	s_add_u32 s14, s14, (.LBB1_19760-.Lpost_getpc6295)&4294967295
	s_addc_u32 s15, s15, (.LBB1_19760-.Lpost_getpc6295)>>32
	s_setpc_b64 s[14:15]
.LBB1_5422:
	s_or_b64 exec, exec, s[6:7]
	s_and_saveexec_b64 s[6:7], s[4:5]
	s_cbranch_execz .LBB1_5424
.LBB1_5423:
	v_bfe_u32 v12, v3, 8, 3
	v_ffbh_u32_e32 v14, v12
	v_min_u32_e32 v14, 32, v14
	v_lshrrev_b16_e32 v13, 3, v6
	v_subrev_u32_e32 v15, 28, v14
	v_and_b32_e32 v13, 15, v13
	v_lshlrev_b32_e32 v6, v15, v6
	v_sub_u32_e32 v14, 29, v14
	v_and_b32_e32 v6, 7, v6
	v_cmp_eq_u16_e32 vcc, 0, v13
	v_cndmask_b32_e32 v6, v12, v6, vcc
	v_cndmask_b32_e32 v12, v13, v14, vcc
	v_lshlrev_b32_e32 v13, 16, v3
	v_mov_b32_e32 v14, 0x3b800000
	v_lshlrev_b32_e32 v6, 20, v6
	v_and_b32_e32 v13, 0x80000000, v13
	v_lshl_add_u32 v12, v12, 23, v14
	v_or3_b32 v12, v13, v12, v6
.LBB1_5424:
	s_or_b64 exec, exec, s[6:7]
	s_nop 0
	v_mfma_f32_16x16x4f32 a[0:3], v2, v12, a[0:3]
	s_movk_i32 s4, 0xff
	v_and_b32_sdwa v6, v7, s4 dst_sel:DWORD dst_unused:UNUSED_PAD src0_sel:WORD_1 src1_sel:DWORD
	s_movk_i32 s4, 0x7f
	v_cmp_lt_i16_e32 vcc, s4, v6
	s_mov_b64 s[4:5], 0
                                        ; implicit-def: $sgpr10
	s_and_saveexec_b64 s[6:7], vcc
	s_xor_b64 s[6:7], exec, s[6:7]
	s_cbranch_execz .LBB1_5425
; %bb.41265:
	s_getpc_b64 s[14:15]
.Lpost_getpc6296:
	s_add_u32 s14, s14, (.LBB1_19761-.Lpost_getpc6296)&4294967295
	s_addc_u32 s15, s15, (.LBB1_19761-.Lpost_getpc6296)>>32
	s_setpc_b64 s[14:15]
.LBB1_5425:
	s_or_saveexec_b64 s[6:7], s[6:7]
	v_mov_b32_e32 v2, s10
	s_xor_b64 exec, exec, s[6:7]
	s_cbranch_execz .LBB1_5426
; %bb.41267:
	s_getpc_b64 s[14:15]
.Lpost_getpc6297:
	s_add_u32 s14, s14, (.LBB1_19764-.Lpost_getpc6297)&4294967295
	s_addc_u32 s15, s15, (.LBB1_19764-.Lpost_getpc6297)>>32
	s_setpc_b64 s[14:15]
.LBB1_5426:
	s_or_b64 exec, exec, s[6:7]
	s_and_saveexec_b64 s[6:7], s[4:5]
	s_cbranch_execz .LBB1_5428
.LBB1_5427:
	v_bfe_u32 v2, v7, 16, 3
	v_ffbh_u32_e32 v13, v2
	v_min_u32_e32 v13, 32, v13
	v_lshrrev_b32_e32 v6, 19, v7
	v_subrev_u32_e32 v14, 28, v13
	v_and_b32_e32 v6, 15, v6
	v_lshlrev_b32_sdwa v14, v14, v7 dst_sel:DWORD dst_unused:UNUSED_PAD src0_sel:DWORD src1_sel:WORD_1
	v_bfe_u32 v12, v7, 19, 4
	v_sub_u32_e32 v13, 29, v13
	v_and_b32_e32 v14, 7, v14
	v_cmp_eq_u16_e32 vcc, 0, v6
	v_cndmask_b32_e32 v2, v2, v14, vcc
	v_cndmask_b32_e32 v6, v12, v13, vcc
	v_lshlrev_b32_e32 v12, 8, v7
	v_mov_b32_e32 v13, 0x3b800000
	v_lshlrev_b32_e32 v2, 20, v2
	v_and_b32_e32 v12, 0x80000000, v12
	v_lshl_add_u32 v6, v6, 23, v13
	v_or3_b32 v2, v12, v6, v2
.LBB1_5428:
	s_or_b64 exec, exec, s[6:7]
	s_movk_i32 s4, 0xff
	v_and_b32_sdwa v6, v3, s4 dst_sel:DWORD dst_unused:UNUSED_PAD src0_sel:WORD_1 src1_sel:DWORD
	s_movk_i32 s4, 0x7f
	v_cmp_lt_i16_e32 vcc, s4, v6
	s_mov_b64 s[4:5], 0
                                        ; implicit-def: $sgpr10
	s_and_saveexec_b64 s[6:7], vcc
	s_xor_b64 s[6:7], exec, s[6:7]
	s_cbranch_execz .LBB1_5429
; %bb.41269:
	s_getpc_b64 s[14:15]
.Lpost_getpc6298:
	s_add_u32 s14, s14, (.LBB1_19765-.Lpost_getpc6298)&4294967295
	s_addc_u32 s15, s15, (.LBB1_19765-.Lpost_getpc6298)>>32
	s_setpc_b64 s[14:15]
.LBB1_5429:
	s_or_saveexec_b64 s[6:7], s[6:7]
	v_mov_b32_e32 v12, s10
	s_xor_b64 exec, exec, s[6:7]
	s_cbranch_execz .LBB1_5430
; %bb.41271:
	s_getpc_b64 s[14:15]
.Lpost_getpc6299:
	s_add_u32 s14, s14, (.LBB1_19768-.Lpost_getpc6299)&4294967295
	s_addc_u32 s15, s15, (.LBB1_19768-.Lpost_getpc6299)>>32
	s_setpc_b64 s[14:15]
.LBB1_5430:
	s_or_b64 exec, exec, s[6:7]
	s_and_saveexec_b64 s[6:7], s[4:5]
	s_cbranch_execz .LBB1_5432
.LBB1_5431:
	v_bfe_u32 v6, v3, 16, 3
	v_ffbh_u32_e32 v14, v6
	v_min_u32_e32 v14, 32, v14
	v_lshrrev_b32_e32 v12, 19, v3
	v_subrev_u32_e32 v15, 28, v14
	v_and_b32_e32 v12, 15, v12
	v_lshlrev_b32_sdwa v15, v15, v3 dst_sel:DWORD dst_unused:UNUSED_PAD src0_sel:DWORD src1_sel:WORD_1
	v_bfe_u32 v13, v3, 19, 4
	v_sub_u32_e32 v14, 29, v14
	v_and_b32_e32 v15, 7, v15
	v_cmp_eq_u16_e32 vcc, 0, v12
	v_cndmask_b32_e32 v6, v6, v15, vcc
	v_cndmask_b32_e32 v12, v13, v14, vcc
	v_lshlrev_b32_e32 v13, 8, v3
	v_mov_b32_e32 v14, 0x3b800000
	v_lshlrev_b32_e32 v6, 20, v6
	v_and_b32_e32 v13, 0x80000000, v13
	v_lshl_add_u32 v12, v12, 23, v14
	v_or3_b32 v12, v13, v12, v6
.LBB1_5432:
	s_or_b64 exec, exec, s[6:7]
	s_nop 0
	v_mfma_f32_16x16x4f32 a[0:3], v2, v12, a[0:3]
	s_movk_i32 s4, 0x7f
	v_cmp_gt_i16_sdwa s[6:7], v7, s4 src0_sel:BYTE_3 src1_sel:DWORD
	s_mov_b64 s[4:5], 0
                                        ; implicit-def: $sgpr10
	s_and_saveexec_b64 s[8:9], s[6:7]
	s_xor_b64 s[6:7], exec, s[8:9]
	s_cbranch_execz .LBB1_5433
; %bb.41273:
	s_getpc_b64 s[14:15]
.Lpost_getpc6300:
	s_add_u32 s14, s14, (.LBB1_19769-.Lpost_getpc6300)&4294967295
	s_addc_u32 s15, s15, (.LBB1_19769-.Lpost_getpc6300)>>32
	s_setpc_b64 s[14:15]
.LBB1_5433:
	s_or_saveexec_b64 s[6:7], s[6:7]
	v_mov_b32_e32 v2, s10
	s_xor_b64 exec, exec, s[6:7]
	s_cbranch_execz .LBB1_5434
; %bb.41275:
	s_getpc_b64 s[14:15]
.Lpost_getpc6301:
	s_add_u32 s14, s14, (.LBB1_19772-.Lpost_getpc6301)&4294967295
	s_addc_u32 s15, s15, (.LBB1_19772-.Lpost_getpc6301)>>32
	s_setpc_b64 s[14:15]
.LBB1_5434:
	s_or_b64 exec, exec, s[6:7]
	s_and_saveexec_b64 s[6:7], s[4:5]
	s_cbranch_execz .LBB1_5436
.LBB1_5435:
	v_bfe_u32 v2, v7, 24, 3
	v_ffbh_u32_e32 v14, v2
	v_min_u32_e32 v14, 32, v14
	v_lshrrev_b32_e32 v12, 27, v7
	v_subrev_u32_e32 v15, 28, v14
	v_and_b32_e32 v6, 0x80000000, v7
	v_and_b32_e32 v12, 15, v12
	v_bfe_u32 v13, v7, 27, 4
	v_lshlrev_b32_sdwa v7, v15, v7 dst_sel:DWORD dst_unused:UNUSED_PAD src0_sel:DWORD src1_sel:BYTE_3
	v_sub_u32_e32 v14, 29, v14
	v_and_b32_e32 v7, 7, v7
	v_cmp_eq_u16_e32 vcc, 0, v12
	v_cndmask_b32_e32 v2, v2, v7, vcc
	v_cndmask_b32_e32 v7, v13, v14, vcc
	v_mov_b32_e32 v12, 0x3b800000
	v_lshlrev_b32_e32 v2, 20, v2
	v_lshl_add_u32 v7, v7, 23, v12
	v_or3_b32 v2, v6, v7, v2
.LBB1_5436:
	s_or_b64 exec, exec, s[6:7]
	s_movk_i32 s4, 0x7f
	v_cmp_gt_i16_sdwa s[6:7], v3, s4 src0_sel:BYTE_3 src1_sel:DWORD
	s_mov_b64 s[4:5], 0
                                        ; implicit-def: $sgpr10
	s_and_saveexec_b64 s[8:9], s[6:7]
	s_xor_b64 s[6:7], exec, s[8:9]
	s_cbranch_execz .LBB1_5437
; %bb.41277:
	s_getpc_b64 s[14:15]
.Lpost_getpc6302:
	s_add_u32 s14, s14, (.LBB1_19773-.Lpost_getpc6302)&4294967295
	s_addc_u32 s15, s15, (.LBB1_19773-.Lpost_getpc6302)>>32
	s_setpc_b64 s[14:15]
.LBB1_5437:
	s_or_saveexec_b64 s[6:7], s[6:7]
	v_mov_b32_e32 v6, s10
	s_xor_b64 exec, exec, s[6:7]
	s_cbranch_execz .LBB1_5438
; %bb.41279:
	s_getpc_b64 s[14:15]
.Lpost_getpc6303:
	s_add_u32 s14, s14, (.LBB1_19776-.Lpost_getpc6303)&4294967295
	s_addc_u32 s15, s15, (.LBB1_19776-.Lpost_getpc6303)>>32
	s_setpc_b64 s[14:15]
.LBB1_5438:
	s_or_b64 exec, exec, s[6:7]
	s_and_saveexec_b64 s[6:7], s[4:5]
	s_cbranch_execz .LBB1_5440
.LBB1_5439:
	v_bfe_u32 v6, v3, 24, 3
	v_ffbh_u32_e32 v14, v6
	v_min_u32_e32 v14, 32, v14
	v_lshrrev_b32_e32 v12, 27, v3
	v_subrev_u32_e32 v15, 28, v14
	v_and_b32_e32 v7, 0x80000000, v3
	v_and_b32_e32 v12, 15, v12
	v_bfe_u32 v13, v3, 27, 4
	v_lshlrev_b32_sdwa v3, v15, v3 dst_sel:DWORD dst_unused:UNUSED_PAD src0_sel:DWORD src1_sel:BYTE_3
	v_sub_u32_e32 v14, 29, v14
	v_and_b32_e32 v3, 7, v3
	v_cmp_eq_u16_e32 vcc, 0, v12
	v_cndmask_b32_e32 v3, v6, v3, vcc
	v_cndmask_b32_e32 v6, v13, v14, vcc
	v_mov_b32_e32 v12, 0x3b800000
	v_lshlrev_b32_e32 v3, 20, v3
	v_lshl_add_u32 v6, v6, 23, v12
	v_or3_b32 v6, v7, v6, v3
.LBB1_5440:
	s_or_b64 exec, exec, s[6:7]
	s_nop 0
	v_mfma_f32_16x16x4f32 a[0:3], v2, v6, a[0:3]
	s_movk_i32 s4, 0x7f
	v_cmp_gt_i16_sdwa s[6:7], v8, s4 src0_sel:BYTE_0 src1_sel:DWORD
	s_mov_b64 s[4:5], 0
                                        ; implicit-def: $sgpr10
	s_and_saveexec_b64 s[8:9], s[6:7]
	s_xor_b64 s[6:7], exec, s[8:9]
	s_cbranch_execz .LBB1_5441
; %bb.41281:
	s_getpc_b64 s[14:15]
.Lpost_getpc6304:
	s_add_u32 s14, s14, (.LBB1_19777-.Lpost_getpc6304)&4294967295
	s_addc_u32 s15, s15, (.LBB1_19777-.Lpost_getpc6304)>>32
	s_setpc_b64 s[14:15]
.LBB1_5441:
	s_or_saveexec_b64 s[6:7], s[6:7]
	v_mov_b32_e32 v2, s10
	s_xor_b64 exec, exec, s[6:7]
	s_cbranch_execz .LBB1_5442
; %bb.41283:
	s_getpc_b64 s[14:15]
.Lpost_getpc6305:
	s_add_u32 s14, s14, (.LBB1_19780-.Lpost_getpc6305)&4294967295
	s_addc_u32 s15, s15, (.LBB1_19780-.Lpost_getpc6305)>>32
	s_setpc_b64 s[14:15]
.LBB1_5442:
	s_or_b64 exec, exec, s[6:7]
	s_and_saveexec_b64 s[6:7], s[4:5]
	s_cbranch_execz .LBB1_5444
.LBB1_5443:
	v_and_b32_e32 v2, 7, v8
	v_ffbh_u32_e32 v6, v2
	v_min_u32_e32 v6, 32, v6
	v_lshrrev_b16_e32 v3, 3, v8
	v_subrev_u32_e32 v7, 28, v6
	v_and_b32_e32 v3, 15, v3
	v_lshlrev_b32_e32 v7, v7, v8
	v_sub_u32_e32 v6, 29, v6
	v_and_b32_e32 v7, 7, v7
	v_cmp_eq_u16_e32 vcc, 0, v3
	v_cndmask_b32_e32 v2, v2, v7, vcc
	v_cndmask_b32_e32 v3, v3, v6, vcc
	v_lshlrev_b32_e32 v6, 24, v8
	v_mov_b32_e32 v7, 0x3b800000
	v_lshlrev_b32_e32 v2, 20, v2
	v_and_b32_e32 v6, 0x80000000, v6
	v_lshl_add_u32 v3, v3, 23, v7
	v_or3_b32 v2, v6, v3, v2
.LBB1_5444:
	s_or_b64 exec, exec, s[6:7]
	s_movk_i32 s4, 0x7f
	v_cmp_gt_i16_sdwa s[6:7], v4, s4 src0_sel:BYTE_0 src1_sel:DWORD
	s_mov_b64 s[4:5], 0
                                        ; implicit-def: $sgpr10
	s_and_saveexec_b64 s[8:9], s[6:7]
	s_xor_b64 s[6:7], exec, s[8:9]
	s_cbranch_execz .LBB1_5445
; %bb.41285:
	s_getpc_b64 s[14:15]
.Lpost_getpc6306:
	s_add_u32 s14, s14, (.LBB1_19781-.Lpost_getpc6306)&4294967295
	s_addc_u32 s15, s15, (.LBB1_19781-.Lpost_getpc6306)>>32
	s_setpc_b64 s[14:15]
.LBB1_5445:
	s_or_saveexec_b64 s[6:7], s[6:7]
	v_mov_b32_e32 v3, s10
	s_xor_b64 exec, exec, s[6:7]
	s_cbranch_execz .LBB1_5446
; %bb.41287:
	s_getpc_b64 s[14:15]
.Lpost_getpc6307:
	s_add_u32 s14, s14, (.LBB1_19784-.Lpost_getpc6307)&4294967295
	s_addc_u32 s15, s15, (.LBB1_19784-.Lpost_getpc6307)>>32
	s_setpc_b64 s[14:15]
.LBB1_5446:
	s_or_b64 exec, exec, s[6:7]
	s_and_saveexec_b64 s[6:7], s[4:5]
	s_cbranch_execz .LBB1_5448
.LBB1_5447:
	v_and_b32_e32 v3, 7, v4
	v_ffbh_u32_e32 v7, v3
	v_min_u32_e32 v7, 32, v7
	v_lshrrev_b16_e32 v6, 3, v4
	v_subrev_u32_e32 v12, 28, v7
	v_and_b32_e32 v6, 15, v6
	v_lshlrev_b32_e32 v12, v12, v4
	v_sub_u32_e32 v7, 29, v7
	v_and_b32_e32 v12, 7, v12
	v_cmp_eq_u16_e32 vcc, 0, v6
	v_cndmask_b32_e32 v3, v3, v12, vcc
	v_cndmask_b32_e32 v6, v6, v7, vcc
	v_lshlrev_b32_e32 v7, 24, v4
	v_mov_b32_e32 v12, 0x3b800000
	v_lshlrev_b32_e32 v3, 20, v3
	v_and_b32_e32 v7, 0x80000000, v7
	v_lshl_add_u32 v6, v6, 23, v12
	v_or3_b32 v3, v7, v6, v3
.LBB1_5448:
	s_or_b64 exec, exec, s[6:7]
	s_nop 0
	v_mfma_f32_16x16x4f32 a[0:3], v2, v3, a[0:3]
	v_lshrrev_b32_e32 v3, 8, v8
	s_movk_i32 s4, 0x7f
	v_cmp_gt_i16_sdwa s[6:7], v3, s4 src0_sel:BYTE_0 src1_sel:DWORD
	s_mov_b64 s[4:5], 0
                                        ; implicit-def: $sgpr10
	s_and_saveexec_b64 s[8:9], s[6:7]
	s_xor_b64 s[6:7], exec, s[8:9]
	s_cbranch_execz .LBB1_5449
; %bb.41289:
	s_getpc_b64 s[14:15]
.Lpost_getpc6308:
	s_add_u32 s14, s14, (.LBB1_19785-.Lpost_getpc6308)&4294967295
	s_addc_u32 s15, s15, (.LBB1_19785-.Lpost_getpc6308)>>32
	s_setpc_b64 s[14:15]
.LBB1_5449:
	s_or_saveexec_b64 s[6:7], s[6:7]
	v_mov_b32_e32 v2, s10
	s_xor_b64 exec, exec, s[6:7]
	s_cbranch_execz .LBB1_5450
; %bb.41291:
	s_getpc_b64 s[14:15]
.Lpost_getpc6309:
	s_add_u32 s14, s14, (.LBB1_19788-.Lpost_getpc6309)&4294967295
	s_addc_u32 s15, s15, (.LBB1_19788-.Lpost_getpc6309)>>32
	s_setpc_b64 s[14:15]
.LBB1_5450:
	s_or_b64 exec, exec, s[6:7]
	s_and_saveexec_b64 s[6:7], s[4:5]
	s_cbranch_execz .LBB1_5452
.LBB1_5451:
	v_bfe_u32 v2, v8, 8, 3
	v_ffbh_u32_e32 v7, v2
	v_min_u32_e32 v7, 32, v7
	v_lshrrev_b16_e32 v6, 3, v3
	v_subrev_u32_e32 v12, 28, v7
	v_and_b32_e32 v6, 15, v6
	v_lshlrev_b32_e32 v3, v12, v3
	v_sub_u32_e32 v7, 29, v7
	v_and_b32_e32 v3, 7, v3
	v_cmp_eq_u16_e32 vcc, 0, v6
	v_cndmask_b32_e32 v2, v2, v3, vcc
	v_cndmask_b32_e32 v3, v6, v7, vcc
	v_lshlrev_b32_e32 v6, 16, v8
	v_mov_b32_e32 v7, 0x3b800000
	v_lshlrev_b32_e32 v2, 20, v2
	v_and_b32_e32 v6, 0x80000000, v6
	v_lshl_add_u32 v3, v3, 23, v7
	v_or3_b32 v2, v6, v3, v2
.LBB1_5452:
	s_or_b64 exec, exec, s[6:7]
	v_lshrrev_b32_e32 v3, 8, v4
	s_movk_i32 s4, 0x7f
	v_cmp_gt_i16_sdwa s[6:7], v3, s4 src0_sel:BYTE_0 src1_sel:DWORD
	s_mov_b64 s[4:5], 0
                                        ; implicit-def: $sgpr10
	s_and_saveexec_b64 s[8:9], s[6:7]
	s_xor_b64 s[6:7], exec, s[8:9]
	s_cbranch_execz .LBB1_5453
; %bb.41293:
	s_getpc_b64 s[14:15]
.Lpost_getpc6310:
	s_add_u32 s14, s14, (.LBB1_19789-.Lpost_getpc6310)&4294967295
	s_addc_u32 s15, s15, (.LBB1_19789-.Lpost_getpc6310)>>32
	s_setpc_b64 s[14:15]
.LBB1_5453:
	s_or_saveexec_b64 s[6:7], s[6:7]
	v_mov_b32_e32 v6, s10
	s_xor_b64 exec, exec, s[6:7]
	s_cbranch_execz .LBB1_5454
; %bb.41295:
	s_getpc_b64 s[14:15]
.Lpost_getpc6311:
	s_add_u32 s14, s14, (.LBB1_19792-.Lpost_getpc6311)&4294967295
	s_addc_u32 s15, s15, (.LBB1_19792-.Lpost_getpc6311)>>32
	s_setpc_b64 s[14:15]
.LBB1_5454:
	s_or_b64 exec, exec, s[6:7]
	s_and_saveexec_b64 s[6:7], s[4:5]
	s_cbranch_execz .LBB1_5456
.LBB1_5455:
	v_bfe_u32 v6, v4, 8, 3
	v_ffbh_u32_e32 v12, v6
	v_min_u32_e32 v12, 32, v12
	v_lshrrev_b16_e32 v7, 3, v3
	v_subrev_u32_e32 v13, 28, v12
	v_and_b32_e32 v7, 15, v7
	v_lshlrev_b32_e32 v3, v13, v3
	v_sub_u32_e32 v12, 29, v12
	v_and_b32_e32 v3, 7, v3
	v_cmp_eq_u16_e32 vcc, 0, v7
	v_cndmask_b32_e32 v3, v6, v3, vcc
	v_cndmask_b32_e32 v6, v7, v12, vcc
	v_lshlrev_b32_e32 v7, 16, v4
	v_mov_b32_e32 v12, 0x3b800000
	v_lshlrev_b32_e32 v3, 20, v3
	v_and_b32_e32 v7, 0x80000000, v7
	v_lshl_add_u32 v6, v6, 23, v12
	v_or3_b32 v6, v7, v6, v3
.LBB1_5456:
	s_or_b64 exec, exec, s[6:7]
	s_nop 0
	v_mfma_f32_16x16x4f32 a[0:3], v2, v6, a[0:3]
	s_movk_i32 s4, 0xff
	v_and_b32_sdwa v3, v8, s4 dst_sel:DWORD dst_unused:UNUSED_PAD src0_sel:WORD_1 src1_sel:DWORD
	s_movk_i32 s4, 0x7f
	v_cmp_lt_i16_e32 vcc, s4, v3
	s_mov_b64 s[4:5], 0
                                        ; implicit-def: $sgpr10
	s_and_saveexec_b64 s[6:7], vcc
	s_xor_b64 s[6:7], exec, s[6:7]
	s_cbranch_execz .LBB1_5457
; %bb.41297:
	s_getpc_b64 s[14:15]
.Lpost_getpc6312:
	s_add_u32 s14, s14, (.LBB1_19793-.Lpost_getpc6312)&4294967295
	s_addc_u32 s15, s15, (.LBB1_19793-.Lpost_getpc6312)>>32
	s_setpc_b64 s[14:15]
.LBB1_5457:
	s_or_saveexec_b64 s[6:7], s[6:7]
	v_mov_b32_e32 v2, s10
	s_xor_b64 exec, exec, s[6:7]
	s_cbranch_execz .LBB1_5458
; %bb.41299:
	s_getpc_b64 s[14:15]
.Lpost_getpc6313:
	s_add_u32 s14, s14, (.LBB1_19796-.Lpost_getpc6313)&4294967295
	s_addc_u32 s15, s15, (.LBB1_19796-.Lpost_getpc6313)>>32
	s_setpc_b64 s[14:15]
.LBB1_5458:
	s_or_b64 exec, exec, s[6:7]
	s_and_saveexec_b64 s[6:7], s[4:5]
	s_cbranch_execz .LBB1_5460
.LBB1_5459:
	v_bfe_u32 v2, v8, 16, 3
	v_ffbh_u32_e32 v7, v2
	v_min_u32_e32 v7, 32, v7
	v_lshrrev_b32_e32 v3, 19, v8
	v_subrev_u32_e32 v12, 28, v7
	v_and_b32_e32 v3, 15, v3
	v_lshlrev_b32_sdwa v12, v12, v8 dst_sel:DWORD dst_unused:UNUSED_PAD src0_sel:DWORD src1_sel:WORD_1
	v_bfe_u32 v6, v8, 19, 4
	v_sub_u32_e32 v7, 29, v7
	v_and_b32_e32 v12, 7, v12
	v_cmp_eq_u16_e32 vcc, 0, v3
	v_cndmask_b32_e32 v2, v2, v12, vcc
	v_cndmask_b32_e32 v3, v6, v7, vcc
	v_lshlrev_b32_e32 v6, 8, v8
	v_mov_b32_e32 v7, 0x3b800000
	v_lshlrev_b32_e32 v2, 20, v2
	v_and_b32_e32 v6, 0x80000000, v6
	v_lshl_add_u32 v3, v3, 23, v7
	v_or3_b32 v2, v6, v3, v2
.LBB1_5460:
	s_or_b64 exec, exec, s[6:7]
	s_movk_i32 s4, 0xff
	v_and_b32_sdwa v3, v4, s4 dst_sel:DWORD dst_unused:UNUSED_PAD src0_sel:WORD_1 src1_sel:DWORD
	s_movk_i32 s4, 0x7f
	v_cmp_lt_i16_e32 vcc, s4, v3
	s_mov_b64 s[4:5], 0
                                        ; implicit-def: $sgpr10
	s_and_saveexec_b64 s[6:7], vcc
	s_xor_b64 s[6:7], exec, s[6:7]
	s_cbranch_execz .LBB1_5461
; %bb.41301:
	s_getpc_b64 s[14:15]
.Lpost_getpc6314:
	s_add_u32 s14, s14, (.LBB1_19797-.Lpost_getpc6314)&4294967295
	s_addc_u32 s15, s15, (.LBB1_19797-.Lpost_getpc6314)>>32
	s_setpc_b64 s[14:15]
.LBB1_5461:
	s_or_saveexec_b64 s[6:7], s[6:7]
	v_mov_b32_e32 v6, s10
	s_xor_b64 exec, exec, s[6:7]
	s_cbranch_execz .LBB1_5462
; %bb.41303:
	s_getpc_b64 s[14:15]
.Lpost_getpc6315:
	s_add_u32 s14, s14, (.LBB1_19800-.Lpost_getpc6315)&4294967295
	s_addc_u32 s15, s15, (.LBB1_19800-.Lpost_getpc6315)>>32
	s_setpc_b64 s[14:15]
.LBB1_5462:
	s_or_b64 exec, exec, s[6:7]
	s_and_saveexec_b64 s[6:7], s[4:5]
	s_cbranch_execz .LBB1_5464
.LBB1_5463:
	v_bfe_u32 v3, v4, 16, 3
	v_ffbh_u32_e32 v12, v3
	v_min_u32_e32 v12, 32, v12
	v_lshrrev_b32_e32 v6, 19, v4
	v_subrev_u32_e32 v13, 28, v12
	v_and_b32_e32 v6, 15, v6
	v_lshlrev_b32_sdwa v13, v13, v4 dst_sel:DWORD dst_unused:UNUSED_PAD src0_sel:DWORD src1_sel:WORD_1
	v_bfe_u32 v7, v4, 19, 4
	v_sub_u32_e32 v12, 29, v12
	v_and_b32_e32 v13, 7, v13
	v_cmp_eq_u16_e32 vcc, 0, v6
	v_cndmask_b32_e32 v3, v3, v13, vcc
	v_cndmask_b32_e32 v6, v7, v12, vcc
	v_lshlrev_b32_e32 v7, 8, v4
	v_mov_b32_e32 v12, 0x3b800000
	v_lshlrev_b32_e32 v3, 20, v3
	v_and_b32_e32 v7, 0x80000000, v7
	v_lshl_add_u32 v6, v6, 23, v12
	v_or3_b32 v6, v7, v6, v3
.LBB1_5464:
	s_or_b64 exec, exec, s[6:7]
	s_nop 0
	v_mfma_f32_16x16x4f32 a[0:3], v2, v6, a[0:3]
	s_movk_i32 s4, 0x7f
	v_cmp_gt_i16_sdwa s[6:7], v8, s4 src0_sel:BYTE_3 src1_sel:DWORD
	s_mov_b64 s[4:5], 0
                                        ; implicit-def: $sgpr10
	s_and_saveexec_b64 s[8:9], s[6:7]
	s_xor_b64 s[6:7], exec, s[8:9]
	s_cbranch_execz .LBB1_5465
; %bb.41305:
	s_getpc_b64 s[14:15]
.Lpost_getpc6316:
	s_add_u32 s14, s14, (.LBB1_19801-.Lpost_getpc6316)&4294967295
	s_addc_u32 s15, s15, (.LBB1_19801-.Lpost_getpc6316)>>32
	s_setpc_b64 s[14:15]
.LBB1_5465:
	s_or_saveexec_b64 s[6:7], s[6:7]
	v_mov_b32_e32 v2, s10
	s_xor_b64 exec, exec, s[6:7]
	s_cbranch_execz .LBB1_5466
; %bb.41307:
	s_getpc_b64 s[14:15]
.Lpost_getpc6317:
	s_add_u32 s14, s14, (.LBB1_19804-.Lpost_getpc6317)&4294967295
	s_addc_u32 s15, s15, (.LBB1_19804-.Lpost_getpc6317)>>32
	s_setpc_b64 s[14:15]
.LBB1_5466:
	s_or_b64 exec, exec, s[6:7]
	s_and_saveexec_b64 s[6:7], s[4:5]
	s_cbranch_execz .LBB1_5468
.LBB1_5467:
	v_bfe_u32 v2, v8, 24, 3
	v_ffbh_u32_e32 v12, v2
	v_min_u32_e32 v12, 32, v12
	v_lshrrev_b32_e32 v6, 27, v8
	v_subrev_u32_e32 v13, 28, v12
	v_and_b32_e32 v3, 0x80000000, v8
	v_and_b32_e32 v6, 15, v6
	v_bfe_u32 v7, v8, 27, 4
	v_lshlrev_b32_sdwa v8, v13, v8 dst_sel:DWORD dst_unused:UNUSED_PAD src0_sel:DWORD src1_sel:BYTE_3
	v_sub_u32_e32 v12, 29, v12
	v_and_b32_e32 v8, 7, v8
	v_cmp_eq_u16_e32 vcc, 0, v6
	v_cndmask_b32_e32 v2, v2, v8, vcc
	v_cndmask_b32_e32 v6, v7, v12, vcc
	v_mov_b32_e32 v7, 0x3b800000
	v_lshlrev_b32_e32 v2, 20, v2
	v_lshl_add_u32 v6, v6, 23, v7
	v_or3_b32 v2, v3, v6, v2
.LBB1_5468:
	s_or_b64 exec, exec, s[6:7]
	s_movk_i32 s4, 0x7f
	v_cmp_gt_i16_sdwa s[6:7], v4, s4 src0_sel:BYTE_3 src1_sel:DWORD
	s_mov_b64 s[4:5], 0
                                        ; implicit-def: $sgpr10
	s_and_saveexec_b64 s[8:9], s[6:7]
	s_xor_b64 s[6:7], exec, s[8:9]
	s_cbranch_execz .LBB1_5469
; %bb.41309:
	s_getpc_b64 s[14:15]
.Lpost_getpc6318:
	s_add_u32 s14, s14, (.LBB1_19805-.Lpost_getpc6318)&4294967295
	s_addc_u32 s15, s15, (.LBB1_19805-.Lpost_getpc6318)>>32
	s_setpc_b64 s[14:15]
.LBB1_5469:
	s_or_saveexec_b64 s[6:7], s[6:7]
	v_mov_b32_e32 v3, s10
	s_xor_b64 exec, exec, s[6:7]
	s_cbranch_execz .LBB1_5470
; %bb.41311:
	s_getpc_b64 s[14:15]
.Lpost_getpc6319:
	s_add_u32 s14, s14, (.LBB1_19808-.Lpost_getpc6319)&4294967295
	s_addc_u32 s15, s15, (.LBB1_19808-.Lpost_getpc6319)>>32
	s_setpc_b64 s[14:15]
.LBB1_5470:
	s_or_b64 exec, exec, s[6:7]
	s_and_saveexec_b64 s[6:7], s[4:5]
	s_cbranch_execz .LBB1_5472
.LBB1_5471:
	v_bfe_u32 v3, v4, 24, 3
	v_ffbh_u32_e32 v12, v3
	v_min_u32_e32 v12, 32, v12
	v_lshrrev_b32_e32 v7, 27, v4
	v_subrev_u32_e32 v13, 28, v12
	v_and_b32_e32 v6, 0x80000000, v4
	v_and_b32_e32 v7, 15, v7
	v_bfe_u32 v8, v4, 27, 4
	v_lshlrev_b32_sdwa v4, v13, v4 dst_sel:DWORD dst_unused:UNUSED_PAD src0_sel:DWORD src1_sel:BYTE_3
	v_sub_u32_e32 v12, 29, v12
	v_and_b32_e32 v4, 7, v4
	v_cmp_eq_u16_e32 vcc, 0, v7
	v_cndmask_b32_e32 v3, v3, v4, vcc
	v_cndmask_b32_e32 v4, v8, v12, vcc
	v_mov_b32_e32 v7, 0x3b800000
	v_lshlrev_b32_e32 v3, 20, v3
	v_lshl_add_u32 v4, v4, 23, v7
	v_or3_b32 v3, v6, v4, v3
.LBB1_5472:
	s_or_b64 exec, exec, s[6:7]
	s_nop 0
	v_mfma_f32_16x16x4f32 a[0:3], v2, v3, a[0:3]
	s_movk_i32 s4, 0x7f
	v_cmp_gt_i16_sdwa s[6:7], v9, s4 src0_sel:BYTE_0 src1_sel:DWORD
	s_mov_b64 s[4:5], 0
                                        ; implicit-def: $sgpr10
	s_and_saveexec_b64 s[8:9], s[6:7]
	s_xor_b64 s[6:7], exec, s[8:9]
	s_cbranch_execz .LBB1_5473
; %bb.41313:
	s_getpc_b64 s[14:15]
.Lpost_getpc6320:
	s_add_u32 s14, s14, (.LBB1_19809-.Lpost_getpc6320)&4294967295
	s_addc_u32 s15, s15, (.LBB1_19809-.Lpost_getpc6320)>>32
	s_setpc_b64 s[14:15]
.LBB1_5473:
	s_or_saveexec_b64 s[6:7], s[6:7]
	v_mov_b32_e32 v2, s10
	s_xor_b64 exec, exec, s[6:7]
	s_cbranch_execz .LBB1_5474
; %bb.41315:
	s_getpc_b64 s[14:15]
.Lpost_getpc6321:
	s_add_u32 s14, s14, (.LBB1_19812-.Lpost_getpc6321)&4294967295
	s_addc_u32 s15, s15, (.LBB1_19812-.Lpost_getpc6321)>>32
	s_setpc_b64 s[14:15]
.LBB1_5474:
	s_or_b64 exec, exec, s[6:7]
	s_and_saveexec_b64 s[6:7], s[4:5]
	s_cbranch_execz .LBB1_5476
.LBB1_5475:
	v_mov_b32_e32 v2, 8
	v_and_b32_e32 v3, 7, v9
	v_lshrrev_b32_sdwa v2, v2, v9 dst_sel:BYTE_1 dst_unused:UNUSED_PAD src0_sel:DWORD src1_sel:DWORD
	v_ffbh_u32_e32 v4, v3
	v_or_b32_sdwa v2, v9, v2 dst_sel:DWORD dst_unused:UNUSED_PAD src0_sel:BYTE_0 src1_sel:DWORD
	v_min_u32_e32 v4, 32, v4
	v_lshrrev_b16_e32 v2, 3, v2
	v_subrev_u32_e32 v6, 28, v4
	v_and_b32_e32 v2, 15, v2
	v_lshlrev_b32_e32 v6, v6, v9
	v_sub_u32_e32 v4, 29, v4
	v_and_b32_e32 v6, 7, v6
	v_cmp_eq_u16_e32 vcc, 0, v2
	v_cndmask_b32_e32 v3, v3, v6, vcc
	v_cndmask_b32_e32 v2, v2, v4, vcc
	v_lshlrev_b32_e32 v4, 24, v9
	v_mov_b32_e32 v6, 0x3b800000
	v_lshlrev_b32_e32 v3, 20, v3
	v_and_b32_e32 v4, 0x80000000, v4
	v_lshl_add_u32 v2, v2, 23, v6
	v_or3_b32 v2, v4, v2, v3
.LBB1_5476:
	s_or_b64 exec, exec, s[6:7]
	s_movk_i32 s4, 0x7f
	v_cmp_gt_i16_sdwa s[6:7], v5, s4 src0_sel:BYTE_0 src1_sel:DWORD
	s_mov_b64 s[4:5], 0
                                        ; implicit-def: $sgpr10
	s_and_saveexec_b64 s[8:9], s[6:7]
	s_xor_b64 s[6:7], exec, s[8:9]
	s_cbranch_execz .LBB1_5477
; %bb.41317:
	s_getpc_b64 s[14:15]
.Lpost_getpc6322:
	s_add_u32 s14, s14, (.LBB1_19813-.Lpost_getpc6322)&4294967295
	s_addc_u32 s15, s15, (.LBB1_19813-.Lpost_getpc6322)>>32
	s_setpc_b64 s[14:15]
.LBB1_5477:
	s_or_saveexec_b64 s[6:7], s[6:7]
	v_mov_b32_e32 v3, s10
	s_xor_b64 exec, exec, s[6:7]
	s_cbranch_execz .LBB1_5478
; %bb.41319:
	s_getpc_b64 s[14:15]
.Lpost_getpc6323:
	s_add_u32 s14, s14, (.LBB1_19816-.Lpost_getpc6323)&4294967295
	s_addc_u32 s15, s15, (.LBB1_19816-.Lpost_getpc6323)>>32
	s_setpc_b64 s[14:15]
.LBB1_5478:
	s_or_b64 exec, exec, s[6:7]
	s_and_saveexec_b64 s[6:7], s[4:5]
	s_cbranch_execz .LBB1_5480
.LBB1_5479:
	v_mov_b32_e32 v3, 8
	v_and_b32_e32 v4, 7, v5
	v_lshrrev_b32_sdwa v3, v3, v5 dst_sel:BYTE_1 dst_unused:UNUSED_PAD src0_sel:DWORD src1_sel:DWORD
	v_ffbh_u32_e32 v6, v4
	v_or_b32_sdwa v3, v5, v3 dst_sel:DWORD dst_unused:UNUSED_PAD src0_sel:BYTE_0 src1_sel:DWORD
	v_min_u32_e32 v6, 32, v6
	v_lshrrev_b16_e32 v3, 3, v3
	v_subrev_u32_e32 v7, 28, v6
	v_and_b32_e32 v3, 15, v3
	v_lshlrev_b32_e32 v7, v7, v5
	v_sub_u32_e32 v6, 29, v6
	v_and_b32_e32 v7, 7, v7
	v_cmp_eq_u16_e32 vcc, 0, v3
	v_cndmask_b32_e32 v4, v4, v7, vcc
	v_cndmask_b32_e32 v3, v3, v6, vcc
	v_lshlrev_b32_e32 v6, 24, v5
	v_mov_b32_e32 v7, 0x3b800000
	v_lshlrev_b32_e32 v4, 20, v4
	v_and_b32_e32 v6, 0x80000000, v6
	v_lshl_add_u32 v3, v3, 23, v7
	v_or3_b32 v3, v6, v3, v4
.LBB1_5480:
	s_or_b64 exec, exec, s[6:7]
	s_nop 0
	v_mfma_f32_16x16x4f32 a[0:3], v2, v3, a[0:3]
	v_lshrrev_b32_e32 v3, 8, v9
	s_movk_i32 s4, 0x7f
	v_cmp_gt_i16_sdwa s[6:7], v3, s4 src0_sel:BYTE_0 src1_sel:DWORD
	s_mov_b64 s[4:5], 0
                                        ; implicit-def: $sgpr10
	s_and_saveexec_b64 s[8:9], s[6:7]
	s_xor_b64 s[6:7], exec, s[8:9]
	s_cbranch_execz .LBB1_5481
; %bb.41321:
	s_getpc_b64 s[14:15]
.Lpost_getpc6324:
	s_add_u32 s14, s14, (.LBB1_19817-.Lpost_getpc6324)&4294967295
	s_addc_u32 s15, s15, (.LBB1_19817-.Lpost_getpc6324)>>32
	s_setpc_b64 s[14:15]
.LBB1_5481:
	s_or_saveexec_b64 s[6:7], s[6:7]
	v_mov_b32_e32 v2, s10
	s_xor_b64 exec, exec, s[6:7]
	s_cbranch_execz .LBB1_5482
; %bb.41323:
	s_getpc_b64 s[14:15]
.Lpost_getpc6325:
	s_add_u32 s14, s14, (.LBB1_19820-.Lpost_getpc6325)&4294967295
	s_addc_u32 s15, s15, (.LBB1_19820-.Lpost_getpc6325)>>32
	s_setpc_b64 s[14:15]
.LBB1_5482:
	s_or_b64 exec, exec, s[6:7]
	s_and_saveexec_b64 s[6:7], s[4:5]
	s_cbranch_execz .LBB1_5484
.LBB1_5483:
	v_bfe_u32 v2, v9, 8, 3
	v_ffbh_u32_e32 v6, v2
	v_min_u32_e32 v6, 32, v6
	v_lshrrev_b16_e32 v4, 3, v3
	v_subrev_u32_e32 v7, 28, v6
	v_and_b32_e32 v4, 15, v4
	v_lshlrev_b32_e32 v3, v7, v3
	v_sub_u32_e32 v6, 29, v6
	v_and_b32_e32 v3, 7, v3
	v_cmp_eq_u16_e32 vcc, 0, v4
	v_cndmask_b32_e32 v2, v2, v3, vcc
	v_cndmask_b32_e32 v3, v4, v6, vcc
	v_lshlrev_b32_e32 v4, 16, v9
	v_mov_b32_e32 v6, 0x3b800000
	v_lshlrev_b32_e32 v2, 20, v2
	v_and_b32_e32 v4, 0x80000000, v4
	v_lshl_add_u32 v3, v3, 23, v6
	v_or3_b32 v2, v4, v3, v2
.LBB1_5484:
	s_or_b64 exec, exec, s[6:7]
	v_lshrrev_b32_e32 v3, 8, v5
	s_movk_i32 s4, 0x7f
	v_cmp_gt_i16_sdwa s[6:7], v3, s4 src0_sel:BYTE_0 src1_sel:DWORD
	s_mov_b64 s[4:5], 0
                                        ; implicit-def: $sgpr10
	s_and_saveexec_b64 s[8:9], s[6:7]
	s_xor_b64 s[6:7], exec, s[8:9]
	s_cbranch_execz .LBB1_5485
; %bb.41325:
	s_getpc_b64 s[14:15]
.Lpost_getpc6326:
	s_add_u32 s14, s14, (.LBB1_19821-.Lpost_getpc6326)&4294967295
	s_addc_u32 s15, s15, (.LBB1_19821-.Lpost_getpc6326)>>32
	s_setpc_b64 s[14:15]
.LBB1_5485:
	s_or_saveexec_b64 s[6:7], s[6:7]
	v_mov_b32_e32 v4, s10
	s_xor_b64 exec, exec, s[6:7]
	s_cbranch_execz .LBB1_5486
; %bb.41327:
	s_getpc_b64 s[14:15]
.Lpost_getpc6327:
	s_add_u32 s14, s14, (.LBB1_19824-.Lpost_getpc6327)&4294967295
	s_addc_u32 s15, s15, (.LBB1_19824-.Lpost_getpc6327)>>32
	s_setpc_b64 s[14:15]
.LBB1_5486:
	s_or_b64 exec, exec, s[6:7]
	s_and_saveexec_b64 s[6:7], s[4:5]
	s_cbranch_execz .LBB1_5488
.LBB1_5487:
	v_bfe_u32 v4, v5, 8, 3
	v_ffbh_u32_e32 v7, v4
	v_min_u32_e32 v7, 32, v7
	v_lshrrev_b16_e32 v6, 3, v3
	v_subrev_u32_e32 v8, 28, v7
	v_and_b32_e32 v6, 15, v6
	v_lshlrev_b32_e32 v3, v8, v3
	v_sub_u32_e32 v7, 29, v7
	v_and_b32_e32 v3, 7, v3
	v_cmp_eq_u16_e32 vcc, 0, v6
	v_cndmask_b32_e32 v3, v4, v3, vcc
	v_cndmask_b32_e32 v4, v6, v7, vcc
	v_lshlrev_b32_e32 v6, 16, v5
	v_mov_b32_e32 v7, 0x3b800000
	v_lshlrev_b32_e32 v3, 20, v3
	v_and_b32_e32 v6, 0x80000000, v6
	v_lshl_add_u32 v4, v4, 23, v7
	v_or3_b32 v4, v6, v4, v3
.LBB1_5488:
	s_or_b64 exec, exec, s[6:7]
	s_nop 0
	v_mfma_f32_16x16x4f32 a[0:3], v2, v4, a[0:3]
	s_movk_i32 s4, 0xff
	v_and_b32_sdwa v3, v9, s4 dst_sel:DWORD dst_unused:UNUSED_PAD src0_sel:WORD_1 src1_sel:DWORD
	s_movk_i32 s4, 0x7f
	v_cmp_lt_i16_e32 vcc, s4, v3
	s_mov_b64 s[4:5], 0
                                        ; implicit-def: $sgpr10
	s_and_saveexec_b64 s[6:7], vcc
	s_xor_b64 s[6:7], exec, s[6:7]
	s_cbranch_execz .LBB1_5489
; %bb.41329:
	s_getpc_b64 s[14:15]
.Lpost_getpc6328:
	s_add_u32 s14, s14, (.LBB1_19825-.Lpost_getpc6328)&4294967295
	s_addc_u32 s15, s15, (.LBB1_19825-.Lpost_getpc6328)>>32
	s_setpc_b64 s[14:15]
.LBB1_5489:
	s_or_saveexec_b64 s[6:7], s[6:7]
	v_mov_b32_e32 v2, s10
	s_xor_b64 exec, exec, s[6:7]
	s_cbranch_execz .LBB1_5490
; %bb.41331:
	s_getpc_b64 s[14:15]
.Lpost_getpc6329:
	s_add_u32 s14, s14, (.LBB1_19828-.Lpost_getpc6329)&4294967295
	s_addc_u32 s15, s15, (.LBB1_19828-.Lpost_getpc6329)>>32
	s_setpc_b64 s[14:15]
.LBB1_5490:
	s_or_b64 exec, exec, s[6:7]
	s_and_saveexec_b64 s[6:7], s[4:5]
	s_cbranch_execz .LBB1_5492
.LBB1_5491:
	v_bfe_u32 v2, v9, 16, 3
	v_ffbh_u32_e32 v6, v2
	v_min_u32_e32 v6, 32, v6
	v_lshrrev_b32_e32 v3, 19, v9
	v_subrev_u32_e32 v7, 28, v6
	v_and_b32_e32 v3, 15, v3
	v_lshlrev_b32_sdwa v7, v7, v9 dst_sel:DWORD dst_unused:UNUSED_PAD src0_sel:DWORD src1_sel:WORD_1
	v_bfe_u32 v4, v9, 19, 4
	v_sub_u32_e32 v6, 29, v6
	v_and_b32_e32 v7, 7, v7
	v_cmp_eq_u16_e32 vcc, 0, v3
	v_cndmask_b32_e32 v2, v2, v7, vcc
	v_cndmask_b32_e32 v3, v4, v6, vcc
	v_lshlrev_b32_e32 v4, 8, v9
	v_mov_b32_e32 v6, 0x3b800000
	v_lshlrev_b32_e32 v2, 20, v2
	v_and_b32_e32 v4, 0x80000000, v4
	v_lshl_add_u32 v3, v3, 23, v6
	v_or3_b32 v2, v4, v3, v2
.LBB1_5492:
	s_or_b64 exec, exec, s[6:7]
	s_movk_i32 s4, 0xff
	v_and_b32_sdwa v3, v5, s4 dst_sel:DWORD dst_unused:UNUSED_PAD src0_sel:WORD_1 src1_sel:DWORD
	s_movk_i32 s4, 0x7f
	v_cmp_lt_i16_e32 vcc, s4, v3
	s_mov_b64 s[4:5], 0
                                        ; implicit-def: $sgpr10
	s_and_saveexec_b64 s[6:7], vcc
	s_xor_b64 s[6:7], exec, s[6:7]
	s_cbranch_execz .LBB1_5493
; %bb.41333:
	s_getpc_b64 s[14:15]
.Lpost_getpc6330:
	s_add_u32 s14, s14, (.LBB1_19829-.Lpost_getpc6330)&4294967295
	s_addc_u32 s15, s15, (.LBB1_19829-.Lpost_getpc6330)>>32
	s_setpc_b64 s[14:15]
.LBB1_5493:
	s_or_saveexec_b64 s[6:7], s[6:7]
	v_mov_b32_e32 v4, s10
	s_xor_b64 exec, exec, s[6:7]
	s_cbranch_execz .LBB1_5494
; %bb.41335:
	s_getpc_b64 s[14:15]
.Lpost_getpc6331:
	s_add_u32 s14, s14, (.LBB1_19832-.Lpost_getpc6331)&4294967295
	s_addc_u32 s15, s15, (.LBB1_19832-.Lpost_getpc6331)>>32
	s_setpc_b64 s[14:15]
.LBB1_5494:
	s_or_b64 exec, exec, s[6:7]
	s_and_saveexec_b64 s[6:7], s[4:5]
	s_cbranch_execz .LBB1_5496
.LBB1_5495:
	v_bfe_u32 v3, v5, 16, 3
	v_ffbh_u32_e32 v7, v3
	v_min_u32_e32 v7, 32, v7
	v_lshrrev_b32_e32 v4, 19, v5
	v_subrev_u32_e32 v8, 28, v7
	v_and_b32_e32 v4, 15, v4
	v_lshlrev_b32_sdwa v8, v8, v5 dst_sel:DWORD dst_unused:UNUSED_PAD src0_sel:DWORD src1_sel:WORD_1
	v_bfe_u32 v6, v5, 19, 4
	v_sub_u32_e32 v7, 29, v7
	v_and_b32_e32 v8, 7, v8
	v_cmp_eq_u16_e32 vcc, 0, v4
	v_cndmask_b32_e32 v3, v3, v8, vcc
	v_cndmask_b32_e32 v4, v6, v7, vcc
	v_lshlrev_b32_e32 v6, 8, v5
	v_mov_b32_e32 v7, 0x3b800000
	v_lshlrev_b32_e32 v3, 20, v3
	v_and_b32_e32 v6, 0x80000000, v6
	v_lshl_add_u32 v4, v4, 23, v7
	v_or3_b32 v4, v6, v4, v3
.LBB1_5496:
	s_or_b64 exec, exec, s[6:7]
	s_nop 0
	v_mfma_f32_16x16x4f32 a[0:3], v2, v4, a[0:3]
	s_movk_i32 s4, 0x7f
	v_cmp_gt_i16_sdwa s[6:7], v9, s4 src0_sel:BYTE_3 src1_sel:DWORD
	s_mov_b64 s[4:5], 0
                                        ; implicit-def: $sgpr10
	s_and_saveexec_b64 s[8:9], s[6:7]
	s_xor_b64 s[6:7], exec, s[8:9]
	s_cbranch_execz .LBB1_5497
; %bb.41337:
	s_getpc_b64 s[14:15]
.Lpost_getpc6332:
	s_add_u32 s14, s14, (.LBB1_19833-.Lpost_getpc6332)&4294967295
	s_addc_u32 s15, s15, (.LBB1_19833-.Lpost_getpc6332)>>32
	s_setpc_b64 s[14:15]
.LBB1_5497:
	s_or_saveexec_b64 s[6:7], s[6:7]
	v_mov_b32_e32 v2, s10
	s_xor_b64 exec, exec, s[6:7]
	s_cbranch_execz .LBB1_5498
; %bb.41339:
	s_getpc_b64 s[14:15]
.Lpost_getpc6333:
	s_add_u32 s14, s14, (.LBB1_19836-.Lpost_getpc6333)&4294967295
	s_addc_u32 s15, s15, (.LBB1_19836-.Lpost_getpc6333)>>32
	s_setpc_b64 s[14:15]
.LBB1_5498:
	s_or_b64 exec, exec, s[6:7]
	s_and_saveexec_b64 s[6:7], s[4:5]
	s_cbranch_execz .LBB1_5500
.LBB1_5499:
	v_bfe_u32 v2, v9, 24, 3
	v_ffbh_u32_e32 v7, v2
	v_min_u32_e32 v7, 32, v7
	v_lshrrev_b32_e32 v4, 27, v9
	v_subrev_u32_e32 v8, 28, v7
	v_and_b32_e32 v4, 15, v4
	v_lshlrev_b32_sdwa v8, v8, v9 dst_sel:DWORD dst_unused:UNUSED_PAD src0_sel:DWORD src1_sel:BYTE_3
	v_bfe_u32 v6, v9, 27, 4
	v_sub_u32_e32 v7, 29, v7
	v_and_b32_e32 v8, 7, v8
	v_cmp_eq_u16_e32 vcc, 0, v4
	v_cndmask_b32_e32 v2, v2, v8, vcc
	v_cndmask_b32_e32 v4, v6, v7, vcc
	v_mov_b32_e32 v6, 0x3b800000
	v_and_b32_e32 v3, 0x80000000, v9
	v_lshlrev_b32_e32 v2, 20, v2
	v_lshl_add_u32 v4, v4, 23, v6
	v_or3_b32 v2, v3, v4, v2
.LBB1_5500:
	s_or_b64 exec, exec, s[6:7]
	s_movk_i32 s4, 0x7f
	v_cmp_gt_i16_sdwa s[6:7], v5, s4 src0_sel:BYTE_3 src1_sel:DWORD
	s_mov_b64 s[4:5], 0
                                        ; implicit-def: $sgpr10
	s_and_saveexec_b64 s[8:9], s[6:7]
	s_xor_b64 s[6:7], exec, s[8:9]
	s_cbranch_execz .LBB1_5501
; %bb.41341:
	s_getpc_b64 s[14:15]
.Lpost_getpc6334:
	s_add_u32 s14, s14, (.LBB1_19837-.Lpost_getpc6334)&4294967295
	s_addc_u32 s15, s15, (.LBB1_19837-.Lpost_getpc6334)>>32
	s_setpc_b64 s[14:15]
.LBB1_5501:
	s_or_saveexec_b64 s[6:7], s[6:7]
	v_mov_b32_e32 v3, s10
	s_xor_b64 exec, exec, s[6:7]
	s_cbranch_execz .LBB1_5502
; %bb.41343:
	s_getpc_b64 s[14:15]
.Lpost_getpc6335:
	s_add_u32 s14, s14, (.LBB1_19840-.Lpost_getpc6335)&4294967295
	s_addc_u32 s15, s15, (.LBB1_19840-.Lpost_getpc6335)>>32
	s_setpc_b64 s[14:15]
.LBB1_5502:
	s_or_b64 exec, exec, s[6:7]
	s_and_saveexec_b64 s[6:7], s[4:5]
	s_cbranch_execz .LBB1_5504
.LBB1_5503:
	v_bfe_u32 v3, v5, 24, 3
	v_ffbh_u32_e32 v8, v3
	v_min_u32_e32 v8, 32, v8
	v_lshrrev_b32_e32 v6, 27, v5
	v_subrev_u32_e32 v9, 28, v8
	v_and_b32_e32 v4, 0x80000000, v5
	v_and_b32_e32 v6, 15, v6
	v_bfe_u32 v7, v5, 27, 4
	v_lshlrev_b32_sdwa v5, v9, v5 dst_sel:DWORD dst_unused:UNUSED_PAD src0_sel:DWORD src1_sel:BYTE_3
	v_sub_u32_e32 v8, 29, v8
	v_and_b32_e32 v5, 7, v5
	v_cmp_eq_u16_e32 vcc, 0, v6
	v_cndmask_b32_e32 v3, v3, v5, vcc
	v_cndmask_b32_e32 v5, v7, v8, vcc
	v_mov_b32_e32 v6, 0x3b800000
	v_lshlrev_b32_e32 v3, 20, v3
	v_lshl_add_u32 v5, v5, 23, v6
	v_or3_b32 v3, v4, v5, v3
.LBB1_5504:
	s_or_b64 exec, exec, s[6:7]
	s_nop 0
	v_mfma_f32_16x16x4f32 a[0:3], v2, v3, a[0:3]
	s_movk_i32 s4, 0x7f
                                        ; implicit-def: $sgpr10
	s_nop 7
	s_nop 1
	flat_store_dwordx4 v[10:11], a[0:3] offset:672
	flat_load_dwordx4 v[12:15], v[0:1]
	s_nop 0
	flat_load_dwordx2 v[10:11], v[0:1] offset:16
	s_waitcnt vmcnt(0) lgkmcnt(0)
	flat_load_dwordx4 v[6:9], v[12:13] offset:80
	flat_load_dwordx4 v[2:5], v[14:15] offset:48
	s_waitcnt vmcnt(0) lgkmcnt(0)
	v_cmp_gt_i16_sdwa s[6:7], v6, s4 src0_sel:BYTE_0 src1_sel:DWORD
	s_mov_b64 s[4:5], 0
	s_and_saveexec_b64 s[8:9], s[6:7]
	s_xor_b64 s[6:7], exec, s[8:9]
	s_cbranch_execz .LBB1_5505
; %bb.41345:
	s_getpc_b64 s[14:15]
.Lpost_getpc6336:
	s_add_u32 s14, s14, (.LBB1_19841-.Lpost_getpc6336)&4294967295
	s_addc_u32 s15, s15, (.LBB1_19841-.Lpost_getpc6336)>>32
	s_setpc_b64 s[14:15]
.LBB1_5505:
	s_or_saveexec_b64 s[6:7], s[6:7]
	v_mov_b32_e32 v12, s10
	s_xor_b64 exec, exec, s[6:7]
	s_cbranch_execz .LBB1_5506
; %bb.41347:
	s_getpc_b64 s[14:15]
.Lpost_getpc6337:
	s_add_u32 s14, s14, (.LBB1_19844-.Lpost_getpc6337)&4294967295
	s_addc_u32 s15, s15, (.LBB1_19844-.Lpost_getpc6337)>>32
	s_setpc_b64 s[14:15]
.LBB1_5506:
	s_or_b64 exec, exec, s[6:7]
	s_and_saveexec_b64 s[6:7], s[4:5]
	s_cbranch_execz .LBB1_5508
.LBB1_5507:
	v_and_b32_e32 v12, 7, v6
	v_ffbh_u32_e32 v14, v12
	v_min_u32_e32 v14, 32, v14
	v_lshrrev_b16_e32 v13, 3, v6
	v_subrev_u32_e32 v15, 28, v14
	v_and_b32_e32 v13, 15, v13
	v_lshlrev_b32_e32 v15, v15, v6
	v_sub_u32_e32 v14, 29, v14
	v_and_b32_e32 v15, 7, v15
	v_cmp_eq_u16_e32 vcc, 0, v13
	v_cndmask_b32_e32 v12, v12, v15, vcc
	v_cndmask_b32_e32 v13, v13, v14, vcc
	v_lshlrev_b32_e32 v14, 24, v6
	v_mov_b32_e32 v15, 0x3b800000
	v_lshlrev_b32_e32 v12, 20, v12
	v_and_b32_e32 v14, 0x80000000, v14
	v_lshl_add_u32 v13, v13, 23, v15
	v_or3_b32 v12, v14, v13, v12
.LBB1_5508:
	s_or_b64 exec, exec, s[6:7]
	s_movk_i32 s4, 0x7f
	v_cmp_gt_i16_sdwa s[6:7], v2, s4 src0_sel:BYTE_0 src1_sel:DWORD
	s_mov_b64 s[4:5], 0
                                        ; implicit-def: $sgpr10
	s_and_saveexec_b64 s[8:9], s[6:7]
	s_xor_b64 s[6:7], exec, s[8:9]
	s_cbranch_execz .LBB1_5509
; %bb.41349:
	s_getpc_b64 s[14:15]
.Lpost_getpc6338:
	s_add_u32 s14, s14, (.LBB1_19845-.Lpost_getpc6338)&4294967295
	s_addc_u32 s15, s15, (.LBB1_19845-.Lpost_getpc6338)>>32
	s_setpc_b64 s[14:15]
.LBB1_5509:
	s_or_saveexec_b64 s[6:7], s[6:7]
	v_mov_b32_e32 v13, s10
	s_xor_b64 exec, exec, s[6:7]
	s_cbranch_execz .LBB1_5510
; %bb.41351:
	s_getpc_b64 s[14:15]
.Lpost_getpc6339:
	s_add_u32 s14, s14, (.LBB1_19848-.Lpost_getpc6339)&4294967295
	s_addc_u32 s15, s15, (.LBB1_19848-.Lpost_getpc6339)>>32
	s_setpc_b64 s[14:15]
.LBB1_5510:
	s_or_b64 exec, exec, s[6:7]
	s_and_saveexec_b64 s[6:7], s[4:5]
	s_cbranch_execz .LBB1_5512
.LBB1_5511:
	v_and_b32_e32 v13, 7, v2
	v_ffbh_u32_e32 v15, v13
	v_min_u32_e32 v15, 32, v15
	v_lshrrev_b16_e32 v14, 3, v2
	v_subrev_u32_e32 v16, 28, v15
	v_and_b32_e32 v14, 15, v14
	v_lshlrev_b32_e32 v16, v16, v2
	v_sub_u32_e32 v15, 29, v15
	v_and_b32_e32 v16, 7, v16
	v_cmp_eq_u16_e32 vcc, 0, v14
	v_cndmask_b32_e32 v13, v13, v16, vcc
	v_cndmask_b32_e32 v14, v14, v15, vcc
	v_lshlrev_b32_e32 v15, 24, v2
	v_mov_b32_e32 v16, 0x3b800000
	v_lshlrev_b32_e32 v13, 20, v13
	v_and_b32_e32 v15, 0x80000000, v15
	v_lshl_add_u32 v14, v14, 23, v16
	v_or3_b32 v13, v15, v14, v13
.LBB1_5512:
	s_or_b64 exec, exec, s[6:7]
	flat_load_dwordx4 a[0:3], v[10:11] offset:688
	s_movk_i32 s4, 0x7f
                                        ; implicit-def: $sgpr10
	s_waitcnt vmcnt(0) lgkmcnt(0)
	v_mfma_f32_16x16x4f32 a[0:3], v12, v13, a[0:3]
	v_lshrrev_b32_e32 v13, 8, v6
	v_cmp_gt_i16_sdwa s[6:7], v13, s4 src0_sel:BYTE_0 src1_sel:DWORD
	s_mov_b64 s[4:5], 0
	s_and_saveexec_b64 s[8:9], s[6:7]
	s_xor_b64 s[6:7], exec, s[8:9]
	s_cbranch_execz .LBB1_5513
; %bb.41353:
	s_getpc_b64 s[14:15]
.Lpost_getpc6340:
	s_add_u32 s14, s14, (.LBB1_19849-.Lpost_getpc6340)&4294967295
	s_addc_u32 s15, s15, (.LBB1_19849-.Lpost_getpc6340)>>32
	s_setpc_b64 s[14:15]
.LBB1_5513:
	s_or_saveexec_b64 s[6:7], s[6:7]
	v_mov_b32_e32 v12, s10
	s_xor_b64 exec, exec, s[6:7]
	s_cbranch_execz .LBB1_5514
; %bb.41355:
	s_getpc_b64 s[14:15]
.Lpost_getpc6341:
	s_add_u32 s14, s14, (.LBB1_19852-.Lpost_getpc6341)&4294967295
	s_addc_u32 s15, s15, (.LBB1_19852-.Lpost_getpc6341)>>32
	s_setpc_b64 s[14:15]
.LBB1_5514:
	s_or_b64 exec, exec, s[6:7]
	s_and_saveexec_b64 s[6:7], s[4:5]
	s_cbranch_execz .LBB1_5516
.LBB1_5515:
	v_bfe_u32 v12, v6, 8, 3
	v_ffbh_u32_e32 v15, v12
	v_min_u32_e32 v15, 32, v15
	v_lshrrev_b16_e32 v14, 3, v13
	v_subrev_u32_e32 v16, 28, v15
	v_and_b32_e32 v14, 15, v14
	v_lshlrev_b32_e32 v13, v16, v13
	v_sub_u32_e32 v15, 29, v15
	v_and_b32_e32 v13, 7, v13
	v_cmp_eq_u16_e32 vcc, 0, v14
	v_cndmask_b32_e32 v12, v12, v13, vcc
	v_cndmask_b32_e32 v13, v14, v15, vcc
	v_lshlrev_b32_e32 v14, 16, v6
	v_mov_b32_e32 v15, 0x3b800000
	v_lshlrev_b32_e32 v12, 20, v12
	v_and_b32_e32 v14, 0x80000000, v14
	v_lshl_add_u32 v13, v13, 23, v15
	v_or3_b32 v12, v14, v13, v12
.LBB1_5516:
	s_or_b64 exec, exec, s[6:7]
	v_lshrrev_b32_e32 v13, 8, v2
	s_movk_i32 s4, 0x7f
	v_cmp_gt_i16_sdwa s[6:7], v13, s4 src0_sel:BYTE_0 src1_sel:DWORD
	s_mov_b64 s[4:5], 0
                                        ; implicit-def: $sgpr10
	s_and_saveexec_b64 s[8:9], s[6:7]
	s_xor_b64 s[6:7], exec, s[8:9]
	s_cbranch_execz .LBB1_5517
; %bb.41357:
	s_getpc_b64 s[14:15]
.Lpost_getpc6342:
	s_add_u32 s14, s14, (.LBB1_19853-.Lpost_getpc6342)&4294967295
	s_addc_u32 s15, s15, (.LBB1_19853-.Lpost_getpc6342)>>32
	s_setpc_b64 s[14:15]
.LBB1_5517:
	s_or_saveexec_b64 s[6:7], s[6:7]
	v_mov_b32_e32 v14, s10
	s_xor_b64 exec, exec, s[6:7]
	s_cbranch_execz .LBB1_5518
; %bb.41359:
	s_getpc_b64 s[14:15]
.Lpost_getpc6343:
	s_add_u32 s14, s14, (.LBB1_19856-.Lpost_getpc6343)&4294967295
	s_addc_u32 s15, s15, (.LBB1_19856-.Lpost_getpc6343)>>32
	s_setpc_b64 s[14:15]
.LBB1_5518:
	s_or_b64 exec, exec, s[6:7]
	s_and_saveexec_b64 s[6:7], s[4:5]
	s_cbranch_execz .LBB1_5520
.LBB1_5519:
	v_bfe_u32 v14, v2, 8, 3
	v_ffbh_u32_e32 v16, v14
	v_min_u32_e32 v16, 32, v16
	v_lshrrev_b16_e32 v15, 3, v13
	v_subrev_u32_e32 v17, 28, v16
	v_and_b32_e32 v15, 15, v15
	v_lshlrev_b32_e32 v13, v17, v13
	v_sub_u32_e32 v16, 29, v16
	v_and_b32_e32 v13, 7, v13
	v_cmp_eq_u16_e32 vcc, 0, v15
	v_cndmask_b32_e32 v13, v14, v13, vcc
	v_cndmask_b32_e32 v14, v15, v16, vcc
	v_lshlrev_b32_e32 v15, 16, v2
	v_mov_b32_e32 v16, 0x3b800000
	v_lshlrev_b32_e32 v13, 20, v13
	v_and_b32_e32 v15, 0x80000000, v15
	v_lshl_add_u32 v14, v14, 23, v16
	v_or3_b32 v14, v15, v14, v13
.LBB1_5520:
	s_or_b64 exec, exec, s[6:7]
	s_nop 0
	v_mfma_f32_16x16x4f32 a[0:3], v12, v14, a[0:3]
	s_movk_i32 s4, 0xff
	v_and_b32_sdwa v13, v6, s4 dst_sel:DWORD dst_unused:UNUSED_PAD src0_sel:WORD_1 src1_sel:DWORD
	s_movk_i32 s4, 0x7f
	v_cmp_lt_i16_e32 vcc, s4, v13
	s_mov_b64 s[4:5], 0
                                        ; implicit-def: $sgpr10
	s_and_saveexec_b64 s[6:7], vcc
	s_xor_b64 s[6:7], exec, s[6:7]
	s_cbranch_execz .LBB1_5521
; %bb.41361:
	s_getpc_b64 s[14:15]
.Lpost_getpc6344:
	s_add_u32 s14, s14, (.LBB1_19857-.Lpost_getpc6344)&4294967295
	s_addc_u32 s15, s15, (.LBB1_19857-.Lpost_getpc6344)>>32
	s_setpc_b64 s[14:15]
.LBB1_5521:
	s_or_saveexec_b64 s[6:7], s[6:7]
	v_mov_b32_e32 v12, s10
	s_xor_b64 exec, exec, s[6:7]
	s_cbranch_execz .LBB1_5522
; %bb.41363:
	s_getpc_b64 s[14:15]
.Lpost_getpc6345:
	s_add_u32 s14, s14, (.LBB1_19860-.Lpost_getpc6345)&4294967295
	s_addc_u32 s15, s15, (.LBB1_19860-.Lpost_getpc6345)>>32
	s_setpc_b64 s[14:15]
.LBB1_5522:
	s_or_b64 exec, exec, s[6:7]
	s_and_saveexec_b64 s[6:7], s[4:5]
	s_cbranch_execz .LBB1_5524
.LBB1_5523:
	v_bfe_u32 v12, v6, 16, 3
	v_ffbh_u32_e32 v15, v12
	v_min_u32_e32 v15, 32, v15
	v_lshrrev_b32_e32 v13, 19, v6
	v_subrev_u32_e32 v16, 28, v15
	v_and_b32_e32 v13, 15, v13
	v_lshlrev_b32_sdwa v16, v16, v6 dst_sel:DWORD dst_unused:UNUSED_PAD src0_sel:DWORD src1_sel:WORD_1
	v_bfe_u32 v14, v6, 19, 4
	v_sub_u32_e32 v15, 29, v15
	v_and_b32_e32 v16, 7, v16
	v_cmp_eq_u16_e32 vcc, 0, v13
	v_cndmask_b32_e32 v12, v12, v16, vcc
	v_cndmask_b32_e32 v13, v14, v15, vcc
	v_lshlrev_b32_e32 v14, 8, v6
	v_mov_b32_e32 v15, 0x3b800000
	v_lshlrev_b32_e32 v12, 20, v12
	v_and_b32_e32 v14, 0x80000000, v14
	v_lshl_add_u32 v13, v13, 23, v15
	v_or3_b32 v12, v14, v13, v12
.LBB1_5524:
	s_or_b64 exec, exec, s[6:7]
	s_movk_i32 s4, 0xff
	v_and_b32_sdwa v13, v2, s4 dst_sel:DWORD dst_unused:UNUSED_PAD src0_sel:WORD_1 src1_sel:DWORD
	s_movk_i32 s4, 0x7f
	v_cmp_lt_i16_e32 vcc, s4, v13
	s_mov_b64 s[4:5], 0
                                        ; implicit-def: $sgpr10
	s_and_saveexec_b64 s[6:7], vcc
	s_xor_b64 s[6:7], exec, s[6:7]
	s_cbranch_execz .LBB1_5525
; %bb.41365:
	s_getpc_b64 s[14:15]
.Lpost_getpc6346:
	s_add_u32 s14, s14, (.LBB1_19861-.Lpost_getpc6346)&4294967295
	s_addc_u32 s15, s15, (.LBB1_19861-.Lpost_getpc6346)>>32
	s_setpc_b64 s[14:15]
.LBB1_5525:
	s_or_saveexec_b64 s[6:7], s[6:7]
	v_mov_b32_e32 v14, s10
	s_xor_b64 exec, exec, s[6:7]
	s_cbranch_execz .LBB1_5526
; %bb.41367:
	s_getpc_b64 s[14:15]
.Lpost_getpc6347:
	s_add_u32 s14, s14, (.LBB1_19864-.Lpost_getpc6347)&4294967295
	s_addc_u32 s15, s15, (.LBB1_19864-.Lpost_getpc6347)>>32
	s_setpc_b64 s[14:15]
.LBB1_5526:
	s_or_b64 exec, exec, s[6:7]
	s_and_saveexec_b64 s[6:7], s[4:5]
	s_cbranch_execz .LBB1_5528
.LBB1_5527:
	v_bfe_u32 v13, v2, 16, 3
	v_ffbh_u32_e32 v16, v13
	v_min_u32_e32 v16, 32, v16
	v_lshrrev_b32_e32 v14, 19, v2
	v_subrev_u32_e32 v17, 28, v16
	v_and_b32_e32 v14, 15, v14
	v_lshlrev_b32_sdwa v17, v17, v2 dst_sel:DWORD dst_unused:UNUSED_PAD src0_sel:DWORD src1_sel:WORD_1
	v_bfe_u32 v15, v2, 19, 4
	v_sub_u32_e32 v16, 29, v16
	v_and_b32_e32 v17, 7, v17
	v_cmp_eq_u16_e32 vcc, 0, v14
	v_cndmask_b32_e32 v13, v13, v17, vcc
	v_cndmask_b32_e32 v14, v15, v16, vcc
	v_lshlrev_b32_e32 v15, 8, v2
	v_mov_b32_e32 v16, 0x3b800000
	v_lshlrev_b32_e32 v13, 20, v13
	v_and_b32_e32 v15, 0x80000000, v15
	v_lshl_add_u32 v14, v14, 23, v16
	v_or3_b32 v14, v15, v14, v13
.LBB1_5528:
	s_or_b64 exec, exec, s[6:7]
	s_nop 0
	v_mfma_f32_16x16x4f32 a[0:3], v12, v14, a[0:3]
	s_movk_i32 s4, 0x7f
	v_cmp_gt_i16_sdwa s[6:7], v6, s4 src0_sel:BYTE_3 src1_sel:DWORD
	s_mov_b64 s[4:5], 0
                                        ; implicit-def: $sgpr10
	s_and_saveexec_b64 s[8:9], s[6:7]
	s_xor_b64 s[6:7], exec, s[8:9]
	s_cbranch_execz .LBB1_5529
; %bb.41369:
	s_getpc_b64 s[14:15]
.Lpost_getpc6348:
	s_add_u32 s14, s14, (.LBB1_19865-.Lpost_getpc6348)&4294967295
	s_addc_u32 s15, s15, (.LBB1_19865-.Lpost_getpc6348)>>32
	s_setpc_b64 s[14:15]
.LBB1_5529:
	s_or_saveexec_b64 s[6:7], s[6:7]
	v_mov_b32_e32 v12, s10
	s_xor_b64 exec, exec, s[6:7]
	s_cbranch_execz .LBB1_5530
; %bb.41371:
	s_getpc_b64 s[14:15]
.Lpost_getpc6349:
	s_add_u32 s14, s14, (.LBB1_19868-.Lpost_getpc6349)&4294967295
	s_addc_u32 s15, s15, (.LBB1_19868-.Lpost_getpc6349)>>32
	s_setpc_b64 s[14:15]
.LBB1_5530:
	s_or_b64 exec, exec, s[6:7]
	s_and_saveexec_b64 s[6:7], s[4:5]
	s_cbranch_execz .LBB1_5532
.LBB1_5531:
	v_bfe_u32 v12, v6, 24, 3
	v_ffbh_u32_e32 v16, v12
	v_min_u32_e32 v16, 32, v16
	v_lshrrev_b32_e32 v14, 27, v6
	v_subrev_u32_e32 v17, 28, v16
	v_and_b32_e32 v13, 0x80000000, v6
	v_and_b32_e32 v14, 15, v14
	v_bfe_u32 v15, v6, 27, 4
	v_lshlrev_b32_sdwa v6, v17, v6 dst_sel:DWORD dst_unused:UNUSED_PAD src0_sel:DWORD src1_sel:BYTE_3
	v_sub_u32_e32 v16, 29, v16
	v_and_b32_e32 v6, 7, v6
	v_cmp_eq_u16_e32 vcc, 0, v14
	v_cndmask_b32_e32 v6, v12, v6, vcc
	v_cndmask_b32_e32 v12, v15, v16, vcc
	v_mov_b32_e32 v14, 0x3b800000
	v_lshlrev_b32_e32 v6, 20, v6
	v_lshl_add_u32 v12, v12, 23, v14
	v_or3_b32 v12, v13, v12, v6
.LBB1_5532:
	s_or_b64 exec, exec, s[6:7]
	s_movk_i32 s4, 0x7f
	v_cmp_gt_i16_sdwa s[6:7], v2, s4 src0_sel:BYTE_3 src1_sel:DWORD
	s_mov_b64 s[4:5], 0
                                        ; implicit-def: $sgpr10
	s_and_saveexec_b64 s[8:9], s[6:7]
	s_xor_b64 s[6:7], exec, s[8:9]
	s_cbranch_execz .LBB1_5533
; %bb.41373:
	s_getpc_b64 s[14:15]
.Lpost_getpc6350:
	s_add_u32 s14, s14, (.LBB1_19869-.Lpost_getpc6350)&4294967295
	s_addc_u32 s15, s15, (.LBB1_19869-.Lpost_getpc6350)>>32
	s_setpc_b64 s[14:15]
.LBB1_5533:
	s_or_saveexec_b64 s[6:7], s[6:7]
	v_mov_b32_e32 v6, s10
	s_xor_b64 exec, exec, s[6:7]
	s_cbranch_execz .LBB1_5534
; %bb.41375:
	s_getpc_b64 s[14:15]
.Lpost_getpc6351:
	s_add_u32 s14, s14, (.LBB1_19872-.Lpost_getpc6351)&4294967295
	s_addc_u32 s15, s15, (.LBB1_19872-.Lpost_getpc6351)>>32
	s_setpc_b64 s[14:15]
.LBB1_5534:
	s_or_b64 exec, exec, s[6:7]
	s_and_saveexec_b64 s[6:7], s[4:5]
	s_cbranch_execz .LBB1_5536
.LBB1_5535:
	v_bfe_u32 v6, v2, 24, 3
	v_ffbh_u32_e32 v16, v6
	v_min_u32_e32 v16, 32, v16
	v_lshrrev_b32_e32 v14, 27, v2
	v_subrev_u32_e32 v17, 28, v16
	v_and_b32_e32 v13, 0x80000000, v2
	v_and_b32_e32 v14, 15, v14
	v_bfe_u32 v15, v2, 27, 4
	v_lshlrev_b32_sdwa v2, v17, v2 dst_sel:DWORD dst_unused:UNUSED_PAD src0_sel:DWORD src1_sel:BYTE_3
	v_sub_u32_e32 v16, 29, v16
	v_and_b32_e32 v2, 7, v2
	v_cmp_eq_u16_e32 vcc, 0, v14
	v_cndmask_b32_e32 v2, v6, v2, vcc
	v_cndmask_b32_e32 v6, v15, v16, vcc
	v_mov_b32_e32 v14, 0x3b800000
	v_lshlrev_b32_e32 v2, 20, v2
	v_lshl_add_u32 v6, v6, 23, v14
	v_or3_b32 v6, v13, v6, v2
.LBB1_5536:
	s_or_b64 exec, exec, s[6:7]
	s_nop 0
	v_mfma_f32_16x16x4f32 a[0:3], v12, v6, a[0:3]
	s_movk_i32 s4, 0x7f
	v_cmp_gt_i16_sdwa s[6:7], v7, s4 src0_sel:BYTE_0 src1_sel:DWORD
	s_mov_b64 s[4:5], 0
                                        ; implicit-def: $sgpr10
	s_and_saveexec_b64 s[8:9], s[6:7]
	s_xor_b64 s[6:7], exec, s[8:9]
	s_cbranch_execz .LBB1_5537
; %bb.41377:
	s_getpc_b64 s[14:15]
.Lpost_getpc6352:
	s_add_u32 s14, s14, (.LBB1_19873-.Lpost_getpc6352)&4294967295
	s_addc_u32 s15, s15, (.LBB1_19873-.Lpost_getpc6352)>>32
	s_setpc_b64 s[14:15]
.LBB1_5537:
	s_or_saveexec_b64 s[6:7], s[6:7]
	v_mov_b32_e32 v2, s10
	s_xor_b64 exec, exec, s[6:7]
	s_cbranch_execz .LBB1_5538
; %bb.41379:
	s_getpc_b64 s[14:15]
.Lpost_getpc6353:
	s_add_u32 s14, s14, (.LBB1_19876-.Lpost_getpc6353)&4294967295
	s_addc_u32 s15, s15, (.LBB1_19876-.Lpost_getpc6353)>>32
	s_setpc_b64 s[14:15]
.LBB1_5538:
	s_or_b64 exec, exec, s[6:7]
	s_and_saveexec_b64 s[6:7], s[4:5]
	s_cbranch_execz .LBB1_5540
.LBB1_5539:
	v_and_b32_e32 v2, 7, v7
	v_ffbh_u32_e32 v12, v2
	v_min_u32_e32 v12, 32, v12
	v_lshrrev_b16_e32 v6, 3, v7
	v_subrev_u32_e32 v13, 28, v12
	v_and_b32_e32 v6, 15, v6
	v_lshlrev_b32_e32 v13, v13, v7
	v_sub_u32_e32 v12, 29, v12
	v_and_b32_e32 v13, 7, v13
	v_cmp_eq_u16_e32 vcc, 0, v6
	v_cndmask_b32_e32 v2, v2, v13, vcc
	v_cndmask_b32_e32 v6, v6, v12, vcc
	v_lshlrev_b32_e32 v12, 24, v7
	v_mov_b32_e32 v13, 0x3b800000
	v_lshlrev_b32_e32 v2, 20, v2
	v_and_b32_e32 v12, 0x80000000, v12
	v_lshl_add_u32 v6, v6, 23, v13
	v_or3_b32 v2, v12, v6, v2
.LBB1_5540:
	s_or_b64 exec, exec, s[6:7]
	s_movk_i32 s4, 0x7f
	v_cmp_gt_i16_sdwa s[6:7], v3, s4 src0_sel:BYTE_0 src1_sel:DWORD
	s_mov_b64 s[4:5], 0
                                        ; implicit-def: $sgpr10
	s_and_saveexec_b64 s[8:9], s[6:7]
	s_xor_b64 s[6:7], exec, s[8:9]
	s_cbranch_execz .LBB1_5541
; %bb.41381:
	s_getpc_b64 s[14:15]
.Lpost_getpc6354:
	s_add_u32 s14, s14, (.LBB1_19877-.Lpost_getpc6354)&4294967295
	s_addc_u32 s15, s15, (.LBB1_19877-.Lpost_getpc6354)>>32
	s_setpc_b64 s[14:15]
.LBB1_5541:
	s_or_saveexec_b64 s[6:7], s[6:7]
	v_mov_b32_e32 v6, s10
	s_xor_b64 exec, exec, s[6:7]
	s_cbranch_execz .LBB1_5542
; %bb.41383:
	s_getpc_b64 s[14:15]
.Lpost_getpc6355:
	s_add_u32 s14, s14, (.LBB1_19880-.Lpost_getpc6355)&4294967295
	s_addc_u32 s15, s15, (.LBB1_19880-.Lpost_getpc6355)>>32
	s_setpc_b64 s[14:15]
.LBB1_5542:
	s_or_b64 exec, exec, s[6:7]
	s_and_saveexec_b64 s[6:7], s[4:5]
	s_cbranch_execz .LBB1_5544
.LBB1_5543:
	v_and_b32_e32 v6, 7, v3
	v_ffbh_u32_e32 v13, v6
	v_min_u32_e32 v13, 32, v13
	v_lshrrev_b16_e32 v12, 3, v3
	v_subrev_u32_e32 v14, 28, v13
	v_and_b32_e32 v12, 15, v12
	v_lshlrev_b32_e32 v14, v14, v3
	v_sub_u32_e32 v13, 29, v13
	v_and_b32_e32 v14, 7, v14
	v_cmp_eq_u16_e32 vcc, 0, v12
	v_cndmask_b32_e32 v6, v6, v14, vcc
	v_cndmask_b32_e32 v12, v12, v13, vcc
	v_lshlrev_b32_e32 v13, 24, v3
	v_mov_b32_e32 v14, 0x3b800000
	v_lshlrev_b32_e32 v6, 20, v6
	v_and_b32_e32 v13, 0x80000000, v13
	v_lshl_add_u32 v12, v12, 23, v14
	v_or3_b32 v6, v13, v12, v6
.LBB1_5544:
	s_or_b64 exec, exec, s[6:7]
	s_nop 0
	v_mfma_f32_16x16x4f32 a[0:3], v2, v6, a[0:3]
	v_lshrrev_b32_e32 v6, 8, v7
	s_movk_i32 s4, 0x7f
	v_cmp_gt_i16_sdwa s[6:7], v6, s4 src0_sel:BYTE_0 src1_sel:DWORD
	s_mov_b64 s[4:5], 0
                                        ; implicit-def: $sgpr10
	s_and_saveexec_b64 s[8:9], s[6:7]
	s_xor_b64 s[6:7], exec, s[8:9]
	s_cbranch_execz .LBB1_5545
; %bb.41385:
	s_getpc_b64 s[14:15]
.Lpost_getpc6356:
	s_add_u32 s14, s14, (.LBB1_19881-.Lpost_getpc6356)&4294967295
	s_addc_u32 s15, s15, (.LBB1_19881-.Lpost_getpc6356)>>32
	s_setpc_b64 s[14:15]
.LBB1_5545:
	s_or_saveexec_b64 s[6:7], s[6:7]
	v_mov_b32_e32 v2, s10
	s_xor_b64 exec, exec, s[6:7]
	s_cbranch_execz .LBB1_5546
; %bb.41387:
	s_getpc_b64 s[14:15]
.Lpost_getpc6357:
	s_add_u32 s14, s14, (.LBB1_19884-.Lpost_getpc6357)&4294967295
	s_addc_u32 s15, s15, (.LBB1_19884-.Lpost_getpc6357)>>32
	s_setpc_b64 s[14:15]
.LBB1_5546:
	s_or_b64 exec, exec, s[6:7]
	s_and_saveexec_b64 s[6:7], s[4:5]
	s_cbranch_execz .LBB1_5548
.LBB1_5547:
	v_bfe_u32 v2, v7, 8, 3
	v_ffbh_u32_e32 v13, v2
	v_min_u32_e32 v13, 32, v13
	v_lshrrev_b16_e32 v12, 3, v6
	v_subrev_u32_e32 v14, 28, v13
	v_and_b32_e32 v12, 15, v12
	v_lshlrev_b32_e32 v6, v14, v6
	v_sub_u32_e32 v13, 29, v13
	v_and_b32_e32 v6, 7, v6
	v_cmp_eq_u16_e32 vcc, 0, v12
	v_cndmask_b32_e32 v2, v2, v6, vcc
	v_cndmask_b32_e32 v6, v12, v13, vcc
	v_lshlrev_b32_e32 v12, 16, v7
	v_mov_b32_e32 v13, 0x3b800000
	v_lshlrev_b32_e32 v2, 20, v2
	v_and_b32_e32 v12, 0x80000000, v12
	v_lshl_add_u32 v6, v6, 23, v13
	v_or3_b32 v2, v12, v6, v2
.LBB1_5548:
	s_or_b64 exec, exec, s[6:7]
	v_lshrrev_b32_e32 v6, 8, v3
	s_movk_i32 s4, 0x7f
	v_cmp_gt_i16_sdwa s[6:7], v6, s4 src0_sel:BYTE_0 src1_sel:DWORD
	s_mov_b64 s[4:5], 0
                                        ; implicit-def: $sgpr10
	s_and_saveexec_b64 s[8:9], s[6:7]
	s_xor_b64 s[6:7], exec, s[8:9]
	s_cbranch_execz .LBB1_5549
; %bb.41389:
	s_getpc_b64 s[14:15]
.Lpost_getpc6358:
	s_add_u32 s14, s14, (.LBB1_19885-.Lpost_getpc6358)&4294967295
	s_addc_u32 s15, s15, (.LBB1_19885-.Lpost_getpc6358)>>32
	s_setpc_b64 s[14:15]
.LBB1_5549:
	s_or_saveexec_b64 s[6:7], s[6:7]
	v_mov_b32_e32 v12, s10
	s_xor_b64 exec, exec, s[6:7]
	s_cbranch_execz .LBB1_5550
; %bb.41391:
	s_getpc_b64 s[14:15]
.Lpost_getpc6359:
	s_add_u32 s14, s14, (.LBB1_19888-.Lpost_getpc6359)&4294967295
	s_addc_u32 s15, s15, (.LBB1_19888-.Lpost_getpc6359)>>32
	s_setpc_b64 s[14:15]
.LBB1_5550:
	s_or_b64 exec, exec, s[6:7]
	s_and_saveexec_b64 s[6:7], s[4:5]
	s_cbranch_execz .LBB1_5552
.LBB1_5551:
	v_bfe_u32 v12, v3, 8, 3
	v_ffbh_u32_e32 v14, v12
	v_min_u32_e32 v14, 32, v14
	v_lshrrev_b16_e32 v13, 3, v6
	v_subrev_u32_e32 v15, 28, v14
	v_and_b32_e32 v13, 15, v13
	v_lshlrev_b32_e32 v6, v15, v6
	v_sub_u32_e32 v14, 29, v14
	v_and_b32_e32 v6, 7, v6
	v_cmp_eq_u16_e32 vcc, 0, v13
	v_cndmask_b32_e32 v6, v12, v6, vcc
	v_cndmask_b32_e32 v12, v13, v14, vcc
	v_lshlrev_b32_e32 v13, 16, v3
	v_mov_b32_e32 v14, 0x3b800000
	v_lshlrev_b32_e32 v6, 20, v6
	v_and_b32_e32 v13, 0x80000000, v13
	v_lshl_add_u32 v12, v12, 23, v14
	v_or3_b32 v12, v13, v12, v6
.LBB1_5552:
	s_or_b64 exec, exec, s[6:7]
	s_nop 0
	v_mfma_f32_16x16x4f32 a[0:3], v2, v12, a[0:3]
	s_movk_i32 s4, 0xff
	v_and_b32_sdwa v6, v7, s4 dst_sel:DWORD dst_unused:UNUSED_PAD src0_sel:WORD_1 src1_sel:DWORD
	s_movk_i32 s4, 0x7f
	v_cmp_lt_i16_e32 vcc, s4, v6
	s_mov_b64 s[4:5], 0
                                        ; implicit-def: $sgpr10
	s_and_saveexec_b64 s[6:7], vcc
	s_xor_b64 s[6:7], exec, s[6:7]
	s_cbranch_execz .LBB1_5553
; %bb.41393:
	s_getpc_b64 s[14:15]
.Lpost_getpc6360:
	s_add_u32 s14, s14, (.LBB1_19889-.Lpost_getpc6360)&4294967295
	s_addc_u32 s15, s15, (.LBB1_19889-.Lpost_getpc6360)>>32
	s_setpc_b64 s[14:15]
.LBB1_5553:
	s_or_saveexec_b64 s[6:7], s[6:7]
	v_mov_b32_e32 v2, s10
	s_xor_b64 exec, exec, s[6:7]
	s_cbranch_execz .LBB1_5554
; %bb.41395:
	s_getpc_b64 s[14:15]
.Lpost_getpc6361:
	s_add_u32 s14, s14, (.LBB1_19892-.Lpost_getpc6361)&4294967295
	s_addc_u32 s15, s15, (.LBB1_19892-.Lpost_getpc6361)>>32
	s_setpc_b64 s[14:15]
.LBB1_5554:
	s_or_b64 exec, exec, s[6:7]
	s_and_saveexec_b64 s[6:7], s[4:5]
	s_cbranch_execz .LBB1_5556
.LBB1_5555:
	v_bfe_u32 v2, v7, 16, 3
	v_ffbh_u32_e32 v13, v2
	v_min_u32_e32 v13, 32, v13
	v_lshrrev_b32_e32 v6, 19, v7
	v_subrev_u32_e32 v14, 28, v13
	v_and_b32_e32 v6, 15, v6
	v_lshlrev_b32_sdwa v14, v14, v7 dst_sel:DWORD dst_unused:UNUSED_PAD src0_sel:DWORD src1_sel:WORD_1
	v_bfe_u32 v12, v7, 19, 4
	v_sub_u32_e32 v13, 29, v13
	v_and_b32_e32 v14, 7, v14
	v_cmp_eq_u16_e32 vcc, 0, v6
	v_cndmask_b32_e32 v2, v2, v14, vcc
	v_cndmask_b32_e32 v6, v12, v13, vcc
	v_lshlrev_b32_e32 v12, 8, v7
	v_mov_b32_e32 v13, 0x3b800000
	v_lshlrev_b32_e32 v2, 20, v2
	v_and_b32_e32 v12, 0x80000000, v12
	v_lshl_add_u32 v6, v6, 23, v13
	v_or3_b32 v2, v12, v6, v2
.LBB1_5556:
	s_or_b64 exec, exec, s[6:7]
	s_movk_i32 s4, 0xff
	v_and_b32_sdwa v6, v3, s4 dst_sel:DWORD dst_unused:UNUSED_PAD src0_sel:WORD_1 src1_sel:DWORD
	s_movk_i32 s4, 0x7f
	v_cmp_lt_i16_e32 vcc, s4, v6
	s_mov_b64 s[4:5], 0
                                        ; implicit-def: $sgpr10
	s_and_saveexec_b64 s[6:7], vcc
	s_xor_b64 s[6:7], exec, s[6:7]
	s_cbranch_execz .LBB1_5557
; %bb.41397:
	s_getpc_b64 s[14:15]
.Lpost_getpc6362:
	s_add_u32 s14, s14, (.LBB1_19893-.Lpost_getpc6362)&4294967295
	s_addc_u32 s15, s15, (.LBB1_19893-.Lpost_getpc6362)>>32
	s_setpc_b64 s[14:15]
.LBB1_5557:
	s_or_saveexec_b64 s[6:7], s[6:7]
	v_mov_b32_e32 v12, s10
	s_xor_b64 exec, exec, s[6:7]
	s_cbranch_execz .LBB1_5558
; %bb.41399:
	s_getpc_b64 s[14:15]
.Lpost_getpc6363:
	s_add_u32 s14, s14, (.LBB1_19896-.Lpost_getpc6363)&4294967295
	s_addc_u32 s15, s15, (.LBB1_19896-.Lpost_getpc6363)>>32
	s_setpc_b64 s[14:15]
.LBB1_5558:
	s_or_b64 exec, exec, s[6:7]
	s_and_saveexec_b64 s[6:7], s[4:5]
	s_cbranch_execz .LBB1_5560
.LBB1_5559:
	v_bfe_u32 v6, v3, 16, 3
	v_ffbh_u32_e32 v14, v6
	v_min_u32_e32 v14, 32, v14
	v_lshrrev_b32_e32 v12, 19, v3
	v_subrev_u32_e32 v15, 28, v14
	v_and_b32_e32 v12, 15, v12
	v_lshlrev_b32_sdwa v15, v15, v3 dst_sel:DWORD dst_unused:UNUSED_PAD src0_sel:DWORD src1_sel:WORD_1
	v_bfe_u32 v13, v3, 19, 4
	v_sub_u32_e32 v14, 29, v14
	v_and_b32_e32 v15, 7, v15
	v_cmp_eq_u16_e32 vcc, 0, v12
	v_cndmask_b32_e32 v6, v6, v15, vcc
	v_cndmask_b32_e32 v12, v13, v14, vcc
	v_lshlrev_b32_e32 v13, 8, v3
	v_mov_b32_e32 v14, 0x3b800000
	v_lshlrev_b32_e32 v6, 20, v6
	v_and_b32_e32 v13, 0x80000000, v13
	v_lshl_add_u32 v12, v12, 23, v14
	v_or3_b32 v12, v13, v12, v6
.LBB1_5560:
	s_or_b64 exec, exec, s[6:7]
	s_nop 0
	v_mfma_f32_16x16x4f32 a[0:3], v2, v12, a[0:3]
	s_movk_i32 s4, 0x7f
	v_cmp_gt_i16_sdwa s[6:7], v7, s4 src0_sel:BYTE_3 src1_sel:DWORD
	s_mov_b64 s[4:5], 0
                                        ; implicit-def: $sgpr10
	s_and_saveexec_b64 s[8:9], s[6:7]
	s_xor_b64 s[6:7], exec, s[8:9]
	s_cbranch_execz .LBB1_5561
; %bb.41401:
	s_getpc_b64 s[14:15]
.Lpost_getpc6364:
	s_add_u32 s14, s14, (.LBB1_19897-.Lpost_getpc6364)&4294967295
	s_addc_u32 s15, s15, (.LBB1_19897-.Lpost_getpc6364)>>32
	s_setpc_b64 s[14:15]
.LBB1_5561:
	s_or_saveexec_b64 s[6:7], s[6:7]
	v_mov_b32_e32 v2, s10
	s_xor_b64 exec, exec, s[6:7]
	s_cbranch_execz .LBB1_5562
; %bb.41403:
	s_getpc_b64 s[14:15]
.Lpost_getpc6365:
	s_add_u32 s14, s14, (.LBB1_19900-.Lpost_getpc6365)&4294967295
	s_addc_u32 s15, s15, (.LBB1_19900-.Lpost_getpc6365)>>32
	s_setpc_b64 s[14:15]
.LBB1_5562:
	s_or_b64 exec, exec, s[6:7]
	s_and_saveexec_b64 s[6:7], s[4:5]
	s_cbranch_execz .LBB1_5564
.LBB1_5563:
	v_bfe_u32 v2, v7, 24, 3
	v_ffbh_u32_e32 v14, v2
	v_min_u32_e32 v14, 32, v14
	v_lshrrev_b32_e32 v12, 27, v7
	v_subrev_u32_e32 v15, 28, v14
	v_and_b32_e32 v6, 0x80000000, v7
	v_and_b32_e32 v12, 15, v12
	v_bfe_u32 v13, v7, 27, 4
	v_lshlrev_b32_sdwa v7, v15, v7 dst_sel:DWORD dst_unused:UNUSED_PAD src0_sel:DWORD src1_sel:BYTE_3
	v_sub_u32_e32 v14, 29, v14
	v_and_b32_e32 v7, 7, v7
	v_cmp_eq_u16_e32 vcc, 0, v12
	v_cndmask_b32_e32 v2, v2, v7, vcc
	v_cndmask_b32_e32 v7, v13, v14, vcc
	v_mov_b32_e32 v12, 0x3b800000
	v_lshlrev_b32_e32 v2, 20, v2
	v_lshl_add_u32 v7, v7, 23, v12
	v_or3_b32 v2, v6, v7, v2
.LBB1_5564:
	s_or_b64 exec, exec, s[6:7]
	s_movk_i32 s4, 0x7f
	v_cmp_gt_i16_sdwa s[6:7], v3, s4 src0_sel:BYTE_3 src1_sel:DWORD
	s_mov_b64 s[4:5], 0
                                        ; implicit-def: $sgpr10
	s_and_saveexec_b64 s[8:9], s[6:7]
	s_xor_b64 s[6:7], exec, s[8:9]
	s_cbranch_execz .LBB1_5565
; %bb.41405:
	s_getpc_b64 s[14:15]
.Lpost_getpc6366:
	s_add_u32 s14, s14, (.LBB1_19901-.Lpost_getpc6366)&4294967295
	s_addc_u32 s15, s15, (.LBB1_19901-.Lpost_getpc6366)>>32
	s_setpc_b64 s[14:15]
.LBB1_5565:
	s_or_saveexec_b64 s[6:7], s[6:7]
	v_mov_b32_e32 v6, s10
	s_xor_b64 exec, exec, s[6:7]
	s_cbranch_execz .LBB1_5566
; %bb.41407:
	s_getpc_b64 s[14:15]
.Lpost_getpc6367:
	s_add_u32 s14, s14, (.LBB1_19904-.Lpost_getpc6367)&4294967295
	s_addc_u32 s15, s15, (.LBB1_19904-.Lpost_getpc6367)>>32
	s_setpc_b64 s[14:15]
.LBB1_5566:
	s_or_b64 exec, exec, s[6:7]
	s_and_saveexec_b64 s[6:7], s[4:5]
	s_cbranch_execz .LBB1_5568
.LBB1_5567:
	v_bfe_u32 v6, v3, 24, 3
	v_ffbh_u32_e32 v14, v6
	v_min_u32_e32 v14, 32, v14
	v_lshrrev_b32_e32 v12, 27, v3
	v_subrev_u32_e32 v15, 28, v14
	v_and_b32_e32 v7, 0x80000000, v3
	v_and_b32_e32 v12, 15, v12
	v_bfe_u32 v13, v3, 27, 4
	v_lshlrev_b32_sdwa v3, v15, v3 dst_sel:DWORD dst_unused:UNUSED_PAD src0_sel:DWORD src1_sel:BYTE_3
	v_sub_u32_e32 v14, 29, v14
	v_and_b32_e32 v3, 7, v3
	v_cmp_eq_u16_e32 vcc, 0, v12
	v_cndmask_b32_e32 v3, v6, v3, vcc
	v_cndmask_b32_e32 v6, v13, v14, vcc
	v_mov_b32_e32 v12, 0x3b800000
	v_lshlrev_b32_e32 v3, 20, v3
	v_lshl_add_u32 v6, v6, 23, v12
	v_or3_b32 v6, v7, v6, v3
.LBB1_5568:
	s_or_b64 exec, exec, s[6:7]
	s_nop 0
	v_mfma_f32_16x16x4f32 a[0:3], v2, v6, a[0:3]
	s_movk_i32 s4, 0x7f
	v_cmp_gt_i16_sdwa s[6:7], v8, s4 src0_sel:BYTE_0 src1_sel:DWORD
	s_mov_b64 s[4:5], 0
                                        ; implicit-def: $sgpr10
	s_and_saveexec_b64 s[8:9], s[6:7]
	s_xor_b64 s[6:7], exec, s[8:9]
	s_cbranch_execz .LBB1_5569
; %bb.41409:
	s_getpc_b64 s[14:15]
.Lpost_getpc6368:
	s_add_u32 s14, s14, (.LBB1_19905-.Lpost_getpc6368)&4294967295
	s_addc_u32 s15, s15, (.LBB1_19905-.Lpost_getpc6368)>>32
	s_setpc_b64 s[14:15]
.LBB1_5569:
	s_or_saveexec_b64 s[6:7], s[6:7]
	v_mov_b32_e32 v2, s10
	s_xor_b64 exec, exec, s[6:7]
	s_cbranch_execz .LBB1_5570
; %bb.41411:
	s_getpc_b64 s[14:15]
.Lpost_getpc6369:
	s_add_u32 s14, s14, (.LBB1_19908-.Lpost_getpc6369)&4294967295
	s_addc_u32 s15, s15, (.LBB1_19908-.Lpost_getpc6369)>>32
	s_setpc_b64 s[14:15]
.LBB1_5570:
	s_or_b64 exec, exec, s[6:7]
	s_and_saveexec_b64 s[6:7], s[4:5]
	s_cbranch_execz .LBB1_5572
.LBB1_5571:
	v_and_b32_e32 v2, 7, v8
	v_ffbh_u32_e32 v6, v2
	v_min_u32_e32 v6, 32, v6
	v_lshrrev_b16_e32 v3, 3, v8
	v_subrev_u32_e32 v7, 28, v6
	v_and_b32_e32 v3, 15, v3
	v_lshlrev_b32_e32 v7, v7, v8
	v_sub_u32_e32 v6, 29, v6
	v_and_b32_e32 v7, 7, v7
	v_cmp_eq_u16_e32 vcc, 0, v3
	v_cndmask_b32_e32 v2, v2, v7, vcc
	v_cndmask_b32_e32 v3, v3, v6, vcc
	v_lshlrev_b32_e32 v6, 24, v8
	v_mov_b32_e32 v7, 0x3b800000
	v_lshlrev_b32_e32 v2, 20, v2
	v_and_b32_e32 v6, 0x80000000, v6
	v_lshl_add_u32 v3, v3, 23, v7
	v_or3_b32 v2, v6, v3, v2
.LBB1_5572:
	s_or_b64 exec, exec, s[6:7]
	s_movk_i32 s4, 0x7f
	v_cmp_gt_i16_sdwa s[6:7], v4, s4 src0_sel:BYTE_0 src1_sel:DWORD
	s_mov_b64 s[4:5], 0
                                        ; implicit-def: $sgpr10
	s_and_saveexec_b64 s[8:9], s[6:7]
	s_xor_b64 s[6:7], exec, s[8:9]
	s_cbranch_execz .LBB1_5573
; %bb.41413:
	s_getpc_b64 s[14:15]
.Lpost_getpc6370:
	s_add_u32 s14, s14, (.LBB1_19909-.Lpost_getpc6370)&4294967295
	s_addc_u32 s15, s15, (.LBB1_19909-.Lpost_getpc6370)>>32
	s_setpc_b64 s[14:15]
.LBB1_5573:
	s_or_saveexec_b64 s[6:7], s[6:7]
	v_mov_b32_e32 v3, s10
	s_xor_b64 exec, exec, s[6:7]
	s_cbranch_execz .LBB1_5574
; %bb.41415:
	s_getpc_b64 s[14:15]
.Lpost_getpc6371:
	s_add_u32 s14, s14, (.LBB1_19912-.Lpost_getpc6371)&4294967295
	s_addc_u32 s15, s15, (.LBB1_19912-.Lpost_getpc6371)>>32
	s_setpc_b64 s[14:15]
.LBB1_5574:
	s_or_b64 exec, exec, s[6:7]
	s_and_saveexec_b64 s[6:7], s[4:5]
	s_cbranch_execz .LBB1_5576
.LBB1_5575:
	v_and_b32_e32 v3, 7, v4
	v_ffbh_u32_e32 v7, v3
	v_min_u32_e32 v7, 32, v7
	v_lshrrev_b16_e32 v6, 3, v4
	v_subrev_u32_e32 v12, 28, v7
	v_and_b32_e32 v6, 15, v6
	v_lshlrev_b32_e32 v12, v12, v4
	v_sub_u32_e32 v7, 29, v7
	v_and_b32_e32 v12, 7, v12
	v_cmp_eq_u16_e32 vcc, 0, v6
	v_cndmask_b32_e32 v3, v3, v12, vcc
	v_cndmask_b32_e32 v6, v6, v7, vcc
	v_lshlrev_b32_e32 v7, 24, v4
	v_mov_b32_e32 v12, 0x3b800000
	v_lshlrev_b32_e32 v3, 20, v3
	v_and_b32_e32 v7, 0x80000000, v7
	v_lshl_add_u32 v6, v6, 23, v12
	v_or3_b32 v3, v7, v6, v3
.LBB1_5576:
	s_or_b64 exec, exec, s[6:7]
	s_nop 0
	v_mfma_f32_16x16x4f32 a[0:3], v2, v3, a[0:3]
	v_lshrrev_b32_e32 v3, 8, v8
	s_movk_i32 s4, 0x7f
	v_cmp_gt_i16_sdwa s[6:7], v3, s4 src0_sel:BYTE_0 src1_sel:DWORD
	s_mov_b64 s[4:5], 0
                                        ; implicit-def: $sgpr10
	s_and_saveexec_b64 s[8:9], s[6:7]
	s_xor_b64 s[6:7], exec, s[8:9]
	s_cbranch_execz .LBB1_5577
; %bb.41417:
	s_getpc_b64 s[14:15]
.Lpost_getpc6372:
	s_add_u32 s14, s14, (.LBB1_19913-.Lpost_getpc6372)&4294967295
	s_addc_u32 s15, s15, (.LBB1_19913-.Lpost_getpc6372)>>32
	s_setpc_b64 s[14:15]
.LBB1_5577:
	s_or_saveexec_b64 s[6:7], s[6:7]
	v_mov_b32_e32 v2, s10
	s_xor_b64 exec, exec, s[6:7]
	s_cbranch_execz .LBB1_5578
; %bb.41419:
	s_getpc_b64 s[14:15]
.Lpost_getpc6373:
	s_add_u32 s14, s14, (.LBB1_19916-.Lpost_getpc6373)&4294967295
	s_addc_u32 s15, s15, (.LBB1_19916-.Lpost_getpc6373)>>32
	s_setpc_b64 s[14:15]
.LBB1_5578:
	s_or_b64 exec, exec, s[6:7]
	s_and_saveexec_b64 s[6:7], s[4:5]
	s_cbranch_execz .LBB1_5580
.LBB1_5579:
	v_bfe_u32 v2, v8, 8, 3
	v_ffbh_u32_e32 v7, v2
	v_min_u32_e32 v7, 32, v7
	v_lshrrev_b16_e32 v6, 3, v3
	v_subrev_u32_e32 v12, 28, v7
	v_and_b32_e32 v6, 15, v6
	v_lshlrev_b32_e32 v3, v12, v3
	v_sub_u32_e32 v7, 29, v7
	v_and_b32_e32 v3, 7, v3
	v_cmp_eq_u16_e32 vcc, 0, v6
	v_cndmask_b32_e32 v2, v2, v3, vcc
	v_cndmask_b32_e32 v3, v6, v7, vcc
	v_lshlrev_b32_e32 v6, 16, v8
	v_mov_b32_e32 v7, 0x3b800000
	v_lshlrev_b32_e32 v2, 20, v2
	v_and_b32_e32 v6, 0x80000000, v6
	v_lshl_add_u32 v3, v3, 23, v7
	v_or3_b32 v2, v6, v3, v2
.LBB1_5580:
	s_or_b64 exec, exec, s[6:7]
	v_lshrrev_b32_e32 v3, 8, v4
	s_movk_i32 s4, 0x7f
	v_cmp_gt_i16_sdwa s[6:7], v3, s4 src0_sel:BYTE_0 src1_sel:DWORD
	s_mov_b64 s[4:5], 0
                                        ; implicit-def: $sgpr10
	s_and_saveexec_b64 s[8:9], s[6:7]
	s_xor_b64 s[6:7], exec, s[8:9]
	s_cbranch_execz .LBB1_5581
; %bb.41421:
	s_getpc_b64 s[14:15]
.Lpost_getpc6374:
	s_add_u32 s14, s14, (.LBB1_19917-.Lpost_getpc6374)&4294967295
	s_addc_u32 s15, s15, (.LBB1_19917-.Lpost_getpc6374)>>32
	s_setpc_b64 s[14:15]
.LBB1_5581:
	s_or_saveexec_b64 s[6:7], s[6:7]
	v_mov_b32_e32 v6, s10
	s_xor_b64 exec, exec, s[6:7]
	s_cbranch_execz .LBB1_5582
; %bb.41423:
	s_getpc_b64 s[14:15]
.Lpost_getpc6375:
	s_add_u32 s14, s14, (.LBB1_19920-.Lpost_getpc6375)&4294967295
	s_addc_u32 s15, s15, (.LBB1_19920-.Lpost_getpc6375)>>32
	s_setpc_b64 s[14:15]
.LBB1_5582:
	s_or_b64 exec, exec, s[6:7]
	s_and_saveexec_b64 s[6:7], s[4:5]
	s_cbranch_execz .LBB1_5584
.LBB1_5583:
	v_bfe_u32 v6, v4, 8, 3
	v_ffbh_u32_e32 v12, v6
	v_min_u32_e32 v12, 32, v12
	v_lshrrev_b16_e32 v7, 3, v3
	v_subrev_u32_e32 v13, 28, v12
	v_and_b32_e32 v7, 15, v7
	v_lshlrev_b32_e32 v3, v13, v3
	v_sub_u32_e32 v12, 29, v12
	v_and_b32_e32 v3, 7, v3
	v_cmp_eq_u16_e32 vcc, 0, v7
	v_cndmask_b32_e32 v3, v6, v3, vcc
	v_cndmask_b32_e32 v6, v7, v12, vcc
	v_lshlrev_b32_e32 v7, 16, v4
	v_mov_b32_e32 v12, 0x3b800000
	v_lshlrev_b32_e32 v3, 20, v3
	v_and_b32_e32 v7, 0x80000000, v7
	v_lshl_add_u32 v6, v6, 23, v12
	v_or3_b32 v6, v7, v6, v3
.LBB1_5584:
	s_or_b64 exec, exec, s[6:7]
	s_nop 0
	v_mfma_f32_16x16x4f32 a[0:3], v2, v6, a[0:3]
	s_movk_i32 s4, 0xff
	v_and_b32_sdwa v3, v8, s4 dst_sel:DWORD dst_unused:UNUSED_PAD src0_sel:WORD_1 src1_sel:DWORD
	s_movk_i32 s4, 0x7f
	v_cmp_lt_i16_e32 vcc, s4, v3
	s_mov_b64 s[4:5], 0
                                        ; implicit-def: $sgpr10
	s_and_saveexec_b64 s[6:7], vcc
	s_xor_b64 s[6:7], exec, s[6:7]
	s_cbranch_execz .LBB1_5585
; %bb.41425:
	s_getpc_b64 s[14:15]
.Lpost_getpc6376:
	s_add_u32 s14, s14, (.LBB1_19921-.Lpost_getpc6376)&4294967295
	s_addc_u32 s15, s15, (.LBB1_19921-.Lpost_getpc6376)>>32
	s_setpc_b64 s[14:15]
.LBB1_5585:
	s_or_saveexec_b64 s[6:7], s[6:7]
	v_mov_b32_e32 v2, s10
	s_xor_b64 exec, exec, s[6:7]
	s_cbranch_execz .LBB1_5586
; %bb.41427:
	s_getpc_b64 s[14:15]
.Lpost_getpc6377:
	s_add_u32 s14, s14, (.LBB1_19924-.Lpost_getpc6377)&4294967295
	s_addc_u32 s15, s15, (.LBB1_19924-.Lpost_getpc6377)>>32
	s_setpc_b64 s[14:15]
.LBB1_5586:
	s_or_b64 exec, exec, s[6:7]
	s_and_saveexec_b64 s[6:7], s[4:5]
	s_cbranch_execz .LBB1_5588
.LBB1_5587:
	v_bfe_u32 v2, v8, 16, 3
	v_ffbh_u32_e32 v7, v2
	v_min_u32_e32 v7, 32, v7
	v_lshrrev_b32_e32 v3, 19, v8
	v_subrev_u32_e32 v12, 28, v7
	v_and_b32_e32 v3, 15, v3
	v_lshlrev_b32_sdwa v12, v12, v8 dst_sel:DWORD dst_unused:UNUSED_PAD src0_sel:DWORD src1_sel:WORD_1
	v_bfe_u32 v6, v8, 19, 4
	v_sub_u32_e32 v7, 29, v7
	v_and_b32_e32 v12, 7, v12
	v_cmp_eq_u16_e32 vcc, 0, v3
	v_cndmask_b32_e32 v2, v2, v12, vcc
	v_cndmask_b32_e32 v3, v6, v7, vcc
	v_lshlrev_b32_e32 v6, 8, v8
	v_mov_b32_e32 v7, 0x3b800000
	v_lshlrev_b32_e32 v2, 20, v2
	v_and_b32_e32 v6, 0x80000000, v6
	v_lshl_add_u32 v3, v3, 23, v7
	v_or3_b32 v2, v6, v3, v2
.LBB1_5588:
	s_or_b64 exec, exec, s[6:7]
	s_movk_i32 s4, 0xff
	v_and_b32_sdwa v3, v4, s4 dst_sel:DWORD dst_unused:UNUSED_PAD src0_sel:WORD_1 src1_sel:DWORD
	s_movk_i32 s4, 0x7f
	v_cmp_lt_i16_e32 vcc, s4, v3
	s_mov_b64 s[4:5], 0
                                        ; implicit-def: $sgpr10
	s_and_saveexec_b64 s[6:7], vcc
	s_xor_b64 s[6:7], exec, s[6:7]
	s_cbranch_execz .LBB1_5589
; %bb.41429:
	s_getpc_b64 s[14:15]
.Lpost_getpc6378:
	s_add_u32 s14, s14, (.LBB1_19925-.Lpost_getpc6378)&4294967295
	s_addc_u32 s15, s15, (.LBB1_19925-.Lpost_getpc6378)>>32
	s_setpc_b64 s[14:15]
.LBB1_5589:
	s_or_saveexec_b64 s[6:7], s[6:7]
	v_mov_b32_e32 v6, s10
	s_xor_b64 exec, exec, s[6:7]
	s_cbranch_execz .LBB1_5590
; %bb.41431:
	s_getpc_b64 s[14:15]
.Lpost_getpc6379:
	s_add_u32 s14, s14, (.LBB1_19928-.Lpost_getpc6379)&4294967295
	s_addc_u32 s15, s15, (.LBB1_19928-.Lpost_getpc6379)>>32
	s_setpc_b64 s[14:15]
.LBB1_5590:
	s_or_b64 exec, exec, s[6:7]
	s_and_saveexec_b64 s[6:7], s[4:5]
	s_cbranch_execz .LBB1_5592
.LBB1_5591:
	v_bfe_u32 v3, v4, 16, 3
	v_ffbh_u32_e32 v12, v3
	v_min_u32_e32 v12, 32, v12
	v_lshrrev_b32_e32 v6, 19, v4
	v_subrev_u32_e32 v13, 28, v12
	v_and_b32_e32 v6, 15, v6
	v_lshlrev_b32_sdwa v13, v13, v4 dst_sel:DWORD dst_unused:UNUSED_PAD src0_sel:DWORD src1_sel:WORD_1
	v_bfe_u32 v7, v4, 19, 4
	v_sub_u32_e32 v12, 29, v12
	v_and_b32_e32 v13, 7, v13
	v_cmp_eq_u16_e32 vcc, 0, v6
	v_cndmask_b32_e32 v3, v3, v13, vcc
	v_cndmask_b32_e32 v6, v7, v12, vcc
	v_lshlrev_b32_e32 v7, 8, v4
	v_mov_b32_e32 v12, 0x3b800000
	v_lshlrev_b32_e32 v3, 20, v3
	v_and_b32_e32 v7, 0x80000000, v7
	v_lshl_add_u32 v6, v6, 23, v12
	v_or3_b32 v6, v7, v6, v3
.LBB1_5592:
	s_or_b64 exec, exec, s[6:7]
	s_nop 0
	v_mfma_f32_16x16x4f32 a[0:3], v2, v6, a[0:3]
	s_movk_i32 s4, 0x7f
	v_cmp_gt_i16_sdwa s[6:7], v8, s4 src0_sel:BYTE_3 src1_sel:DWORD
	s_mov_b64 s[4:5], 0
                                        ; implicit-def: $sgpr10
	s_and_saveexec_b64 s[8:9], s[6:7]
	s_xor_b64 s[6:7], exec, s[8:9]
	s_cbranch_execz .LBB1_5593
; %bb.41433:
	s_getpc_b64 s[14:15]
.Lpost_getpc6380:
	s_add_u32 s14, s14, (.LBB1_19929-.Lpost_getpc6380)&4294967295
	s_addc_u32 s15, s15, (.LBB1_19929-.Lpost_getpc6380)>>32
	s_setpc_b64 s[14:15]
.LBB1_5593:
	s_or_saveexec_b64 s[6:7], s[6:7]
	v_mov_b32_e32 v2, s10
	s_xor_b64 exec, exec, s[6:7]
	s_cbranch_execz .LBB1_5594
; %bb.41435:
	s_getpc_b64 s[14:15]
.Lpost_getpc6381:
	s_add_u32 s14, s14, (.LBB1_19932-.Lpost_getpc6381)&4294967295
	s_addc_u32 s15, s15, (.LBB1_19932-.Lpost_getpc6381)>>32
	s_setpc_b64 s[14:15]
.LBB1_5594:
	s_or_b64 exec, exec, s[6:7]
	s_and_saveexec_b64 s[6:7], s[4:5]
	s_cbranch_execz .LBB1_5596
.LBB1_5595:
	v_bfe_u32 v2, v8, 24, 3
	v_ffbh_u32_e32 v12, v2
	v_min_u32_e32 v12, 32, v12
	v_lshrrev_b32_e32 v6, 27, v8
	v_subrev_u32_e32 v13, 28, v12
	v_and_b32_e32 v3, 0x80000000, v8
	v_and_b32_e32 v6, 15, v6
	v_bfe_u32 v7, v8, 27, 4
	v_lshlrev_b32_sdwa v8, v13, v8 dst_sel:DWORD dst_unused:UNUSED_PAD src0_sel:DWORD src1_sel:BYTE_3
	v_sub_u32_e32 v12, 29, v12
	v_and_b32_e32 v8, 7, v8
	v_cmp_eq_u16_e32 vcc, 0, v6
	v_cndmask_b32_e32 v2, v2, v8, vcc
	v_cndmask_b32_e32 v6, v7, v12, vcc
	v_mov_b32_e32 v7, 0x3b800000
	v_lshlrev_b32_e32 v2, 20, v2
	v_lshl_add_u32 v6, v6, 23, v7
	v_or3_b32 v2, v3, v6, v2
.LBB1_5596:
	s_or_b64 exec, exec, s[6:7]
	s_movk_i32 s4, 0x7f
	v_cmp_gt_i16_sdwa s[6:7], v4, s4 src0_sel:BYTE_3 src1_sel:DWORD
	s_mov_b64 s[4:5], 0
                                        ; implicit-def: $sgpr10
	s_and_saveexec_b64 s[8:9], s[6:7]
	s_xor_b64 s[6:7], exec, s[8:9]
	s_cbranch_execz .LBB1_5597
; %bb.41437:
	s_getpc_b64 s[14:15]
.Lpost_getpc6382:
	s_add_u32 s14, s14, (.LBB1_19933-.Lpost_getpc6382)&4294967295
	s_addc_u32 s15, s15, (.LBB1_19933-.Lpost_getpc6382)>>32
	s_setpc_b64 s[14:15]
.LBB1_5597:
	s_or_saveexec_b64 s[6:7], s[6:7]
	v_mov_b32_e32 v3, s10
	s_xor_b64 exec, exec, s[6:7]
	s_cbranch_execz .LBB1_5598
; %bb.41439:
	s_getpc_b64 s[14:15]
.Lpost_getpc6383:
	s_add_u32 s14, s14, (.LBB1_19936-.Lpost_getpc6383)&4294967295
	s_addc_u32 s15, s15, (.LBB1_19936-.Lpost_getpc6383)>>32
	s_setpc_b64 s[14:15]
.LBB1_5598:
	s_or_b64 exec, exec, s[6:7]
	s_and_saveexec_b64 s[6:7], s[4:5]
	s_cbranch_execz .LBB1_5600
.LBB1_5599:
	v_bfe_u32 v3, v4, 24, 3
	v_ffbh_u32_e32 v12, v3
	v_min_u32_e32 v12, 32, v12
	v_lshrrev_b32_e32 v7, 27, v4
	v_subrev_u32_e32 v13, 28, v12
	v_and_b32_e32 v6, 0x80000000, v4
	v_and_b32_e32 v7, 15, v7
	v_bfe_u32 v8, v4, 27, 4
	v_lshlrev_b32_sdwa v4, v13, v4 dst_sel:DWORD dst_unused:UNUSED_PAD src0_sel:DWORD src1_sel:BYTE_3
	v_sub_u32_e32 v12, 29, v12
	v_and_b32_e32 v4, 7, v4
	v_cmp_eq_u16_e32 vcc, 0, v7
	v_cndmask_b32_e32 v3, v3, v4, vcc
	v_cndmask_b32_e32 v4, v8, v12, vcc
	v_mov_b32_e32 v7, 0x3b800000
	v_lshlrev_b32_e32 v3, 20, v3
	v_lshl_add_u32 v4, v4, 23, v7
	v_or3_b32 v3, v6, v4, v3
.LBB1_5600:
	s_or_b64 exec, exec, s[6:7]
	s_nop 0
	v_mfma_f32_16x16x4f32 a[0:3], v2, v3, a[0:3]
	s_movk_i32 s4, 0x7f
	v_cmp_gt_i16_sdwa s[6:7], v9, s4 src0_sel:BYTE_0 src1_sel:DWORD
	s_mov_b64 s[4:5], 0
                                        ; implicit-def: $sgpr10
	s_and_saveexec_b64 s[8:9], s[6:7]
	s_xor_b64 s[6:7], exec, s[8:9]
	s_cbranch_execz .LBB1_5601
; %bb.41441:
	s_getpc_b64 s[14:15]
.Lpost_getpc6384:
	s_add_u32 s14, s14, (.LBB1_19937-.Lpost_getpc6384)&4294967295
	s_addc_u32 s15, s15, (.LBB1_19937-.Lpost_getpc6384)>>32
	s_setpc_b64 s[14:15]
.LBB1_5601:
	s_or_saveexec_b64 s[6:7], s[6:7]
	v_mov_b32_e32 v2, s10
	s_xor_b64 exec, exec, s[6:7]
	s_cbranch_execz .LBB1_5602
; %bb.41443:
	s_getpc_b64 s[14:15]
.Lpost_getpc6385:
	s_add_u32 s14, s14, (.LBB1_19940-.Lpost_getpc6385)&4294967295
	s_addc_u32 s15, s15, (.LBB1_19940-.Lpost_getpc6385)>>32
	s_setpc_b64 s[14:15]
.LBB1_5602:
	s_or_b64 exec, exec, s[6:7]
	s_and_saveexec_b64 s[6:7], s[4:5]
	s_cbranch_execz .LBB1_5604
.LBB1_5603:
	v_mov_b32_e32 v2, 8
	v_and_b32_e32 v3, 7, v9
	v_lshrrev_b32_sdwa v2, v2, v9 dst_sel:BYTE_1 dst_unused:UNUSED_PAD src0_sel:DWORD src1_sel:DWORD
	v_ffbh_u32_e32 v4, v3
	v_or_b32_sdwa v2, v9, v2 dst_sel:DWORD dst_unused:UNUSED_PAD src0_sel:BYTE_0 src1_sel:DWORD
	v_min_u32_e32 v4, 32, v4
	v_lshrrev_b16_e32 v2, 3, v2
	v_subrev_u32_e32 v6, 28, v4
	v_and_b32_e32 v2, 15, v2
	v_lshlrev_b32_e32 v6, v6, v9
	v_sub_u32_e32 v4, 29, v4
	v_and_b32_e32 v6, 7, v6
	v_cmp_eq_u16_e32 vcc, 0, v2
	v_cndmask_b32_e32 v3, v3, v6, vcc
	v_cndmask_b32_e32 v2, v2, v4, vcc
	v_lshlrev_b32_e32 v4, 24, v9
	v_mov_b32_e32 v6, 0x3b800000
	v_lshlrev_b32_e32 v3, 20, v3
	v_and_b32_e32 v4, 0x80000000, v4
	v_lshl_add_u32 v2, v2, 23, v6
	v_or3_b32 v2, v4, v2, v3
.LBB1_5604:
	s_or_b64 exec, exec, s[6:7]
	s_movk_i32 s4, 0x7f
	v_cmp_gt_i16_sdwa s[6:7], v5, s4 src0_sel:BYTE_0 src1_sel:DWORD
	s_mov_b64 s[4:5], 0
                                        ; implicit-def: $sgpr10
	s_and_saveexec_b64 s[8:9], s[6:7]
	s_xor_b64 s[6:7], exec, s[8:9]
	s_cbranch_execz .LBB1_5605
; %bb.41445:
	s_getpc_b64 s[14:15]
.Lpost_getpc6386:
	s_add_u32 s14, s14, (.LBB1_19941-.Lpost_getpc6386)&4294967295
	s_addc_u32 s15, s15, (.LBB1_19941-.Lpost_getpc6386)>>32
	s_setpc_b64 s[14:15]
.LBB1_5605:
	s_or_saveexec_b64 s[6:7], s[6:7]
	v_mov_b32_e32 v3, s10
	s_xor_b64 exec, exec, s[6:7]
	s_cbranch_execz .LBB1_5606
; %bb.41447:
	s_getpc_b64 s[14:15]
.Lpost_getpc6387:
	s_add_u32 s14, s14, (.LBB1_19944-.Lpost_getpc6387)&4294967295
	s_addc_u32 s15, s15, (.LBB1_19944-.Lpost_getpc6387)>>32
	s_setpc_b64 s[14:15]
.LBB1_5606:
	s_or_b64 exec, exec, s[6:7]
	s_and_saveexec_b64 s[6:7], s[4:5]
	s_cbranch_execz .LBB1_5608
.LBB1_5607:
	v_mov_b32_e32 v3, 8
	v_and_b32_e32 v4, 7, v5
	v_lshrrev_b32_sdwa v3, v3, v5 dst_sel:BYTE_1 dst_unused:UNUSED_PAD src0_sel:DWORD src1_sel:DWORD
	v_ffbh_u32_e32 v6, v4
	v_or_b32_sdwa v3, v5, v3 dst_sel:DWORD dst_unused:UNUSED_PAD src0_sel:BYTE_0 src1_sel:DWORD
	v_min_u32_e32 v6, 32, v6
	v_lshrrev_b16_e32 v3, 3, v3
	v_subrev_u32_e32 v7, 28, v6
	v_and_b32_e32 v3, 15, v3
	v_lshlrev_b32_e32 v7, v7, v5
	v_sub_u32_e32 v6, 29, v6
	v_and_b32_e32 v7, 7, v7
	v_cmp_eq_u16_e32 vcc, 0, v3
	v_cndmask_b32_e32 v4, v4, v7, vcc
	v_cndmask_b32_e32 v3, v3, v6, vcc
	v_lshlrev_b32_e32 v6, 24, v5
	v_mov_b32_e32 v7, 0x3b800000
	v_lshlrev_b32_e32 v4, 20, v4
	v_and_b32_e32 v6, 0x80000000, v6
	v_lshl_add_u32 v3, v3, 23, v7
	v_or3_b32 v3, v6, v3, v4
.LBB1_5608:
	s_or_b64 exec, exec, s[6:7]
	s_nop 0
	v_mfma_f32_16x16x4f32 a[0:3], v2, v3, a[0:3]
	v_lshrrev_b32_e32 v3, 8, v9
	s_movk_i32 s4, 0x7f
	v_cmp_gt_i16_sdwa s[6:7], v3, s4 src0_sel:BYTE_0 src1_sel:DWORD
	s_mov_b64 s[4:5], 0
                                        ; implicit-def: $sgpr10
	s_and_saveexec_b64 s[8:9], s[6:7]
	s_xor_b64 s[6:7], exec, s[8:9]
	s_cbranch_execz .LBB1_5609
; %bb.41449:
	s_getpc_b64 s[14:15]
.Lpost_getpc6388:
	s_add_u32 s14, s14, (.LBB1_19945-.Lpost_getpc6388)&4294967295
	s_addc_u32 s15, s15, (.LBB1_19945-.Lpost_getpc6388)>>32
	s_setpc_b64 s[14:15]
.LBB1_5609:
	s_or_saveexec_b64 s[6:7], s[6:7]
	v_mov_b32_e32 v2, s10
	s_xor_b64 exec, exec, s[6:7]
	s_cbranch_execz .LBB1_5610
; %bb.41451:
	s_getpc_b64 s[14:15]
.Lpost_getpc6389:
	s_add_u32 s14, s14, (.LBB1_19948-.Lpost_getpc6389)&4294967295
	s_addc_u32 s15, s15, (.LBB1_19948-.Lpost_getpc6389)>>32
	s_setpc_b64 s[14:15]
.LBB1_5610:
	s_or_b64 exec, exec, s[6:7]
	s_and_saveexec_b64 s[6:7], s[4:5]
	s_cbranch_execz .LBB1_5612
.LBB1_5611:
	v_bfe_u32 v2, v9, 8, 3
	v_ffbh_u32_e32 v6, v2
	v_min_u32_e32 v6, 32, v6
	v_lshrrev_b16_e32 v4, 3, v3
	v_subrev_u32_e32 v7, 28, v6
	v_and_b32_e32 v4, 15, v4
	v_lshlrev_b32_e32 v3, v7, v3
	v_sub_u32_e32 v6, 29, v6
	v_and_b32_e32 v3, 7, v3
	v_cmp_eq_u16_e32 vcc, 0, v4
	v_cndmask_b32_e32 v2, v2, v3, vcc
	v_cndmask_b32_e32 v3, v4, v6, vcc
	v_lshlrev_b32_e32 v4, 16, v9
	v_mov_b32_e32 v6, 0x3b800000
	v_lshlrev_b32_e32 v2, 20, v2
	v_and_b32_e32 v4, 0x80000000, v4
	v_lshl_add_u32 v3, v3, 23, v6
	v_or3_b32 v2, v4, v3, v2
.LBB1_5612:
	s_or_b64 exec, exec, s[6:7]
	v_lshrrev_b32_e32 v3, 8, v5
	s_movk_i32 s4, 0x7f
	v_cmp_gt_i16_sdwa s[6:7], v3, s4 src0_sel:BYTE_0 src1_sel:DWORD
	s_mov_b64 s[4:5], 0
                                        ; implicit-def: $sgpr10
	s_and_saveexec_b64 s[8:9], s[6:7]
	s_xor_b64 s[6:7], exec, s[8:9]
	s_cbranch_execz .LBB1_5613
; %bb.41453:
	s_getpc_b64 s[14:15]
.Lpost_getpc6390:
	s_add_u32 s14, s14, (.LBB1_19949-.Lpost_getpc6390)&4294967295
	s_addc_u32 s15, s15, (.LBB1_19949-.Lpost_getpc6390)>>32
	s_setpc_b64 s[14:15]
.LBB1_5613:
	s_or_saveexec_b64 s[6:7], s[6:7]
	v_mov_b32_e32 v4, s10
	s_xor_b64 exec, exec, s[6:7]
	s_cbranch_execz .LBB1_5614
; %bb.41455:
	s_getpc_b64 s[14:15]
.Lpost_getpc6391:
	s_add_u32 s14, s14, (.LBB1_19952-.Lpost_getpc6391)&4294967295
	s_addc_u32 s15, s15, (.LBB1_19952-.Lpost_getpc6391)>>32
	s_setpc_b64 s[14:15]
.LBB1_5614:
	s_or_b64 exec, exec, s[6:7]
	s_and_saveexec_b64 s[6:7], s[4:5]
	s_cbranch_execz .LBB1_5616
.LBB1_5615:
	v_bfe_u32 v4, v5, 8, 3
	v_ffbh_u32_e32 v7, v4
	v_min_u32_e32 v7, 32, v7
	v_lshrrev_b16_e32 v6, 3, v3
	v_subrev_u32_e32 v8, 28, v7
	v_and_b32_e32 v6, 15, v6
	v_lshlrev_b32_e32 v3, v8, v3
	v_sub_u32_e32 v7, 29, v7
	v_and_b32_e32 v3, 7, v3
	v_cmp_eq_u16_e32 vcc, 0, v6
	v_cndmask_b32_e32 v3, v4, v3, vcc
	v_cndmask_b32_e32 v4, v6, v7, vcc
	v_lshlrev_b32_e32 v6, 16, v5
	v_mov_b32_e32 v7, 0x3b800000
	v_lshlrev_b32_e32 v3, 20, v3
	v_and_b32_e32 v6, 0x80000000, v6
	v_lshl_add_u32 v4, v4, 23, v7
	v_or3_b32 v4, v6, v4, v3
.LBB1_5616:
	s_or_b64 exec, exec, s[6:7]
	s_nop 0
	v_mfma_f32_16x16x4f32 a[0:3], v2, v4, a[0:3]
	s_movk_i32 s4, 0xff
	v_and_b32_sdwa v3, v9, s4 dst_sel:DWORD dst_unused:UNUSED_PAD src0_sel:WORD_1 src1_sel:DWORD
	s_movk_i32 s4, 0x7f
	v_cmp_lt_i16_e32 vcc, s4, v3
	s_mov_b64 s[4:5], 0
                                        ; implicit-def: $sgpr10
	s_and_saveexec_b64 s[6:7], vcc
	s_xor_b64 s[6:7], exec, s[6:7]
	s_cbranch_execz .LBB1_5617
; %bb.41457:
	s_getpc_b64 s[14:15]
.Lpost_getpc6392:
	s_add_u32 s14, s14, (.LBB1_19953-.Lpost_getpc6392)&4294967295
	s_addc_u32 s15, s15, (.LBB1_19953-.Lpost_getpc6392)>>32
	s_setpc_b64 s[14:15]
.LBB1_5617:
	s_or_saveexec_b64 s[6:7], s[6:7]
	v_mov_b32_e32 v2, s10
	s_xor_b64 exec, exec, s[6:7]
	s_cbranch_execz .LBB1_5618
; %bb.41459:
	s_getpc_b64 s[14:15]
.Lpost_getpc6393:
	s_add_u32 s14, s14, (.LBB1_19956-.Lpost_getpc6393)&4294967295
	s_addc_u32 s15, s15, (.LBB1_19956-.Lpost_getpc6393)>>32
	s_setpc_b64 s[14:15]
.LBB1_5618:
	s_or_b64 exec, exec, s[6:7]
	s_and_saveexec_b64 s[6:7], s[4:5]
	s_cbranch_execz .LBB1_5620
.LBB1_5619:
	v_bfe_u32 v2, v9, 16, 3
	v_ffbh_u32_e32 v6, v2
	v_min_u32_e32 v6, 32, v6
	v_lshrrev_b32_e32 v3, 19, v9
	v_subrev_u32_e32 v7, 28, v6
	v_and_b32_e32 v3, 15, v3
	v_lshlrev_b32_sdwa v7, v7, v9 dst_sel:DWORD dst_unused:UNUSED_PAD src0_sel:DWORD src1_sel:WORD_1
	v_bfe_u32 v4, v9, 19, 4
	v_sub_u32_e32 v6, 29, v6
	v_and_b32_e32 v7, 7, v7
	v_cmp_eq_u16_e32 vcc, 0, v3
	v_cndmask_b32_e32 v2, v2, v7, vcc
	v_cndmask_b32_e32 v3, v4, v6, vcc
	v_lshlrev_b32_e32 v4, 8, v9
	v_mov_b32_e32 v6, 0x3b800000
	v_lshlrev_b32_e32 v2, 20, v2
	v_and_b32_e32 v4, 0x80000000, v4
	v_lshl_add_u32 v3, v3, 23, v6
	v_or3_b32 v2, v4, v3, v2
.LBB1_5620:
	s_or_b64 exec, exec, s[6:7]
	s_movk_i32 s4, 0xff
	v_and_b32_sdwa v3, v5, s4 dst_sel:DWORD dst_unused:UNUSED_PAD src0_sel:WORD_1 src1_sel:DWORD
	s_movk_i32 s4, 0x7f
	v_cmp_lt_i16_e32 vcc, s4, v3
	s_mov_b64 s[4:5], 0
                                        ; implicit-def: $sgpr10
	s_and_saveexec_b64 s[6:7], vcc
	s_xor_b64 s[6:7], exec, s[6:7]
	s_cbranch_execz .LBB1_5621
; %bb.41461:
	s_getpc_b64 s[14:15]
.Lpost_getpc6394:
	s_add_u32 s14, s14, (.LBB1_19957-.Lpost_getpc6394)&4294967295
	s_addc_u32 s15, s15, (.LBB1_19957-.Lpost_getpc6394)>>32
	s_setpc_b64 s[14:15]
.LBB1_5621:
	s_or_saveexec_b64 s[6:7], s[6:7]
	v_mov_b32_e32 v4, s10
	s_xor_b64 exec, exec, s[6:7]
	s_cbranch_execz .LBB1_5622
; %bb.41463:
	s_getpc_b64 s[14:15]
.Lpost_getpc6395:
	s_add_u32 s14, s14, (.LBB1_19960-.Lpost_getpc6395)&4294967295
	s_addc_u32 s15, s15, (.LBB1_19960-.Lpost_getpc6395)>>32
	s_setpc_b64 s[14:15]
.LBB1_5622:
	s_or_b64 exec, exec, s[6:7]
	s_and_saveexec_b64 s[6:7], s[4:5]
	s_cbranch_execz .LBB1_5624
.LBB1_5623:
	v_bfe_u32 v3, v5, 16, 3
	v_ffbh_u32_e32 v7, v3
	v_min_u32_e32 v7, 32, v7
	v_lshrrev_b32_e32 v4, 19, v5
	v_subrev_u32_e32 v8, 28, v7
	v_and_b32_e32 v4, 15, v4
	v_lshlrev_b32_sdwa v8, v8, v5 dst_sel:DWORD dst_unused:UNUSED_PAD src0_sel:DWORD src1_sel:WORD_1
	v_bfe_u32 v6, v5, 19, 4
	v_sub_u32_e32 v7, 29, v7
	v_and_b32_e32 v8, 7, v8
	v_cmp_eq_u16_e32 vcc, 0, v4
	v_cndmask_b32_e32 v3, v3, v8, vcc
	v_cndmask_b32_e32 v4, v6, v7, vcc
	v_lshlrev_b32_e32 v6, 8, v5
	v_mov_b32_e32 v7, 0x3b800000
	v_lshlrev_b32_e32 v3, 20, v3
	v_and_b32_e32 v6, 0x80000000, v6
	v_lshl_add_u32 v4, v4, 23, v7
	v_or3_b32 v4, v6, v4, v3
.LBB1_5624:
	s_or_b64 exec, exec, s[6:7]
	s_nop 0
	v_mfma_f32_16x16x4f32 a[0:3], v2, v4, a[0:3]
	s_movk_i32 s4, 0x7f
	v_cmp_gt_i16_sdwa s[6:7], v9, s4 src0_sel:BYTE_3 src1_sel:DWORD
	s_mov_b64 s[4:5], 0
                                        ; implicit-def: $sgpr10
	s_and_saveexec_b64 s[8:9], s[6:7]
	s_xor_b64 s[6:7], exec, s[8:9]
	s_cbranch_execz .LBB1_5625
; %bb.41465:
	s_getpc_b64 s[14:15]
.Lpost_getpc6396:
	s_add_u32 s14, s14, (.LBB1_19961-.Lpost_getpc6396)&4294967295
	s_addc_u32 s15, s15, (.LBB1_19961-.Lpost_getpc6396)>>32
	s_setpc_b64 s[14:15]
.LBB1_5625:
	s_or_saveexec_b64 s[6:7], s[6:7]
	v_mov_b32_e32 v2, s10
	s_xor_b64 exec, exec, s[6:7]
	s_cbranch_execz .LBB1_5626
; %bb.41467:
	s_getpc_b64 s[14:15]
.Lpost_getpc6397:
	s_add_u32 s14, s14, (.LBB1_19964-.Lpost_getpc6397)&4294967295
	s_addc_u32 s15, s15, (.LBB1_19964-.Lpost_getpc6397)>>32
	s_setpc_b64 s[14:15]
.LBB1_5626:
	s_or_b64 exec, exec, s[6:7]
	s_and_saveexec_b64 s[6:7], s[4:5]
	s_cbranch_execz .LBB1_5628
.LBB1_5627:
	v_bfe_u32 v2, v9, 24, 3
	v_ffbh_u32_e32 v7, v2
	v_min_u32_e32 v7, 32, v7
	v_lshrrev_b32_e32 v4, 27, v9
	v_subrev_u32_e32 v8, 28, v7
	v_and_b32_e32 v4, 15, v4
	v_lshlrev_b32_sdwa v8, v8, v9 dst_sel:DWORD dst_unused:UNUSED_PAD src0_sel:DWORD src1_sel:BYTE_3
	v_bfe_u32 v6, v9, 27, 4
	v_sub_u32_e32 v7, 29, v7
	v_and_b32_e32 v8, 7, v8
	v_cmp_eq_u16_e32 vcc, 0, v4
	v_cndmask_b32_e32 v2, v2, v8, vcc
	v_cndmask_b32_e32 v4, v6, v7, vcc
	v_mov_b32_e32 v6, 0x3b800000
	v_and_b32_e32 v3, 0x80000000, v9
	v_lshlrev_b32_e32 v2, 20, v2
	v_lshl_add_u32 v4, v4, 23, v6
	v_or3_b32 v2, v3, v4, v2
.LBB1_5628:
	s_or_b64 exec, exec, s[6:7]
	s_movk_i32 s4, 0x7f
	v_cmp_gt_i16_sdwa s[6:7], v5, s4 src0_sel:BYTE_3 src1_sel:DWORD
	s_mov_b64 s[4:5], 0
                                        ; implicit-def: $sgpr10
	s_and_saveexec_b64 s[8:9], s[6:7]
	s_xor_b64 s[6:7], exec, s[8:9]
	s_cbranch_execz .LBB1_5629
; %bb.41469:
	s_getpc_b64 s[14:15]
.Lpost_getpc6398:
	s_add_u32 s14, s14, (.LBB1_19965-.Lpost_getpc6398)&4294967295
	s_addc_u32 s15, s15, (.LBB1_19965-.Lpost_getpc6398)>>32
	s_setpc_b64 s[14:15]
.LBB1_5629:
	s_or_saveexec_b64 s[6:7], s[6:7]
	v_mov_b32_e32 v3, s10
	s_xor_b64 exec, exec, s[6:7]
	s_cbranch_execz .LBB1_5630
; %bb.41471:
	s_getpc_b64 s[14:15]
.Lpost_getpc6399:
	s_add_u32 s14, s14, (.LBB1_19968-.Lpost_getpc6399)&4294967295
	s_addc_u32 s15, s15, (.LBB1_19968-.Lpost_getpc6399)>>32
	s_setpc_b64 s[14:15]
.LBB1_5630:
	s_or_b64 exec, exec, s[6:7]
	s_and_saveexec_b64 s[6:7], s[4:5]
	s_cbranch_execz .LBB1_5632
.LBB1_5631:
	v_bfe_u32 v3, v5, 24, 3
	v_ffbh_u32_e32 v8, v3
	v_min_u32_e32 v8, 32, v8
	v_lshrrev_b32_e32 v6, 27, v5
	v_subrev_u32_e32 v9, 28, v8
	v_and_b32_e32 v4, 0x80000000, v5
	v_and_b32_e32 v6, 15, v6
	v_bfe_u32 v7, v5, 27, 4
	v_lshlrev_b32_sdwa v5, v9, v5 dst_sel:DWORD dst_unused:UNUSED_PAD src0_sel:DWORD src1_sel:BYTE_3
	v_sub_u32_e32 v8, 29, v8
	v_and_b32_e32 v5, 7, v5
	v_cmp_eq_u16_e32 vcc, 0, v6
	v_cndmask_b32_e32 v3, v3, v5, vcc
	v_cndmask_b32_e32 v5, v7, v8, vcc
	v_mov_b32_e32 v6, 0x3b800000
	v_lshlrev_b32_e32 v3, 20, v3
	v_lshl_add_u32 v5, v5, 23, v6
	v_or3_b32 v3, v4, v5, v3
.LBB1_5632:
	s_or_b64 exec, exec, s[6:7]
	s_nop 0
	v_mfma_f32_16x16x4f32 a[0:3], v2, v3, a[0:3]
	s_movk_i32 s4, 0x7f
                                        ; implicit-def: $sgpr10
	s_nop 7
	s_nop 1
	flat_store_dwordx4 v[10:11], a[0:3] offset:688
	flat_load_dwordx4 v[12:15], v[0:1]
	s_nop 0
	flat_load_dwordx2 v[10:11], v[0:1] offset:16
	s_waitcnt vmcnt(0) lgkmcnt(0)
	flat_load_dwordx4 v[6:9], v[12:13] offset:80
	flat_load_dwordx4 v[2:5], v[14:15] offset:64
	s_waitcnt vmcnt(0) lgkmcnt(0)
	v_cmp_gt_i16_sdwa s[6:7], v6, s4 src0_sel:BYTE_0 src1_sel:DWORD
	s_mov_b64 s[4:5], 0
	s_and_saveexec_b64 s[8:9], s[6:7]
	s_xor_b64 s[6:7], exec, s[8:9]
	s_cbranch_execz .LBB1_5633
; %bb.41473:
	s_getpc_b64 s[14:15]
.Lpost_getpc6400:
	s_add_u32 s14, s14, (.LBB1_19969-.Lpost_getpc6400)&4294967295
	s_addc_u32 s15, s15, (.LBB1_19969-.Lpost_getpc6400)>>32
	s_setpc_b64 s[14:15]
.LBB1_5633:
	s_or_saveexec_b64 s[6:7], s[6:7]
	v_mov_b32_e32 v12, s10
	s_xor_b64 exec, exec, s[6:7]
	s_cbranch_execz .LBB1_5634
; %bb.41475:
	s_getpc_b64 s[14:15]
.Lpost_getpc6401:
	s_add_u32 s14, s14, (.LBB1_19972-.Lpost_getpc6401)&4294967295
	s_addc_u32 s15, s15, (.LBB1_19972-.Lpost_getpc6401)>>32
	s_setpc_b64 s[14:15]
.LBB1_5634:
	s_or_b64 exec, exec, s[6:7]
	s_and_saveexec_b64 s[6:7], s[4:5]
	s_cbranch_execz .LBB1_5636
.LBB1_5635:
	v_and_b32_e32 v12, 7, v6
	v_ffbh_u32_e32 v14, v12
	v_min_u32_e32 v14, 32, v14
	v_lshrrev_b16_e32 v13, 3, v6
	v_subrev_u32_e32 v15, 28, v14
	v_and_b32_e32 v13, 15, v13
	v_lshlrev_b32_e32 v15, v15, v6
	v_sub_u32_e32 v14, 29, v14
	v_and_b32_e32 v15, 7, v15
	v_cmp_eq_u16_e32 vcc, 0, v13
	v_cndmask_b32_e32 v12, v12, v15, vcc
	v_cndmask_b32_e32 v13, v13, v14, vcc
	v_lshlrev_b32_e32 v14, 24, v6
	v_mov_b32_e32 v15, 0x3b800000
	v_lshlrev_b32_e32 v12, 20, v12
	v_and_b32_e32 v14, 0x80000000, v14
	v_lshl_add_u32 v13, v13, 23, v15
	v_or3_b32 v12, v14, v13, v12
.LBB1_5636:
	s_or_b64 exec, exec, s[6:7]
	s_movk_i32 s4, 0x7f
	v_cmp_gt_i16_sdwa s[6:7], v2, s4 src0_sel:BYTE_0 src1_sel:DWORD
	s_mov_b64 s[4:5], 0
                                        ; implicit-def: $sgpr10
	s_and_saveexec_b64 s[8:9], s[6:7]
	s_xor_b64 s[6:7], exec, s[8:9]
	s_cbranch_execz .LBB1_5637
; %bb.41477:
	s_getpc_b64 s[14:15]
.Lpost_getpc6402:
	s_add_u32 s14, s14, (.LBB1_19973-.Lpost_getpc6402)&4294967295
	s_addc_u32 s15, s15, (.LBB1_19973-.Lpost_getpc6402)>>32
	s_setpc_b64 s[14:15]
.LBB1_5637:
	s_or_saveexec_b64 s[6:7], s[6:7]
	v_mov_b32_e32 v13, s10
	s_xor_b64 exec, exec, s[6:7]
	s_cbranch_execz .LBB1_5638
; %bb.41479:
	s_getpc_b64 s[14:15]
.Lpost_getpc6403:
	s_add_u32 s14, s14, (.LBB1_19976-.Lpost_getpc6403)&4294967295
	s_addc_u32 s15, s15, (.LBB1_19976-.Lpost_getpc6403)>>32
	s_setpc_b64 s[14:15]
.LBB1_5638:
	s_or_b64 exec, exec, s[6:7]
	s_and_saveexec_b64 s[6:7], s[4:5]
	s_cbranch_execz .LBB1_5640
.LBB1_5639:
	v_and_b32_e32 v13, 7, v2
	v_ffbh_u32_e32 v15, v13
	v_min_u32_e32 v15, 32, v15
	v_lshrrev_b16_e32 v14, 3, v2
	v_subrev_u32_e32 v16, 28, v15
	v_and_b32_e32 v14, 15, v14
	v_lshlrev_b32_e32 v16, v16, v2
	v_sub_u32_e32 v15, 29, v15
	v_and_b32_e32 v16, 7, v16
	v_cmp_eq_u16_e32 vcc, 0, v14
	v_cndmask_b32_e32 v13, v13, v16, vcc
	v_cndmask_b32_e32 v14, v14, v15, vcc
	v_lshlrev_b32_e32 v15, 24, v2
	v_mov_b32_e32 v16, 0x3b800000
	v_lshlrev_b32_e32 v13, 20, v13
	v_and_b32_e32 v15, 0x80000000, v15
	v_lshl_add_u32 v14, v14, 23, v16
	v_or3_b32 v13, v15, v14, v13
.LBB1_5640:
	s_or_b64 exec, exec, s[6:7]
	flat_load_dwordx4 a[0:3], v[10:11] offset:704
	s_movk_i32 s4, 0x7f
                                        ; implicit-def: $sgpr10
	s_waitcnt vmcnt(0) lgkmcnt(0)
	v_mfma_f32_16x16x4f32 a[0:3], v12, v13, a[0:3]
	v_lshrrev_b32_e32 v13, 8, v6
	v_cmp_gt_i16_sdwa s[6:7], v13, s4 src0_sel:BYTE_0 src1_sel:DWORD
	s_mov_b64 s[4:5], 0
	s_and_saveexec_b64 s[8:9], s[6:7]
	s_xor_b64 s[6:7], exec, s[8:9]
	s_cbranch_execz .LBB1_5641
; %bb.41481:
	s_getpc_b64 s[14:15]
.Lpost_getpc6404:
	s_add_u32 s14, s14, (.LBB1_19977-.Lpost_getpc6404)&4294967295
	s_addc_u32 s15, s15, (.LBB1_19977-.Lpost_getpc6404)>>32
	s_setpc_b64 s[14:15]
.LBB1_5641:
	s_or_saveexec_b64 s[6:7], s[6:7]
	v_mov_b32_e32 v12, s10
	s_xor_b64 exec, exec, s[6:7]
	s_cbranch_execz .LBB1_5642
; %bb.41483:
	s_getpc_b64 s[14:15]
.Lpost_getpc6405:
	s_add_u32 s14, s14, (.LBB1_19980-.Lpost_getpc6405)&4294967295
	s_addc_u32 s15, s15, (.LBB1_19980-.Lpost_getpc6405)>>32
	s_setpc_b64 s[14:15]
.LBB1_5642:
	s_or_b64 exec, exec, s[6:7]
	s_and_saveexec_b64 s[6:7], s[4:5]
	s_cbranch_execz .LBB1_5644
.LBB1_5643:
	v_bfe_u32 v12, v6, 8, 3
	v_ffbh_u32_e32 v15, v12
	v_min_u32_e32 v15, 32, v15
	v_lshrrev_b16_e32 v14, 3, v13
	v_subrev_u32_e32 v16, 28, v15
	v_and_b32_e32 v14, 15, v14
	v_lshlrev_b32_e32 v13, v16, v13
	v_sub_u32_e32 v15, 29, v15
	v_and_b32_e32 v13, 7, v13
	v_cmp_eq_u16_e32 vcc, 0, v14
	v_cndmask_b32_e32 v12, v12, v13, vcc
	v_cndmask_b32_e32 v13, v14, v15, vcc
	v_lshlrev_b32_e32 v14, 16, v6
	v_mov_b32_e32 v15, 0x3b800000
	v_lshlrev_b32_e32 v12, 20, v12
	v_and_b32_e32 v14, 0x80000000, v14
	v_lshl_add_u32 v13, v13, 23, v15
	v_or3_b32 v12, v14, v13, v12
.LBB1_5644:
	s_or_b64 exec, exec, s[6:7]
	v_lshrrev_b32_e32 v13, 8, v2
	s_movk_i32 s4, 0x7f
	v_cmp_gt_i16_sdwa s[6:7], v13, s4 src0_sel:BYTE_0 src1_sel:DWORD
	s_mov_b64 s[4:5], 0
                                        ; implicit-def: $sgpr10
	s_and_saveexec_b64 s[8:9], s[6:7]
	s_xor_b64 s[6:7], exec, s[8:9]
	s_cbranch_execz .LBB1_5645
; %bb.41485:
	s_getpc_b64 s[14:15]
.Lpost_getpc6406:
	s_add_u32 s14, s14, (.LBB1_19981-.Lpost_getpc6406)&4294967295
	s_addc_u32 s15, s15, (.LBB1_19981-.Lpost_getpc6406)>>32
	s_setpc_b64 s[14:15]
.LBB1_5645:
	s_or_saveexec_b64 s[6:7], s[6:7]
	v_mov_b32_e32 v14, s10
	s_xor_b64 exec, exec, s[6:7]
	s_cbranch_execz .LBB1_5646
; %bb.41487:
	s_getpc_b64 s[14:15]
.Lpost_getpc6407:
	s_add_u32 s14, s14, (.LBB1_19984-.Lpost_getpc6407)&4294967295
	s_addc_u32 s15, s15, (.LBB1_19984-.Lpost_getpc6407)>>32
	s_setpc_b64 s[14:15]
.LBB1_5646:
	s_or_b64 exec, exec, s[6:7]
	s_and_saveexec_b64 s[6:7], s[4:5]
	s_cbranch_execz .LBB1_5648
.LBB1_5647:
	v_bfe_u32 v14, v2, 8, 3
	v_ffbh_u32_e32 v16, v14
	v_min_u32_e32 v16, 32, v16
	v_lshrrev_b16_e32 v15, 3, v13
	v_subrev_u32_e32 v17, 28, v16
	v_and_b32_e32 v15, 15, v15
	v_lshlrev_b32_e32 v13, v17, v13
	v_sub_u32_e32 v16, 29, v16
	v_and_b32_e32 v13, 7, v13
	v_cmp_eq_u16_e32 vcc, 0, v15
	v_cndmask_b32_e32 v13, v14, v13, vcc
	v_cndmask_b32_e32 v14, v15, v16, vcc
	v_lshlrev_b32_e32 v15, 16, v2
	v_mov_b32_e32 v16, 0x3b800000
	v_lshlrev_b32_e32 v13, 20, v13
	v_and_b32_e32 v15, 0x80000000, v15
	v_lshl_add_u32 v14, v14, 23, v16
	v_or3_b32 v14, v15, v14, v13
.LBB1_5648:
	s_or_b64 exec, exec, s[6:7]
	s_nop 0
	v_mfma_f32_16x16x4f32 a[0:3], v12, v14, a[0:3]
	s_movk_i32 s4, 0xff
	v_and_b32_sdwa v13, v6, s4 dst_sel:DWORD dst_unused:UNUSED_PAD src0_sel:WORD_1 src1_sel:DWORD
	s_movk_i32 s4, 0x7f
	v_cmp_lt_i16_e32 vcc, s4, v13
	s_mov_b64 s[4:5], 0
                                        ; implicit-def: $sgpr10
	s_and_saveexec_b64 s[6:7], vcc
	s_xor_b64 s[6:7], exec, s[6:7]
	s_cbranch_execz .LBB1_5649
; %bb.41489:
	s_getpc_b64 s[14:15]
.Lpost_getpc6408:
	s_add_u32 s14, s14, (.LBB1_19985-.Lpost_getpc6408)&4294967295
	s_addc_u32 s15, s15, (.LBB1_19985-.Lpost_getpc6408)>>32
	s_setpc_b64 s[14:15]
.LBB1_5649:
	s_or_saveexec_b64 s[6:7], s[6:7]
	v_mov_b32_e32 v12, s10
	s_xor_b64 exec, exec, s[6:7]
	s_cbranch_execz .LBB1_5650
; %bb.41491:
	s_getpc_b64 s[14:15]
.Lpost_getpc6409:
	s_add_u32 s14, s14, (.LBB1_19988-.Lpost_getpc6409)&4294967295
	s_addc_u32 s15, s15, (.LBB1_19988-.Lpost_getpc6409)>>32
	s_setpc_b64 s[14:15]
.LBB1_5650:
	s_or_b64 exec, exec, s[6:7]
	s_and_saveexec_b64 s[6:7], s[4:5]
	s_cbranch_execz .LBB1_5652
.LBB1_5651:
	v_bfe_u32 v12, v6, 16, 3
	v_ffbh_u32_e32 v15, v12
	v_min_u32_e32 v15, 32, v15
	v_lshrrev_b32_e32 v13, 19, v6
	v_subrev_u32_e32 v16, 28, v15
	v_and_b32_e32 v13, 15, v13
	v_lshlrev_b32_sdwa v16, v16, v6 dst_sel:DWORD dst_unused:UNUSED_PAD src0_sel:DWORD src1_sel:WORD_1
	v_bfe_u32 v14, v6, 19, 4
	v_sub_u32_e32 v15, 29, v15
	v_and_b32_e32 v16, 7, v16
	v_cmp_eq_u16_e32 vcc, 0, v13
	v_cndmask_b32_e32 v12, v12, v16, vcc
	v_cndmask_b32_e32 v13, v14, v15, vcc
	v_lshlrev_b32_e32 v14, 8, v6
	v_mov_b32_e32 v15, 0x3b800000
	v_lshlrev_b32_e32 v12, 20, v12
	v_and_b32_e32 v14, 0x80000000, v14
	v_lshl_add_u32 v13, v13, 23, v15
	v_or3_b32 v12, v14, v13, v12
.LBB1_5652:
	s_or_b64 exec, exec, s[6:7]
	s_movk_i32 s4, 0xff
	v_and_b32_sdwa v13, v2, s4 dst_sel:DWORD dst_unused:UNUSED_PAD src0_sel:WORD_1 src1_sel:DWORD
	s_movk_i32 s4, 0x7f
	v_cmp_lt_i16_e32 vcc, s4, v13
	s_mov_b64 s[4:5], 0
                                        ; implicit-def: $sgpr10
	s_and_saveexec_b64 s[6:7], vcc
	s_xor_b64 s[6:7], exec, s[6:7]
	s_cbranch_execz .LBB1_5653
; %bb.41493:
	s_getpc_b64 s[14:15]
.Lpost_getpc6410:
	s_add_u32 s14, s14, (.LBB1_19989-.Lpost_getpc6410)&4294967295
	s_addc_u32 s15, s15, (.LBB1_19989-.Lpost_getpc6410)>>32
	s_setpc_b64 s[14:15]
.LBB1_5653:
	s_or_saveexec_b64 s[6:7], s[6:7]
	v_mov_b32_e32 v14, s10
	s_xor_b64 exec, exec, s[6:7]
	s_cbranch_execz .LBB1_5654
; %bb.41495:
	s_getpc_b64 s[14:15]
.Lpost_getpc6411:
	s_add_u32 s14, s14, (.LBB1_19992-.Lpost_getpc6411)&4294967295
	s_addc_u32 s15, s15, (.LBB1_19992-.Lpost_getpc6411)>>32
	s_setpc_b64 s[14:15]
.LBB1_5654:
	s_or_b64 exec, exec, s[6:7]
	s_and_saveexec_b64 s[6:7], s[4:5]
	s_cbranch_execz .LBB1_5656
.LBB1_5655:
	v_bfe_u32 v13, v2, 16, 3
	v_ffbh_u32_e32 v16, v13
	v_min_u32_e32 v16, 32, v16
	v_lshrrev_b32_e32 v14, 19, v2
	v_subrev_u32_e32 v17, 28, v16
	v_and_b32_e32 v14, 15, v14
	v_lshlrev_b32_sdwa v17, v17, v2 dst_sel:DWORD dst_unused:UNUSED_PAD src0_sel:DWORD src1_sel:WORD_1
	v_bfe_u32 v15, v2, 19, 4
	v_sub_u32_e32 v16, 29, v16
	v_and_b32_e32 v17, 7, v17
	v_cmp_eq_u16_e32 vcc, 0, v14
	v_cndmask_b32_e32 v13, v13, v17, vcc
	v_cndmask_b32_e32 v14, v15, v16, vcc
	v_lshlrev_b32_e32 v15, 8, v2
	v_mov_b32_e32 v16, 0x3b800000
	v_lshlrev_b32_e32 v13, 20, v13
	v_and_b32_e32 v15, 0x80000000, v15
	v_lshl_add_u32 v14, v14, 23, v16
	v_or3_b32 v14, v15, v14, v13
.LBB1_5656:
	s_or_b64 exec, exec, s[6:7]
	s_nop 0
	v_mfma_f32_16x16x4f32 a[0:3], v12, v14, a[0:3]
	s_movk_i32 s4, 0x7f
	v_cmp_gt_i16_sdwa s[6:7], v6, s4 src0_sel:BYTE_3 src1_sel:DWORD
	s_mov_b64 s[4:5], 0
                                        ; implicit-def: $sgpr10
	s_and_saveexec_b64 s[8:9], s[6:7]
	s_xor_b64 s[6:7], exec, s[8:9]
	s_cbranch_execz .LBB1_5657
; %bb.41497:
	s_getpc_b64 s[14:15]
.Lpost_getpc6412:
	s_add_u32 s14, s14, (.LBB1_19993-.Lpost_getpc6412)&4294967295
	s_addc_u32 s15, s15, (.LBB1_19993-.Lpost_getpc6412)>>32
	s_setpc_b64 s[14:15]
.LBB1_5657:
	s_or_saveexec_b64 s[6:7], s[6:7]
	v_mov_b32_e32 v12, s10
	s_xor_b64 exec, exec, s[6:7]
	s_cbranch_execz .LBB1_5658
; %bb.41499:
	s_getpc_b64 s[14:15]
.Lpost_getpc6413:
	s_add_u32 s14, s14, (.LBB1_19996-.Lpost_getpc6413)&4294967295
	s_addc_u32 s15, s15, (.LBB1_19996-.Lpost_getpc6413)>>32
	s_setpc_b64 s[14:15]
.LBB1_5658:
	s_or_b64 exec, exec, s[6:7]
	s_and_saveexec_b64 s[6:7], s[4:5]
	s_cbranch_execz .LBB1_5660
.LBB1_5659:
	v_bfe_u32 v12, v6, 24, 3
	v_ffbh_u32_e32 v16, v12
	v_min_u32_e32 v16, 32, v16
	v_lshrrev_b32_e32 v14, 27, v6
	v_subrev_u32_e32 v17, 28, v16
	v_and_b32_e32 v13, 0x80000000, v6
	v_and_b32_e32 v14, 15, v14
	v_bfe_u32 v15, v6, 27, 4
	v_lshlrev_b32_sdwa v6, v17, v6 dst_sel:DWORD dst_unused:UNUSED_PAD src0_sel:DWORD src1_sel:BYTE_3
	v_sub_u32_e32 v16, 29, v16
	v_and_b32_e32 v6, 7, v6
	v_cmp_eq_u16_e32 vcc, 0, v14
	v_cndmask_b32_e32 v6, v12, v6, vcc
	v_cndmask_b32_e32 v12, v15, v16, vcc
	v_mov_b32_e32 v14, 0x3b800000
	v_lshlrev_b32_e32 v6, 20, v6
	v_lshl_add_u32 v12, v12, 23, v14
	v_or3_b32 v12, v13, v12, v6
.LBB1_5660:
	s_or_b64 exec, exec, s[6:7]
	s_movk_i32 s4, 0x7f
	v_cmp_gt_i16_sdwa s[6:7], v2, s4 src0_sel:BYTE_3 src1_sel:DWORD
	s_mov_b64 s[4:5], 0
                                        ; implicit-def: $sgpr10
	s_and_saveexec_b64 s[8:9], s[6:7]
	s_xor_b64 s[6:7], exec, s[8:9]
	s_cbranch_execz .LBB1_5661
; %bb.41501:
	s_getpc_b64 s[14:15]
.Lpost_getpc6414:
	s_add_u32 s14, s14, (.LBB1_19997-.Lpost_getpc6414)&4294967295
	s_addc_u32 s15, s15, (.LBB1_19997-.Lpost_getpc6414)>>32
	s_setpc_b64 s[14:15]
.LBB1_5661:
	s_or_saveexec_b64 s[6:7], s[6:7]
	v_mov_b32_e32 v6, s10
	s_xor_b64 exec, exec, s[6:7]
	s_cbranch_execz .LBB1_5662
; %bb.41503:
	s_getpc_b64 s[14:15]
.Lpost_getpc6415:
	s_add_u32 s14, s14, (.LBB1_20000-.Lpost_getpc6415)&4294967295
	s_addc_u32 s15, s15, (.LBB1_20000-.Lpost_getpc6415)>>32
	s_setpc_b64 s[14:15]
.LBB1_5662:
	s_or_b64 exec, exec, s[6:7]
	s_and_saveexec_b64 s[6:7], s[4:5]
	s_cbranch_execz .LBB1_5664
.LBB1_5663:
	v_bfe_u32 v6, v2, 24, 3
	v_ffbh_u32_e32 v16, v6
	v_min_u32_e32 v16, 32, v16
	v_lshrrev_b32_e32 v14, 27, v2
	v_subrev_u32_e32 v17, 28, v16
	v_and_b32_e32 v13, 0x80000000, v2
	v_and_b32_e32 v14, 15, v14
	v_bfe_u32 v15, v2, 27, 4
	v_lshlrev_b32_sdwa v2, v17, v2 dst_sel:DWORD dst_unused:UNUSED_PAD src0_sel:DWORD src1_sel:BYTE_3
	v_sub_u32_e32 v16, 29, v16
	v_and_b32_e32 v2, 7, v2
	v_cmp_eq_u16_e32 vcc, 0, v14
	v_cndmask_b32_e32 v2, v6, v2, vcc
	v_cndmask_b32_e32 v6, v15, v16, vcc
	v_mov_b32_e32 v14, 0x3b800000
	v_lshlrev_b32_e32 v2, 20, v2
	v_lshl_add_u32 v6, v6, 23, v14
	v_or3_b32 v6, v13, v6, v2
.LBB1_5664:
	s_or_b64 exec, exec, s[6:7]
	s_nop 0
	v_mfma_f32_16x16x4f32 a[0:3], v12, v6, a[0:3]
	s_movk_i32 s4, 0x7f
	v_cmp_gt_i16_sdwa s[6:7], v7, s4 src0_sel:BYTE_0 src1_sel:DWORD
	s_mov_b64 s[4:5], 0
                                        ; implicit-def: $sgpr10
	s_and_saveexec_b64 s[8:9], s[6:7]
	s_xor_b64 s[6:7], exec, s[8:9]
	s_cbranch_execz .LBB1_5665
; %bb.41505:
	s_getpc_b64 s[14:15]
.Lpost_getpc6416:
	s_add_u32 s14, s14, (.LBB1_20001-.Lpost_getpc6416)&4294967295
	s_addc_u32 s15, s15, (.LBB1_20001-.Lpost_getpc6416)>>32
	s_setpc_b64 s[14:15]
.LBB1_5665:
	s_or_saveexec_b64 s[6:7], s[6:7]
	v_mov_b32_e32 v2, s10
	s_xor_b64 exec, exec, s[6:7]
	s_cbranch_execz .LBB1_5666
; %bb.41507:
	s_getpc_b64 s[14:15]
.Lpost_getpc6417:
	s_add_u32 s14, s14, (.LBB1_20004-.Lpost_getpc6417)&4294967295
	s_addc_u32 s15, s15, (.LBB1_20004-.Lpost_getpc6417)>>32
	s_setpc_b64 s[14:15]
.LBB1_5666:
	s_or_b64 exec, exec, s[6:7]
	s_and_saveexec_b64 s[6:7], s[4:5]
	s_cbranch_execz .LBB1_5668
.LBB1_5667:
	v_and_b32_e32 v2, 7, v7
	v_ffbh_u32_e32 v12, v2
	v_min_u32_e32 v12, 32, v12
	v_lshrrev_b16_e32 v6, 3, v7
	v_subrev_u32_e32 v13, 28, v12
	v_and_b32_e32 v6, 15, v6
	v_lshlrev_b32_e32 v13, v13, v7
	v_sub_u32_e32 v12, 29, v12
	v_and_b32_e32 v13, 7, v13
	v_cmp_eq_u16_e32 vcc, 0, v6
	v_cndmask_b32_e32 v2, v2, v13, vcc
	v_cndmask_b32_e32 v6, v6, v12, vcc
	v_lshlrev_b32_e32 v12, 24, v7
	v_mov_b32_e32 v13, 0x3b800000
	v_lshlrev_b32_e32 v2, 20, v2
	v_and_b32_e32 v12, 0x80000000, v12
	v_lshl_add_u32 v6, v6, 23, v13
	v_or3_b32 v2, v12, v6, v2
.LBB1_5668:
	s_or_b64 exec, exec, s[6:7]
	s_movk_i32 s4, 0x7f
	v_cmp_gt_i16_sdwa s[6:7], v3, s4 src0_sel:BYTE_0 src1_sel:DWORD
	s_mov_b64 s[4:5], 0
                                        ; implicit-def: $sgpr10
	s_and_saveexec_b64 s[8:9], s[6:7]
	s_xor_b64 s[6:7], exec, s[8:9]
	s_cbranch_execz .LBB1_5669
; %bb.41509:
	s_getpc_b64 s[14:15]
.Lpost_getpc6418:
	s_add_u32 s14, s14, (.LBB1_20005-.Lpost_getpc6418)&4294967295
	s_addc_u32 s15, s15, (.LBB1_20005-.Lpost_getpc6418)>>32
	s_setpc_b64 s[14:15]
.LBB1_5669:
	s_or_saveexec_b64 s[6:7], s[6:7]
	v_mov_b32_e32 v6, s10
	s_xor_b64 exec, exec, s[6:7]
	s_cbranch_execz .LBB1_5670
; %bb.41511:
	s_getpc_b64 s[14:15]
.Lpost_getpc6419:
	s_add_u32 s14, s14, (.LBB1_20008-.Lpost_getpc6419)&4294967295
	s_addc_u32 s15, s15, (.LBB1_20008-.Lpost_getpc6419)>>32
	s_setpc_b64 s[14:15]
.LBB1_5670:
	s_or_b64 exec, exec, s[6:7]
	s_and_saveexec_b64 s[6:7], s[4:5]
	s_cbranch_execz .LBB1_5672
.LBB1_5671:
	v_and_b32_e32 v6, 7, v3
	v_ffbh_u32_e32 v13, v6
	v_min_u32_e32 v13, 32, v13
	v_lshrrev_b16_e32 v12, 3, v3
	v_subrev_u32_e32 v14, 28, v13
	v_and_b32_e32 v12, 15, v12
	v_lshlrev_b32_e32 v14, v14, v3
	v_sub_u32_e32 v13, 29, v13
	v_and_b32_e32 v14, 7, v14
	v_cmp_eq_u16_e32 vcc, 0, v12
	v_cndmask_b32_e32 v6, v6, v14, vcc
	v_cndmask_b32_e32 v12, v12, v13, vcc
	v_lshlrev_b32_e32 v13, 24, v3
	v_mov_b32_e32 v14, 0x3b800000
	v_lshlrev_b32_e32 v6, 20, v6
	v_and_b32_e32 v13, 0x80000000, v13
	v_lshl_add_u32 v12, v12, 23, v14
	v_or3_b32 v6, v13, v12, v6
.LBB1_5672:
	s_or_b64 exec, exec, s[6:7]
	s_nop 0
	v_mfma_f32_16x16x4f32 a[0:3], v2, v6, a[0:3]
	v_lshrrev_b32_e32 v6, 8, v7
	s_movk_i32 s4, 0x7f
	v_cmp_gt_i16_sdwa s[6:7], v6, s4 src0_sel:BYTE_0 src1_sel:DWORD
	s_mov_b64 s[4:5], 0
                                        ; implicit-def: $sgpr10
	s_and_saveexec_b64 s[8:9], s[6:7]
	s_xor_b64 s[6:7], exec, s[8:9]
	s_cbranch_execz .LBB1_5673
; %bb.41513:
	s_getpc_b64 s[14:15]
.Lpost_getpc6420:
	s_add_u32 s14, s14, (.LBB1_20009-.Lpost_getpc6420)&4294967295
	s_addc_u32 s15, s15, (.LBB1_20009-.Lpost_getpc6420)>>32
	s_setpc_b64 s[14:15]
.LBB1_5673:
	s_or_saveexec_b64 s[6:7], s[6:7]
	v_mov_b32_e32 v2, s10
	s_xor_b64 exec, exec, s[6:7]
	s_cbranch_execz .LBB1_5674
; %bb.41515:
	s_getpc_b64 s[14:15]
.Lpost_getpc6421:
	s_add_u32 s14, s14, (.LBB1_20012-.Lpost_getpc6421)&4294967295
	s_addc_u32 s15, s15, (.LBB1_20012-.Lpost_getpc6421)>>32
	s_setpc_b64 s[14:15]
.LBB1_5674:
	s_or_b64 exec, exec, s[6:7]
	s_and_saveexec_b64 s[6:7], s[4:5]
	s_cbranch_execz .LBB1_5676
.LBB1_5675:
	v_bfe_u32 v2, v7, 8, 3
	v_ffbh_u32_e32 v13, v2
	v_min_u32_e32 v13, 32, v13
	v_lshrrev_b16_e32 v12, 3, v6
	v_subrev_u32_e32 v14, 28, v13
	v_and_b32_e32 v12, 15, v12
	v_lshlrev_b32_e32 v6, v14, v6
	v_sub_u32_e32 v13, 29, v13
	v_and_b32_e32 v6, 7, v6
	v_cmp_eq_u16_e32 vcc, 0, v12
	v_cndmask_b32_e32 v2, v2, v6, vcc
	v_cndmask_b32_e32 v6, v12, v13, vcc
	v_lshlrev_b32_e32 v12, 16, v7
	v_mov_b32_e32 v13, 0x3b800000
	v_lshlrev_b32_e32 v2, 20, v2
	v_and_b32_e32 v12, 0x80000000, v12
	v_lshl_add_u32 v6, v6, 23, v13
	v_or3_b32 v2, v12, v6, v2
.LBB1_5676:
	s_or_b64 exec, exec, s[6:7]
	v_lshrrev_b32_e32 v6, 8, v3
	s_movk_i32 s4, 0x7f
	v_cmp_gt_i16_sdwa s[6:7], v6, s4 src0_sel:BYTE_0 src1_sel:DWORD
	s_mov_b64 s[4:5], 0
                                        ; implicit-def: $sgpr10
	s_and_saveexec_b64 s[8:9], s[6:7]
	s_xor_b64 s[6:7], exec, s[8:9]
	s_cbranch_execz .LBB1_5677
; %bb.41517:
	s_getpc_b64 s[14:15]
.Lpost_getpc6422:
	s_add_u32 s14, s14, (.LBB1_20013-.Lpost_getpc6422)&4294967295
	s_addc_u32 s15, s15, (.LBB1_20013-.Lpost_getpc6422)>>32
	s_setpc_b64 s[14:15]
.LBB1_5677:
	s_or_saveexec_b64 s[6:7], s[6:7]
	v_mov_b32_e32 v12, s10
	s_xor_b64 exec, exec, s[6:7]
	s_cbranch_execz .LBB1_5678
; %bb.41519:
	s_getpc_b64 s[14:15]
.Lpost_getpc6423:
	s_add_u32 s14, s14, (.LBB1_20016-.Lpost_getpc6423)&4294967295
	s_addc_u32 s15, s15, (.LBB1_20016-.Lpost_getpc6423)>>32
	s_setpc_b64 s[14:15]
.LBB1_5678:
	s_or_b64 exec, exec, s[6:7]
	s_and_saveexec_b64 s[6:7], s[4:5]
	s_cbranch_execz .LBB1_5680
.LBB1_5679:
	v_bfe_u32 v12, v3, 8, 3
	v_ffbh_u32_e32 v14, v12
	v_min_u32_e32 v14, 32, v14
	v_lshrrev_b16_e32 v13, 3, v6
	v_subrev_u32_e32 v15, 28, v14
	v_and_b32_e32 v13, 15, v13
	v_lshlrev_b32_e32 v6, v15, v6
	v_sub_u32_e32 v14, 29, v14
	v_and_b32_e32 v6, 7, v6
	v_cmp_eq_u16_e32 vcc, 0, v13
	v_cndmask_b32_e32 v6, v12, v6, vcc
	v_cndmask_b32_e32 v12, v13, v14, vcc
	v_lshlrev_b32_e32 v13, 16, v3
	v_mov_b32_e32 v14, 0x3b800000
	v_lshlrev_b32_e32 v6, 20, v6
	v_and_b32_e32 v13, 0x80000000, v13
	v_lshl_add_u32 v12, v12, 23, v14
	v_or3_b32 v12, v13, v12, v6
.LBB1_5680:
	s_or_b64 exec, exec, s[6:7]
	s_nop 0
	v_mfma_f32_16x16x4f32 a[0:3], v2, v12, a[0:3]
	s_movk_i32 s4, 0xff
	v_and_b32_sdwa v6, v7, s4 dst_sel:DWORD dst_unused:UNUSED_PAD src0_sel:WORD_1 src1_sel:DWORD
	s_movk_i32 s4, 0x7f
	v_cmp_lt_i16_e32 vcc, s4, v6
	s_mov_b64 s[4:5], 0
                                        ; implicit-def: $sgpr10
	s_and_saveexec_b64 s[6:7], vcc
	s_xor_b64 s[6:7], exec, s[6:7]
	s_cbranch_execz .LBB1_5681
; %bb.41521:
	s_getpc_b64 s[14:15]
.Lpost_getpc6424:
	s_add_u32 s14, s14, (.LBB1_20017-.Lpost_getpc6424)&4294967295
	s_addc_u32 s15, s15, (.LBB1_20017-.Lpost_getpc6424)>>32
	s_setpc_b64 s[14:15]
.LBB1_5681:
	s_or_saveexec_b64 s[6:7], s[6:7]
	v_mov_b32_e32 v2, s10
	s_xor_b64 exec, exec, s[6:7]
	s_cbranch_execz .LBB1_5682
; %bb.41523:
	s_getpc_b64 s[14:15]
.Lpost_getpc6425:
	s_add_u32 s14, s14, (.LBB1_20020-.Lpost_getpc6425)&4294967295
	s_addc_u32 s15, s15, (.LBB1_20020-.Lpost_getpc6425)>>32
	s_setpc_b64 s[14:15]
.LBB1_5682:
	s_or_b64 exec, exec, s[6:7]
	s_and_saveexec_b64 s[6:7], s[4:5]
	s_cbranch_execz .LBB1_5684
.LBB1_5683:
	v_bfe_u32 v2, v7, 16, 3
	v_ffbh_u32_e32 v13, v2
	v_min_u32_e32 v13, 32, v13
	v_lshrrev_b32_e32 v6, 19, v7
	v_subrev_u32_e32 v14, 28, v13
	v_and_b32_e32 v6, 15, v6
	v_lshlrev_b32_sdwa v14, v14, v7 dst_sel:DWORD dst_unused:UNUSED_PAD src0_sel:DWORD src1_sel:WORD_1
	v_bfe_u32 v12, v7, 19, 4
	v_sub_u32_e32 v13, 29, v13
	v_and_b32_e32 v14, 7, v14
	v_cmp_eq_u16_e32 vcc, 0, v6
	v_cndmask_b32_e32 v2, v2, v14, vcc
	v_cndmask_b32_e32 v6, v12, v13, vcc
	v_lshlrev_b32_e32 v12, 8, v7
	v_mov_b32_e32 v13, 0x3b800000
	v_lshlrev_b32_e32 v2, 20, v2
	v_and_b32_e32 v12, 0x80000000, v12
	v_lshl_add_u32 v6, v6, 23, v13
	v_or3_b32 v2, v12, v6, v2
.LBB1_5684:
	s_or_b64 exec, exec, s[6:7]
	s_movk_i32 s4, 0xff
	v_and_b32_sdwa v6, v3, s4 dst_sel:DWORD dst_unused:UNUSED_PAD src0_sel:WORD_1 src1_sel:DWORD
	s_movk_i32 s4, 0x7f
	v_cmp_lt_i16_e32 vcc, s4, v6
	s_mov_b64 s[4:5], 0
                                        ; implicit-def: $sgpr10
	s_and_saveexec_b64 s[6:7], vcc
	s_xor_b64 s[6:7], exec, s[6:7]
	s_cbranch_execz .LBB1_5685
; %bb.41525:
	s_getpc_b64 s[14:15]
.Lpost_getpc6426:
	s_add_u32 s14, s14, (.LBB1_20021-.Lpost_getpc6426)&4294967295
	s_addc_u32 s15, s15, (.LBB1_20021-.Lpost_getpc6426)>>32
	s_setpc_b64 s[14:15]
.LBB1_5685:
	s_or_saveexec_b64 s[6:7], s[6:7]
	v_mov_b32_e32 v12, s10
	s_xor_b64 exec, exec, s[6:7]
	s_cbranch_execz .LBB1_5686
; %bb.41527:
	s_getpc_b64 s[14:15]
.Lpost_getpc6427:
	s_add_u32 s14, s14, (.LBB1_20024-.Lpost_getpc6427)&4294967295
	s_addc_u32 s15, s15, (.LBB1_20024-.Lpost_getpc6427)>>32
	s_setpc_b64 s[14:15]
.LBB1_5686:
	s_or_b64 exec, exec, s[6:7]
	s_and_saveexec_b64 s[6:7], s[4:5]
	s_cbranch_execz .LBB1_5688
.LBB1_5687:
	v_bfe_u32 v6, v3, 16, 3
	v_ffbh_u32_e32 v14, v6
	v_min_u32_e32 v14, 32, v14
	v_lshrrev_b32_e32 v12, 19, v3
	v_subrev_u32_e32 v15, 28, v14
	v_and_b32_e32 v12, 15, v12
	v_lshlrev_b32_sdwa v15, v15, v3 dst_sel:DWORD dst_unused:UNUSED_PAD src0_sel:DWORD src1_sel:WORD_1
	v_bfe_u32 v13, v3, 19, 4
	v_sub_u32_e32 v14, 29, v14
	v_and_b32_e32 v15, 7, v15
	v_cmp_eq_u16_e32 vcc, 0, v12
	v_cndmask_b32_e32 v6, v6, v15, vcc
	v_cndmask_b32_e32 v12, v13, v14, vcc
	v_lshlrev_b32_e32 v13, 8, v3
	v_mov_b32_e32 v14, 0x3b800000
	v_lshlrev_b32_e32 v6, 20, v6
	v_and_b32_e32 v13, 0x80000000, v13
	v_lshl_add_u32 v12, v12, 23, v14
	v_or3_b32 v12, v13, v12, v6
.LBB1_5688:
	s_or_b64 exec, exec, s[6:7]
	s_nop 0
	v_mfma_f32_16x16x4f32 a[0:3], v2, v12, a[0:3]
	s_movk_i32 s4, 0x7f
	v_cmp_gt_i16_sdwa s[6:7], v7, s4 src0_sel:BYTE_3 src1_sel:DWORD
	s_mov_b64 s[4:5], 0
                                        ; implicit-def: $sgpr10
	s_and_saveexec_b64 s[8:9], s[6:7]
	s_xor_b64 s[6:7], exec, s[8:9]
	s_cbranch_execz .LBB1_5689
; %bb.41529:
	s_getpc_b64 s[14:15]
.Lpost_getpc6428:
	s_add_u32 s14, s14, (.LBB1_20025-.Lpost_getpc6428)&4294967295
	s_addc_u32 s15, s15, (.LBB1_20025-.Lpost_getpc6428)>>32
	s_setpc_b64 s[14:15]
.LBB1_5689:
	s_or_saveexec_b64 s[6:7], s[6:7]
	v_mov_b32_e32 v2, s10
	s_xor_b64 exec, exec, s[6:7]
	s_cbranch_execz .LBB1_5690
; %bb.41531:
	s_getpc_b64 s[14:15]
.Lpost_getpc6429:
	s_add_u32 s14, s14, (.LBB1_20028-.Lpost_getpc6429)&4294967295
	s_addc_u32 s15, s15, (.LBB1_20028-.Lpost_getpc6429)>>32
	s_setpc_b64 s[14:15]
.LBB1_5690:
	s_or_b64 exec, exec, s[6:7]
	s_and_saveexec_b64 s[6:7], s[4:5]
	s_cbranch_execz .LBB1_5692
.LBB1_5691:
	v_bfe_u32 v2, v7, 24, 3
	v_ffbh_u32_e32 v14, v2
	v_min_u32_e32 v14, 32, v14
	v_lshrrev_b32_e32 v12, 27, v7
	v_subrev_u32_e32 v15, 28, v14
	v_and_b32_e32 v6, 0x80000000, v7
	v_and_b32_e32 v12, 15, v12
	v_bfe_u32 v13, v7, 27, 4
	v_lshlrev_b32_sdwa v7, v15, v7 dst_sel:DWORD dst_unused:UNUSED_PAD src0_sel:DWORD src1_sel:BYTE_3
	v_sub_u32_e32 v14, 29, v14
	v_and_b32_e32 v7, 7, v7
	v_cmp_eq_u16_e32 vcc, 0, v12
	v_cndmask_b32_e32 v2, v2, v7, vcc
	v_cndmask_b32_e32 v7, v13, v14, vcc
	v_mov_b32_e32 v12, 0x3b800000
	v_lshlrev_b32_e32 v2, 20, v2
	v_lshl_add_u32 v7, v7, 23, v12
	v_or3_b32 v2, v6, v7, v2
.LBB1_5692:
	s_or_b64 exec, exec, s[6:7]
	s_movk_i32 s4, 0x7f
	v_cmp_gt_i16_sdwa s[6:7], v3, s4 src0_sel:BYTE_3 src1_sel:DWORD
	s_mov_b64 s[4:5], 0
                                        ; implicit-def: $sgpr10
	s_and_saveexec_b64 s[8:9], s[6:7]
	s_xor_b64 s[6:7], exec, s[8:9]
	s_cbranch_execz .LBB1_5693
; %bb.41533:
	s_getpc_b64 s[14:15]
.Lpost_getpc6430:
	s_add_u32 s14, s14, (.LBB1_20029-.Lpost_getpc6430)&4294967295
	s_addc_u32 s15, s15, (.LBB1_20029-.Lpost_getpc6430)>>32
	s_setpc_b64 s[14:15]
.LBB1_5693:
	s_or_saveexec_b64 s[6:7], s[6:7]
	v_mov_b32_e32 v6, s10
	s_xor_b64 exec, exec, s[6:7]
	s_cbranch_execz .LBB1_5694
; %bb.41535:
	s_getpc_b64 s[14:15]
.Lpost_getpc6431:
	s_add_u32 s14, s14, (.LBB1_20032-.Lpost_getpc6431)&4294967295
	s_addc_u32 s15, s15, (.LBB1_20032-.Lpost_getpc6431)>>32
	s_setpc_b64 s[14:15]
.LBB1_5694:
	s_or_b64 exec, exec, s[6:7]
	s_and_saveexec_b64 s[6:7], s[4:5]
	s_cbranch_execz .LBB1_5696
.LBB1_5695:
	v_bfe_u32 v6, v3, 24, 3
	v_ffbh_u32_e32 v14, v6
	v_min_u32_e32 v14, 32, v14
	v_lshrrev_b32_e32 v12, 27, v3
	v_subrev_u32_e32 v15, 28, v14
	v_and_b32_e32 v7, 0x80000000, v3
	v_and_b32_e32 v12, 15, v12
	v_bfe_u32 v13, v3, 27, 4
	v_lshlrev_b32_sdwa v3, v15, v3 dst_sel:DWORD dst_unused:UNUSED_PAD src0_sel:DWORD src1_sel:BYTE_3
	v_sub_u32_e32 v14, 29, v14
	v_and_b32_e32 v3, 7, v3
	v_cmp_eq_u16_e32 vcc, 0, v12
	v_cndmask_b32_e32 v3, v6, v3, vcc
	v_cndmask_b32_e32 v6, v13, v14, vcc
	v_mov_b32_e32 v12, 0x3b800000
	v_lshlrev_b32_e32 v3, 20, v3
	v_lshl_add_u32 v6, v6, 23, v12
	v_or3_b32 v6, v7, v6, v3
.LBB1_5696:
	s_or_b64 exec, exec, s[6:7]
	s_nop 0
	v_mfma_f32_16x16x4f32 a[0:3], v2, v6, a[0:3]
	s_movk_i32 s4, 0x7f
	v_cmp_gt_i16_sdwa s[6:7], v8, s4 src0_sel:BYTE_0 src1_sel:DWORD
	s_mov_b64 s[4:5], 0
                                        ; implicit-def: $sgpr10
	s_and_saveexec_b64 s[8:9], s[6:7]
	s_xor_b64 s[6:7], exec, s[8:9]
	s_cbranch_execz .LBB1_5697
; %bb.41537:
	s_getpc_b64 s[14:15]
.Lpost_getpc6432:
	s_add_u32 s14, s14, (.LBB1_20033-.Lpost_getpc6432)&4294967295
	s_addc_u32 s15, s15, (.LBB1_20033-.Lpost_getpc6432)>>32
	s_setpc_b64 s[14:15]
.LBB1_5697:
	s_or_saveexec_b64 s[6:7], s[6:7]
	v_mov_b32_e32 v2, s10
	s_xor_b64 exec, exec, s[6:7]
	s_cbranch_execz .LBB1_5698
; %bb.41539:
	s_getpc_b64 s[14:15]
.Lpost_getpc6433:
	s_add_u32 s14, s14, (.LBB1_20036-.Lpost_getpc6433)&4294967295
	s_addc_u32 s15, s15, (.LBB1_20036-.Lpost_getpc6433)>>32
	s_setpc_b64 s[14:15]
.LBB1_5698:
	s_or_b64 exec, exec, s[6:7]
	s_and_saveexec_b64 s[6:7], s[4:5]
	s_cbranch_execz .LBB1_5700
.LBB1_5699:
	v_and_b32_e32 v2, 7, v8
	v_ffbh_u32_e32 v6, v2
	v_min_u32_e32 v6, 32, v6
	v_lshrrev_b16_e32 v3, 3, v8
	v_subrev_u32_e32 v7, 28, v6
	v_and_b32_e32 v3, 15, v3
	v_lshlrev_b32_e32 v7, v7, v8
	v_sub_u32_e32 v6, 29, v6
	v_and_b32_e32 v7, 7, v7
	v_cmp_eq_u16_e32 vcc, 0, v3
	v_cndmask_b32_e32 v2, v2, v7, vcc
	v_cndmask_b32_e32 v3, v3, v6, vcc
	v_lshlrev_b32_e32 v6, 24, v8
	v_mov_b32_e32 v7, 0x3b800000
	v_lshlrev_b32_e32 v2, 20, v2
	v_and_b32_e32 v6, 0x80000000, v6
	v_lshl_add_u32 v3, v3, 23, v7
	v_or3_b32 v2, v6, v3, v2
.LBB1_5700:
	s_or_b64 exec, exec, s[6:7]
	s_movk_i32 s4, 0x7f
	v_cmp_gt_i16_sdwa s[6:7], v4, s4 src0_sel:BYTE_0 src1_sel:DWORD
	s_mov_b64 s[4:5], 0
                                        ; implicit-def: $sgpr10
	s_and_saveexec_b64 s[8:9], s[6:7]
	s_xor_b64 s[6:7], exec, s[8:9]
	s_cbranch_execz .LBB1_5701
; %bb.41541:
	s_getpc_b64 s[14:15]
.Lpost_getpc6434:
	s_add_u32 s14, s14, (.LBB1_20037-.Lpost_getpc6434)&4294967295
	s_addc_u32 s15, s15, (.LBB1_20037-.Lpost_getpc6434)>>32
	s_setpc_b64 s[14:15]
.LBB1_5701:
	s_or_saveexec_b64 s[6:7], s[6:7]
	v_mov_b32_e32 v3, s10
	s_xor_b64 exec, exec, s[6:7]
	s_cbranch_execz .LBB1_5702
; %bb.41543:
	s_getpc_b64 s[14:15]
.Lpost_getpc6435:
	s_add_u32 s14, s14, (.LBB1_20040-.Lpost_getpc6435)&4294967295
	s_addc_u32 s15, s15, (.LBB1_20040-.Lpost_getpc6435)>>32
	s_setpc_b64 s[14:15]
.LBB1_5702:
	s_or_b64 exec, exec, s[6:7]
	s_and_saveexec_b64 s[6:7], s[4:5]
	s_cbranch_execz .LBB1_5704
.LBB1_5703:
	v_and_b32_e32 v3, 7, v4
	v_ffbh_u32_e32 v7, v3
	v_min_u32_e32 v7, 32, v7
	v_lshrrev_b16_e32 v6, 3, v4
	v_subrev_u32_e32 v12, 28, v7
	v_and_b32_e32 v6, 15, v6
	v_lshlrev_b32_e32 v12, v12, v4
	v_sub_u32_e32 v7, 29, v7
	v_and_b32_e32 v12, 7, v12
	v_cmp_eq_u16_e32 vcc, 0, v6
	v_cndmask_b32_e32 v3, v3, v12, vcc
	v_cndmask_b32_e32 v6, v6, v7, vcc
	v_lshlrev_b32_e32 v7, 24, v4
	v_mov_b32_e32 v12, 0x3b800000
	v_lshlrev_b32_e32 v3, 20, v3
	v_and_b32_e32 v7, 0x80000000, v7
	v_lshl_add_u32 v6, v6, 23, v12
	v_or3_b32 v3, v7, v6, v3
.LBB1_5704:
	s_or_b64 exec, exec, s[6:7]
	s_nop 0
	v_mfma_f32_16x16x4f32 a[0:3], v2, v3, a[0:3]
	v_lshrrev_b32_e32 v3, 8, v8
	s_movk_i32 s4, 0x7f
	v_cmp_gt_i16_sdwa s[6:7], v3, s4 src0_sel:BYTE_0 src1_sel:DWORD
	s_mov_b64 s[4:5], 0
                                        ; implicit-def: $sgpr10
	s_and_saveexec_b64 s[8:9], s[6:7]
	s_xor_b64 s[6:7], exec, s[8:9]
	s_cbranch_execz .LBB1_5705
; %bb.41545:
	s_getpc_b64 s[14:15]
.Lpost_getpc6436:
	s_add_u32 s14, s14, (.LBB1_20041-.Lpost_getpc6436)&4294967295
	s_addc_u32 s15, s15, (.LBB1_20041-.Lpost_getpc6436)>>32
	s_setpc_b64 s[14:15]
.LBB1_5705:
	s_or_saveexec_b64 s[6:7], s[6:7]
	v_mov_b32_e32 v2, s10
	s_xor_b64 exec, exec, s[6:7]
	s_cbranch_execz .LBB1_5706
; %bb.41547:
	s_getpc_b64 s[14:15]
.Lpost_getpc6437:
	s_add_u32 s14, s14, (.LBB1_20044-.Lpost_getpc6437)&4294967295
	s_addc_u32 s15, s15, (.LBB1_20044-.Lpost_getpc6437)>>32
	s_setpc_b64 s[14:15]
.LBB1_5706:
	s_or_b64 exec, exec, s[6:7]
	s_and_saveexec_b64 s[6:7], s[4:5]
	s_cbranch_execz .LBB1_5708
.LBB1_5707:
	v_bfe_u32 v2, v8, 8, 3
	v_ffbh_u32_e32 v7, v2
	v_min_u32_e32 v7, 32, v7
	v_lshrrev_b16_e32 v6, 3, v3
	v_subrev_u32_e32 v12, 28, v7
	v_and_b32_e32 v6, 15, v6
	v_lshlrev_b32_e32 v3, v12, v3
	v_sub_u32_e32 v7, 29, v7
	v_and_b32_e32 v3, 7, v3
	v_cmp_eq_u16_e32 vcc, 0, v6
	v_cndmask_b32_e32 v2, v2, v3, vcc
	v_cndmask_b32_e32 v3, v6, v7, vcc
	v_lshlrev_b32_e32 v6, 16, v8
	v_mov_b32_e32 v7, 0x3b800000
	v_lshlrev_b32_e32 v2, 20, v2
	v_and_b32_e32 v6, 0x80000000, v6
	v_lshl_add_u32 v3, v3, 23, v7
	v_or3_b32 v2, v6, v3, v2
.LBB1_5708:
	s_or_b64 exec, exec, s[6:7]
	v_lshrrev_b32_e32 v3, 8, v4
	s_movk_i32 s4, 0x7f
	v_cmp_gt_i16_sdwa s[6:7], v3, s4 src0_sel:BYTE_0 src1_sel:DWORD
	s_mov_b64 s[4:5], 0
                                        ; implicit-def: $sgpr10
	s_and_saveexec_b64 s[8:9], s[6:7]
	s_xor_b64 s[6:7], exec, s[8:9]
	s_cbranch_execz .LBB1_5709
; %bb.41549:
	s_getpc_b64 s[14:15]
.Lpost_getpc6438:
	s_add_u32 s14, s14, (.LBB1_20045-.Lpost_getpc6438)&4294967295
	s_addc_u32 s15, s15, (.LBB1_20045-.Lpost_getpc6438)>>32
	s_setpc_b64 s[14:15]
.LBB1_5709:
	s_or_saveexec_b64 s[6:7], s[6:7]
	v_mov_b32_e32 v6, s10
	s_xor_b64 exec, exec, s[6:7]
	s_cbranch_execz .LBB1_5710
; %bb.41551:
	s_getpc_b64 s[14:15]
.Lpost_getpc6439:
	s_add_u32 s14, s14, (.LBB1_20048-.Lpost_getpc6439)&4294967295
	s_addc_u32 s15, s15, (.LBB1_20048-.Lpost_getpc6439)>>32
	s_setpc_b64 s[14:15]
.LBB1_5710:
	s_or_b64 exec, exec, s[6:7]
	s_and_saveexec_b64 s[6:7], s[4:5]
	s_cbranch_execz .LBB1_5712
.LBB1_5711:
	v_bfe_u32 v6, v4, 8, 3
	v_ffbh_u32_e32 v12, v6
	v_min_u32_e32 v12, 32, v12
	v_lshrrev_b16_e32 v7, 3, v3
	v_subrev_u32_e32 v13, 28, v12
	v_and_b32_e32 v7, 15, v7
	v_lshlrev_b32_e32 v3, v13, v3
	v_sub_u32_e32 v12, 29, v12
	v_and_b32_e32 v3, 7, v3
	v_cmp_eq_u16_e32 vcc, 0, v7
	v_cndmask_b32_e32 v3, v6, v3, vcc
	v_cndmask_b32_e32 v6, v7, v12, vcc
	v_lshlrev_b32_e32 v7, 16, v4
	v_mov_b32_e32 v12, 0x3b800000
	v_lshlrev_b32_e32 v3, 20, v3
	v_and_b32_e32 v7, 0x80000000, v7
	v_lshl_add_u32 v6, v6, 23, v12
	v_or3_b32 v6, v7, v6, v3
.LBB1_5712:
	s_or_b64 exec, exec, s[6:7]
	s_nop 0
	v_mfma_f32_16x16x4f32 a[0:3], v2, v6, a[0:3]
	s_movk_i32 s4, 0xff
	v_and_b32_sdwa v3, v8, s4 dst_sel:DWORD dst_unused:UNUSED_PAD src0_sel:WORD_1 src1_sel:DWORD
	s_movk_i32 s4, 0x7f
	v_cmp_lt_i16_e32 vcc, s4, v3
	s_mov_b64 s[4:5], 0
                                        ; implicit-def: $sgpr10
	s_and_saveexec_b64 s[6:7], vcc
	s_xor_b64 s[6:7], exec, s[6:7]
	s_cbranch_execz .LBB1_5713
; %bb.41553:
	s_getpc_b64 s[14:15]
.Lpost_getpc6440:
	s_add_u32 s14, s14, (.LBB1_20049-.Lpost_getpc6440)&4294967295
	s_addc_u32 s15, s15, (.LBB1_20049-.Lpost_getpc6440)>>32
	s_setpc_b64 s[14:15]
.LBB1_5713:
	s_or_saveexec_b64 s[6:7], s[6:7]
	v_mov_b32_e32 v2, s10
	s_xor_b64 exec, exec, s[6:7]
	s_cbranch_execz .LBB1_5714
; %bb.41555:
	s_getpc_b64 s[14:15]
.Lpost_getpc6441:
	s_add_u32 s14, s14, (.LBB1_20052-.Lpost_getpc6441)&4294967295
	s_addc_u32 s15, s15, (.LBB1_20052-.Lpost_getpc6441)>>32
	s_setpc_b64 s[14:15]
.LBB1_5714:
	s_or_b64 exec, exec, s[6:7]
	s_and_saveexec_b64 s[6:7], s[4:5]
	s_cbranch_execz .LBB1_5716
.LBB1_5715:
	v_bfe_u32 v2, v8, 16, 3
	v_ffbh_u32_e32 v7, v2
	v_min_u32_e32 v7, 32, v7
	v_lshrrev_b32_e32 v3, 19, v8
	v_subrev_u32_e32 v12, 28, v7
	v_and_b32_e32 v3, 15, v3
	v_lshlrev_b32_sdwa v12, v12, v8 dst_sel:DWORD dst_unused:UNUSED_PAD src0_sel:DWORD src1_sel:WORD_1
	v_bfe_u32 v6, v8, 19, 4
	v_sub_u32_e32 v7, 29, v7
	v_and_b32_e32 v12, 7, v12
	v_cmp_eq_u16_e32 vcc, 0, v3
	v_cndmask_b32_e32 v2, v2, v12, vcc
	v_cndmask_b32_e32 v3, v6, v7, vcc
	v_lshlrev_b32_e32 v6, 8, v8
	v_mov_b32_e32 v7, 0x3b800000
	v_lshlrev_b32_e32 v2, 20, v2
	v_and_b32_e32 v6, 0x80000000, v6
	v_lshl_add_u32 v3, v3, 23, v7
	v_or3_b32 v2, v6, v3, v2
.LBB1_5716:
	s_or_b64 exec, exec, s[6:7]
	s_movk_i32 s4, 0xff
	v_and_b32_sdwa v3, v4, s4 dst_sel:DWORD dst_unused:UNUSED_PAD src0_sel:WORD_1 src1_sel:DWORD
	s_movk_i32 s4, 0x7f
	v_cmp_lt_i16_e32 vcc, s4, v3
	s_mov_b64 s[4:5], 0
                                        ; implicit-def: $sgpr10
	s_and_saveexec_b64 s[6:7], vcc
	s_xor_b64 s[6:7], exec, s[6:7]
	s_cbranch_execz .LBB1_5717
; %bb.41557:
	s_getpc_b64 s[14:15]
.Lpost_getpc6442:
	s_add_u32 s14, s14, (.LBB1_20053-.Lpost_getpc6442)&4294967295
	s_addc_u32 s15, s15, (.LBB1_20053-.Lpost_getpc6442)>>32
	s_setpc_b64 s[14:15]
.LBB1_5717:
	s_or_saveexec_b64 s[6:7], s[6:7]
	v_mov_b32_e32 v6, s10
	s_xor_b64 exec, exec, s[6:7]
	s_cbranch_execz .LBB1_5718
; %bb.41559:
	s_getpc_b64 s[14:15]
.Lpost_getpc6443:
	s_add_u32 s14, s14, (.LBB1_20056-.Lpost_getpc6443)&4294967295
	s_addc_u32 s15, s15, (.LBB1_20056-.Lpost_getpc6443)>>32
	s_setpc_b64 s[14:15]
.LBB1_5718:
	s_or_b64 exec, exec, s[6:7]
	s_and_saveexec_b64 s[6:7], s[4:5]
	s_cbranch_execz .LBB1_5720
.LBB1_5719:
	v_bfe_u32 v3, v4, 16, 3
	v_ffbh_u32_e32 v12, v3
	v_min_u32_e32 v12, 32, v12
	v_lshrrev_b32_e32 v6, 19, v4
	v_subrev_u32_e32 v13, 28, v12
	v_and_b32_e32 v6, 15, v6
	v_lshlrev_b32_sdwa v13, v13, v4 dst_sel:DWORD dst_unused:UNUSED_PAD src0_sel:DWORD src1_sel:WORD_1
	v_bfe_u32 v7, v4, 19, 4
	v_sub_u32_e32 v12, 29, v12
	v_and_b32_e32 v13, 7, v13
	v_cmp_eq_u16_e32 vcc, 0, v6
	v_cndmask_b32_e32 v3, v3, v13, vcc
	v_cndmask_b32_e32 v6, v7, v12, vcc
	v_lshlrev_b32_e32 v7, 8, v4
	v_mov_b32_e32 v12, 0x3b800000
	v_lshlrev_b32_e32 v3, 20, v3
	v_and_b32_e32 v7, 0x80000000, v7
	v_lshl_add_u32 v6, v6, 23, v12
	v_or3_b32 v6, v7, v6, v3
.LBB1_5720:
	s_or_b64 exec, exec, s[6:7]
	s_nop 0
	v_mfma_f32_16x16x4f32 a[0:3], v2, v6, a[0:3]
	s_movk_i32 s4, 0x7f
	v_cmp_gt_i16_sdwa s[6:7], v8, s4 src0_sel:BYTE_3 src1_sel:DWORD
	s_mov_b64 s[4:5], 0
                                        ; implicit-def: $sgpr10
	s_and_saveexec_b64 s[8:9], s[6:7]
	s_xor_b64 s[6:7], exec, s[8:9]
	s_cbranch_execz .LBB1_5721
; %bb.41561:
	s_getpc_b64 s[14:15]
.Lpost_getpc6444:
	s_add_u32 s14, s14, (.LBB1_20057-.Lpost_getpc6444)&4294967295
	s_addc_u32 s15, s15, (.LBB1_20057-.Lpost_getpc6444)>>32
	s_setpc_b64 s[14:15]
.LBB1_5721:
	s_or_saveexec_b64 s[6:7], s[6:7]
	v_mov_b32_e32 v2, s10
	s_xor_b64 exec, exec, s[6:7]
	s_cbranch_execz .LBB1_5722
; %bb.41563:
	s_getpc_b64 s[14:15]
.Lpost_getpc6445:
	s_add_u32 s14, s14, (.LBB1_20060-.Lpost_getpc6445)&4294967295
	s_addc_u32 s15, s15, (.LBB1_20060-.Lpost_getpc6445)>>32
	s_setpc_b64 s[14:15]
.LBB1_5722:
	s_or_b64 exec, exec, s[6:7]
	s_and_saveexec_b64 s[6:7], s[4:5]
	s_cbranch_execz .LBB1_5724
.LBB1_5723:
	v_bfe_u32 v2, v8, 24, 3
	v_ffbh_u32_e32 v12, v2
	v_min_u32_e32 v12, 32, v12
	v_lshrrev_b32_e32 v6, 27, v8
	v_subrev_u32_e32 v13, 28, v12
	v_and_b32_e32 v3, 0x80000000, v8
	v_and_b32_e32 v6, 15, v6
	v_bfe_u32 v7, v8, 27, 4
	v_lshlrev_b32_sdwa v8, v13, v8 dst_sel:DWORD dst_unused:UNUSED_PAD src0_sel:DWORD src1_sel:BYTE_3
	v_sub_u32_e32 v12, 29, v12
	v_and_b32_e32 v8, 7, v8
	v_cmp_eq_u16_e32 vcc, 0, v6
	v_cndmask_b32_e32 v2, v2, v8, vcc
	v_cndmask_b32_e32 v6, v7, v12, vcc
	v_mov_b32_e32 v7, 0x3b800000
	v_lshlrev_b32_e32 v2, 20, v2
	v_lshl_add_u32 v6, v6, 23, v7
	v_or3_b32 v2, v3, v6, v2
.LBB1_5724:
	s_or_b64 exec, exec, s[6:7]
	s_movk_i32 s4, 0x7f
	v_cmp_gt_i16_sdwa s[6:7], v4, s4 src0_sel:BYTE_3 src1_sel:DWORD
	s_mov_b64 s[4:5], 0
                                        ; implicit-def: $sgpr10
	s_and_saveexec_b64 s[8:9], s[6:7]
	s_xor_b64 s[6:7], exec, s[8:9]
	s_cbranch_execz .LBB1_5725
; %bb.41565:
	s_getpc_b64 s[14:15]
.Lpost_getpc6446:
	s_add_u32 s14, s14, (.LBB1_20061-.Lpost_getpc6446)&4294967295
	s_addc_u32 s15, s15, (.LBB1_20061-.Lpost_getpc6446)>>32
	s_setpc_b64 s[14:15]
.LBB1_5725:
	s_or_saveexec_b64 s[6:7], s[6:7]
	v_mov_b32_e32 v3, s10
	s_xor_b64 exec, exec, s[6:7]
	s_cbranch_execz .LBB1_5726
; %bb.41567:
	s_getpc_b64 s[14:15]
.Lpost_getpc6447:
	s_add_u32 s14, s14, (.LBB1_20064-.Lpost_getpc6447)&4294967295
	s_addc_u32 s15, s15, (.LBB1_20064-.Lpost_getpc6447)>>32
	s_setpc_b64 s[14:15]
.LBB1_5726:
	s_or_b64 exec, exec, s[6:7]
	s_and_saveexec_b64 s[6:7], s[4:5]
	s_cbranch_execz .LBB1_5728
.LBB1_5727:
	v_bfe_u32 v3, v4, 24, 3
	v_ffbh_u32_e32 v12, v3
	v_min_u32_e32 v12, 32, v12
	v_lshrrev_b32_e32 v7, 27, v4
	v_subrev_u32_e32 v13, 28, v12
	v_and_b32_e32 v6, 0x80000000, v4
	v_and_b32_e32 v7, 15, v7
	v_bfe_u32 v8, v4, 27, 4
	v_lshlrev_b32_sdwa v4, v13, v4 dst_sel:DWORD dst_unused:UNUSED_PAD src0_sel:DWORD src1_sel:BYTE_3
	v_sub_u32_e32 v12, 29, v12
	v_and_b32_e32 v4, 7, v4
	v_cmp_eq_u16_e32 vcc, 0, v7
	v_cndmask_b32_e32 v3, v3, v4, vcc
	v_cndmask_b32_e32 v4, v8, v12, vcc
	v_mov_b32_e32 v7, 0x3b800000
	v_lshlrev_b32_e32 v3, 20, v3
	v_lshl_add_u32 v4, v4, 23, v7
	v_or3_b32 v3, v6, v4, v3
.LBB1_5728:
	s_or_b64 exec, exec, s[6:7]
	s_nop 0
	v_mfma_f32_16x16x4f32 a[0:3], v2, v3, a[0:3]
	s_movk_i32 s4, 0x7f
	v_cmp_gt_i16_sdwa s[6:7], v9, s4 src0_sel:BYTE_0 src1_sel:DWORD
	s_mov_b64 s[4:5], 0
                                        ; implicit-def: $sgpr10
	s_and_saveexec_b64 s[8:9], s[6:7]
	s_xor_b64 s[6:7], exec, s[8:9]
	s_cbranch_execz .LBB1_5729
; %bb.41569:
	s_getpc_b64 s[14:15]
.Lpost_getpc6448:
	s_add_u32 s14, s14, (.LBB1_20065-.Lpost_getpc6448)&4294967295
	s_addc_u32 s15, s15, (.LBB1_20065-.Lpost_getpc6448)>>32
	s_setpc_b64 s[14:15]
.LBB1_5729:
	s_or_saveexec_b64 s[6:7], s[6:7]
	v_mov_b32_e32 v2, s10
	s_xor_b64 exec, exec, s[6:7]
	s_cbranch_execz .LBB1_5730
; %bb.41571:
	s_getpc_b64 s[14:15]
.Lpost_getpc6449:
	s_add_u32 s14, s14, (.LBB1_20068-.Lpost_getpc6449)&4294967295
	s_addc_u32 s15, s15, (.LBB1_20068-.Lpost_getpc6449)>>32
	s_setpc_b64 s[14:15]
.LBB1_5730:
	s_or_b64 exec, exec, s[6:7]
	s_and_saveexec_b64 s[6:7], s[4:5]
	s_cbranch_execz .LBB1_5732
.LBB1_5731:
	v_mov_b32_e32 v2, 8
	v_and_b32_e32 v3, 7, v9
	v_lshrrev_b32_sdwa v2, v2, v9 dst_sel:BYTE_1 dst_unused:UNUSED_PAD src0_sel:DWORD src1_sel:DWORD
	v_ffbh_u32_e32 v4, v3
	v_or_b32_sdwa v2, v9, v2 dst_sel:DWORD dst_unused:UNUSED_PAD src0_sel:BYTE_0 src1_sel:DWORD
	v_min_u32_e32 v4, 32, v4
	v_lshrrev_b16_e32 v2, 3, v2
	v_subrev_u32_e32 v6, 28, v4
	v_and_b32_e32 v2, 15, v2
	v_lshlrev_b32_e32 v6, v6, v9
	v_sub_u32_e32 v4, 29, v4
	v_and_b32_e32 v6, 7, v6
	v_cmp_eq_u16_e32 vcc, 0, v2
	v_cndmask_b32_e32 v3, v3, v6, vcc
	v_cndmask_b32_e32 v2, v2, v4, vcc
	v_lshlrev_b32_e32 v4, 24, v9
	v_mov_b32_e32 v6, 0x3b800000
	v_lshlrev_b32_e32 v3, 20, v3
	v_and_b32_e32 v4, 0x80000000, v4
	v_lshl_add_u32 v2, v2, 23, v6
	v_or3_b32 v2, v4, v2, v3
.LBB1_5732:
	s_or_b64 exec, exec, s[6:7]
	s_movk_i32 s4, 0x7f
	v_cmp_gt_i16_sdwa s[6:7], v5, s4 src0_sel:BYTE_0 src1_sel:DWORD
	s_mov_b64 s[4:5], 0
                                        ; implicit-def: $sgpr10
	s_and_saveexec_b64 s[8:9], s[6:7]
	s_xor_b64 s[6:7], exec, s[8:9]
	s_cbranch_execz .LBB1_5733
; %bb.41573:
	s_getpc_b64 s[14:15]
.Lpost_getpc6450:
	s_add_u32 s14, s14, (.LBB1_20069-.Lpost_getpc6450)&4294967295
	s_addc_u32 s15, s15, (.LBB1_20069-.Lpost_getpc6450)>>32
	s_setpc_b64 s[14:15]
.LBB1_5733:
	s_or_saveexec_b64 s[6:7], s[6:7]
	v_mov_b32_e32 v3, s10
	s_xor_b64 exec, exec, s[6:7]
	s_cbranch_execz .LBB1_5734
; %bb.41575:
	s_getpc_b64 s[14:15]
.Lpost_getpc6451:
	s_add_u32 s14, s14, (.LBB1_20072-.Lpost_getpc6451)&4294967295
	s_addc_u32 s15, s15, (.LBB1_20072-.Lpost_getpc6451)>>32
	s_setpc_b64 s[14:15]
.LBB1_5734:
	s_or_b64 exec, exec, s[6:7]
	s_and_saveexec_b64 s[6:7], s[4:5]
	s_cbranch_execz .LBB1_5736
.LBB1_5735:
	v_mov_b32_e32 v3, 8
	v_and_b32_e32 v4, 7, v5
	v_lshrrev_b32_sdwa v3, v3, v5 dst_sel:BYTE_1 dst_unused:UNUSED_PAD src0_sel:DWORD src1_sel:DWORD
	v_ffbh_u32_e32 v6, v4
	v_or_b32_sdwa v3, v5, v3 dst_sel:DWORD dst_unused:UNUSED_PAD src0_sel:BYTE_0 src1_sel:DWORD
	v_min_u32_e32 v6, 32, v6
	v_lshrrev_b16_e32 v3, 3, v3
	v_subrev_u32_e32 v7, 28, v6
	v_and_b32_e32 v3, 15, v3
	v_lshlrev_b32_e32 v7, v7, v5
	v_sub_u32_e32 v6, 29, v6
	v_and_b32_e32 v7, 7, v7
	v_cmp_eq_u16_e32 vcc, 0, v3
	v_cndmask_b32_e32 v4, v4, v7, vcc
	v_cndmask_b32_e32 v3, v3, v6, vcc
	v_lshlrev_b32_e32 v6, 24, v5
	v_mov_b32_e32 v7, 0x3b800000
	v_lshlrev_b32_e32 v4, 20, v4
	v_and_b32_e32 v6, 0x80000000, v6
	v_lshl_add_u32 v3, v3, 23, v7
	v_or3_b32 v3, v6, v3, v4
.LBB1_5736:
	s_or_b64 exec, exec, s[6:7]
	s_nop 0
	v_mfma_f32_16x16x4f32 a[0:3], v2, v3, a[0:3]
	v_lshrrev_b32_e32 v3, 8, v9
	s_movk_i32 s4, 0x7f
	v_cmp_gt_i16_sdwa s[6:7], v3, s4 src0_sel:BYTE_0 src1_sel:DWORD
	s_mov_b64 s[4:5], 0
                                        ; implicit-def: $sgpr10
	s_and_saveexec_b64 s[8:9], s[6:7]
	s_xor_b64 s[6:7], exec, s[8:9]
	s_cbranch_execz .LBB1_5737
; %bb.41577:
	s_getpc_b64 s[14:15]
.Lpost_getpc6452:
	s_add_u32 s14, s14, (.LBB1_20073-.Lpost_getpc6452)&4294967295
	s_addc_u32 s15, s15, (.LBB1_20073-.Lpost_getpc6452)>>32
	s_setpc_b64 s[14:15]
.LBB1_5737:
	s_or_saveexec_b64 s[6:7], s[6:7]
	v_mov_b32_e32 v2, s10
	s_xor_b64 exec, exec, s[6:7]
	s_cbranch_execz .LBB1_5738
; %bb.41579:
	s_getpc_b64 s[14:15]
.Lpost_getpc6453:
	s_add_u32 s14, s14, (.LBB1_20076-.Lpost_getpc6453)&4294967295
	s_addc_u32 s15, s15, (.LBB1_20076-.Lpost_getpc6453)>>32
	s_setpc_b64 s[14:15]
.LBB1_5738:
	s_or_b64 exec, exec, s[6:7]
	s_and_saveexec_b64 s[6:7], s[4:5]
	s_cbranch_execz .LBB1_5740
.LBB1_5739:
	v_bfe_u32 v2, v9, 8, 3
	v_ffbh_u32_e32 v6, v2
	v_min_u32_e32 v6, 32, v6
	v_lshrrev_b16_e32 v4, 3, v3
	v_subrev_u32_e32 v7, 28, v6
	v_and_b32_e32 v4, 15, v4
	v_lshlrev_b32_e32 v3, v7, v3
	v_sub_u32_e32 v6, 29, v6
	v_and_b32_e32 v3, 7, v3
	v_cmp_eq_u16_e32 vcc, 0, v4
	v_cndmask_b32_e32 v2, v2, v3, vcc
	v_cndmask_b32_e32 v3, v4, v6, vcc
	v_lshlrev_b32_e32 v4, 16, v9
	v_mov_b32_e32 v6, 0x3b800000
	v_lshlrev_b32_e32 v2, 20, v2
	v_and_b32_e32 v4, 0x80000000, v4
	v_lshl_add_u32 v3, v3, 23, v6
	v_or3_b32 v2, v4, v3, v2
.LBB1_5740:
	s_or_b64 exec, exec, s[6:7]
	v_lshrrev_b32_e32 v3, 8, v5
	s_movk_i32 s4, 0x7f
	v_cmp_gt_i16_sdwa s[6:7], v3, s4 src0_sel:BYTE_0 src1_sel:DWORD
	s_mov_b64 s[4:5], 0
                                        ; implicit-def: $sgpr10
	s_and_saveexec_b64 s[8:9], s[6:7]
	s_xor_b64 s[6:7], exec, s[8:9]
	s_cbranch_execz .LBB1_5741
; %bb.41581:
	s_getpc_b64 s[14:15]
.Lpost_getpc6454:
	s_add_u32 s14, s14, (.LBB1_20077-.Lpost_getpc6454)&4294967295
	s_addc_u32 s15, s15, (.LBB1_20077-.Lpost_getpc6454)>>32
	s_setpc_b64 s[14:15]
.LBB1_5741:
	s_or_saveexec_b64 s[6:7], s[6:7]
	v_mov_b32_e32 v4, s10
	s_xor_b64 exec, exec, s[6:7]
	s_cbranch_execz .LBB1_5742
; %bb.41583:
	s_getpc_b64 s[14:15]
.Lpost_getpc6455:
	s_add_u32 s14, s14, (.LBB1_20080-.Lpost_getpc6455)&4294967295
	s_addc_u32 s15, s15, (.LBB1_20080-.Lpost_getpc6455)>>32
	s_setpc_b64 s[14:15]
.LBB1_5742:
	s_or_b64 exec, exec, s[6:7]
	s_and_saveexec_b64 s[6:7], s[4:5]
	s_cbranch_execz .LBB1_5744
.LBB1_5743:
	v_bfe_u32 v4, v5, 8, 3
	v_ffbh_u32_e32 v7, v4
	v_min_u32_e32 v7, 32, v7
	v_lshrrev_b16_e32 v6, 3, v3
	v_subrev_u32_e32 v8, 28, v7
	v_and_b32_e32 v6, 15, v6
	v_lshlrev_b32_e32 v3, v8, v3
	v_sub_u32_e32 v7, 29, v7
	v_and_b32_e32 v3, 7, v3
	v_cmp_eq_u16_e32 vcc, 0, v6
	v_cndmask_b32_e32 v3, v4, v3, vcc
	v_cndmask_b32_e32 v4, v6, v7, vcc
	v_lshlrev_b32_e32 v6, 16, v5
	v_mov_b32_e32 v7, 0x3b800000
	v_lshlrev_b32_e32 v3, 20, v3
	v_and_b32_e32 v6, 0x80000000, v6
	v_lshl_add_u32 v4, v4, 23, v7
	v_or3_b32 v4, v6, v4, v3
.LBB1_5744:
	s_or_b64 exec, exec, s[6:7]
	s_nop 0
	v_mfma_f32_16x16x4f32 a[0:3], v2, v4, a[0:3]
	s_movk_i32 s4, 0xff
	v_and_b32_sdwa v3, v9, s4 dst_sel:DWORD dst_unused:UNUSED_PAD src0_sel:WORD_1 src1_sel:DWORD
	s_movk_i32 s4, 0x7f
	v_cmp_lt_i16_e32 vcc, s4, v3
	s_mov_b64 s[4:5], 0
                                        ; implicit-def: $sgpr10
	s_and_saveexec_b64 s[6:7], vcc
	s_xor_b64 s[6:7], exec, s[6:7]
	s_cbranch_execz .LBB1_5745
; %bb.41585:
	s_getpc_b64 s[14:15]
.Lpost_getpc6456:
	s_add_u32 s14, s14, (.LBB1_20081-.Lpost_getpc6456)&4294967295
	s_addc_u32 s15, s15, (.LBB1_20081-.Lpost_getpc6456)>>32
	s_setpc_b64 s[14:15]
.LBB1_5745:
	s_or_saveexec_b64 s[6:7], s[6:7]
	v_mov_b32_e32 v2, s10
	s_xor_b64 exec, exec, s[6:7]
	s_cbranch_execz .LBB1_5746
; %bb.41587:
	s_getpc_b64 s[14:15]
.Lpost_getpc6457:
	s_add_u32 s14, s14, (.LBB1_20084-.Lpost_getpc6457)&4294967295
	s_addc_u32 s15, s15, (.LBB1_20084-.Lpost_getpc6457)>>32
	s_setpc_b64 s[14:15]
.LBB1_5746:
	s_or_b64 exec, exec, s[6:7]
	s_and_saveexec_b64 s[6:7], s[4:5]
	s_cbranch_execz .LBB1_5748
.LBB1_5747:
	v_bfe_u32 v2, v9, 16, 3
	v_ffbh_u32_e32 v6, v2
	v_min_u32_e32 v6, 32, v6
	v_lshrrev_b32_e32 v3, 19, v9
	v_subrev_u32_e32 v7, 28, v6
	v_and_b32_e32 v3, 15, v3
	v_lshlrev_b32_sdwa v7, v7, v9 dst_sel:DWORD dst_unused:UNUSED_PAD src0_sel:DWORD src1_sel:WORD_1
	v_bfe_u32 v4, v9, 19, 4
	v_sub_u32_e32 v6, 29, v6
	v_and_b32_e32 v7, 7, v7
	v_cmp_eq_u16_e32 vcc, 0, v3
	v_cndmask_b32_e32 v2, v2, v7, vcc
	v_cndmask_b32_e32 v3, v4, v6, vcc
	v_lshlrev_b32_e32 v4, 8, v9
	v_mov_b32_e32 v6, 0x3b800000
	v_lshlrev_b32_e32 v2, 20, v2
	v_and_b32_e32 v4, 0x80000000, v4
	v_lshl_add_u32 v3, v3, 23, v6
	v_or3_b32 v2, v4, v3, v2
.LBB1_5748:
	s_or_b64 exec, exec, s[6:7]
	s_movk_i32 s4, 0xff
	v_and_b32_sdwa v3, v5, s4 dst_sel:DWORD dst_unused:UNUSED_PAD src0_sel:WORD_1 src1_sel:DWORD
	s_movk_i32 s4, 0x7f
	v_cmp_lt_i16_e32 vcc, s4, v3
	s_mov_b64 s[4:5], 0
                                        ; implicit-def: $sgpr10
	s_and_saveexec_b64 s[6:7], vcc
	s_xor_b64 s[6:7], exec, s[6:7]
	s_cbranch_execz .LBB1_5749
; %bb.41589:
	s_getpc_b64 s[14:15]
.Lpost_getpc6458:
	s_add_u32 s14, s14, (.LBB1_20085-.Lpost_getpc6458)&4294967295
	s_addc_u32 s15, s15, (.LBB1_20085-.Lpost_getpc6458)>>32
	s_setpc_b64 s[14:15]
.LBB1_5749:
	s_or_saveexec_b64 s[6:7], s[6:7]
	v_mov_b32_e32 v4, s10
	s_xor_b64 exec, exec, s[6:7]
	s_cbranch_execz .LBB1_5750
; %bb.41591:
	s_getpc_b64 s[14:15]
.Lpost_getpc6459:
	s_add_u32 s14, s14, (.LBB1_20088-.Lpost_getpc6459)&4294967295
	s_addc_u32 s15, s15, (.LBB1_20088-.Lpost_getpc6459)>>32
	s_setpc_b64 s[14:15]
.LBB1_5750:
	s_or_b64 exec, exec, s[6:7]
	s_and_saveexec_b64 s[6:7], s[4:5]
	s_cbranch_execz .LBB1_5752
.LBB1_5751:
	v_bfe_u32 v3, v5, 16, 3
	v_ffbh_u32_e32 v7, v3
	v_min_u32_e32 v7, 32, v7
	v_lshrrev_b32_e32 v4, 19, v5
	v_subrev_u32_e32 v8, 28, v7
	v_and_b32_e32 v4, 15, v4
	v_lshlrev_b32_sdwa v8, v8, v5 dst_sel:DWORD dst_unused:UNUSED_PAD src0_sel:DWORD src1_sel:WORD_1
	v_bfe_u32 v6, v5, 19, 4
	v_sub_u32_e32 v7, 29, v7
	v_and_b32_e32 v8, 7, v8
	v_cmp_eq_u16_e32 vcc, 0, v4
	v_cndmask_b32_e32 v3, v3, v8, vcc
	v_cndmask_b32_e32 v4, v6, v7, vcc
	v_lshlrev_b32_e32 v6, 8, v5
	v_mov_b32_e32 v7, 0x3b800000
	v_lshlrev_b32_e32 v3, 20, v3
	v_and_b32_e32 v6, 0x80000000, v6
	v_lshl_add_u32 v4, v4, 23, v7
	v_or3_b32 v4, v6, v4, v3
.LBB1_5752:
	s_or_b64 exec, exec, s[6:7]
	s_nop 0
	v_mfma_f32_16x16x4f32 a[0:3], v2, v4, a[0:3]
	s_movk_i32 s4, 0x7f
	v_cmp_gt_i16_sdwa s[6:7], v9, s4 src0_sel:BYTE_3 src1_sel:DWORD
	s_mov_b64 s[4:5], 0
                                        ; implicit-def: $sgpr10
	s_and_saveexec_b64 s[8:9], s[6:7]
	s_xor_b64 s[6:7], exec, s[8:9]
	s_cbranch_execz .LBB1_5753
; %bb.41593:
	s_getpc_b64 s[14:15]
.Lpost_getpc6460:
	s_add_u32 s14, s14, (.LBB1_20089-.Lpost_getpc6460)&4294967295
	s_addc_u32 s15, s15, (.LBB1_20089-.Lpost_getpc6460)>>32
	s_setpc_b64 s[14:15]
.LBB1_5753:
	s_or_saveexec_b64 s[6:7], s[6:7]
	v_mov_b32_e32 v2, s10
	s_xor_b64 exec, exec, s[6:7]
	s_cbranch_execz .LBB1_5754
; %bb.41595:
	s_getpc_b64 s[14:15]
.Lpost_getpc6461:
	s_add_u32 s14, s14, (.LBB1_20092-.Lpost_getpc6461)&4294967295
	s_addc_u32 s15, s15, (.LBB1_20092-.Lpost_getpc6461)>>32
	s_setpc_b64 s[14:15]
.LBB1_5754:
	s_or_b64 exec, exec, s[6:7]
	s_and_saveexec_b64 s[6:7], s[4:5]
	s_cbranch_execz .LBB1_5756
.LBB1_5755:
	v_bfe_u32 v2, v9, 24, 3
	v_ffbh_u32_e32 v7, v2
	v_min_u32_e32 v7, 32, v7
	v_lshrrev_b32_e32 v4, 27, v9
	v_subrev_u32_e32 v8, 28, v7
	v_and_b32_e32 v4, 15, v4
	v_lshlrev_b32_sdwa v8, v8, v9 dst_sel:DWORD dst_unused:UNUSED_PAD src0_sel:DWORD src1_sel:BYTE_3
	v_bfe_u32 v6, v9, 27, 4
	v_sub_u32_e32 v7, 29, v7
	v_and_b32_e32 v8, 7, v8
	v_cmp_eq_u16_e32 vcc, 0, v4
	v_cndmask_b32_e32 v2, v2, v8, vcc
	v_cndmask_b32_e32 v4, v6, v7, vcc
	v_mov_b32_e32 v6, 0x3b800000
	v_and_b32_e32 v3, 0x80000000, v9
	v_lshlrev_b32_e32 v2, 20, v2
	v_lshl_add_u32 v4, v4, 23, v6
	v_or3_b32 v2, v3, v4, v2
.LBB1_5756:
	s_or_b64 exec, exec, s[6:7]
	s_movk_i32 s4, 0x7f
	v_cmp_gt_i16_sdwa s[6:7], v5, s4 src0_sel:BYTE_3 src1_sel:DWORD
	s_mov_b64 s[4:5], 0
                                        ; implicit-def: $sgpr10
	s_and_saveexec_b64 s[8:9], s[6:7]
	s_xor_b64 s[6:7], exec, s[8:9]
	s_cbranch_execz .LBB1_5757
; %bb.41597:
	s_getpc_b64 s[14:15]
.Lpost_getpc6462:
	s_add_u32 s14, s14, (.LBB1_20093-.Lpost_getpc6462)&4294967295
	s_addc_u32 s15, s15, (.LBB1_20093-.Lpost_getpc6462)>>32
	s_setpc_b64 s[14:15]
.LBB1_5757:
	s_or_saveexec_b64 s[6:7], s[6:7]
	v_mov_b32_e32 v3, s10
	s_xor_b64 exec, exec, s[6:7]
	s_cbranch_execz .LBB1_5758
; %bb.41599:
	s_getpc_b64 s[14:15]
.Lpost_getpc6463:
	s_add_u32 s14, s14, (.LBB1_20096-.Lpost_getpc6463)&4294967295
	s_addc_u32 s15, s15, (.LBB1_20096-.Lpost_getpc6463)>>32
	s_setpc_b64 s[14:15]
.LBB1_5758:
	s_or_b64 exec, exec, s[6:7]
	s_and_saveexec_b64 s[6:7], s[4:5]
	s_cbranch_execz .LBB1_5760
.LBB1_5759:
	v_bfe_u32 v3, v5, 24, 3
	v_ffbh_u32_e32 v8, v3
	v_min_u32_e32 v8, 32, v8
	v_lshrrev_b32_e32 v6, 27, v5
	v_subrev_u32_e32 v9, 28, v8
	v_and_b32_e32 v4, 0x80000000, v5
	v_and_b32_e32 v6, 15, v6
	v_bfe_u32 v7, v5, 27, 4
	v_lshlrev_b32_sdwa v5, v9, v5 dst_sel:DWORD dst_unused:UNUSED_PAD src0_sel:DWORD src1_sel:BYTE_3
	v_sub_u32_e32 v8, 29, v8
	v_and_b32_e32 v5, 7, v5
	v_cmp_eq_u16_e32 vcc, 0, v6
	v_cndmask_b32_e32 v3, v3, v5, vcc
	v_cndmask_b32_e32 v5, v7, v8, vcc
	v_mov_b32_e32 v6, 0x3b800000
	v_lshlrev_b32_e32 v3, 20, v3
	v_lshl_add_u32 v5, v5, 23, v6
	v_or3_b32 v3, v4, v5, v3
.LBB1_5760:
	s_or_b64 exec, exec, s[6:7]
	s_nop 0
	v_mfma_f32_16x16x4f32 a[0:3], v2, v3, a[0:3]
	s_movk_i32 s4, 0x7f
                                        ; implicit-def: $sgpr10
	s_nop 7
	s_nop 1
	flat_store_dwordx4 v[10:11], a[0:3] offset:704
	flat_load_dwordx4 v[12:15], v[0:1]
	s_nop 0
	flat_load_dwordx2 v[10:11], v[0:1] offset:16
	s_waitcnt vmcnt(0) lgkmcnt(0)
	flat_load_dwordx4 v[6:9], v[12:13] offset:80
	flat_load_dwordx4 v[2:5], v[14:15] offset:80
	s_waitcnt vmcnt(0) lgkmcnt(0)
	v_cmp_gt_i16_sdwa s[6:7], v6, s4 src0_sel:BYTE_0 src1_sel:DWORD
	s_mov_b64 s[4:5], 0
	s_and_saveexec_b64 s[8:9], s[6:7]
	s_xor_b64 s[6:7], exec, s[8:9]
	s_cbranch_execz .LBB1_5761
; %bb.41601:
	s_getpc_b64 s[14:15]
.Lpost_getpc6464:
	s_add_u32 s14, s14, (.LBB1_20097-.Lpost_getpc6464)&4294967295
	s_addc_u32 s15, s15, (.LBB1_20097-.Lpost_getpc6464)>>32
	s_setpc_b64 s[14:15]
.LBB1_5761:
	s_or_saveexec_b64 s[6:7], s[6:7]
	v_mov_b32_e32 v12, s10
	s_xor_b64 exec, exec, s[6:7]
	s_cbranch_execz .LBB1_5762
; %bb.41603:
	s_getpc_b64 s[14:15]
.Lpost_getpc6465:
	s_add_u32 s14, s14, (.LBB1_20100-.Lpost_getpc6465)&4294967295
	s_addc_u32 s15, s15, (.LBB1_20100-.Lpost_getpc6465)>>32
	s_setpc_b64 s[14:15]
.LBB1_5762:
	s_or_b64 exec, exec, s[6:7]
	s_and_saveexec_b64 s[6:7], s[4:5]
	s_cbranch_execz .LBB1_5764
.LBB1_5763:
	v_and_b32_e32 v12, 7, v6
	v_ffbh_u32_e32 v14, v12
	v_min_u32_e32 v14, 32, v14
	v_lshrrev_b16_e32 v13, 3, v6
	v_subrev_u32_e32 v15, 28, v14
	v_and_b32_e32 v13, 15, v13
	v_lshlrev_b32_e32 v15, v15, v6
	v_sub_u32_e32 v14, 29, v14
	v_and_b32_e32 v15, 7, v15
	v_cmp_eq_u16_e32 vcc, 0, v13
	v_cndmask_b32_e32 v12, v12, v15, vcc
	v_cndmask_b32_e32 v13, v13, v14, vcc
	v_lshlrev_b32_e32 v14, 24, v6
	v_mov_b32_e32 v15, 0x3b800000
	v_lshlrev_b32_e32 v12, 20, v12
	v_and_b32_e32 v14, 0x80000000, v14
	v_lshl_add_u32 v13, v13, 23, v15
	v_or3_b32 v12, v14, v13, v12
.LBB1_5764:
	s_or_b64 exec, exec, s[6:7]
	s_movk_i32 s4, 0x7f
	v_cmp_gt_i16_sdwa s[6:7], v2, s4 src0_sel:BYTE_0 src1_sel:DWORD
	s_mov_b64 s[4:5], 0
                                        ; implicit-def: $sgpr10
	s_and_saveexec_b64 s[8:9], s[6:7]
	s_xor_b64 s[6:7], exec, s[8:9]
	s_cbranch_execz .LBB1_5765
; %bb.41605:
	s_getpc_b64 s[14:15]
.Lpost_getpc6466:
	s_add_u32 s14, s14, (.LBB1_20101-.Lpost_getpc6466)&4294967295
	s_addc_u32 s15, s15, (.LBB1_20101-.Lpost_getpc6466)>>32
	s_setpc_b64 s[14:15]
.LBB1_5765:
	s_or_saveexec_b64 s[6:7], s[6:7]
	v_mov_b32_e32 v13, s10
	s_xor_b64 exec, exec, s[6:7]
	s_cbranch_execz .LBB1_5766
; %bb.41607:
	s_getpc_b64 s[14:15]
.Lpost_getpc6467:
	s_add_u32 s14, s14, (.LBB1_20104-.Lpost_getpc6467)&4294967295
	s_addc_u32 s15, s15, (.LBB1_20104-.Lpost_getpc6467)>>32
	s_setpc_b64 s[14:15]
.LBB1_5766:
	s_or_b64 exec, exec, s[6:7]
	s_and_saveexec_b64 s[6:7], s[4:5]
	s_cbranch_execz .LBB1_5768
.LBB1_5767:
	v_and_b32_e32 v13, 7, v2
	v_ffbh_u32_e32 v15, v13
	v_min_u32_e32 v15, 32, v15
	v_lshrrev_b16_e32 v14, 3, v2
	v_subrev_u32_e32 v16, 28, v15
	v_and_b32_e32 v14, 15, v14
	v_lshlrev_b32_e32 v16, v16, v2
	v_sub_u32_e32 v15, 29, v15
	v_and_b32_e32 v16, 7, v16
	v_cmp_eq_u16_e32 vcc, 0, v14
	v_cndmask_b32_e32 v13, v13, v16, vcc
	v_cndmask_b32_e32 v14, v14, v15, vcc
	v_lshlrev_b32_e32 v15, 24, v2
	v_mov_b32_e32 v16, 0x3b800000
	v_lshlrev_b32_e32 v13, 20, v13
	v_and_b32_e32 v15, 0x80000000, v15
	v_lshl_add_u32 v14, v14, 23, v16
	v_or3_b32 v13, v15, v14, v13
.LBB1_5768:
	s_or_b64 exec, exec, s[6:7]
	flat_load_dwordx4 a[0:3], v[10:11] offset:720
	s_movk_i32 s4, 0x7f
                                        ; implicit-def: $sgpr10
	s_waitcnt vmcnt(0) lgkmcnt(0)
	v_mfma_f32_16x16x4f32 a[0:3], v12, v13, a[0:3]
	v_lshrrev_b32_e32 v13, 8, v6
	v_cmp_gt_i16_sdwa s[6:7], v13, s4 src0_sel:BYTE_0 src1_sel:DWORD
	s_mov_b64 s[4:5], 0
	s_and_saveexec_b64 s[8:9], s[6:7]
	s_xor_b64 s[6:7], exec, s[8:9]
	s_cbranch_execz .LBB1_5769
; %bb.41609:
	s_getpc_b64 s[14:15]
.Lpost_getpc6468:
	s_add_u32 s14, s14, (.LBB1_20105-.Lpost_getpc6468)&4294967295
	s_addc_u32 s15, s15, (.LBB1_20105-.Lpost_getpc6468)>>32
	s_setpc_b64 s[14:15]
.LBB1_5769:
	s_or_saveexec_b64 s[6:7], s[6:7]
	v_mov_b32_e32 v12, s10
	s_xor_b64 exec, exec, s[6:7]
	s_cbranch_execz .LBB1_5770
; %bb.41611:
	s_getpc_b64 s[14:15]
.Lpost_getpc6469:
	s_add_u32 s14, s14, (.LBB1_20108-.Lpost_getpc6469)&4294967295
	s_addc_u32 s15, s15, (.LBB1_20108-.Lpost_getpc6469)>>32
	s_setpc_b64 s[14:15]
.LBB1_5770:
	s_or_b64 exec, exec, s[6:7]
	s_and_saveexec_b64 s[6:7], s[4:5]
	s_cbranch_execz .LBB1_5772
.LBB1_5771:
	v_bfe_u32 v12, v6, 8, 3
	v_ffbh_u32_e32 v15, v12
	v_min_u32_e32 v15, 32, v15
	v_lshrrev_b16_e32 v14, 3, v13
	v_subrev_u32_e32 v16, 28, v15
	v_and_b32_e32 v14, 15, v14
	v_lshlrev_b32_e32 v13, v16, v13
	v_sub_u32_e32 v15, 29, v15
	v_and_b32_e32 v13, 7, v13
	v_cmp_eq_u16_e32 vcc, 0, v14
	v_cndmask_b32_e32 v12, v12, v13, vcc
	v_cndmask_b32_e32 v13, v14, v15, vcc
	v_lshlrev_b32_e32 v14, 16, v6
	v_mov_b32_e32 v15, 0x3b800000
	v_lshlrev_b32_e32 v12, 20, v12
	v_and_b32_e32 v14, 0x80000000, v14
	v_lshl_add_u32 v13, v13, 23, v15
	v_or3_b32 v12, v14, v13, v12
.LBB1_5772:
	s_or_b64 exec, exec, s[6:7]
	v_lshrrev_b32_e32 v13, 8, v2
	s_movk_i32 s4, 0x7f
	v_cmp_gt_i16_sdwa s[6:7], v13, s4 src0_sel:BYTE_0 src1_sel:DWORD
	s_mov_b64 s[4:5], 0
                                        ; implicit-def: $sgpr10
	s_and_saveexec_b64 s[8:9], s[6:7]
	s_xor_b64 s[6:7], exec, s[8:9]
	s_cbranch_execz .LBB1_5773
; %bb.41613:
	s_getpc_b64 s[14:15]
.Lpost_getpc6470:
	s_add_u32 s14, s14, (.LBB1_20109-.Lpost_getpc6470)&4294967295
	s_addc_u32 s15, s15, (.LBB1_20109-.Lpost_getpc6470)>>32
	s_setpc_b64 s[14:15]
.LBB1_5773:
	s_or_saveexec_b64 s[6:7], s[6:7]
	v_mov_b32_e32 v14, s10
	s_xor_b64 exec, exec, s[6:7]
	s_cbranch_execz .LBB1_5774
; %bb.41615:
	s_getpc_b64 s[14:15]
.Lpost_getpc6471:
	s_add_u32 s14, s14, (.LBB1_20112-.Lpost_getpc6471)&4294967295
	s_addc_u32 s15, s15, (.LBB1_20112-.Lpost_getpc6471)>>32
	s_setpc_b64 s[14:15]
.LBB1_5774:
	s_or_b64 exec, exec, s[6:7]
	s_and_saveexec_b64 s[6:7], s[4:5]
	s_cbranch_execz .LBB1_5776
.LBB1_5775:
	v_bfe_u32 v14, v2, 8, 3
	v_ffbh_u32_e32 v16, v14
	v_min_u32_e32 v16, 32, v16
	v_lshrrev_b16_e32 v15, 3, v13
	v_subrev_u32_e32 v17, 28, v16
	v_and_b32_e32 v15, 15, v15
	v_lshlrev_b32_e32 v13, v17, v13
	v_sub_u32_e32 v16, 29, v16
	v_and_b32_e32 v13, 7, v13
	v_cmp_eq_u16_e32 vcc, 0, v15
	v_cndmask_b32_e32 v13, v14, v13, vcc
	v_cndmask_b32_e32 v14, v15, v16, vcc
	v_lshlrev_b32_e32 v15, 16, v2
	v_mov_b32_e32 v16, 0x3b800000
	v_lshlrev_b32_e32 v13, 20, v13
	v_and_b32_e32 v15, 0x80000000, v15
	v_lshl_add_u32 v14, v14, 23, v16
	v_or3_b32 v14, v15, v14, v13
.LBB1_5776:
	s_or_b64 exec, exec, s[6:7]
	s_nop 0
	v_mfma_f32_16x16x4f32 a[0:3], v12, v14, a[0:3]
	s_movk_i32 s4, 0xff
	v_and_b32_sdwa v13, v6, s4 dst_sel:DWORD dst_unused:UNUSED_PAD src0_sel:WORD_1 src1_sel:DWORD
	s_movk_i32 s4, 0x7f
	v_cmp_lt_i16_e32 vcc, s4, v13
	s_mov_b64 s[4:5], 0
                                        ; implicit-def: $sgpr10
	s_and_saveexec_b64 s[6:7], vcc
	s_xor_b64 s[6:7], exec, s[6:7]
	s_cbranch_execz .LBB1_5777
; %bb.41617:
	s_getpc_b64 s[14:15]
.Lpost_getpc6472:
	s_add_u32 s14, s14, (.LBB1_20113-.Lpost_getpc6472)&4294967295
	s_addc_u32 s15, s15, (.LBB1_20113-.Lpost_getpc6472)>>32
	s_setpc_b64 s[14:15]
.LBB1_5777:
	s_or_saveexec_b64 s[6:7], s[6:7]
	v_mov_b32_e32 v12, s10
	s_xor_b64 exec, exec, s[6:7]
	s_cbranch_execz .LBB1_5778
; %bb.41619:
	s_getpc_b64 s[14:15]
.Lpost_getpc6473:
	s_add_u32 s14, s14, (.LBB1_20116-.Lpost_getpc6473)&4294967295
	s_addc_u32 s15, s15, (.LBB1_20116-.Lpost_getpc6473)>>32
	s_setpc_b64 s[14:15]
.LBB1_5778:
	s_or_b64 exec, exec, s[6:7]
	s_and_saveexec_b64 s[6:7], s[4:5]
	s_cbranch_execz .LBB1_5780
.LBB1_5779:
	v_bfe_u32 v12, v6, 16, 3
	v_ffbh_u32_e32 v15, v12
	v_min_u32_e32 v15, 32, v15
	v_lshrrev_b32_e32 v13, 19, v6
	v_subrev_u32_e32 v16, 28, v15
	v_and_b32_e32 v13, 15, v13
	v_lshlrev_b32_sdwa v16, v16, v6 dst_sel:DWORD dst_unused:UNUSED_PAD src0_sel:DWORD src1_sel:WORD_1
	v_bfe_u32 v14, v6, 19, 4
	v_sub_u32_e32 v15, 29, v15
	v_and_b32_e32 v16, 7, v16
	v_cmp_eq_u16_e32 vcc, 0, v13
	v_cndmask_b32_e32 v12, v12, v16, vcc
	v_cndmask_b32_e32 v13, v14, v15, vcc
	v_lshlrev_b32_e32 v14, 8, v6
	v_mov_b32_e32 v15, 0x3b800000
	v_lshlrev_b32_e32 v12, 20, v12
	v_and_b32_e32 v14, 0x80000000, v14
	v_lshl_add_u32 v13, v13, 23, v15
	v_or3_b32 v12, v14, v13, v12
.LBB1_5780:
	s_or_b64 exec, exec, s[6:7]
	s_movk_i32 s4, 0xff
	v_and_b32_sdwa v13, v2, s4 dst_sel:DWORD dst_unused:UNUSED_PAD src0_sel:WORD_1 src1_sel:DWORD
	s_movk_i32 s4, 0x7f
	v_cmp_lt_i16_e32 vcc, s4, v13
	s_mov_b64 s[4:5], 0
                                        ; implicit-def: $sgpr10
	s_and_saveexec_b64 s[6:7], vcc
	s_xor_b64 s[6:7], exec, s[6:7]
	s_cbranch_execz .LBB1_5781
; %bb.41621:
	s_getpc_b64 s[14:15]
.Lpost_getpc6474:
	s_add_u32 s14, s14, (.LBB1_20117-.Lpost_getpc6474)&4294967295
	s_addc_u32 s15, s15, (.LBB1_20117-.Lpost_getpc6474)>>32
	s_setpc_b64 s[14:15]
.LBB1_5781:
	s_or_saveexec_b64 s[6:7], s[6:7]
	v_mov_b32_e32 v14, s10
	s_xor_b64 exec, exec, s[6:7]
	s_cbranch_execz .LBB1_5782
; %bb.41623:
	s_getpc_b64 s[14:15]
.Lpost_getpc6475:
	s_add_u32 s14, s14, (.LBB1_20120-.Lpost_getpc6475)&4294967295
	s_addc_u32 s15, s15, (.LBB1_20120-.Lpost_getpc6475)>>32
	s_setpc_b64 s[14:15]
.LBB1_5782:
	s_or_b64 exec, exec, s[6:7]
	s_and_saveexec_b64 s[6:7], s[4:5]
	s_cbranch_execz .LBB1_5784
.LBB1_5783:
	v_bfe_u32 v13, v2, 16, 3
	v_ffbh_u32_e32 v16, v13
	v_min_u32_e32 v16, 32, v16
	v_lshrrev_b32_e32 v14, 19, v2
	v_subrev_u32_e32 v17, 28, v16
	v_and_b32_e32 v14, 15, v14
	v_lshlrev_b32_sdwa v17, v17, v2 dst_sel:DWORD dst_unused:UNUSED_PAD src0_sel:DWORD src1_sel:WORD_1
	v_bfe_u32 v15, v2, 19, 4
	v_sub_u32_e32 v16, 29, v16
	v_and_b32_e32 v17, 7, v17
	v_cmp_eq_u16_e32 vcc, 0, v14
	v_cndmask_b32_e32 v13, v13, v17, vcc
	v_cndmask_b32_e32 v14, v15, v16, vcc
	v_lshlrev_b32_e32 v15, 8, v2
	v_mov_b32_e32 v16, 0x3b800000
	v_lshlrev_b32_e32 v13, 20, v13
	v_and_b32_e32 v15, 0x80000000, v15
	v_lshl_add_u32 v14, v14, 23, v16
	v_or3_b32 v14, v15, v14, v13
.LBB1_5784:
	s_or_b64 exec, exec, s[6:7]
	s_nop 0
	v_mfma_f32_16x16x4f32 a[0:3], v12, v14, a[0:3]
	s_movk_i32 s4, 0x7f
	v_cmp_gt_i16_sdwa s[6:7], v6, s4 src0_sel:BYTE_3 src1_sel:DWORD
	s_mov_b64 s[4:5], 0
                                        ; implicit-def: $sgpr10
	s_and_saveexec_b64 s[8:9], s[6:7]
	s_xor_b64 s[6:7], exec, s[8:9]
	s_cbranch_execz .LBB1_5785
; %bb.41625:
	s_getpc_b64 s[14:15]
.Lpost_getpc6476:
	s_add_u32 s14, s14, (.LBB1_20121-.Lpost_getpc6476)&4294967295
	s_addc_u32 s15, s15, (.LBB1_20121-.Lpost_getpc6476)>>32
	s_setpc_b64 s[14:15]
.LBB1_5785:
	s_or_saveexec_b64 s[6:7], s[6:7]
	v_mov_b32_e32 v12, s10
	s_xor_b64 exec, exec, s[6:7]
	s_cbranch_execz .LBB1_5786
; %bb.41627:
	s_getpc_b64 s[14:15]
.Lpost_getpc6477:
	s_add_u32 s14, s14, (.LBB1_20124-.Lpost_getpc6477)&4294967295
	s_addc_u32 s15, s15, (.LBB1_20124-.Lpost_getpc6477)>>32
	s_setpc_b64 s[14:15]
.LBB1_5786:
	s_or_b64 exec, exec, s[6:7]
	s_and_saveexec_b64 s[6:7], s[4:5]
	s_cbranch_execz .LBB1_5788
.LBB1_5787:
	v_bfe_u32 v12, v6, 24, 3
	v_ffbh_u32_e32 v16, v12
	v_min_u32_e32 v16, 32, v16
	v_lshrrev_b32_e32 v14, 27, v6
	v_subrev_u32_e32 v17, 28, v16
	v_and_b32_e32 v13, 0x80000000, v6
	v_and_b32_e32 v14, 15, v14
	v_bfe_u32 v15, v6, 27, 4
	v_lshlrev_b32_sdwa v6, v17, v6 dst_sel:DWORD dst_unused:UNUSED_PAD src0_sel:DWORD src1_sel:BYTE_3
	v_sub_u32_e32 v16, 29, v16
	v_and_b32_e32 v6, 7, v6
	v_cmp_eq_u16_e32 vcc, 0, v14
	v_cndmask_b32_e32 v6, v12, v6, vcc
	v_cndmask_b32_e32 v12, v15, v16, vcc
	v_mov_b32_e32 v14, 0x3b800000
	v_lshlrev_b32_e32 v6, 20, v6
	v_lshl_add_u32 v12, v12, 23, v14
	v_or3_b32 v12, v13, v12, v6
.LBB1_5788:
	s_or_b64 exec, exec, s[6:7]
	s_movk_i32 s4, 0x7f
	v_cmp_gt_i16_sdwa s[6:7], v2, s4 src0_sel:BYTE_3 src1_sel:DWORD
	s_mov_b64 s[4:5], 0
                                        ; implicit-def: $sgpr10
	s_and_saveexec_b64 s[8:9], s[6:7]
	s_xor_b64 s[6:7], exec, s[8:9]
	s_cbranch_execz .LBB1_5789
; %bb.41629:
	s_getpc_b64 s[14:15]
.Lpost_getpc6478:
	s_add_u32 s14, s14, (.LBB1_20125-.Lpost_getpc6478)&4294967295
	s_addc_u32 s15, s15, (.LBB1_20125-.Lpost_getpc6478)>>32
	s_setpc_b64 s[14:15]
.LBB1_5789:
	s_or_saveexec_b64 s[6:7], s[6:7]
	v_mov_b32_e32 v6, s10
	s_xor_b64 exec, exec, s[6:7]
	s_cbranch_execz .LBB1_5790
; %bb.41631:
	s_getpc_b64 s[14:15]
.Lpost_getpc6479:
	s_add_u32 s14, s14, (.LBB1_20128-.Lpost_getpc6479)&4294967295
	s_addc_u32 s15, s15, (.LBB1_20128-.Lpost_getpc6479)>>32
	s_setpc_b64 s[14:15]
.LBB1_5790:
	s_or_b64 exec, exec, s[6:7]
	s_and_saveexec_b64 s[6:7], s[4:5]
	s_cbranch_execz .LBB1_5792
.LBB1_5791:
	v_bfe_u32 v6, v2, 24, 3
	v_ffbh_u32_e32 v16, v6
	v_min_u32_e32 v16, 32, v16
	v_lshrrev_b32_e32 v14, 27, v2
	v_subrev_u32_e32 v17, 28, v16
	v_and_b32_e32 v13, 0x80000000, v2
	v_and_b32_e32 v14, 15, v14
	v_bfe_u32 v15, v2, 27, 4
	v_lshlrev_b32_sdwa v2, v17, v2 dst_sel:DWORD dst_unused:UNUSED_PAD src0_sel:DWORD src1_sel:BYTE_3
	v_sub_u32_e32 v16, 29, v16
	v_and_b32_e32 v2, 7, v2
	v_cmp_eq_u16_e32 vcc, 0, v14
	v_cndmask_b32_e32 v2, v6, v2, vcc
	v_cndmask_b32_e32 v6, v15, v16, vcc
	v_mov_b32_e32 v14, 0x3b800000
	v_lshlrev_b32_e32 v2, 20, v2
	v_lshl_add_u32 v6, v6, 23, v14
	v_or3_b32 v6, v13, v6, v2
.LBB1_5792:
	s_or_b64 exec, exec, s[6:7]
	s_nop 0
	v_mfma_f32_16x16x4f32 a[0:3], v12, v6, a[0:3]
	s_movk_i32 s4, 0x7f
	v_cmp_gt_i16_sdwa s[6:7], v7, s4 src0_sel:BYTE_0 src1_sel:DWORD
	s_mov_b64 s[4:5], 0
                                        ; implicit-def: $sgpr10
	s_and_saveexec_b64 s[8:9], s[6:7]
	s_xor_b64 s[6:7], exec, s[8:9]
	s_cbranch_execz .LBB1_5793
; %bb.41633:
	s_getpc_b64 s[14:15]
.Lpost_getpc6480:
	s_add_u32 s14, s14, (.LBB1_20129-.Lpost_getpc6480)&4294967295
	s_addc_u32 s15, s15, (.LBB1_20129-.Lpost_getpc6480)>>32
	s_setpc_b64 s[14:15]
.LBB1_5793:
	s_or_saveexec_b64 s[6:7], s[6:7]
	v_mov_b32_e32 v2, s10
	s_xor_b64 exec, exec, s[6:7]
	s_cbranch_execz .LBB1_5794
; %bb.41635:
	s_getpc_b64 s[14:15]
.Lpost_getpc6481:
	s_add_u32 s14, s14, (.LBB1_20132-.Lpost_getpc6481)&4294967295
	s_addc_u32 s15, s15, (.LBB1_20132-.Lpost_getpc6481)>>32
	s_setpc_b64 s[14:15]
.LBB1_5794:
	s_or_b64 exec, exec, s[6:7]
	s_and_saveexec_b64 s[6:7], s[4:5]
	s_cbranch_execz .LBB1_5796
.LBB1_5795:
	v_and_b32_e32 v2, 7, v7
	v_ffbh_u32_e32 v12, v2
	v_min_u32_e32 v12, 32, v12
	v_lshrrev_b16_e32 v6, 3, v7
	v_subrev_u32_e32 v13, 28, v12
	v_and_b32_e32 v6, 15, v6
	v_lshlrev_b32_e32 v13, v13, v7
	v_sub_u32_e32 v12, 29, v12
	v_and_b32_e32 v13, 7, v13
	v_cmp_eq_u16_e32 vcc, 0, v6
	v_cndmask_b32_e32 v2, v2, v13, vcc
	v_cndmask_b32_e32 v6, v6, v12, vcc
	v_lshlrev_b32_e32 v12, 24, v7
	v_mov_b32_e32 v13, 0x3b800000
	v_lshlrev_b32_e32 v2, 20, v2
	v_and_b32_e32 v12, 0x80000000, v12
	v_lshl_add_u32 v6, v6, 23, v13
	v_or3_b32 v2, v12, v6, v2
.LBB1_5796:
	s_or_b64 exec, exec, s[6:7]
	s_movk_i32 s4, 0x7f
	v_cmp_gt_i16_sdwa s[6:7], v3, s4 src0_sel:BYTE_0 src1_sel:DWORD
	s_mov_b64 s[4:5], 0
                                        ; implicit-def: $sgpr10
	s_and_saveexec_b64 s[8:9], s[6:7]
	s_xor_b64 s[6:7], exec, s[8:9]
	s_cbranch_execz .LBB1_5797
; %bb.41637:
	s_getpc_b64 s[14:15]
.Lpost_getpc6482:
	s_add_u32 s14, s14, (.LBB1_20133-.Lpost_getpc6482)&4294967295
	s_addc_u32 s15, s15, (.LBB1_20133-.Lpost_getpc6482)>>32
	s_setpc_b64 s[14:15]
.LBB1_5797:
	s_or_saveexec_b64 s[6:7], s[6:7]
	v_mov_b32_e32 v6, s10
	s_xor_b64 exec, exec, s[6:7]
	s_cbranch_execz .LBB1_5798
; %bb.41639:
	s_getpc_b64 s[14:15]
.Lpost_getpc6483:
	s_add_u32 s14, s14, (.LBB1_20136-.Lpost_getpc6483)&4294967295
	s_addc_u32 s15, s15, (.LBB1_20136-.Lpost_getpc6483)>>32
	s_setpc_b64 s[14:15]
.LBB1_5798:
	s_or_b64 exec, exec, s[6:7]
	s_and_saveexec_b64 s[6:7], s[4:5]
	s_cbranch_execz .LBB1_5800
.LBB1_5799:
	v_and_b32_e32 v6, 7, v3
	v_ffbh_u32_e32 v13, v6
	v_min_u32_e32 v13, 32, v13
	v_lshrrev_b16_e32 v12, 3, v3
	v_subrev_u32_e32 v14, 28, v13
	v_and_b32_e32 v12, 15, v12
	v_lshlrev_b32_e32 v14, v14, v3
	v_sub_u32_e32 v13, 29, v13
	v_and_b32_e32 v14, 7, v14
	v_cmp_eq_u16_e32 vcc, 0, v12
	v_cndmask_b32_e32 v6, v6, v14, vcc
	v_cndmask_b32_e32 v12, v12, v13, vcc
	v_lshlrev_b32_e32 v13, 24, v3
	v_mov_b32_e32 v14, 0x3b800000
	v_lshlrev_b32_e32 v6, 20, v6
	v_and_b32_e32 v13, 0x80000000, v13
	v_lshl_add_u32 v12, v12, 23, v14
	v_or3_b32 v6, v13, v12, v6
.LBB1_5800:
	s_or_b64 exec, exec, s[6:7]
	s_nop 0
	v_mfma_f32_16x16x4f32 a[0:3], v2, v6, a[0:3]
	v_lshrrev_b32_e32 v6, 8, v7
	s_movk_i32 s4, 0x7f
	v_cmp_gt_i16_sdwa s[6:7], v6, s4 src0_sel:BYTE_0 src1_sel:DWORD
	s_mov_b64 s[4:5], 0
                                        ; implicit-def: $sgpr10
	s_and_saveexec_b64 s[8:9], s[6:7]
	s_xor_b64 s[6:7], exec, s[8:9]
	s_cbranch_execz .LBB1_5801
; %bb.41641:
	s_getpc_b64 s[14:15]
.Lpost_getpc6484:
	s_add_u32 s14, s14, (.LBB1_20137-.Lpost_getpc6484)&4294967295
	s_addc_u32 s15, s15, (.LBB1_20137-.Lpost_getpc6484)>>32
	s_setpc_b64 s[14:15]
.LBB1_5801:
	s_or_saveexec_b64 s[6:7], s[6:7]
	v_mov_b32_e32 v2, s10
	s_xor_b64 exec, exec, s[6:7]
	s_cbranch_execz .LBB1_5802
; %bb.41643:
	s_getpc_b64 s[14:15]
.Lpost_getpc6485:
	s_add_u32 s14, s14, (.LBB1_20140-.Lpost_getpc6485)&4294967295
	s_addc_u32 s15, s15, (.LBB1_20140-.Lpost_getpc6485)>>32
	s_setpc_b64 s[14:15]
.LBB1_5802:
	s_or_b64 exec, exec, s[6:7]
	s_and_saveexec_b64 s[6:7], s[4:5]
	s_cbranch_execz .LBB1_5804
.LBB1_5803:
	v_bfe_u32 v2, v7, 8, 3
	v_ffbh_u32_e32 v13, v2
	v_min_u32_e32 v13, 32, v13
	v_lshrrev_b16_e32 v12, 3, v6
	v_subrev_u32_e32 v14, 28, v13
	v_and_b32_e32 v12, 15, v12
	v_lshlrev_b32_e32 v6, v14, v6
	v_sub_u32_e32 v13, 29, v13
	v_and_b32_e32 v6, 7, v6
	v_cmp_eq_u16_e32 vcc, 0, v12
	v_cndmask_b32_e32 v2, v2, v6, vcc
	v_cndmask_b32_e32 v6, v12, v13, vcc
	v_lshlrev_b32_e32 v12, 16, v7
	v_mov_b32_e32 v13, 0x3b800000
	v_lshlrev_b32_e32 v2, 20, v2
	v_and_b32_e32 v12, 0x80000000, v12
	v_lshl_add_u32 v6, v6, 23, v13
	v_or3_b32 v2, v12, v6, v2
.LBB1_5804:
	s_or_b64 exec, exec, s[6:7]
	v_lshrrev_b32_e32 v6, 8, v3
	s_movk_i32 s4, 0x7f
	v_cmp_gt_i16_sdwa s[6:7], v6, s4 src0_sel:BYTE_0 src1_sel:DWORD
	s_mov_b64 s[4:5], 0
                                        ; implicit-def: $sgpr10
	s_and_saveexec_b64 s[8:9], s[6:7]
	s_xor_b64 s[6:7], exec, s[8:9]
	s_cbranch_execz .LBB1_5805
; %bb.41645:
	s_getpc_b64 s[14:15]
.Lpost_getpc6486:
	s_add_u32 s14, s14, (.LBB1_20141-.Lpost_getpc6486)&4294967295
	s_addc_u32 s15, s15, (.LBB1_20141-.Lpost_getpc6486)>>32
	s_setpc_b64 s[14:15]
.LBB1_5805:
	s_or_saveexec_b64 s[6:7], s[6:7]
	v_mov_b32_e32 v12, s10
	s_xor_b64 exec, exec, s[6:7]
	s_cbranch_execz .LBB1_5806
; %bb.41647:
	s_getpc_b64 s[14:15]
.Lpost_getpc6487:
	s_add_u32 s14, s14, (.LBB1_20144-.Lpost_getpc6487)&4294967295
	s_addc_u32 s15, s15, (.LBB1_20144-.Lpost_getpc6487)>>32
	s_setpc_b64 s[14:15]
.LBB1_5806:
	s_or_b64 exec, exec, s[6:7]
	s_and_saveexec_b64 s[6:7], s[4:5]
	s_cbranch_execz .LBB1_5808
.LBB1_5807:
	v_bfe_u32 v12, v3, 8, 3
	v_ffbh_u32_e32 v14, v12
	v_min_u32_e32 v14, 32, v14
	v_lshrrev_b16_e32 v13, 3, v6
	v_subrev_u32_e32 v15, 28, v14
	v_and_b32_e32 v13, 15, v13
	v_lshlrev_b32_e32 v6, v15, v6
	v_sub_u32_e32 v14, 29, v14
	v_and_b32_e32 v6, 7, v6
	v_cmp_eq_u16_e32 vcc, 0, v13
	v_cndmask_b32_e32 v6, v12, v6, vcc
	v_cndmask_b32_e32 v12, v13, v14, vcc
	v_lshlrev_b32_e32 v13, 16, v3
	v_mov_b32_e32 v14, 0x3b800000
	v_lshlrev_b32_e32 v6, 20, v6
	v_and_b32_e32 v13, 0x80000000, v13
	v_lshl_add_u32 v12, v12, 23, v14
	v_or3_b32 v12, v13, v12, v6
.LBB1_5808:
	s_or_b64 exec, exec, s[6:7]
	s_nop 0
	v_mfma_f32_16x16x4f32 a[0:3], v2, v12, a[0:3]
	s_movk_i32 s4, 0xff
	v_and_b32_sdwa v6, v7, s4 dst_sel:DWORD dst_unused:UNUSED_PAD src0_sel:WORD_1 src1_sel:DWORD
	s_movk_i32 s4, 0x7f
	v_cmp_lt_i16_e32 vcc, s4, v6
	s_mov_b64 s[4:5], 0
                                        ; implicit-def: $sgpr10
	s_and_saveexec_b64 s[6:7], vcc
	s_xor_b64 s[6:7], exec, s[6:7]
	s_cbranch_execz .LBB1_5809
; %bb.41649:
	s_getpc_b64 s[14:15]
.Lpost_getpc6488:
	s_add_u32 s14, s14, (.LBB1_20145-.Lpost_getpc6488)&4294967295
	s_addc_u32 s15, s15, (.LBB1_20145-.Lpost_getpc6488)>>32
	s_setpc_b64 s[14:15]
.LBB1_5809:
	s_or_saveexec_b64 s[6:7], s[6:7]
	v_mov_b32_e32 v2, s10
	s_xor_b64 exec, exec, s[6:7]
	s_cbranch_execz .LBB1_5810
; %bb.41651:
	s_getpc_b64 s[14:15]
.Lpost_getpc6489:
	s_add_u32 s14, s14, (.LBB1_20148-.Lpost_getpc6489)&4294967295
	s_addc_u32 s15, s15, (.LBB1_20148-.Lpost_getpc6489)>>32
	s_setpc_b64 s[14:15]
.LBB1_5810:
	s_or_b64 exec, exec, s[6:7]
	s_and_saveexec_b64 s[6:7], s[4:5]
	s_cbranch_execz .LBB1_5812
.LBB1_5811:
	v_bfe_u32 v2, v7, 16, 3
	v_ffbh_u32_e32 v13, v2
	v_min_u32_e32 v13, 32, v13
	v_lshrrev_b32_e32 v6, 19, v7
	v_subrev_u32_e32 v14, 28, v13
	v_and_b32_e32 v6, 15, v6
	v_lshlrev_b32_sdwa v14, v14, v7 dst_sel:DWORD dst_unused:UNUSED_PAD src0_sel:DWORD src1_sel:WORD_1
	v_bfe_u32 v12, v7, 19, 4
	v_sub_u32_e32 v13, 29, v13
	v_and_b32_e32 v14, 7, v14
	v_cmp_eq_u16_e32 vcc, 0, v6
	v_cndmask_b32_e32 v2, v2, v14, vcc
	v_cndmask_b32_e32 v6, v12, v13, vcc
	v_lshlrev_b32_e32 v12, 8, v7
	v_mov_b32_e32 v13, 0x3b800000
	v_lshlrev_b32_e32 v2, 20, v2
	v_and_b32_e32 v12, 0x80000000, v12
	v_lshl_add_u32 v6, v6, 23, v13
	v_or3_b32 v2, v12, v6, v2
.LBB1_5812:
	s_or_b64 exec, exec, s[6:7]
	s_movk_i32 s4, 0xff
	v_and_b32_sdwa v6, v3, s4 dst_sel:DWORD dst_unused:UNUSED_PAD src0_sel:WORD_1 src1_sel:DWORD
	s_movk_i32 s4, 0x7f
	v_cmp_lt_i16_e32 vcc, s4, v6
	s_mov_b64 s[4:5], 0
                                        ; implicit-def: $sgpr10
	s_and_saveexec_b64 s[6:7], vcc
	s_xor_b64 s[6:7], exec, s[6:7]
	s_cbranch_execz .LBB1_5813
; %bb.41653:
	s_getpc_b64 s[14:15]
.Lpost_getpc6490:
	s_add_u32 s14, s14, (.LBB1_20149-.Lpost_getpc6490)&4294967295
	s_addc_u32 s15, s15, (.LBB1_20149-.Lpost_getpc6490)>>32
	s_setpc_b64 s[14:15]
.LBB1_5813:
	s_or_saveexec_b64 s[6:7], s[6:7]
	v_mov_b32_e32 v12, s10
	s_xor_b64 exec, exec, s[6:7]
	s_cbranch_execz .LBB1_5814
; %bb.41655:
	s_getpc_b64 s[14:15]
.Lpost_getpc6491:
	s_add_u32 s14, s14, (.LBB1_20152-.Lpost_getpc6491)&4294967295
	s_addc_u32 s15, s15, (.LBB1_20152-.Lpost_getpc6491)>>32
	s_setpc_b64 s[14:15]
.LBB1_5814:
	s_or_b64 exec, exec, s[6:7]
	s_and_saveexec_b64 s[6:7], s[4:5]
	s_cbranch_execz .LBB1_5816
.LBB1_5815:
	v_bfe_u32 v6, v3, 16, 3
	v_ffbh_u32_e32 v14, v6
	v_min_u32_e32 v14, 32, v14
	v_lshrrev_b32_e32 v12, 19, v3
	v_subrev_u32_e32 v15, 28, v14
	v_and_b32_e32 v12, 15, v12
	v_lshlrev_b32_sdwa v15, v15, v3 dst_sel:DWORD dst_unused:UNUSED_PAD src0_sel:DWORD src1_sel:WORD_1
	v_bfe_u32 v13, v3, 19, 4
	v_sub_u32_e32 v14, 29, v14
	v_and_b32_e32 v15, 7, v15
	v_cmp_eq_u16_e32 vcc, 0, v12
	v_cndmask_b32_e32 v6, v6, v15, vcc
	v_cndmask_b32_e32 v12, v13, v14, vcc
	v_lshlrev_b32_e32 v13, 8, v3
	v_mov_b32_e32 v14, 0x3b800000
	v_lshlrev_b32_e32 v6, 20, v6
	v_and_b32_e32 v13, 0x80000000, v13
	v_lshl_add_u32 v12, v12, 23, v14
	v_or3_b32 v12, v13, v12, v6
.LBB1_5816:
	s_or_b64 exec, exec, s[6:7]
	s_nop 0
	v_mfma_f32_16x16x4f32 a[0:3], v2, v12, a[0:3]
	s_movk_i32 s4, 0x7f
	v_cmp_gt_i16_sdwa s[6:7], v7, s4 src0_sel:BYTE_3 src1_sel:DWORD
	s_mov_b64 s[4:5], 0
                                        ; implicit-def: $sgpr10
	s_and_saveexec_b64 s[8:9], s[6:7]
	s_xor_b64 s[6:7], exec, s[8:9]
	s_cbranch_execz .LBB1_5817
; %bb.41657:
	s_getpc_b64 s[14:15]
.Lpost_getpc6492:
	s_add_u32 s14, s14, (.LBB1_20153-.Lpost_getpc6492)&4294967295
	s_addc_u32 s15, s15, (.LBB1_20153-.Lpost_getpc6492)>>32
	s_setpc_b64 s[14:15]
.LBB1_5817:
	s_or_saveexec_b64 s[6:7], s[6:7]
	v_mov_b32_e32 v2, s10
	s_xor_b64 exec, exec, s[6:7]
	s_cbranch_execz .LBB1_5818
; %bb.41659:
	s_getpc_b64 s[14:15]
.Lpost_getpc6493:
	s_add_u32 s14, s14, (.LBB1_20156-.Lpost_getpc6493)&4294967295
	s_addc_u32 s15, s15, (.LBB1_20156-.Lpost_getpc6493)>>32
	s_setpc_b64 s[14:15]
.LBB1_5818:
	s_or_b64 exec, exec, s[6:7]
	s_and_saveexec_b64 s[6:7], s[4:5]
	s_cbranch_execz .LBB1_5820
.LBB1_5819:
	v_bfe_u32 v2, v7, 24, 3
	v_ffbh_u32_e32 v14, v2
	v_min_u32_e32 v14, 32, v14
	v_lshrrev_b32_e32 v12, 27, v7
	v_subrev_u32_e32 v15, 28, v14
	v_and_b32_e32 v6, 0x80000000, v7
	v_and_b32_e32 v12, 15, v12
	v_bfe_u32 v13, v7, 27, 4
	v_lshlrev_b32_sdwa v7, v15, v7 dst_sel:DWORD dst_unused:UNUSED_PAD src0_sel:DWORD src1_sel:BYTE_3
	v_sub_u32_e32 v14, 29, v14
	v_and_b32_e32 v7, 7, v7
	v_cmp_eq_u16_e32 vcc, 0, v12
	v_cndmask_b32_e32 v2, v2, v7, vcc
	v_cndmask_b32_e32 v7, v13, v14, vcc
	v_mov_b32_e32 v12, 0x3b800000
	v_lshlrev_b32_e32 v2, 20, v2
	v_lshl_add_u32 v7, v7, 23, v12
	v_or3_b32 v2, v6, v7, v2
.LBB1_5820:
	s_or_b64 exec, exec, s[6:7]
	s_movk_i32 s4, 0x7f
	v_cmp_gt_i16_sdwa s[6:7], v3, s4 src0_sel:BYTE_3 src1_sel:DWORD
	s_mov_b64 s[4:5], 0
                                        ; implicit-def: $sgpr10
	s_and_saveexec_b64 s[8:9], s[6:7]
	s_xor_b64 s[6:7], exec, s[8:9]
	s_cbranch_execz .LBB1_5821
; %bb.41661:
	s_getpc_b64 s[14:15]
.Lpost_getpc6494:
	s_add_u32 s14, s14, (.LBB1_20157-.Lpost_getpc6494)&4294967295
	s_addc_u32 s15, s15, (.LBB1_20157-.Lpost_getpc6494)>>32
	s_setpc_b64 s[14:15]
.LBB1_5821:
	s_or_saveexec_b64 s[6:7], s[6:7]
	v_mov_b32_e32 v6, s10
	s_xor_b64 exec, exec, s[6:7]
	s_cbranch_execz .LBB1_5822
; %bb.41663:
	s_getpc_b64 s[14:15]
.Lpost_getpc6495:
	s_add_u32 s14, s14, (.LBB1_20160-.Lpost_getpc6495)&4294967295
	s_addc_u32 s15, s15, (.LBB1_20160-.Lpost_getpc6495)>>32
	s_setpc_b64 s[14:15]
.LBB1_5822:
	s_or_b64 exec, exec, s[6:7]
	s_and_saveexec_b64 s[6:7], s[4:5]
	s_cbranch_execz .LBB1_5824
.LBB1_5823:
	v_bfe_u32 v6, v3, 24, 3
	v_ffbh_u32_e32 v14, v6
	v_min_u32_e32 v14, 32, v14
	v_lshrrev_b32_e32 v12, 27, v3
	v_subrev_u32_e32 v15, 28, v14
	v_and_b32_e32 v7, 0x80000000, v3
	v_and_b32_e32 v12, 15, v12
	v_bfe_u32 v13, v3, 27, 4
	v_lshlrev_b32_sdwa v3, v15, v3 dst_sel:DWORD dst_unused:UNUSED_PAD src0_sel:DWORD src1_sel:BYTE_3
	v_sub_u32_e32 v14, 29, v14
	v_and_b32_e32 v3, 7, v3
	v_cmp_eq_u16_e32 vcc, 0, v12
	v_cndmask_b32_e32 v3, v6, v3, vcc
	v_cndmask_b32_e32 v6, v13, v14, vcc
	v_mov_b32_e32 v12, 0x3b800000
	v_lshlrev_b32_e32 v3, 20, v3
	v_lshl_add_u32 v6, v6, 23, v12
	v_or3_b32 v6, v7, v6, v3
.LBB1_5824:
	s_or_b64 exec, exec, s[6:7]
	s_nop 0
	v_mfma_f32_16x16x4f32 a[0:3], v2, v6, a[0:3]
	s_movk_i32 s4, 0x7f
	v_cmp_gt_i16_sdwa s[6:7], v8, s4 src0_sel:BYTE_0 src1_sel:DWORD
	s_mov_b64 s[4:5], 0
                                        ; implicit-def: $sgpr10
	s_and_saveexec_b64 s[8:9], s[6:7]
	s_xor_b64 s[6:7], exec, s[8:9]
	s_cbranch_execz .LBB1_5825
; %bb.41665:
	s_getpc_b64 s[14:15]
.Lpost_getpc6496:
	s_add_u32 s14, s14, (.LBB1_20161-.Lpost_getpc6496)&4294967295
	s_addc_u32 s15, s15, (.LBB1_20161-.Lpost_getpc6496)>>32
	s_setpc_b64 s[14:15]
.LBB1_5825:
	s_or_saveexec_b64 s[6:7], s[6:7]
	v_mov_b32_e32 v2, s10
	s_xor_b64 exec, exec, s[6:7]
	s_cbranch_execz .LBB1_5826
; %bb.41667:
	s_getpc_b64 s[14:15]
.Lpost_getpc6497:
	s_add_u32 s14, s14, (.LBB1_20164-.Lpost_getpc6497)&4294967295
	s_addc_u32 s15, s15, (.LBB1_20164-.Lpost_getpc6497)>>32
	s_setpc_b64 s[14:15]
.LBB1_5826:
	s_or_b64 exec, exec, s[6:7]
	s_and_saveexec_b64 s[6:7], s[4:5]
	s_cbranch_execz .LBB1_5828
.LBB1_5827:
	v_and_b32_e32 v2, 7, v8
	v_ffbh_u32_e32 v6, v2
	v_min_u32_e32 v6, 32, v6
	v_lshrrev_b16_e32 v3, 3, v8
	v_subrev_u32_e32 v7, 28, v6
	v_and_b32_e32 v3, 15, v3
	v_lshlrev_b32_e32 v7, v7, v8
	v_sub_u32_e32 v6, 29, v6
	v_and_b32_e32 v7, 7, v7
	v_cmp_eq_u16_e32 vcc, 0, v3
	v_cndmask_b32_e32 v2, v2, v7, vcc
	v_cndmask_b32_e32 v3, v3, v6, vcc
	v_lshlrev_b32_e32 v6, 24, v8
	v_mov_b32_e32 v7, 0x3b800000
	v_lshlrev_b32_e32 v2, 20, v2
	v_and_b32_e32 v6, 0x80000000, v6
	v_lshl_add_u32 v3, v3, 23, v7
	v_or3_b32 v2, v6, v3, v2
.LBB1_5828:
	s_or_b64 exec, exec, s[6:7]
	s_movk_i32 s4, 0x7f
	v_cmp_gt_i16_sdwa s[6:7], v4, s4 src0_sel:BYTE_0 src1_sel:DWORD
	s_mov_b64 s[4:5], 0
                                        ; implicit-def: $sgpr10
	s_and_saveexec_b64 s[8:9], s[6:7]
	s_xor_b64 s[6:7], exec, s[8:9]
	s_cbranch_execz .LBB1_5829
; %bb.41669:
	s_getpc_b64 s[14:15]
.Lpost_getpc6498:
	s_add_u32 s14, s14, (.LBB1_20165-.Lpost_getpc6498)&4294967295
	s_addc_u32 s15, s15, (.LBB1_20165-.Lpost_getpc6498)>>32
	s_setpc_b64 s[14:15]
.LBB1_5829:
	s_or_saveexec_b64 s[6:7], s[6:7]
	v_mov_b32_e32 v3, s10
	s_xor_b64 exec, exec, s[6:7]
	s_cbranch_execz .LBB1_5830
; %bb.41671:
	s_getpc_b64 s[14:15]
.Lpost_getpc6499:
	s_add_u32 s14, s14, (.LBB1_20168-.Lpost_getpc6499)&4294967295
	s_addc_u32 s15, s15, (.LBB1_20168-.Lpost_getpc6499)>>32
	s_setpc_b64 s[14:15]
.LBB1_5830:
	s_or_b64 exec, exec, s[6:7]
	s_and_saveexec_b64 s[6:7], s[4:5]
	s_cbranch_execz .LBB1_5832
.LBB1_5831:
	v_and_b32_e32 v3, 7, v4
	v_ffbh_u32_e32 v7, v3
	v_min_u32_e32 v7, 32, v7
	v_lshrrev_b16_e32 v6, 3, v4
	v_subrev_u32_e32 v12, 28, v7
	v_and_b32_e32 v6, 15, v6
	v_lshlrev_b32_e32 v12, v12, v4
	v_sub_u32_e32 v7, 29, v7
	v_and_b32_e32 v12, 7, v12
	v_cmp_eq_u16_e32 vcc, 0, v6
	v_cndmask_b32_e32 v3, v3, v12, vcc
	v_cndmask_b32_e32 v6, v6, v7, vcc
	v_lshlrev_b32_e32 v7, 24, v4
	v_mov_b32_e32 v12, 0x3b800000
	v_lshlrev_b32_e32 v3, 20, v3
	v_and_b32_e32 v7, 0x80000000, v7
	v_lshl_add_u32 v6, v6, 23, v12
	v_or3_b32 v3, v7, v6, v3
.LBB1_5832:
	s_or_b64 exec, exec, s[6:7]
	s_nop 0
	v_mfma_f32_16x16x4f32 a[0:3], v2, v3, a[0:3]
	v_lshrrev_b32_e32 v3, 8, v8
	s_movk_i32 s4, 0x7f
	v_cmp_gt_i16_sdwa s[6:7], v3, s4 src0_sel:BYTE_0 src1_sel:DWORD
	s_mov_b64 s[4:5], 0
                                        ; implicit-def: $sgpr10
	s_and_saveexec_b64 s[8:9], s[6:7]
	s_xor_b64 s[6:7], exec, s[8:9]
	s_cbranch_execz .LBB1_5833
; %bb.41673:
	s_getpc_b64 s[14:15]
.Lpost_getpc6500:
	s_add_u32 s14, s14, (.LBB1_20169-.Lpost_getpc6500)&4294967295
	s_addc_u32 s15, s15, (.LBB1_20169-.Lpost_getpc6500)>>32
	s_setpc_b64 s[14:15]
.LBB1_5833:
	s_or_saveexec_b64 s[6:7], s[6:7]
	v_mov_b32_e32 v2, s10
	s_xor_b64 exec, exec, s[6:7]
	s_cbranch_execz .LBB1_5834
; %bb.41675:
	s_getpc_b64 s[14:15]
.Lpost_getpc6501:
	s_add_u32 s14, s14, (.LBB1_20172-.Lpost_getpc6501)&4294967295
	s_addc_u32 s15, s15, (.LBB1_20172-.Lpost_getpc6501)>>32
	s_setpc_b64 s[14:15]
.LBB1_5834:
	s_or_b64 exec, exec, s[6:7]
	s_and_saveexec_b64 s[6:7], s[4:5]
	s_cbranch_execz .LBB1_5836
.LBB1_5835:
	v_bfe_u32 v2, v8, 8, 3
	v_ffbh_u32_e32 v7, v2
	v_min_u32_e32 v7, 32, v7
	v_lshrrev_b16_e32 v6, 3, v3
	v_subrev_u32_e32 v12, 28, v7
	v_and_b32_e32 v6, 15, v6
	v_lshlrev_b32_e32 v3, v12, v3
	v_sub_u32_e32 v7, 29, v7
	v_and_b32_e32 v3, 7, v3
	v_cmp_eq_u16_e32 vcc, 0, v6
	v_cndmask_b32_e32 v2, v2, v3, vcc
	v_cndmask_b32_e32 v3, v6, v7, vcc
	v_lshlrev_b32_e32 v6, 16, v8
	v_mov_b32_e32 v7, 0x3b800000
	v_lshlrev_b32_e32 v2, 20, v2
	v_and_b32_e32 v6, 0x80000000, v6
	v_lshl_add_u32 v3, v3, 23, v7
	v_or3_b32 v2, v6, v3, v2
.LBB1_5836:
	s_or_b64 exec, exec, s[6:7]
	v_lshrrev_b32_e32 v3, 8, v4
	s_movk_i32 s4, 0x7f
	v_cmp_gt_i16_sdwa s[6:7], v3, s4 src0_sel:BYTE_0 src1_sel:DWORD
	s_mov_b64 s[4:5], 0
                                        ; implicit-def: $sgpr10
	s_and_saveexec_b64 s[8:9], s[6:7]
	s_xor_b64 s[6:7], exec, s[8:9]
	s_cbranch_execz .LBB1_5837
; %bb.41677:
	s_getpc_b64 s[14:15]
.Lpost_getpc6502:
	s_add_u32 s14, s14, (.LBB1_20173-.Lpost_getpc6502)&4294967295
	s_addc_u32 s15, s15, (.LBB1_20173-.Lpost_getpc6502)>>32
	s_setpc_b64 s[14:15]
.LBB1_5837:
	s_or_saveexec_b64 s[6:7], s[6:7]
	v_mov_b32_e32 v6, s10
	s_xor_b64 exec, exec, s[6:7]
	s_cbranch_execz .LBB1_5838
; %bb.41679:
	s_getpc_b64 s[14:15]
.Lpost_getpc6503:
	s_add_u32 s14, s14, (.LBB1_20176-.Lpost_getpc6503)&4294967295
	s_addc_u32 s15, s15, (.LBB1_20176-.Lpost_getpc6503)>>32
	s_setpc_b64 s[14:15]
.LBB1_5838:
	s_or_b64 exec, exec, s[6:7]
	s_and_saveexec_b64 s[6:7], s[4:5]
	s_cbranch_execz .LBB1_5840
.LBB1_5839:
	v_bfe_u32 v6, v4, 8, 3
	v_ffbh_u32_e32 v12, v6
	v_min_u32_e32 v12, 32, v12
	v_lshrrev_b16_e32 v7, 3, v3
	v_subrev_u32_e32 v13, 28, v12
	v_and_b32_e32 v7, 15, v7
	v_lshlrev_b32_e32 v3, v13, v3
	v_sub_u32_e32 v12, 29, v12
	v_and_b32_e32 v3, 7, v3
	v_cmp_eq_u16_e32 vcc, 0, v7
	v_cndmask_b32_e32 v3, v6, v3, vcc
	v_cndmask_b32_e32 v6, v7, v12, vcc
	v_lshlrev_b32_e32 v7, 16, v4
	v_mov_b32_e32 v12, 0x3b800000
	v_lshlrev_b32_e32 v3, 20, v3
	v_and_b32_e32 v7, 0x80000000, v7
	v_lshl_add_u32 v6, v6, 23, v12
	v_or3_b32 v6, v7, v6, v3
.LBB1_5840:
	s_or_b64 exec, exec, s[6:7]
	s_nop 0
	v_mfma_f32_16x16x4f32 a[0:3], v2, v6, a[0:3]
	s_movk_i32 s4, 0xff
	v_and_b32_sdwa v3, v8, s4 dst_sel:DWORD dst_unused:UNUSED_PAD src0_sel:WORD_1 src1_sel:DWORD
	s_movk_i32 s4, 0x7f
	v_cmp_lt_i16_e32 vcc, s4, v3
	s_mov_b64 s[4:5], 0
                                        ; implicit-def: $sgpr10
	s_and_saveexec_b64 s[6:7], vcc
	s_xor_b64 s[6:7], exec, s[6:7]
	s_cbranch_execz .LBB1_5841
; %bb.41681:
	s_getpc_b64 s[14:15]
.Lpost_getpc6504:
	s_add_u32 s14, s14, (.LBB1_20177-.Lpost_getpc6504)&4294967295
	s_addc_u32 s15, s15, (.LBB1_20177-.Lpost_getpc6504)>>32
	s_setpc_b64 s[14:15]
.LBB1_5841:
	s_or_saveexec_b64 s[6:7], s[6:7]
	v_mov_b32_e32 v2, s10
	s_xor_b64 exec, exec, s[6:7]
	s_cbranch_execz .LBB1_5842
; %bb.41683:
	s_getpc_b64 s[14:15]
.Lpost_getpc6505:
	s_add_u32 s14, s14, (.LBB1_20180-.Lpost_getpc6505)&4294967295
	s_addc_u32 s15, s15, (.LBB1_20180-.Lpost_getpc6505)>>32
	s_setpc_b64 s[14:15]
.LBB1_5842:
	s_or_b64 exec, exec, s[6:7]
	s_and_saveexec_b64 s[6:7], s[4:5]
	s_cbranch_execz .LBB1_5844
.LBB1_5843:
	v_bfe_u32 v2, v8, 16, 3
	v_ffbh_u32_e32 v7, v2
	v_min_u32_e32 v7, 32, v7
	v_lshrrev_b32_e32 v3, 19, v8
	v_subrev_u32_e32 v12, 28, v7
	v_and_b32_e32 v3, 15, v3
	v_lshlrev_b32_sdwa v12, v12, v8 dst_sel:DWORD dst_unused:UNUSED_PAD src0_sel:DWORD src1_sel:WORD_1
	v_bfe_u32 v6, v8, 19, 4
	v_sub_u32_e32 v7, 29, v7
	v_and_b32_e32 v12, 7, v12
	v_cmp_eq_u16_e32 vcc, 0, v3
	v_cndmask_b32_e32 v2, v2, v12, vcc
	v_cndmask_b32_e32 v3, v6, v7, vcc
	v_lshlrev_b32_e32 v6, 8, v8
	v_mov_b32_e32 v7, 0x3b800000
	v_lshlrev_b32_e32 v2, 20, v2
	v_and_b32_e32 v6, 0x80000000, v6
	v_lshl_add_u32 v3, v3, 23, v7
	v_or3_b32 v2, v6, v3, v2
.LBB1_5844:
	s_or_b64 exec, exec, s[6:7]
	s_movk_i32 s4, 0xff
	v_and_b32_sdwa v3, v4, s4 dst_sel:DWORD dst_unused:UNUSED_PAD src0_sel:WORD_1 src1_sel:DWORD
	s_movk_i32 s4, 0x7f
	v_cmp_lt_i16_e32 vcc, s4, v3
	s_mov_b64 s[4:5], 0
                                        ; implicit-def: $sgpr10
	s_and_saveexec_b64 s[6:7], vcc
	s_xor_b64 s[6:7], exec, s[6:7]
	s_cbranch_execz .LBB1_5845
; %bb.41685:
	s_getpc_b64 s[14:15]
.Lpost_getpc6506:
	s_add_u32 s14, s14, (.LBB1_20181-.Lpost_getpc6506)&4294967295
	s_addc_u32 s15, s15, (.LBB1_20181-.Lpost_getpc6506)>>32
	s_setpc_b64 s[14:15]
.LBB1_5845:
	s_or_saveexec_b64 s[6:7], s[6:7]
	v_mov_b32_e32 v6, s10
	s_xor_b64 exec, exec, s[6:7]
	s_cbranch_execz .LBB1_5846
; %bb.41687:
	s_getpc_b64 s[14:15]
.Lpost_getpc6507:
	s_add_u32 s14, s14, (.LBB1_20184-.Lpost_getpc6507)&4294967295
	s_addc_u32 s15, s15, (.LBB1_20184-.Lpost_getpc6507)>>32
	s_setpc_b64 s[14:15]
.LBB1_5846:
	s_or_b64 exec, exec, s[6:7]
	s_and_saveexec_b64 s[6:7], s[4:5]
	s_cbranch_execz .LBB1_5848
.LBB1_5847:
	v_bfe_u32 v3, v4, 16, 3
	v_ffbh_u32_e32 v12, v3
	v_min_u32_e32 v12, 32, v12
	v_lshrrev_b32_e32 v6, 19, v4
	v_subrev_u32_e32 v13, 28, v12
	v_and_b32_e32 v6, 15, v6
	v_lshlrev_b32_sdwa v13, v13, v4 dst_sel:DWORD dst_unused:UNUSED_PAD src0_sel:DWORD src1_sel:WORD_1
	v_bfe_u32 v7, v4, 19, 4
	v_sub_u32_e32 v12, 29, v12
	v_and_b32_e32 v13, 7, v13
	v_cmp_eq_u16_e32 vcc, 0, v6
	v_cndmask_b32_e32 v3, v3, v13, vcc
	v_cndmask_b32_e32 v6, v7, v12, vcc
	v_lshlrev_b32_e32 v7, 8, v4
	v_mov_b32_e32 v12, 0x3b800000
	v_lshlrev_b32_e32 v3, 20, v3
	v_and_b32_e32 v7, 0x80000000, v7
	v_lshl_add_u32 v6, v6, 23, v12
	v_or3_b32 v6, v7, v6, v3
.LBB1_5848:
	s_or_b64 exec, exec, s[6:7]
	s_nop 0
	v_mfma_f32_16x16x4f32 a[0:3], v2, v6, a[0:3]
	s_movk_i32 s4, 0x7f
	v_cmp_gt_i16_sdwa s[6:7], v8, s4 src0_sel:BYTE_3 src1_sel:DWORD
	s_mov_b64 s[4:5], 0
                                        ; implicit-def: $sgpr10
	s_and_saveexec_b64 s[8:9], s[6:7]
	s_xor_b64 s[6:7], exec, s[8:9]
	s_cbranch_execz .LBB1_5849
; %bb.41689:
	s_getpc_b64 s[14:15]
.Lpost_getpc6508:
	s_add_u32 s14, s14, (.LBB1_20185-.Lpost_getpc6508)&4294967295
	s_addc_u32 s15, s15, (.LBB1_20185-.Lpost_getpc6508)>>32
	s_setpc_b64 s[14:15]
.LBB1_5849:
	s_or_saveexec_b64 s[6:7], s[6:7]
	v_mov_b32_e32 v2, s10
	s_xor_b64 exec, exec, s[6:7]
	s_cbranch_execz .LBB1_5850
; %bb.41691:
	s_getpc_b64 s[14:15]
.Lpost_getpc6509:
	s_add_u32 s14, s14, (.LBB1_20188-.Lpost_getpc6509)&4294967295
	s_addc_u32 s15, s15, (.LBB1_20188-.Lpost_getpc6509)>>32
	s_setpc_b64 s[14:15]
.LBB1_5850:
	s_or_b64 exec, exec, s[6:7]
	s_and_saveexec_b64 s[6:7], s[4:5]
	s_cbranch_execz .LBB1_5852
.LBB1_5851:
	v_bfe_u32 v2, v8, 24, 3
	v_ffbh_u32_e32 v12, v2
	v_min_u32_e32 v12, 32, v12
	v_lshrrev_b32_e32 v6, 27, v8
	v_subrev_u32_e32 v13, 28, v12
	v_and_b32_e32 v3, 0x80000000, v8
	v_and_b32_e32 v6, 15, v6
	v_bfe_u32 v7, v8, 27, 4
	v_lshlrev_b32_sdwa v8, v13, v8 dst_sel:DWORD dst_unused:UNUSED_PAD src0_sel:DWORD src1_sel:BYTE_3
	v_sub_u32_e32 v12, 29, v12
	v_and_b32_e32 v8, 7, v8
	v_cmp_eq_u16_e32 vcc, 0, v6
	v_cndmask_b32_e32 v2, v2, v8, vcc
	v_cndmask_b32_e32 v6, v7, v12, vcc
	v_mov_b32_e32 v7, 0x3b800000
	v_lshlrev_b32_e32 v2, 20, v2
	v_lshl_add_u32 v6, v6, 23, v7
	v_or3_b32 v2, v3, v6, v2
.LBB1_5852:
	s_or_b64 exec, exec, s[6:7]
	s_movk_i32 s4, 0x7f
	v_cmp_gt_i16_sdwa s[6:7], v4, s4 src0_sel:BYTE_3 src1_sel:DWORD
	s_mov_b64 s[4:5], 0
                                        ; implicit-def: $sgpr10
	s_and_saveexec_b64 s[8:9], s[6:7]
	s_xor_b64 s[6:7], exec, s[8:9]
	s_cbranch_execz .LBB1_5853
; %bb.41693:
	s_getpc_b64 s[14:15]
.Lpost_getpc6510:
	s_add_u32 s14, s14, (.LBB1_20189-.Lpost_getpc6510)&4294967295
	s_addc_u32 s15, s15, (.LBB1_20189-.Lpost_getpc6510)>>32
	s_setpc_b64 s[14:15]
.LBB1_5853:
	s_or_saveexec_b64 s[6:7], s[6:7]
	v_mov_b32_e32 v3, s10
	s_xor_b64 exec, exec, s[6:7]
	s_cbranch_execz .LBB1_5854
; %bb.41695:
	s_getpc_b64 s[14:15]
.Lpost_getpc6511:
	s_add_u32 s14, s14, (.LBB1_20192-.Lpost_getpc6511)&4294967295
	s_addc_u32 s15, s15, (.LBB1_20192-.Lpost_getpc6511)>>32
	s_setpc_b64 s[14:15]
.LBB1_5854:
	s_or_b64 exec, exec, s[6:7]
	s_and_saveexec_b64 s[6:7], s[4:5]
	s_cbranch_execz .LBB1_5856
.LBB1_5855:
	v_bfe_u32 v3, v4, 24, 3
	v_ffbh_u32_e32 v12, v3
	v_min_u32_e32 v12, 32, v12
	v_lshrrev_b32_e32 v7, 27, v4
	v_subrev_u32_e32 v13, 28, v12
	v_and_b32_e32 v6, 0x80000000, v4
	v_and_b32_e32 v7, 15, v7
	v_bfe_u32 v8, v4, 27, 4
	v_lshlrev_b32_sdwa v4, v13, v4 dst_sel:DWORD dst_unused:UNUSED_PAD src0_sel:DWORD src1_sel:BYTE_3
	v_sub_u32_e32 v12, 29, v12
	v_and_b32_e32 v4, 7, v4
	v_cmp_eq_u16_e32 vcc, 0, v7
	v_cndmask_b32_e32 v3, v3, v4, vcc
	v_cndmask_b32_e32 v4, v8, v12, vcc
	v_mov_b32_e32 v7, 0x3b800000
	v_lshlrev_b32_e32 v3, 20, v3
	v_lshl_add_u32 v4, v4, 23, v7
	v_or3_b32 v3, v6, v4, v3
.LBB1_5856:
	s_or_b64 exec, exec, s[6:7]
	s_nop 0
	v_mfma_f32_16x16x4f32 a[0:3], v2, v3, a[0:3]
	s_movk_i32 s4, 0x7f
	v_cmp_gt_i16_sdwa s[6:7], v9, s4 src0_sel:BYTE_0 src1_sel:DWORD
	s_mov_b64 s[4:5], 0
                                        ; implicit-def: $sgpr10
	s_and_saveexec_b64 s[8:9], s[6:7]
	s_xor_b64 s[6:7], exec, s[8:9]
	s_cbranch_execz .LBB1_5857
; %bb.41697:
	s_getpc_b64 s[14:15]
.Lpost_getpc6512:
	s_add_u32 s14, s14, (.LBB1_20193-.Lpost_getpc6512)&4294967295
	s_addc_u32 s15, s15, (.LBB1_20193-.Lpost_getpc6512)>>32
	s_setpc_b64 s[14:15]
.LBB1_5857:
	s_or_saveexec_b64 s[6:7], s[6:7]
	v_mov_b32_e32 v2, s10
	s_xor_b64 exec, exec, s[6:7]
	s_cbranch_execz .LBB1_5858
; %bb.41699:
	s_getpc_b64 s[14:15]
.Lpost_getpc6513:
	s_add_u32 s14, s14, (.LBB1_20196-.Lpost_getpc6513)&4294967295
	s_addc_u32 s15, s15, (.LBB1_20196-.Lpost_getpc6513)>>32
	s_setpc_b64 s[14:15]
.LBB1_5858:
	s_or_b64 exec, exec, s[6:7]
	s_and_saveexec_b64 s[6:7], s[4:5]
	s_cbranch_execz .LBB1_5860
.LBB1_5859:
	v_mov_b32_e32 v2, 8
	v_and_b32_e32 v3, 7, v9
	v_lshrrev_b32_sdwa v2, v2, v9 dst_sel:BYTE_1 dst_unused:UNUSED_PAD src0_sel:DWORD src1_sel:DWORD
	v_ffbh_u32_e32 v4, v3
	v_or_b32_sdwa v2, v9, v2 dst_sel:DWORD dst_unused:UNUSED_PAD src0_sel:BYTE_0 src1_sel:DWORD
	v_min_u32_e32 v4, 32, v4
	v_lshrrev_b16_e32 v2, 3, v2
	v_subrev_u32_e32 v6, 28, v4
	v_and_b32_e32 v2, 15, v2
	v_lshlrev_b32_e32 v6, v6, v9
	v_sub_u32_e32 v4, 29, v4
	v_and_b32_e32 v6, 7, v6
	v_cmp_eq_u16_e32 vcc, 0, v2
	v_cndmask_b32_e32 v3, v3, v6, vcc
	v_cndmask_b32_e32 v2, v2, v4, vcc
	v_lshlrev_b32_e32 v4, 24, v9
	v_mov_b32_e32 v6, 0x3b800000
	v_lshlrev_b32_e32 v3, 20, v3
	v_and_b32_e32 v4, 0x80000000, v4
	v_lshl_add_u32 v2, v2, 23, v6
	v_or3_b32 v2, v4, v2, v3
.LBB1_5860:
	s_or_b64 exec, exec, s[6:7]
	s_movk_i32 s4, 0x7f
	v_cmp_gt_i16_sdwa s[6:7], v5, s4 src0_sel:BYTE_0 src1_sel:DWORD
	s_mov_b64 s[4:5], 0
                                        ; implicit-def: $sgpr10
	s_and_saveexec_b64 s[8:9], s[6:7]
	s_xor_b64 s[6:7], exec, s[8:9]
	s_cbranch_execz .LBB1_5861
; %bb.41701:
	s_getpc_b64 s[14:15]
.Lpost_getpc6514:
	s_add_u32 s14, s14, (.LBB1_20197-.Lpost_getpc6514)&4294967295
	s_addc_u32 s15, s15, (.LBB1_20197-.Lpost_getpc6514)>>32
	s_setpc_b64 s[14:15]
.LBB1_5861:
	s_or_saveexec_b64 s[6:7], s[6:7]
	v_mov_b32_e32 v3, s10
	s_xor_b64 exec, exec, s[6:7]
	s_cbranch_execz .LBB1_5862
; %bb.41703:
	s_getpc_b64 s[14:15]
.Lpost_getpc6515:
	s_add_u32 s14, s14, (.LBB1_20200-.Lpost_getpc6515)&4294967295
	s_addc_u32 s15, s15, (.LBB1_20200-.Lpost_getpc6515)>>32
	s_setpc_b64 s[14:15]
.LBB1_5862:
	s_or_b64 exec, exec, s[6:7]
	s_and_saveexec_b64 s[6:7], s[4:5]
	s_cbranch_execz .LBB1_5864
.LBB1_5863:
	v_mov_b32_e32 v3, 8
	v_and_b32_e32 v4, 7, v5
	v_lshrrev_b32_sdwa v3, v3, v5 dst_sel:BYTE_1 dst_unused:UNUSED_PAD src0_sel:DWORD src1_sel:DWORD
	v_ffbh_u32_e32 v6, v4
	v_or_b32_sdwa v3, v5, v3 dst_sel:DWORD dst_unused:UNUSED_PAD src0_sel:BYTE_0 src1_sel:DWORD
	v_min_u32_e32 v6, 32, v6
	v_lshrrev_b16_e32 v3, 3, v3
	v_subrev_u32_e32 v7, 28, v6
	v_and_b32_e32 v3, 15, v3
	v_lshlrev_b32_e32 v7, v7, v5
	v_sub_u32_e32 v6, 29, v6
	v_and_b32_e32 v7, 7, v7
	v_cmp_eq_u16_e32 vcc, 0, v3
	v_cndmask_b32_e32 v4, v4, v7, vcc
	v_cndmask_b32_e32 v3, v3, v6, vcc
	v_lshlrev_b32_e32 v6, 24, v5
	v_mov_b32_e32 v7, 0x3b800000
	v_lshlrev_b32_e32 v4, 20, v4
	v_and_b32_e32 v6, 0x80000000, v6
	v_lshl_add_u32 v3, v3, 23, v7
	v_or3_b32 v3, v6, v3, v4
.LBB1_5864:
	s_or_b64 exec, exec, s[6:7]
	s_nop 0
	v_mfma_f32_16x16x4f32 a[0:3], v2, v3, a[0:3]
	v_lshrrev_b32_e32 v3, 8, v9
	s_movk_i32 s4, 0x7f
	v_cmp_gt_i16_sdwa s[6:7], v3, s4 src0_sel:BYTE_0 src1_sel:DWORD
	s_mov_b64 s[4:5], 0
                                        ; implicit-def: $sgpr10
	s_and_saveexec_b64 s[8:9], s[6:7]
	s_xor_b64 s[6:7], exec, s[8:9]
	s_cbranch_execz .LBB1_5865
; %bb.41705:
	s_getpc_b64 s[14:15]
.Lpost_getpc6516:
	s_add_u32 s14, s14, (.LBB1_20201-.Lpost_getpc6516)&4294967295
	s_addc_u32 s15, s15, (.LBB1_20201-.Lpost_getpc6516)>>32
	s_setpc_b64 s[14:15]
.LBB1_5865:
	s_or_saveexec_b64 s[6:7], s[6:7]
	v_mov_b32_e32 v2, s10
	s_xor_b64 exec, exec, s[6:7]
	s_cbranch_execz .LBB1_5866
; %bb.41707:
	s_getpc_b64 s[14:15]
.Lpost_getpc6517:
	s_add_u32 s14, s14, (.LBB1_20204-.Lpost_getpc6517)&4294967295
	s_addc_u32 s15, s15, (.LBB1_20204-.Lpost_getpc6517)>>32
	s_setpc_b64 s[14:15]
.LBB1_5866:
	s_or_b64 exec, exec, s[6:7]
	s_and_saveexec_b64 s[6:7], s[4:5]
	s_cbranch_execz .LBB1_5868
.LBB1_5867:
	v_bfe_u32 v2, v9, 8, 3
	v_ffbh_u32_e32 v6, v2
	v_min_u32_e32 v6, 32, v6
	v_lshrrev_b16_e32 v4, 3, v3
	v_subrev_u32_e32 v7, 28, v6
	v_and_b32_e32 v4, 15, v4
	v_lshlrev_b32_e32 v3, v7, v3
	v_sub_u32_e32 v6, 29, v6
	v_and_b32_e32 v3, 7, v3
	v_cmp_eq_u16_e32 vcc, 0, v4
	v_cndmask_b32_e32 v2, v2, v3, vcc
	v_cndmask_b32_e32 v3, v4, v6, vcc
	v_lshlrev_b32_e32 v4, 16, v9
	v_mov_b32_e32 v6, 0x3b800000
	v_lshlrev_b32_e32 v2, 20, v2
	v_and_b32_e32 v4, 0x80000000, v4
	v_lshl_add_u32 v3, v3, 23, v6
	v_or3_b32 v2, v4, v3, v2
.LBB1_5868:
	s_or_b64 exec, exec, s[6:7]
	v_lshrrev_b32_e32 v3, 8, v5
	s_movk_i32 s4, 0x7f
	v_cmp_gt_i16_sdwa s[6:7], v3, s4 src0_sel:BYTE_0 src1_sel:DWORD
	s_mov_b64 s[4:5], 0
                                        ; implicit-def: $sgpr10
	s_and_saveexec_b64 s[8:9], s[6:7]
	s_xor_b64 s[6:7], exec, s[8:9]
	s_cbranch_execz .LBB1_5869
; %bb.41709:
	s_getpc_b64 s[14:15]
.Lpost_getpc6518:
	s_add_u32 s14, s14, (.LBB1_20205-.Lpost_getpc6518)&4294967295
	s_addc_u32 s15, s15, (.LBB1_20205-.Lpost_getpc6518)>>32
	s_setpc_b64 s[14:15]
.LBB1_5869:
	s_or_saveexec_b64 s[6:7], s[6:7]
	v_mov_b32_e32 v4, s10
	s_xor_b64 exec, exec, s[6:7]
	s_cbranch_execz .LBB1_5870
; %bb.41711:
	s_getpc_b64 s[14:15]
.Lpost_getpc6519:
	s_add_u32 s14, s14, (.LBB1_20208-.Lpost_getpc6519)&4294967295
	s_addc_u32 s15, s15, (.LBB1_20208-.Lpost_getpc6519)>>32
	s_setpc_b64 s[14:15]
.LBB1_5870:
	s_or_b64 exec, exec, s[6:7]
	s_and_saveexec_b64 s[6:7], s[4:5]
	s_cbranch_execz .LBB1_5872
.LBB1_5871:
	v_bfe_u32 v4, v5, 8, 3
	v_ffbh_u32_e32 v7, v4
	v_min_u32_e32 v7, 32, v7
	v_lshrrev_b16_e32 v6, 3, v3
	v_subrev_u32_e32 v8, 28, v7
	v_and_b32_e32 v6, 15, v6
	v_lshlrev_b32_e32 v3, v8, v3
	v_sub_u32_e32 v7, 29, v7
	v_and_b32_e32 v3, 7, v3
	v_cmp_eq_u16_e32 vcc, 0, v6
	v_cndmask_b32_e32 v3, v4, v3, vcc
	v_cndmask_b32_e32 v4, v6, v7, vcc
	v_lshlrev_b32_e32 v6, 16, v5
	v_mov_b32_e32 v7, 0x3b800000
	v_lshlrev_b32_e32 v3, 20, v3
	v_and_b32_e32 v6, 0x80000000, v6
	v_lshl_add_u32 v4, v4, 23, v7
	v_or3_b32 v4, v6, v4, v3
.LBB1_5872:
	s_or_b64 exec, exec, s[6:7]
	s_nop 0
	v_mfma_f32_16x16x4f32 a[0:3], v2, v4, a[0:3]
	s_movk_i32 s4, 0xff
	v_and_b32_sdwa v3, v9, s4 dst_sel:DWORD dst_unused:UNUSED_PAD src0_sel:WORD_1 src1_sel:DWORD
	s_movk_i32 s4, 0x7f
	v_cmp_lt_i16_e32 vcc, s4, v3
	s_mov_b64 s[4:5], 0
                                        ; implicit-def: $sgpr10
	s_and_saveexec_b64 s[6:7], vcc
	s_xor_b64 s[6:7], exec, s[6:7]
	s_cbranch_execz .LBB1_5873
; %bb.41713:
	s_getpc_b64 s[14:15]
.Lpost_getpc6520:
	s_add_u32 s14, s14, (.LBB1_20209-.Lpost_getpc6520)&4294967295
	s_addc_u32 s15, s15, (.LBB1_20209-.Lpost_getpc6520)>>32
	s_setpc_b64 s[14:15]
.LBB1_5873:
	s_or_saveexec_b64 s[6:7], s[6:7]
	v_mov_b32_e32 v2, s10
	s_xor_b64 exec, exec, s[6:7]
	s_cbranch_execz .LBB1_5874
; %bb.41715:
	s_getpc_b64 s[14:15]
.Lpost_getpc6521:
	s_add_u32 s14, s14, (.LBB1_20212-.Lpost_getpc6521)&4294967295
	s_addc_u32 s15, s15, (.LBB1_20212-.Lpost_getpc6521)>>32
	s_setpc_b64 s[14:15]
.LBB1_5874:
	s_or_b64 exec, exec, s[6:7]
	s_and_saveexec_b64 s[6:7], s[4:5]
	s_cbranch_execz .LBB1_5876
.LBB1_5875:
	v_bfe_u32 v2, v9, 16, 3
	v_ffbh_u32_e32 v6, v2
	v_min_u32_e32 v6, 32, v6
	v_lshrrev_b32_e32 v3, 19, v9
	v_subrev_u32_e32 v7, 28, v6
	v_and_b32_e32 v3, 15, v3
	v_lshlrev_b32_sdwa v7, v7, v9 dst_sel:DWORD dst_unused:UNUSED_PAD src0_sel:DWORD src1_sel:WORD_1
	v_bfe_u32 v4, v9, 19, 4
	v_sub_u32_e32 v6, 29, v6
	v_and_b32_e32 v7, 7, v7
	v_cmp_eq_u16_e32 vcc, 0, v3
	v_cndmask_b32_e32 v2, v2, v7, vcc
	v_cndmask_b32_e32 v3, v4, v6, vcc
	v_lshlrev_b32_e32 v4, 8, v9
	v_mov_b32_e32 v6, 0x3b800000
	v_lshlrev_b32_e32 v2, 20, v2
	v_and_b32_e32 v4, 0x80000000, v4
	v_lshl_add_u32 v3, v3, 23, v6
	v_or3_b32 v2, v4, v3, v2
.LBB1_5876:
	s_or_b64 exec, exec, s[6:7]
	s_movk_i32 s4, 0xff
	v_and_b32_sdwa v3, v5, s4 dst_sel:DWORD dst_unused:UNUSED_PAD src0_sel:WORD_1 src1_sel:DWORD
	s_movk_i32 s4, 0x7f
	v_cmp_lt_i16_e32 vcc, s4, v3
	s_mov_b64 s[4:5], 0
                                        ; implicit-def: $sgpr10
	s_and_saveexec_b64 s[6:7], vcc
	s_xor_b64 s[6:7], exec, s[6:7]
	s_cbranch_execz .LBB1_5877
; %bb.41717:
	s_getpc_b64 s[14:15]
.Lpost_getpc6522:
	s_add_u32 s14, s14, (.LBB1_20213-.Lpost_getpc6522)&4294967295
	s_addc_u32 s15, s15, (.LBB1_20213-.Lpost_getpc6522)>>32
	s_setpc_b64 s[14:15]
.LBB1_5877:
	s_or_saveexec_b64 s[6:7], s[6:7]
	v_mov_b32_e32 v4, s10
	s_xor_b64 exec, exec, s[6:7]
	s_cbranch_execz .LBB1_5878
; %bb.41719:
	s_getpc_b64 s[14:15]
.Lpost_getpc6523:
	s_add_u32 s14, s14, (.LBB1_20216-.Lpost_getpc6523)&4294967295
	s_addc_u32 s15, s15, (.LBB1_20216-.Lpost_getpc6523)>>32
	s_setpc_b64 s[14:15]
.LBB1_5878:
	s_or_b64 exec, exec, s[6:7]
	s_and_saveexec_b64 s[6:7], s[4:5]
	s_cbranch_execz .LBB1_5880
.LBB1_5879:
	v_bfe_u32 v3, v5, 16, 3
	v_ffbh_u32_e32 v7, v3
	v_min_u32_e32 v7, 32, v7
	v_lshrrev_b32_e32 v4, 19, v5
	v_subrev_u32_e32 v8, 28, v7
	v_and_b32_e32 v4, 15, v4
	v_lshlrev_b32_sdwa v8, v8, v5 dst_sel:DWORD dst_unused:UNUSED_PAD src0_sel:DWORD src1_sel:WORD_1
	v_bfe_u32 v6, v5, 19, 4
	v_sub_u32_e32 v7, 29, v7
	v_and_b32_e32 v8, 7, v8
	v_cmp_eq_u16_e32 vcc, 0, v4
	v_cndmask_b32_e32 v3, v3, v8, vcc
	v_cndmask_b32_e32 v4, v6, v7, vcc
	v_lshlrev_b32_e32 v6, 8, v5
	v_mov_b32_e32 v7, 0x3b800000
	v_lshlrev_b32_e32 v3, 20, v3
	v_and_b32_e32 v6, 0x80000000, v6
	v_lshl_add_u32 v4, v4, 23, v7
	v_or3_b32 v4, v6, v4, v3
.LBB1_5880:
	s_or_b64 exec, exec, s[6:7]
	s_nop 0
	v_mfma_f32_16x16x4f32 a[0:3], v2, v4, a[0:3]
	s_movk_i32 s4, 0x7f
	v_cmp_gt_i16_sdwa s[6:7], v9, s4 src0_sel:BYTE_3 src1_sel:DWORD
	s_mov_b64 s[4:5], 0
                                        ; implicit-def: $sgpr10
	s_and_saveexec_b64 s[8:9], s[6:7]
	s_xor_b64 s[6:7], exec, s[8:9]
	s_cbranch_execz .LBB1_5881
; %bb.41721:
	s_getpc_b64 s[14:15]
.Lpost_getpc6524:
	s_add_u32 s14, s14, (.LBB1_20217-.Lpost_getpc6524)&4294967295
	s_addc_u32 s15, s15, (.LBB1_20217-.Lpost_getpc6524)>>32
	s_setpc_b64 s[14:15]
.LBB1_5881:
	s_or_saveexec_b64 s[6:7], s[6:7]
	v_mov_b32_e32 v2, s10
	s_xor_b64 exec, exec, s[6:7]
	s_cbranch_execz .LBB1_5882
; %bb.41723:
	s_getpc_b64 s[14:15]
.Lpost_getpc6525:
	s_add_u32 s14, s14, (.LBB1_20220-.Lpost_getpc6525)&4294967295
	s_addc_u32 s15, s15, (.LBB1_20220-.Lpost_getpc6525)>>32
	s_setpc_b64 s[14:15]
.LBB1_5882:
	s_or_b64 exec, exec, s[6:7]
	s_and_saveexec_b64 s[6:7], s[4:5]
	s_cbranch_execz .LBB1_5884
.LBB1_5883:
	v_bfe_u32 v2, v9, 24, 3
	v_ffbh_u32_e32 v7, v2
	v_min_u32_e32 v7, 32, v7
	v_lshrrev_b32_e32 v4, 27, v9
	v_subrev_u32_e32 v8, 28, v7
	v_and_b32_e32 v4, 15, v4
	v_lshlrev_b32_sdwa v8, v8, v9 dst_sel:DWORD dst_unused:UNUSED_PAD src0_sel:DWORD src1_sel:BYTE_3
	v_bfe_u32 v6, v9, 27, 4
	v_sub_u32_e32 v7, 29, v7
	v_and_b32_e32 v8, 7, v8
	v_cmp_eq_u16_e32 vcc, 0, v4
	v_cndmask_b32_e32 v2, v2, v8, vcc
	v_cndmask_b32_e32 v4, v6, v7, vcc
	v_mov_b32_e32 v6, 0x3b800000
	v_and_b32_e32 v3, 0x80000000, v9
	v_lshlrev_b32_e32 v2, 20, v2
	v_lshl_add_u32 v4, v4, 23, v6
	v_or3_b32 v2, v3, v4, v2
.LBB1_5884:
	s_or_b64 exec, exec, s[6:7]
	s_movk_i32 s4, 0x7f
	v_cmp_gt_i16_sdwa s[6:7], v5, s4 src0_sel:BYTE_3 src1_sel:DWORD
	s_mov_b64 s[4:5], 0
                                        ; implicit-def: $sgpr10
	s_and_saveexec_b64 s[8:9], s[6:7]
	s_xor_b64 s[6:7], exec, s[8:9]
	s_cbranch_execz .LBB1_5885
; %bb.41725:
	s_getpc_b64 s[14:15]
.Lpost_getpc6526:
	s_add_u32 s14, s14, (.LBB1_20221-.Lpost_getpc6526)&4294967295
	s_addc_u32 s15, s15, (.LBB1_20221-.Lpost_getpc6526)>>32
	s_setpc_b64 s[14:15]
.LBB1_5885:
	s_or_saveexec_b64 s[6:7], s[6:7]
	v_mov_b32_e32 v3, s10
	s_xor_b64 exec, exec, s[6:7]
	s_cbranch_execz .LBB1_5886
; %bb.41727:
	s_getpc_b64 s[14:15]
.Lpost_getpc6527:
	s_add_u32 s14, s14, (.LBB1_20224-.Lpost_getpc6527)&4294967295
	s_addc_u32 s15, s15, (.LBB1_20224-.Lpost_getpc6527)>>32
	s_setpc_b64 s[14:15]
.LBB1_5886:
	s_or_b64 exec, exec, s[6:7]
	s_and_saveexec_b64 s[6:7], s[4:5]
	s_cbranch_execz .LBB1_5888
.LBB1_5887:
	v_bfe_u32 v3, v5, 24, 3
	v_ffbh_u32_e32 v8, v3
	v_min_u32_e32 v8, 32, v8
	v_lshrrev_b32_e32 v6, 27, v5
	v_subrev_u32_e32 v9, 28, v8
	v_and_b32_e32 v4, 0x80000000, v5
	v_and_b32_e32 v6, 15, v6
	v_bfe_u32 v7, v5, 27, 4
	v_lshlrev_b32_sdwa v5, v9, v5 dst_sel:DWORD dst_unused:UNUSED_PAD src0_sel:DWORD src1_sel:BYTE_3
	v_sub_u32_e32 v8, 29, v8
	v_and_b32_e32 v5, 7, v5
	v_cmp_eq_u16_e32 vcc, 0, v6
	v_cndmask_b32_e32 v3, v3, v5, vcc
	v_cndmask_b32_e32 v5, v7, v8, vcc
	v_mov_b32_e32 v6, 0x3b800000
	v_lshlrev_b32_e32 v3, 20, v3
	v_lshl_add_u32 v5, v5, 23, v6
	v_or3_b32 v3, v4, v5, v3
.LBB1_5888:
	s_or_b64 exec, exec, s[6:7]
	s_nop 0
	v_mfma_f32_16x16x4f32 a[0:3], v2, v3, a[0:3]
	s_movk_i32 s4, 0x7f
                                        ; implicit-def: $sgpr10
	s_nop 7
	s_nop 1
	flat_store_dwordx4 v[10:11], a[0:3] offset:720
	flat_load_dwordx4 v[12:15], v[0:1]
	s_nop 0
	flat_load_dwordx2 v[10:11], v[0:1] offset:16
	s_waitcnt vmcnt(0) lgkmcnt(0)
	flat_load_dwordx4 v[6:9], v[12:13] offset:80
	flat_load_dwordx4 v[2:5], v[14:15] offset:96
	s_waitcnt vmcnt(0) lgkmcnt(0)
	v_cmp_gt_i16_sdwa s[6:7], v6, s4 src0_sel:BYTE_0 src1_sel:DWORD
	s_mov_b64 s[4:5], 0
	s_and_saveexec_b64 s[8:9], s[6:7]
	s_xor_b64 s[6:7], exec, s[8:9]
	s_cbranch_execz .LBB1_5889
; %bb.41729:
	s_getpc_b64 s[14:15]
.Lpost_getpc6528:
	s_add_u32 s14, s14, (.LBB1_20225-.Lpost_getpc6528)&4294967295
	s_addc_u32 s15, s15, (.LBB1_20225-.Lpost_getpc6528)>>32
	s_setpc_b64 s[14:15]
.LBB1_5889:
	s_or_saveexec_b64 s[6:7], s[6:7]
	v_mov_b32_e32 v12, s10
	s_xor_b64 exec, exec, s[6:7]
	s_cbranch_execz .LBB1_5890
; %bb.41731:
	s_getpc_b64 s[14:15]
.Lpost_getpc6529:
	s_add_u32 s14, s14, (.LBB1_20228-.Lpost_getpc6529)&4294967295
	s_addc_u32 s15, s15, (.LBB1_20228-.Lpost_getpc6529)>>32
	s_setpc_b64 s[14:15]
.LBB1_5890:
	s_or_b64 exec, exec, s[6:7]
	s_and_saveexec_b64 s[6:7], s[4:5]
	s_cbranch_execz .LBB1_5892
.LBB1_5891:
	v_and_b32_e32 v12, 7, v6
	v_ffbh_u32_e32 v14, v12
	v_min_u32_e32 v14, 32, v14
	v_lshrrev_b16_e32 v13, 3, v6
	v_subrev_u32_e32 v15, 28, v14
	v_and_b32_e32 v13, 15, v13
	v_lshlrev_b32_e32 v15, v15, v6
	v_sub_u32_e32 v14, 29, v14
	v_and_b32_e32 v15, 7, v15
	v_cmp_eq_u16_e32 vcc, 0, v13
	v_cndmask_b32_e32 v12, v12, v15, vcc
	v_cndmask_b32_e32 v13, v13, v14, vcc
	v_lshlrev_b32_e32 v14, 24, v6
	v_mov_b32_e32 v15, 0x3b800000
	v_lshlrev_b32_e32 v12, 20, v12
	v_and_b32_e32 v14, 0x80000000, v14
	v_lshl_add_u32 v13, v13, 23, v15
	v_or3_b32 v12, v14, v13, v12
.LBB1_5892:
	s_or_b64 exec, exec, s[6:7]
	s_movk_i32 s4, 0x7f
	v_cmp_gt_i16_sdwa s[6:7], v2, s4 src0_sel:BYTE_0 src1_sel:DWORD
	s_mov_b64 s[4:5], 0
                                        ; implicit-def: $sgpr10
	s_and_saveexec_b64 s[8:9], s[6:7]
	s_xor_b64 s[6:7], exec, s[8:9]
	s_cbranch_execz .LBB1_5893
; %bb.41733:
	s_getpc_b64 s[14:15]
.Lpost_getpc6530:
	s_add_u32 s14, s14, (.LBB1_20229-.Lpost_getpc6530)&4294967295
	s_addc_u32 s15, s15, (.LBB1_20229-.Lpost_getpc6530)>>32
	s_setpc_b64 s[14:15]
.LBB1_5893:
	s_or_saveexec_b64 s[6:7], s[6:7]
	v_mov_b32_e32 v13, s10
	s_xor_b64 exec, exec, s[6:7]
	s_cbranch_execz .LBB1_5894
; %bb.41735:
	s_getpc_b64 s[14:15]
.Lpost_getpc6531:
	s_add_u32 s14, s14, (.LBB1_20232-.Lpost_getpc6531)&4294967295
	s_addc_u32 s15, s15, (.LBB1_20232-.Lpost_getpc6531)>>32
	s_setpc_b64 s[14:15]
.LBB1_5894:
	s_or_b64 exec, exec, s[6:7]
	s_and_saveexec_b64 s[6:7], s[4:5]
	s_cbranch_execz .LBB1_5896
.LBB1_5895:
	v_and_b32_e32 v13, 7, v2
	v_ffbh_u32_e32 v15, v13
	v_min_u32_e32 v15, 32, v15
	v_lshrrev_b16_e32 v14, 3, v2
	v_subrev_u32_e32 v16, 28, v15
	v_and_b32_e32 v14, 15, v14
	v_lshlrev_b32_e32 v16, v16, v2
	v_sub_u32_e32 v15, 29, v15
	v_and_b32_e32 v16, 7, v16
	v_cmp_eq_u16_e32 vcc, 0, v14
	v_cndmask_b32_e32 v13, v13, v16, vcc
	v_cndmask_b32_e32 v14, v14, v15, vcc
	v_lshlrev_b32_e32 v15, 24, v2
	v_mov_b32_e32 v16, 0x3b800000
	v_lshlrev_b32_e32 v13, 20, v13
	v_and_b32_e32 v15, 0x80000000, v15
	v_lshl_add_u32 v14, v14, 23, v16
	v_or3_b32 v13, v15, v14, v13
.LBB1_5896:
	s_or_b64 exec, exec, s[6:7]
	flat_load_dwordx4 a[0:3], v[10:11] offset:736
	s_movk_i32 s4, 0x7f
                                        ; implicit-def: $sgpr10
	s_waitcnt vmcnt(0) lgkmcnt(0)
	v_mfma_f32_16x16x4f32 a[0:3], v12, v13, a[0:3]
	v_lshrrev_b32_e32 v13, 8, v6
	v_cmp_gt_i16_sdwa s[6:7], v13, s4 src0_sel:BYTE_0 src1_sel:DWORD
	s_mov_b64 s[4:5], 0
	s_and_saveexec_b64 s[8:9], s[6:7]
	s_xor_b64 s[6:7], exec, s[8:9]
	s_cbranch_execz .LBB1_5897
; %bb.41737:
	s_getpc_b64 s[14:15]
.Lpost_getpc6532:
	s_add_u32 s14, s14, (.LBB1_20233-.Lpost_getpc6532)&4294967295
	s_addc_u32 s15, s15, (.LBB1_20233-.Lpost_getpc6532)>>32
	s_setpc_b64 s[14:15]
.LBB1_5897:
	s_or_saveexec_b64 s[6:7], s[6:7]
	v_mov_b32_e32 v12, s10
	s_xor_b64 exec, exec, s[6:7]
	s_cbranch_execz .LBB1_5898
; %bb.41739:
	s_getpc_b64 s[14:15]
.Lpost_getpc6533:
	s_add_u32 s14, s14, (.LBB1_20236-.Lpost_getpc6533)&4294967295
	s_addc_u32 s15, s15, (.LBB1_20236-.Lpost_getpc6533)>>32
	s_setpc_b64 s[14:15]
.LBB1_5898:
	s_or_b64 exec, exec, s[6:7]
	s_and_saveexec_b64 s[6:7], s[4:5]
	s_cbranch_execz .LBB1_5900
.LBB1_5899:
	v_bfe_u32 v12, v6, 8, 3
	v_ffbh_u32_e32 v15, v12
	v_min_u32_e32 v15, 32, v15
	v_lshrrev_b16_e32 v14, 3, v13
	v_subrev_u32_e32 v16, 28, v15
	v_and_b32_e32 v14, 15, v14
	v_lshlrev_b32_e32 v13, v16, v13
	v_sub_u32_e32 v15, 29, v15
	v_and_b32_e32 v13, 7, v13
	v_cmp_eq_u16_e32 vcc, 0, v14
	v_cndmask_b32_e32 v12, v12, v13, vcc
	v_cndmask_b32_e32 v13, v14, v15, vcc
	v_lshlrev_b32_e32 v14, 16, v6
	v_mov_b32_e32 v15, 0x3b800000
	v_lshlrev_b32_e32 v12, 20, v12
	v_and_b32_e32 v14, 0x80000000, v14
	v_lshl_add_u32 v13, v13, 23, v15
	v_or3_b32 v12, v14, v13, v12
.LBB1_5900:
	s_or_b64 exec, exec, s[6:7]
	v_lshrrev_b32_e32 v13, 8, v2
	s_movk_i32 s4, 0x7f
	v_cmp_gt_i16_sdwa s[6:7], v13, s4 src0_sel:BYTE_0 src1_sel:DWORD
	s_mov_b64 s[4:5], 0
                                        ; implicit-def: $sgpr10
	s_and_saveexec_b64 s[8:9], s[6:7]
	s_xor_b64 s[6:7], exec, s[8:9]
	s_cbranch_execz .LBB1_5901
; %bb.41741:
	s_getpc_b64 s[14:15]
.Lpost_getpc6534:
	s_add_u32 s14, s14, (.LBB1_20237-.Lpost_getpc6534)&4294967295
	s_addc_u32 s15, s15, (.LBB1_20237-.Lpost_getpc6534)>>32
	s_setpc_b64 s[14:15]
.LBB1_5901:
	s_or_saveexec_b64 s[6:7], s[6:7]
	v_mov_b32_e32 v14, s10
	s_xor_b64 exec, exec, s[6:7]
	s_cbranch_execz .LBB1_5902
; %bb.41743:
	s_getpc_b64 s[14:15]
.Lpost_getpc6535:
	s_add_u32 s14, s14, (.LBB1_20240-.Lpost_getpc6535)&4294967295
	s_addc_u32 s15, s15, (.LBB1_20240-.Lpost_getpc6535)>>32
	s_setpc_b64 s[14:15]
.LBB1_5902:
	s_or_b64 exec, exec, s[6:7]
	s_and_saveexec_b64 s[6:7], s[4:5]
	s_cbranch_execz .LBB1_5904
.LBB1_5903:
	v_bfe_u32 v14, v2, 8, 3
	v_ffbh_u32_e32 v16, v14
	v_min_u32_e32 v16, 32, v16
	v_lshrrev_b16_e32 v15, 3, v13
	v_subrev_u32_e32 v17, 28, v16
	v_and_b32_e32 v15, 15, v15
	v_lshlrev_b32_e32 v13, v17, v13
	v_sub_u32_e32 v16, 29, v16
	v_and_b32_e32 v13, 7, v13
	v_cmp_eq_u16_e32 vcc, 0, v15
	v_cndmask_b32_e32 v13, v14, v13, vcc
	v_cndmask_b32_e32 v14, v15, v16, vcc
	v_lshlrev_b32_e32 v15, 16, v2
	v_mov_b32_e32 v16, 0x3b800000
	v_lshlrev_b32_e32 v13, 20, v13
	v_and_b32_e32 v15, 0x80000000, v15
	v_lshl_add_u32 v14, v14, 23, v16
	v_or3_b32 v14, v15, v14, v13
.LBB1_5904:
	s_or_b64 exec, exec, s[6:7]
	s_nop 0
	v_mfma_f32_16x16x4f32 a[0:3], v12, v14, a[0:3]
	s_movk_i32 s4, 0xff
	v_and_b32_sdwa v13, v6, s4 dst_sel:DWORD dst_unused:UNUSED_PAD src0_sel:WORD_1 src1_sel:DWORD
	s_movk_i32 s4, 0x7f
	v_cmp_lt_i16_e32 vcc, s4, v13
	s_mov_b64 s[4:5], 0
                                        ; implicit-def: $sgpr10
	s_and_saveexec_b64 s[6:7], vcc
	s_xor_b64 s[6:7], exec, s[6:7]
	s_cbranch_execz .LBB1_5905
; %bb.41745:
	s_getpc_b64 s[14:15]
.Lpost_getpc6536:
	s_add_u32 s14, s14, (.LBB1_20241-.Lpost_getpc6536)&4294967295
	s_addc_u32 s15, s15, (.LBB1_20241-.Lpost_getpc6536)>>32
	s_setpc_b64 s[14:15]
.LBB1_5905:
	s_or_saveexec_b64 s[6:7], s[6:7]
	v_mov_b32_e32 v12, s10
	s_xor_b64 exec, exec, s[6:7]
	s_cbranch_execz .LBB1_5906
; %bb.41747:
	s_getpc_b64 s[14:15]
.Lpost_getpc6537:
	s_add_u32 s14, s14, (.LBB1_20244-.Lpost_getpc6537)&4294967295
	s_addc_u32 s15, s15, (.LBB1_20244-.Lpost_getpc6537)>>32
	s_setpc_b64 s[14:15]
.LBB1_5906:
	s_or_b64 exec, exec, s[6:7]
	s_and_saveexec_b64 s[6:7], s[4:5]
	s_cbranch_execz .LBB1_5908
.LBB1_5907:
	v_bfe_u32 v12, v6, 16, 3
	v_ffbh_u32_e32 v15, v12
	v_min_u32_e32 v15, 32, v15
	v_lshrrev_b32_e32 v13, 19, v6
	v_subrev_u32_e32 v16, 28, v15
	v_and_b32_e32 v13, 15, v13
	v_lshlrev_b32_sdwa v16, v16, v6 dst_sel:DWORD dst_unused:UNUSED_PAD src0_sel:DWORD src1_sel:WORD_1
	v_bfe_u32 v14, v6, 19, 4
	v_sub_u32_e32 v15, 29, v15
	v_and_b32_e32 v16, 7, v16
	v_cmp_eq_u16_e32 vcc, 0, v13
	v_cndmask_b32_e32 v12, v12, v16, vcc
	v_cndmask_b32_e32 v13, v14, v15, vcc
	v_lshlrev_b32_e32 v14, 8, v6
	v_mov_b32_e32 v15, 0x3b800000
	v_lshlrev_b32_e32 v12, 20, v12
	v_and_b32_e32 v14, 0x80000000, v14
	v_lshl_add_u32 v13, v13, 23, v15
	v_or3_b32 v12, v14, v13, v12
.LBB1_5908:
	s_or_b64 exec, exec, s[6:7]
	s_movk_i32 s4, 0xff
	v_and_b32_sdwa v13, v2, s4 dst_sel:DWORD dst_unused:UNUSED_PAD src0_sel:WORD_1 src1_sel:DWORD
	s_movk_i32 s4, 0x7f
	v_cmp_lt_i16_e32 vcc, s4, v13
	s_mov_b64 s[4:5], 0
                                        ; implicit-def: $sgpr10
	s_and_saveexec_b64 s[6:7], vcc
	s_xor_b64 s[6:7], exec, s[6:7]
	s_cbranch_execz .LBB1_5909
; %bb.41749:
	s_getpc_b64 s[14:15]
.Lpost_getpc6538:
	s_add_u32 s14, s14, (.LBB1_20245-.Lpost_getpc6538)&4294967295
	s_addc_u32 s15, s15, (.LBB1_20245-.Lpost_getpc6538)>>32
	s_setpc_b64 s[14:15]
.LBB1_5909:
	s_or_saveexec_b64 s[6:7], s[6:7]
	v_mov_b32_e32 v14, s10
	s_xor_b64 exec, exec, s[6:7]
	s_cbranch_execz .LBB1_5910
; %bb.41751:
	s_getpc_b64 s[14:15]
.Lpost_getpc6539:
	s_add_u32 s14, s14, (.LBB1_20248-.Lpost_getpc6539)&4294967295
	s_addc_u32 s15, s15, (.LBB1_20248-.Lpost_getpc6539)>>32
	s_setpc_b64 s[14:15]
.LBB1_5910:
	s_or_b64 exec, exec, s[6:7]
	s_and_saveexec_b64 s[6:7], s[4:5]
	s_cbranch_execz .LBB1_5912
.LBB1_5911:
	v_bfe_u32 v13, v2, 16, 3
	v_ffbh_u32_e32 v16, v13
	v_min_u32_e32 v16, 32, v16
	v_lshrrev_b32_e32 v14, 19, v2
	v_subrev_u32_e32 v17, 28, v16
	v_and_b32_e32 v14, 15, v14
	v_lshlrev_b32_sdwa v17, v17, v2 dst_sel:DWORD dst_unused:UNUSED_PAD src0_sel:DWORD src1_sel:WORD_1
	v_bfe_u32 v15, v2, 19, 4
	v_sub_u32_e32 v16, 29, v16
	v_and_b32_e32 v17, 7, v17
	v_cmp_eq_u16_e32 vcc, 0, v14
	v_cndmask_b32_e32 v13, v13, v17, vcc
	v_cndmask_b32_e32 v14, v15, v16, vcc
	v_lshlrev_b32_e32 v15, 8, v2
	v_mov_b32_e32 v16, 0x3b800000
	v_lshlrev_b32_e32 v13, 20, v13
	v_and_b32_e32 v15, 0x80000000, v15
	v_lshl_add_u32 v14, v14, 23, v16
	v_or3_b32 v14, v15, v14, v13
.LBB1_5912:
	s_or_b64 exec, exec, s[6:7]
	s_nop 0
	v_mfma_f32_16x16x4f32 a[0:3], v12, v14, a[0:3]
	s_movk_i32 s4, 0x7f
	v_cmp_gt_i16_sdwa s[6:7], v6, s4 src0_sel:BYTE_3 src1_sel:DWORD
	s_mov_b64 s[4:5], 0
                                        ; implicit-def: $sgpr10
	s_and_saveexec_b64 s[8:9], s[6:7]
	s_xor_b64 s[6:7], exec, s[8:9]
	s_cbranch_execz .LBB1_5913
; %bb.41753:
	s_getpc_b64 s[14:15]
.Lpost_getpc6540:
	s_add_u32 s14, s14, (.LBB1_20249-.Lpost_getpc6540)&4294967295
	s_addc_u32 s15, s15, (.LBB1_20249-.Lpost_getpc6540)>>32
	s_setpc_b64 s[14:15]
.LBB1_5913:
	s_or_saveexec_b64 s[6:7], s[6:7]
	v_mov_b32_e32 v12, s10
	s_xor_b64 exec, exec, s[6:7]
	s_cbranch_execz .LBB1_5914
; %bb.41755:
	s_getpc_b64 s[14:15]
.Lpost_getpc6541:
	s_add_u32 s14, s14, (.LBB1_20252-.Lpost_getpc6541)&4294967295
	s_addc_u32 s15, s15, (.LBB1_20252-.Lpost_getpc6541)>>32
	s_setpc_b64 s[14:15]
.LBB1_5914:
	s_or_b64 exec, exec, s[6:7]
	s_and_saveexec_b64 s[6:7], s[4:5]
	s_cbranch_execz .LBB1_5916
.LBB1_5915:
	v_bfe_u32 v12, v6, 24, 3
	v_ffbh_u32_e32 v16, v12
	v_min_u32_e32 v16, 32, v16
	v_lshrrev_b32_e32 v14, 27, v6
	v_subrev_u32_e32 v17, 28, v16
	v_and_b32_e32 v13, 0x80000000, v6
	v_and_b32_e32 v14, 15, v14
	v_bfe_u32 v15, v6, 27, 4
	v_lshlrev_b32_sdwa v6, v17, v6 dst_sel:DWORD dst_unused:UNUSED_PAD src0_sel:DWORD src1_sel:BYTE_3
	v_sub_u32_e32 v16, 29, v16
	v_and_b32_e32 v6, 7, v6
	v_cmp_eq_u16_e32 vcc, 0, v14
	v_cndmask_b32_e32 v6, v12, v6, vcc
	v_cndmask_b32_e32 v12, v15, v16, vcc
	v_mov_b32_e32 v14, 0x3b800000
	v_lshlrev_b32_e32 v6, 20, v6
	v_lshl_add_u32 v12, v12, 23, v14
	v_or3_b32 v12, v13, v12, v6
.LBB1_5916:
	s_or_b64 exec, exec, s[6:7]
	s_movk_i32 s4, 0x7f
	v_cmp_gt_i16_sdwa s[6:7], v2, s4 src0_sel:BYTE_3 src1_sel:DWORD
	s_mov_b64 s[4:5], 0
                                        ; implicit-def: $sgpr10
	s_and_saveexec_b64 s[8:9], s[6:7]
	s_xor_b64 s[6:7], exec, s[8:9]
	s_cbranch_execz .LBB1_5917
; %bb.41757:
	s_getpc_b64 s[14:15]
.Lpost_getpc6542:
	s_add_u32 s14, s14, (.LBB1_20253-.Lpost_getpc6542)&4294967295
	s_addc_u32 s15, s15, (.LBB1_20253-.Lpost_getpc6542)>>32
	s_setpc_b64 s[14:15]
.LBB1_5917:
	s_or_saveexec_b64 s[6:7], s[6:7]
	v_mov_b32_e32 v6, s10
	s_xor_b64 exec, exec, s[6:7]
	s_cbranch_execz .LBB1_5918
; %bb.41759:
	s_getpc_b64 s[14:15]
.Lpost_getpc6543:
	s_add_u32 s14, s14, (.LBB1_20256-.Lpost_getpc6543)&4294967295
	s_addc_u32 s15, s15, (.LBB1_20256-.Lpost_getpc6543)>>32
	s_setpc_b64 s[14:15]
.LBB1_5918:
	s_or_b64 exec, exec, s[6:7]
	s_and_saveexec_b64 s[6:7], s[4:5]
	s_cbranch_execz .LBB1_5920
.LBB1_5919:
	v_bfe_u32 v6, v2, 24, 3
	v_ffbh_u32_e32 v16, v6
	v_min_u32_e32 v16, 32, v16
	v_lshrrev_b32_e32 v14, 27, v2
	v_subrev_u32_e32 v17, 28, v16
	v_and_b32_e32 v13, 0x80000000, v2
	v_and_b32_e32 v14, 15, v14
	v_bfe_u32 v15, v2, 27, 4
	v_lshlrev_b32_sdwa v2, v17, v2 dst_sel:DWORD dst_unused:UNUSED_PAD src0_sel:DWORD src1_sel:BYTE_3
	v_sub_u32_e32 v16, 29, v16
	v_and_b32_e32 v2, 7, v2
	v_cmp_eq_u16_e32 vcc, 0, v14
	v_cndmask_b32_e32 v2, v6, v2, vcc
	v_cndmask_b32_e32 v6, v15, v16, vcc
	v_mov_b32_e32 v14, 0x3b800000
	v_lshlrev_b32_e32 v2, 20, v2
	v_lshl_add_u32 v6, v6, 23, v14
	v_or3_b32 v6, v13, v6, v2
.LBB1_5920:
	s_or_b64 exec, exec, s[6:7]
	s_nop 0
	v_mfma_f32_16x16x4f32 a[0:3], v12, v6, a[0:3]
	s_movk_i32 s4, 0x7f
	v_cmp_gt_i16_sdwa s[6:7], v7, s4 src0_sel:BYTE_0 src1_sel:DWORD
	s_mov_b64 s[4:5], 0
                                        ; implicit-def: $sgpr10
	s_and_saveexec_b64 s[8:9], s[6:7]
	s_xor_b64 s[6:7], exec, s[8:9]
	s_cbranch_execz .LBB1_5921
; %bb.41761:
	s_getpc_b64 s[14:15]
.Lpost_getpc6544:
	s_add_u32 s14, s14, (.LBB1_20257-.Lpost_getpc6544)&4294967295
	s_addc_u32 s15, s15, (.LBB1_20257-.Lpost_getpc6544)>>32
	s_setpc_b64 s[14:15]
.LBB1_5921:
	s_or_saveexec_b64 s[6:7], s[6:7]
	v_mov_b32_e32 v2, s10
	s_xor_b64 exec, exec, s[6:7]
	s_cbranch_execz .LBB1_5922
; %bb.41763:
	s_getpc_b64 s[14:15]
.Lpost_getpc6545:
	s_add_u32 s14, s14, (.LBB1_20260-.Lpost_getpc6545)&4294967295
	s_addc_u32 s15, s15, (.LBB1_20260-.Lpost_getpc6545)>>32
	s_setpc_b64 s[14:15]
.LBB1_5922:
	s_or_b64 exec, exec, s[6:7]
	s_and_saveexec_b64 s[6:7], s[4:5]
	s_cbranch_execz .LBB1_5924
.LBB1_5923:
	v_and_b32_e32 v2, 7, v7
	v_ffbh_u32_e32 v12, v2
	v_min_u32_e32 v12, 32, v12
	v_lshrrev_b16_e32 v6, 3, v7
	v_subrev_u32_e32 v13, 28, v12
	v_and_b32_e32 v6, 15, v6
	v_lshlrev_b32_e32 v13, v13, v7
	v_sub_u32_e32 v12, 29, v12
	v_and_b32_e32 v13, 7, v13
	v_cmp_eq_u16_e32 vcc, 0, v6
	v_cndmask_b32_e32 v2, v2, v13, vcc
	v_cndmask_b32_e32 v6, v6, v12, vcc
	v_lshlrev_b32_e32 v12, 24, v7
	v_mov_b32_e32 v13, 0x3b800000
	v_lshlrev_b32_e32 v2, 20, v2
	v_and_b32_e32 v12, 0x80000000, v12
	v_lshl_add_u32 v6, v6, 23, v13
	v_or3_b32 v2, v12, v6, v2
.LBB1_5924:
	s_or_b64 exec, exec, s[6:7]
	s_movk_i32 s4, 0x7f
	v_cmp_gt_i16_sdwa s[6:7], v3, s4 src0_sel:BYTE_0 src1_sel:DWORD
	s_mov_b64 s[4:5], 0
                                        ; implicit-def: $sgpr10
	s_and_saveexec_b64 s[8:9], s[6:7]
	s_xor_b64 s[6:7], exec, s[8:9]
	s_cbranch_execz .LBB1_5925
; %bb.41765:
	s_getpc_b64 s[14:15]
.Lpost_getpc6546:
	s_add_u32 s14, s14, (.LBB1_20261-.Lpost_getpc6546)&4294967295
	s_addc_u32 s15, s15, (.LBB1_20261-.Lpost_getpc6546)>>32
	s_setpc_b64 s[14:15]
.LBB1_5925:
	s_or_saveexec_b64 s[6:7], s[6:7]
	v_mov_b32_e32 v6, s10
	s_xor_b64 exec, exec, s[6:7]
	s_cbranch_execz .LBB1_5926
; %bb.41767:
	s_getpc_b64 s[14:15]
.Lpost_getpc6547:
	s_add_u32 s14, s14, (.LBB1_20264-.Lpost_getpc6547)&4294967295
	s_addc_u32 s15, s15, (.LBB1_20264-.Lpost_getpc6547)>>32
	s_setpc_b64 s[14:15]
.LBB1_5926:
	s_or_b64 exec, exec, s[6:7]
	s_and_saveexec_b64 s[6:7], s[4:5]
	s_cbranch_execz .LBB1_5928
.LBB1_5927:
	v_and_b32_e32 v6, 7, v3
	v_ffbh_u32_e32 v13, v6
	v_min_u32_e32 v13, 32, v13
	v_lshrrev_b16_e32 v12, 3, v3
	v_subrev_u32_e32 v14, 28, v13
	v_and_b32_e32 v12, 15, v12
	v_lshlrev_b32_e32 v14, v14, v3
	v_sub_u32_e32 v13, 29, v13
	v_and_b32_e32 v14, 7, v14
	v_cmp_eq_u16_e32 vcc, 0, v12
	v_cndmask_b32_e32 v6, v6, v14, vcc
	v_cndmask_b32_e32 v12, v12, v13, vcc
	v_lshlrev_b32_e32 v13, 24, v3
	v_mov_b32_e32 v14, 0x3b800000
	v_lshlrev_b32_e32 v6, 20, v6
	v_and_b32_e32 v13, 0x80000000, v13
	v_lshl_add_u32 v12, v12, 23, v14
	v_or3_b32 v6, v13, v12, v6
.LBB1_5928:
	s_or_b64 exec, exec, s[6:7]
	s_nop 0
	v_mfma_f32_16x16x4f32 a[0:3], v2, v6, a[0:3]
	v_lshrrev_b32_e32 v6, 8, v7
	s_movk_i32 s4, 0x7f
	v_cmp_gt_i16_sdwa s[6:7], v6, s4 src0_sel:BYTE_0 src1_sel:DWORD
	s_mov_b64 s[4:5], 0
                                        ; implicit-def: $sgpr10
	s_and_saveexec_b64 s[8:9], s[6:7]
	s_xor_b64 s[6:7], exec, s[8:9]
	s_cbranch_execz .LBB1_5929
; %bb.41769:
	s_getpc_b64 s[14:15]
.Lpost_getpc6548:
	s_add_u32 s14, s14, (.LBB1_20265-.Lpost_getpc6548)&4294967295
	s_addc_u32 s15, s15, (.LBB1_20265-.Lpost_getpc6548)>>32
	s_setpc_b64 s[14:15]
.LBB1_5929:
	s_or_saveexec_b64 s[6:7], s[6:7]
	v_mov_b32_e32 v2, s10
	s_xor_b64 exec, exec, s[6:7]
	s_cbranch_execz .LBB1_5930
; %bb.41771:
	s_getpc_b64 s[14:15]
.Lpost_getpc6549:
	s_add_u32 s14, s14, (.LBB1_20268-.Lpost_getpc6549)&4294967295
	s_addc_u32 s15, s15, (.LBB1_20268-.Lpost_getpc6549)>>32
	s_setpc_b64 s[14:15]
.LBB1_5930:
	s_or_b64 exec, exec, s[6:7]
	s_and_saveexec_b64 s[6:7], s[4:5]
	s_cbranch_execz .LBB1_5932
.LBB1_5931:
	v_bfe_u32 v2, v7, 8, 3
	v_ffbh_u32_e32 v13, v2
	v_min_u32_e32 v13, 32, v13
	v_lshrrev_b16_e32 v12, 3, v6
	v_subrev_u32_e32 v14, 28, v13
	v_and_b32_e32 v12, 15, v12
	v_lshlrev_b32_e32 v6, v14, v6
	v_sub_u32_e32 v13, 29, v13
	v_and_b32_e32 v6, 7, v6
	v_cmp_eq_u16_e32 vcc, 0, v12
	v_cndmask_b32_e32 v2, v2, v6, vcc
	v_cndmask_b32_e32 v6, v12, v13, vcc
	v_lshlrev_b32_e32 v12, 16, v7
	v_mov_b32_e32 v13, 0x3b800000
	v_lshlrev_b32_e32 v2, 20, v2
	v_and_b32_e32 v12, 0x80000000, v12
	v_lshl_add_u32 v6, v6, 23, v13
	v_or3_b32 v2, v12, v6, v2
.LBB1_5932:
	s_or_b64 exec, exec, s[6:7]
	v_lshrrev_b32_e32 v6, 8, v3
	s_movk_i32 s4, 0x7f
	v_cmp_gt_i16_sdwa s[6:7], v6, s4 src0_sel:BYTE_0 src1_sel:DWORD
	s_mov_b64 s[4:5], 0
                                        ; implicit-def: $sgpr10
	s_and_saveexec_b64 s[8:9], s[6:7]
	s_xor_b64 s[6:7], exec, s[8:9]
	s_cbranch_execz .LBB1_5933
; %bb.41773:
	s_getpc_b64 s[14:15]
.Lpost_getpc6550:
	s_add_u32 s14, s14, (.LBB1_20269-.Lpost_getpc6550)&4294967295
	s_addc_u32 s15, s15, (.LBB1_20269-.Lpost_getpc6550)>>32
	s_setpc_b64 s[14:15]
.LBB1_5933:
	s_or_saveexec_b64 s[6:7], s[6:7]
	v_mov_b32_e32 v12, s10
	s_xor_b64 exec, exec, s[6:7]
	s_cbranch_execz .LBB1_5934
; %bb.41775:
	s_getpc_b64 s[14:15]
.Lpost_getpc6551:
	s_add_u32 s14, s14, (.LBB1_20272-.Lpost_getpc6551)&4294967295
	s_addc_u32 s15, s15, (.LBB1_20272-.Lpost_getpc6551)>>32
	s_setpc_b64 s[14:15]
.LBB1_5934:
	s_or_b64 exec, exec, s[6:7]
	s_and_saveexec_b64 s[6:7], s[4:5]
	s_cbranch_execz .LBB1_5936
.LBB1_5935:
	v_bfe_u32 v12, v3, 8, 3
	v_ffbh_u32_e32 v14, v12
	v_min_u32_e32 v14, 32, v14
	v_lshrrev_b16_e32 v13, 3, v6
	v_subrev_u32_e32 v15, 28, v14
	v_and_b32_e32 v13, 15, v13
	v_lshlrev_b32_e32 v6, v15, v6
	v_sub_u32_e32 v14, 29, v14
	v_and_b32_e32 v6, 7, v6
	v_cmp_eq_u16_e32 vcc, 0, v13
	v_cndmask_b32_e32 v6, v12, v6, vcc
	v_cndmask_b32_e32 v12, v13, v14, vcc
	v_lshlrev_b32_e32 v13, 16, v3
	v_mov_b32_e32 v14, 0x3b800000
	v_lshlrev_b32_e32 v6, 20, v6
	v_and_b32_e32 v13, 0x80000000, v13
	v_lshl_add_u32 v12, v12, 23, v14
	v_or3_b32 v12, v13, v12, v6
.LBB1_5936:
	s_or_b64 exec, exec, s[6:7]
	s_nop 0
	v_mfma_f32_16x16x4f32 a[0:3], v2, v12, a[0:3]
	s_movk_i32 s4, 0xff
	v_and_b32_sdwa v6, v7, s4 dst_sel:DWORD dst_unused:UNUSED_PAD src0_sel:WORD_1 src1_sel:DWORD
	s_movk_i32 s4, 0x7f
	v_cmp_lt_i16_e32 vcc, s4, v6
	s_mov_b64 s[4:5], 0
                                        ; implicit-def: $sgpr10
	s_and_saveexec_b64 s[6:7], vcc
	s_xor_b64 s[6:7], exec, s[6:7]
	s_cbranch_execz .LBB1_5937
; %bb.41777:
	s_getpc_b64 s[14:15]
.Lpost_getpc6552:
	s_add_u32 s14, s14, (.LBB1_20273-.Lpost_getpc6552)&4294967295
	s_addc_u32 s15, s15, (.LBB1_20273-.Lpost_getpc6552)>>32
	s_setpc_b64 s[14:15]
.LBB1_5937:
	s_or_saveexec_b64 s[6:7], s[6:7]
	v_mov_b32_e32 v2, s10
	s_xor_b64 exec, exec, s[6:7]
	s_cbranch_execz .LBB1_5938
; %bb.41779:
	s_getpc_b64 s[14:15]
.Lpost_getpc6553:
	s_add_u32 s14, s14, (.LBB1_20276-.Lpost_getpc6553)&4294967295
	s_addc_u32 s15, s15, (.LBB1_20276-.Lpost_getpc6553)>>32
	s_setpc_b64 s[14:15]
.LBB1_5938:
	s_or_b64 exec, exec, s[6:7]
	s_and_saveexec_b64 s[6:7], s[4:5]
	s_cbranch_execz .LBB1_5940
.LBB1_5939:
	v_bfe_u32 v2, v7, 16, 3
	v_ffbh_u32_e32 v13, v2
	v_min_u32_e32 v13, 32, v13
	v_lshrrev_b32_e32 v6, 19, v7
	v_subrev_u32_e32 v14, 28, v13
	v_and_b32_e32 v6, 15, v6
	v_lshlrev_b32_sdwa v14, v14, v7 dst_sel:DWORD dst_unused:UNUSED_PAD src0_sel:DWORD src1_sel:WORD_1
	v_bfe_u32 v12, v7, 19, 4
	v_sub_u32_e32 v13, 29, v13
	v_and_b32_e32 v14, 7, v14
	v_cmp_eq_u16_e32 vcc, 0, v6
	v_cndmask_b32_e32 v2, v2, v14, vcc
	v_cndmask_b32_e32 v6, v12, v13, vcc
	v_lshlrev_b32_e32 v12, 8, v7
	v_mov_b32_e32 v13, 0x3b800000
	v_lshlrev_b32_e32 v2, 20, v2
	v_and_b32_e32 v12, 0x80000000, v12
	v_lshl_add_u32 v6, v6, 23, v13
	v_or3_b32 v2, v12, v6, v2
.LBB1_5940:
	s_or_b64 exec, exec, s[6:7]
	s_movk_i32 s4, 0xff
	v_and_b32_sdwa v6, v3, s4 dst_sel:DWORD dst_unused:UNUSED_PAD src0_sel:WORD_1 src1_sel:DWORD
	s_movk_i32 s4, 0x7f
	v_cmp_lt_i16_e32 vcc, s4, v6
	s_mov_b64 s[4:5], 0
                                        ; implicit-def: $sgpr10
	s_and_saveexec_b64 s[6:7], vcc
	s_xor_b64 s[6:7], exec, s[6:7]
	s_cbranch_execz .LBB1_5941
; %bb.41781:
	s_getpc_b64 s[14:15]
.Lpost_getpc6554:
	s_add_u32 s14, s14, (.LBB1_20277-.Lpost_getpc6554)&4294967295
	s_addc_u32 s15, s15, (.LBB1_20277-.Lpost_getpc6554)>>32
	s_setpc_b64 s[14:15]
.LBB1_5941:
	s_or_saveexec_b64 s[6:7], s[6:7]
	v_mov_b32_e32 v12, s10
	s_xor_b64 exec, exec, s[6:7]
	s_cbranch_execz .LBB1_5942
; %bb.41783:
	s_getpc_b64 s[14:15]
.Lpost_getpc6555:
	s_add_u32 s14, s14, (.LBB1_20280-.Lpost_getpc6555)&4294967295
	s_addc_u32 s15, s15, (.LBB1_20280-.Lpost_getpc6555)>>32
	s_setpc_b64 s[14:15]
.LBB1_5942:
	s_or_b64 exec, exec, s[6:7]
	s_and_saveexec_b64 s[6:7], s[4:5]
	s_cbranch_execz .LBB1_5944
.LBB1_5943:
	v_bfe_u32 v6, v3, 16, 3
	v_ffbh_u32_e32 v14, v6
	v_min_u32_e32 v14, 32, v14
	v_lshrrev_b32_e32 v12, 19, v3
	v_subrev_u32_e32 v15, 28, v14
	v_and_b32_e32 v12, 15, v12
	v_lshlrev_b32_sdwa v15, v15, v3 dst_sel:DWORD dst_unused:UNUSED_PAD src0_sel:DWORD src1_sel:WORD_1
	v_bfe_u32 v13, v3, 19, 4
	v_sub_u32_e32 v14, 29, v14
	v_and_b32_e32 v15, 7, v15
	v_cmp_eq_u16_e32 vcc, 0, v12
	v_cndmask_b32_e32 v6, v6, v15, vcc
	v_cndmask_b32_e32 v12, v13, v14, vcc
	v_lshlrev_b32_e32 v13, 8, v3
	v_mov_b32_e32 v14, 0x3b800000
	v_lshlrev_b32_e32 v6, 20, v6
	v_and_b32_e32 v13, 0x80000000, v13
	v_lshl_add_u32 v12, v12, 23, v14
	v_or3_b32 v12, v13, v12, v6
.LBB1_5944:
	s_or_b64 exec, exec, s[6:7]
	s_nop 0
	v_mfma_f32_16x16x4f32 a[0:3], v2, v12, a[0:3]
	s_movk_i32 s4, 0x7f
	v_cmp_gt_i16_sdwa s[6:7], v7, s4 src0_sel:BYTE_3 src1_sel:DWORD
	s_mov_b64 s[4:5], 0
                                        ; implicit-def: $sgpr10
	s_and_saveexec_b64 s[8:9], s[6:7]
	s_xor_b64 s[6:7], exec, s[8:9]
	s_cbranch_execz .LBB1_5945
; %bb.41785:
	s_getpc_b64 s[14:15]
.Lpost_getpc6556:
	s_add_u32 s14, s14, (.LBB1_20281-.Lpost_getpc6556)&4294967295
	s_addc_u32 s15, s15, (.LBB1_20281-.Lpost_getpc6556)>>32
	s_setpc_b64 s[14:15]
.LBB1_5945:
	s_or_saveexec_b64 s[6:7], s[6:7]
	v_mov_b32_e32 v2, s10
	s_xor_b64 exec, exec, s[6:7]
	s_cbranch_execz .LBB1_5946
; %bb.41787:
	s_getpc_b64 s[14:15]
.Lpost_getpc6557:
	s_add_u32 s14, s14, (.LBB1_20284-.Lpost_getpc6557)&4294967295
	s_addc_u32 s15, s15, (.LBB1_20284-.Lpost_getpc6557)>>32
	s_setpc_b64 s[14:15]
.LBB1_5946:
	s_or_b64 exec, exec, s[6:7]
	s_and_saveexec_b64 s[6:7], s[4:5]
	s_cbranch_execz .LBB1_5948
.LBB1_5947:
	v_bfe_u32 v2, v7, 24, 3
	v_ffbh_u32_e32 v14, v2
	v_min_u32_e32 v14, 32, v14
	v_lshrrev_b32_e32 v12, 27, v7
	v_subrev_u32_e32 v15, 28, v14
	v_and_b32_e32 v6, 0x80000000, v7
	v_and_b32_e32 v12, 15, v12
	v_bfe_u32 v13, v7, 27, 4
	v_lshlrev_b32_sdwa v7, v15, v7 dst_sel:DWORD dst_unused:UNUSED_PAD src0_sel:DWORD src1_sel:BYTE_3
	v_sub_u32_e32 v14, 29, v14
	v_and_b32_e32 v7, 7, v7
	v_cmp_eq_u16_e32 vcc, 0, v12
	v_cndmask_b32_e32 v2, v2, v7, vcc
	v_cndmask_b32_e32 v7, v13, v14, vcc
	v_mov_b32_e32 v12, 0x3b800000
	v_lshlrev_b32_e32 v2, 20, v2
	v_lshl_add_u32 v7, v7, 23, v12
	v_or3_b32 v2, v6, v7, v2
.LBB1_5948:
	s_or_b64 exec, exec, s[6:7]
	s_movk_i32 s4, 0x7f
	v_cmp_gt_i16_sdwa s[6:7], v3, s4 src0_sel:BYTE_3 src1_sel:DWORD
	s_mov_b64 s[4:5], 0
                                        ; implicit-def: $sgpr10
	s_and_saveexec_b64 s[8:9], s[6:7]
	s_xor_b64 s[6:7], exec, s[8:9]
	s_cbranch_execz .LBB1_5949
; %bb.41789:
	s_getpc_b64 s[14:15]
.Lpost_getpc6558:
	s_add_u32 s14, s14, (.LBB1_20285-.Lpost_getpc6558)&4294967295
	s_addc_u32 s15, s15, (.LBB1_20285-.Lpost_getpc6558)>>32
	s_setpc_b64 s[14:15]
.LBB1_5949:
	s_or_saveexec_b64 s[6:7], s[6:7]
	v_mov_b32_e32 v6, s10
	s_xor_b64 exec, exec, s[6:7]
	s_cbranch_execz .LBB1_5950
; %bb.41791:
	s_getpc_b64 s[14:15]
.Lpost_getpc6559:
	s_add_u32 s14, s14, (.LBB1_20288-.Lpost_getpc6559)&4294967295
	s_addc_u32 s15, s15, (.LBB1_20288-.Lpost_getpc6559)>>32
	s_setpc_b64 s[14:15]
.LBB1_5950:
	s_or_b64 exec, exec, s[6:7]
	s_and_saveexec_b64 s[6:7], s[4:5]
	s_cbranch_execz .LBB1_5952
.LBB1_5951:
	v_bfe_u32 v6, v3, 24, 3
	v_ffbh_u32_e32 v14, v6
	v_min_u32_e32 v14, 32, v14
	v_lshrrev_b32_e32 v12, 27, v3
	v_subrev_u32_e32 v15, 28, v14
	v_and_b32_e32 v7, 0x80000000, v3
	v_and_b32_e32 v12, 15, v12
	v_bfe_u32 v13, v3, 27, 4
	v_lshlrev_b32_sdwa v3, v15, v3 dst_sel:DWORD dst_unused:UNUSED_PAD src0_sel:DWORD src1_sel:BYTE_3
	v_sub_u32_e32 v14, 29, v14
	v_and_b32_e32 v3, 7, v3
	v_cmp_eq_u16_e32 vcc, 0, v12
	v_cndmask_b32_e32 v3, v6, v3, vcc
	v_cndmask_b32_e32 v6, v13, v14, vcc
	v_mov_b32_e32 v12, 0x3b800000
	v_lshlrev_b32_e32 v3, 20, v3
	v_lshl_add_u32 v6, v6, 23, v12
	v_or3_b32 v6, v7, v6, v3
.LBB1_5952:
	s_or_b64 exec, exec, s[6:7]
	s_nop 0
	v_mfma_f32_16x16x4f32 a[0:3], v2, v6, a[0:3]
	s_movk_i32 s4, 0x7f
	v_cmp_gt_i16_sdwa s[6:7], v8, s4 src0_sel:BYTE_0 src1_sel:DWORD
	s_mov_b64 s[4:5], 0
                                        ; implicit-def: $sgpr10
	s_and_saveexec_b64 s[8:9], s[6:7]
	s_xor_b64 s[6:7], exec, s[8:9]
	s_cbranch_execz .LBB1_5953
; %bb.41793:
	s_getpc_b64 s[14:15]
.Lpost_getpc6560:
	s_add_u32 s14, s14, (.LBB1_20289-.Lpost_getpc6560)&4294967295
	s_addc_u32 s15, s15, (.LBB1_20289-.Lpost_getpc6560)>>32
	s_setpc_b64 s[14:15]
.LBB1_5953:
	s_or_saveexec_b64 s[6:7], s[6:7]
	v_mov_b32_e32 v2, s10
	s_xor_b64 exec, exec, s[6:7]
	s_cbranch_execz .LBB1_5954
; %bb.41795:
	s_getpc_b64 s[14:15]
.Lpost_getpc6561:
	s_add_u32 s14, s14, (.LBB1_20292-.Lpost_getpc6561)&4294967295
	s_addc_u32 s15, s15, (.LBB1_20292-.Lpost_getpc6561)>>32
	s_setpc_b64 s[14:15]
.LBB1_5954:
	s_or_b64 exec, exec, s[6:7]
	s_and_saveexec_b64 s[6:7], s[4:5]
	s_cbranch_execz .LBB1_5956
.LBB1_5955:
	v_and_b32_e32 v2, 7, v8
	v_ffbh_u32_e32 v6, v2
	v_min_u32_e32 v6, 32, v6
	v_lshrrev_b16_e32 v3, 3, v8
	v_subrev_u32_e32 v7, 28, v6
	v_and_b32_e32 v3, 15, v3
	v_lshlrev_b32_e32 v7, v7, v8
	v_sub_u32_e32 v6, 29, v6
	v_and_b32_e32 v7, 7, v7
	v_cmp_eq_u16_e32 vcc, 0, v3
	v_cndmask_b32_e32 v2, v2, v7, vcc
	v_cndmask_b32_e32 v3, v3, v6, vcc
	v_lshlrev_b32_e32 v6, 24, v8
	v_mov_b32_e32 v7, 0x3b800000
	v_lshlrev_b32_e32 v2, 20, v2
	v_and_b32_e32 v6, 0x80000000, v6
	v_lshl_add_u32 v3, v3, 23, v7
	v_or3_b32 v2, v6, v3, v2
.LBB1_5956:
	s_or_b64 exec, exec, s[6:7]
	s_movk_i32 s4, 0x7f
	v_cmp_gt_i16_sdwa s[6:7], v4, s4 src0_sel:BYTE_0 src1_sel:DWORD
	s_mov_b64 s[4:5], 0
                                        ; implicit-def: $sgpr10
	s_and_saveexec_b64 s[8:9], s[6:7]
	s_xor_b64 s[6:7], exec, s[8:9]
	s_cbranch_execz .LBB1_5957
; %bb.41797:
	s_getpc_b64 s[14:15]
.Lpost_getpc6562:
	s_add_u32 s14, s14, (.LBB1_20293-.Lpost_getpc6562)&4294967295
	s_addc_u32 s15, s15, (.LBB1_20293-.Lpost_getpc6562)>>32
	s_setpc_b64 s[14:15]
.LBB1_5957:
	s_or_saveexec_b64 s[6:7], s[6:7]
	v_mov_b32_e32 v3, s10
	s_xor_b64 exec, exec, s[6:7]
	s_cbranch_execz .LBB1_5958
; %bb.41799:
	s_getpc_b64 s[14:15]
.Lpost_getpc6563:
	s_add_u32 s14, s14, (.LBB1_20296-.Lpost_getpc6563)&4294967295
	s_addc_u32 s15, s15, (.LBB1_20296-.Lpost_getpc6563)>>32
	s_setpc_b64 s[14:15]
.LBB1_5958:
	s_or_b64 exec, exec, s[6:7]
	s_and_saveexec_b64 s[6:7], s[4:5]
	s_cbranch_execz .LBB1_5960
.LBB1_5959:
	v_and_b32_e32 v3, 7, v4
	v_ffbh_u32_e32 v7, v3
	v_min_u32_e32 v7, 32, v7
	v_lshrrev_b16_e32 v6, 3, v4
	v_subrev_u32_e32 v12, 28, v7
	v_and_b32_e32 v6, 15, v6
	v_lshlrev_b32_e32 v12, v12, v4
	v_sub_u32_e32 v7, 29, v7
	v_and_b32_e32 v12, 7, v12
	v_cmp_eq_u16_e32 vcc, 0, v6
	v_cndmask_b32_e32 v3, v3, v12, vcc
	v_cndmask_b32_e32 v6, v6, v7, vcc
	v_lshlrev_b32_e32 v7, 24, v4
	v_mov_b32_e32 v12, 0x3b800000
	v_lshlrev_b32_e32 v3, 20, v3
	v_and_b32_e32 v7, 0x80000000, v7
	v_lshl_add_u32 v6, v6, 23, v12
	v_or3_b32 v3, v7, v6, v3
.LBB1_5960:
	s_or_b64 exec, exec, s[6:7]
	s_nop 0
	v_mfma_f32_16x16x4f32 a[0:3], v2, v3, a[0:3]
	v_lshrrev_b32_e32 v3, 8, v8
	s_movk_i32 s4, 0x7f
	v_cmp_gt_i16_sdwa s[6:7], v3, s4 src0_sel:BYTE_0 src1_sel:DWORD
	s_mov_b64 s[4:5], 0
                                        ; implicit-def: $sgpr10
	s_and_saveexec_b64 s[8:9], s[6:7]
	s_xor_b64 s[6:7], exec, s[8:9]
	s_cbranch_execz .LBB1_5961
; %bb.41801:
	s_getpc_b64 s[14:15]
.Lpost_getpc6564:
	s_add_u32 s14, s14, (.LBB1_20297-.Lpost_getpc6564)&4294967295
	s_addc_u32 s15, s15, (.LBB1_20297-.Lpost_getpc6564)>>32
	s_setpc_b64 s[14:15]
.LBB1_5961:
	s_or_saveexec_b64 s[6:7], s[6:7]
	v_mov_b32_e32 v2, s10
	s_xor_b64 exec, exec, s[6:7]
	s_cbranch_execz .LBB1_5962
; %bb.41803:
	s_getpc_b64 s[14:15]
.Lpost_getpc6565:
	s_add_u32 s14, s14, (.LBB1_20300-.Lpost_getpc6565)&4294967295
	s_addc_u32 s15, s15, (.LBB1_20300-.Lpost_getpc6565)>>32
	s_setpc_b64 s[14:15]
.LBB1_5962:
	s_or_b64 exec, exec, s[6:7]
	s_and_saveexec_b64 s[6:7], s[4:5]
	s_cbranch_execz .LBB1_5964
.LBB1_5963:
	v_bfe_u32 v2, v8, 8, 3
	v_ffbh_u32_e32 v7, v2
	v_min_u32_e32 v7, 32, v7
	v_lshrrev_b16_e32 v6, 3, v3
	v_subrev_u32_e32 v12, 28, v7
	v_and_b32_e32 v6, 15, v6
	v_lshlrev_b32_e32 v3, v12, v3
	v_sub_u32_e32 v7, 29, v7
	v_and_b32_e32 v3, 7, v3
	v_cmp_eq_u16_e32 vcc, 0, v6
	v_cndmask_b32_e32 v2, v2, v3, vcc
	v_cndmask_b32_e32 v3, v6, v7, vcc
	v_lshlrev_b32_e32 v6, 16, v8
	v_mov_b32_e32 v7, 0x3b800000
	v_lshlrev_b32_e32 v2, 20, v2
	v_and_b32_e32 v6, 0x80000000, v6
	v_lshl_add_u32 v3, v3, 23, v7
	v_or3_b32 v2, v6, v3, v2
.LBB1_5964:
	s_or_b64 exec, exec, s[6:7]
	v_lshrrev_b32_e32 v3, 8, v4
	s_movk_i32 s4, 0x7f
	v_cmp_gt_i16_sdwa s[6:7], v3, s4 src0_sel:BYTE_0 src1_sel:DWORD
	s_mov_b64 s[4:5], 0
                                        ; implicit-def: $sgpr10
	s_and_saveexec_b64 s[8:9], s[6:7]
	s_xor_b64 s[6:7], exec, s[8:9]
	s_cbranch_execz .LBB1_5965
; %bb.41805:
	s_getpc_b64 s[14:15]
.Lpost_getpc6566:
	s_add_u32 s14, s14, (.LBB1_20301-.Lpost_getpc6566)&4294967295
	s_addc_u32 s15, s15, (.LBB1_20301-.Lpost_getpc6566)>>32
	s_setpc_b64 s[14:15]
.LBB1_5965:
	s_or_saveexec_b64 s[6:7], s[6:7]
	v_mov_b32_e32 v6, s10
	s_xor_b64 exec, exec, s[6:7]
	s_cbranch_execz .LBB1_5966
; %bb.41807:
	s_getpc_b64 s[14:15]
.Lpost_getpc6567:
	s_add_u32 s14, s14, (.LBB1_20304-.Lpost_getpc6567)&4294967295
	s_addc_u32 s15, s15, (.LBB1_20304-.Lpost_getpc6567)>>32
	s_setpc_b64 s[14:15]
.LBB1_5966:
	s_or_b64 exec, exec, s[6:7]
	s_and_saveexec_b64 s[6:7], s[4:5]
	s_cbranch_execz .LBB1_5968
.LBB1_5967:
	v_bfe_u32 v6, v4, 8, 3
	v_ffbh_u32_e32 v12, v6
	v_min_u32_e32 v12, 32, v12
	v_lshrrev_b16_e32 v7, 3, v3
	v_subrev_u32_e32 v13, 28, v12
	v_and_b32_e32 v7, 15, v7
	v_lshlrev_b32_e32 v3, v13, v3
	v_sub_u32_e32 v12, 29, v12
	v_and_b32_e32 v3, 7, v3
	v_cmp_eq_u16_e32 vcc, 0, v7
	v_cndmask_b32_e32 v3, v6, v3, vcc
	v_cndmask_b32_e32 v6, v7, v12, vcc
	v_lshlrev_b32_e32 v7, 16, v4
	v_mov_b32_e32 v12, 0x3b800000
	v_lshlrev_b32_e32 v3, 20, v3
	v_and_b32_e32 v7, 0x80000000, v7
	v_lshl_add_u32 v6, v6, 23, v12
	v_or3_b32 v6, v7, v6, v3
.LBB1_5968:
	s_or_b64 exec, exec, s[6:7]
	s_nop 0
	v_mfma_f32_16x16x4f32 a[0:3], v2, v6, a[0:3]
	s_movk_i32 s4, 0xff
	v_and_b32_sdwa v3, v8, s4 dst_sel:DWORD dst_unused:UNUSED_PAD src0_sel:WORD_1 src1_sel:DWORD
	s_movk_i32 s4, 0x7f
	v_cmp_lt_i16_e32 vcc, s4, v3
	s_mov_b64 s[4:5], 0
                                        ; implicit-def: $sgpr10
	s_and_saveexec_b64 s[6:7], vcc
	s_xor_b64 s[6:7], exec, s[6:7]
	s_cbranch_execz .LBB1_5969
; %bb.41809:
	s_getpc_b64 s[14:15]
.Lpost_getpc6568:
	s_add_u32 s14, s14, (.LBB1_20305-.Lpost_getpc6568)&4294967295
	s_addc_u32 s15, s15, (.LBB1_20305-.Lpost_getpc6568)>>32
	s_setpc_b64 s[14:15]
.LBB1_5969:
	s_or_saveexec_b64 s[6:7], s[6:7]
	v_mov_b32_e32 v2, s10
	s_xor_b64 exec, exec, s[6:7]
	s_cbranch_execz .LBB1_5970
; %bb.41811:
	s_getpc_b64 s[14:15]
.Lpost_getpc6569:
	s_add_u32 s14, s14, (.LBB1_20308-.Lpost_getpc6569)&4294967295
	s_addc_u32 s15, s15, (.LBB1_20308-.Lpost_getpc6569)>>32
	s_setpc_b64 s[14:15]
.LBB1_5970:
	s_or_b64 exec, exec, s[6:7]
	s_and_saveexec_b64 s[6:7], s[4:5]
	s_cbranch_execz .LBB1_5972
.LBB1_5971:
	v_bfe_u32 v2, v8, 16, 3
	v_ffbh_u32_e32 v7, v2
	v_min_u32_e32 v7, 32, v7
	v_lshrrev_b32_e32 v3, 19, v8
	v_subrev_u32_e32 v12, 28, v7
	v_and_b32_e32 v3, 15, v3
	v_lshlrev_b32_sdwa v12, v12, v8 dst_sel:DWORD dst_unused:UNUSED_PAD src0_sel:DWORD src1_sel:WORD_1
	v_bfe_u32 v6, v8, 19, 4
	v_sub_u32_e32 v7, 29, v7
	v_and_b32_e32 v12, 7, v12
	v_cmp_eq_u16_e32 vcc, 0, v3
	v_cndmask_b32_e32 v2, v2, v12, vcc
	v_cndmask_b32_e32 v3, v6, v7, vcc
	v_lshlrev_b32_e32 v6, 8, v8
	v_mov_b32_e32 v7, 0x3b800000
	v_lshlrev_b32_e32 v2, 20, v2
	v_and_b32_e32 v6, 0x80000000, v6
	v_lshl_add_u32 v3, v3, 23, v7
	v_or3_b32 v2, v6, v3, v2
.LBB1_5972:
	s_or_b64 exec, exec, s[6:7]
	s_movk_i32 s4, 0xff
	v_and_b32_sdwa v3, v4, s4 dst_sel:DWORD dst_unused:UNUSED_PAD src0_sel:WORD_1 src1_sel:DWORD
	s_movk_i32 s4, 0x7f
	v_cmp_lt_i16_e32 vcc, s4, v3
	s_mov_b64 s[4:5], 0
                                        ; implicit-def: $sgpr10
	s_and_saveexec_b64 s[6:7], vcc
	s_xor_b64 s[6:7], exec, s[6:7]
	s_cbranch_execz .LBB1_5973
; %bb.41813:
	s_getpc_b64 s[14:15]
.Lpost_getpc6570:
	s_add_u32 s14, s14, (.LBB1_20309-.Lpost_getpc6570)&4294967295
	s_addc_u32 s15, s15, (.LBB1_20309-.Lpost_getpc6570)>>32
	s_setpc_b64 s[14:15]
.LBB1_5973:
	s_or_saveexec_b64 s[6:7], s[6:7]
	v_mov_b32_e32 v6, s10
	s_xor_b64 exec, exec, s[6:7]
	s_cbranch_execz .LBB1_5974
; %bb.41815:
	s_getpc_b64 s[14:15]
.Lpost_getpc6571:
	s_add_u32 s14, s14, (.LBB1_20312-.Lpost_getpc6571)&4294967295
	s_addc_u32 s15, s15, (.LBB1_20312-.Lpost_getpc6571)>>32
	s_setpc_b64 s[14:15]
.LBB1_5974:
	s_or_b64 exec, exec, s[6:7]
	s_and_saveexec_b64 s[6:7], s[4:5]
	s_cbranch_execz .LBB1_5976
.LBB1_5975:
	v_bfe_u32 v3, v4, 16, 3
	v_ffbh_u32_e32 v12, v3
	v_min_u32_e32 v12, 32, v12
	v_lshrrev_b32_e32 v6, 19, v4
	v_subrev_u32_e32 v13, 28, v12
	v_and_b32_e32 v6, 15, v6
	v_lshlrev_b32_sdwa v13, v13, v4 dst_sel:DWORD dst_unused:UNUSED_PAD src0_sel:DWORD src1_sel:WORD_1
	v_bfe_u32 v7, v4, 19, 4
	v_sub_u32_e32 v12, 29, v12
	v_and_b32_e32 v13, 7, v13
	v_cmp_eq_u16_e32 vcc, 0, v6
	v_cndmask_b32_e32 v3, v3, v13, vcc
	v_cndmask_b32_e32 v6, v7, v12, vcc
	v_lshlrev_b32_e32 v7, 8, v4
	v_mov_b32_e32 v12, 0x3b800000
	v_lshlrev_b32_e32 v3, 20, v3
	v_and_b32_e32 v7, 0x80000000, v7
	v_lshl_add_u32 v6, v6, 23, v12
	v_or3_b32 v6, v7, v6, v3
.LBB1_5976:
	s_or_b64 exec, exec, s[6:7]
	s_nop 0
	v_mfma_f32_16x16x4f32 a[0:3], v2, v6, a[0:3]
	s_movk_i32 s4, 0x7f
	v_cmp_gt_i16_sdwa s[6:7], v8, s4 src0_sel:BYTE_3 src1_sel:DWORD
	s_mov_b64 s[4:5], 0
                                        ; implicit-def: $sgpr10
	s_and_saveexec_b64 s[8:9], s[6:7]
	s_xor_b64 s[6:7], exec, s[8:9]
	s_cbranch_execz .LBB1_5977
; %bb.41817:
	s_getpc_b64 s[14:15]
.Lpost_getpc6572:
	s_add_u32 s14, s14, (.LBB1_20313-.Lpost_getpc6572)&4294967295
	s_addc_u32 s15, s15, (.LBB1_20313-.Lpost_getpc6572)>>32
	s_setpc_b64 s[14:15]
.LBB1_5977:
	s_or_saveexec_b64 s[6:7], s[6:7]
	v_mov_b32_e32 v2, s10
	s_xor_b64 exec, exec, s[6:7]
	s_cbranch_execz .LBB1_5978
; %bb.41819:
	s_getpc_b64 s[14:15]
.Lpost_getpc6573:
	s_add_u32 s14, s14, (.LBB1_20316-.Lpost_getpc6573)&4294967295
	s_addc_u32 s15, s15, (.LBB1_20316-.Lpost_getpc6573)>>32
	s_setpc_b64 s[14:15]
.LBB1_5978:
	s_or_b64 exec, exec, s[6:7]
	s_and_saveexec_b64 s[6:7], s[4:5]
	s_cbranch_execz .LBB1_5980
.LBB1_5979:
	v_bfe_u32 v2, v8, 24, 3
	v_ffbh_u32_e32 v12, v2
	v_min_u32_e32 v12, 32, v12
	v_lshrrev_b32_e32 v6, 27, v8
	v_subrev_u32_e32 v13, 28, v12
	v_and_b32_e32 v3, 0x80000000, v8
	v_and_b32_e32 v6, 15, v6
	v_bfe_u32 v7, v8, 27, 4
	v_lshlrev_b32_sdwa v8, v13, v8 dst_sel:DWORD dst_unused:UNUSED_PAD src0_sel:DWORD src1_sel:BYTE_3
	v_sub_u32_e32 v12, 29, v12
	v_and_b32_e32 v8, 7, v8
	v_cmp_eq_u16_e32 vcc, 0, v6
	v_cndmask_b32_e32 v2, v2, v8, vcc
	v_cndmask_b32_e32 v6, v7, v12, vcc
	v_mov_b32_e32 v7, 0x3b800000
	v_lshlrev_b32_e32 v2, 20, v2
	v_lshl_add_u32 v6, v6, 23, v7
	v_or3_b32 v2, v3, v6, v2
.LBB1_5980:
	s_or_b64 exec, exec, s[6:7]
	s_movk_i32 s4, 0x7f
	v_cmp_gt_i16_sdwa s[6:7], v4, s4 src0_sel:BYTE_3 src1_sel:DWORD
	s_mov_b64 s[4:5], 0
                                        ; implicit-def: $sgpr10
	s_and_saveexec_b64 s[8:9], s[6:7]
	s_xor_b64 s[6:7], exec, s[8:9]
	s_cbranch_execz .LBB1_5981
; %bb.41821:
	s_getpc_b64 s[14:15]
.Lpost_getpc6574:
	s_add_u32 s14, s14, (.LBB1_20317-.Lpost_getpc6574)&4294967295
	s_addc_u32 s15, s15, (.LBB1_20317-.Lpost_getpc6574)>>32
	s_setpc_b64 s[14:15]
.LBB1_5981:
	s_or_saveexec_b64 s[6:7], s[6:7]
	v_mov_b32_e32 v3, s10
	s_xor_b64 exec, exec, s[6:7]
	s_cbranch_execz .LBB1_5982
; %bb.41823:
	s_getpc_b64 s[14:15]
.Lpost_getpc6575:
	s_add_u32 s14, s14, (.LBB1_20320-.Lpost_getpc6575)&4294967295
	s_addc_u32 s15, s15, (.LBB1_20320-.Lpost_getpc6575)>>32
	s_setpc_b64 s[14:15]
.LBB1_5982:
	s_or_b64 exec, exec, s[6:7]
	s_and_saveexec_b64 s[6:7], s[4:5]
	s_cbranch_execz .LBB1_5984
.LBB1_5983:
	v_bfe_u32 v3, v4, 24, 3
	v_ffbh_u32_e32 v12, v3
	v_min_u32_e32 v12, 32, v12
	v_lshrrev_b32_e32 v7, 27, v4
	v_subrev_u32_e32 v13, 28, v12
	v_and_b32_e32 v6, 0x80000000, v4
	v_and_b32_e32 v7, 15, v7
	v_bfe_u32 v8, v4, 27, 4
	v_lshlrev_b32_sdwa v4, v13, v4 dst_sel:DWORD dst_unused:UNUSED_PAD src0_sel:DWORD src1_sel:BYTE_3
	v_sub_u32_e32 v12, 29, v12
	v_and_b32_e32 v4, 7, v4
	v_cmp_eq_u16_e32 vcc, 0, v7
	v_cndmask_b32_e32 v3, v3, v4, vcc
	v_cndmask_b32_e32 v4, v8, v12, vcc
	v_mov_b32_e32 v7, 0x3b800000
	v_lshlrev_b32_e32 v3, 20, v3
	v_lshl_add_u32 v4, v4, 23, v7
	v_or3_b32 v3, v6, v4, v3
.LBB1_5984:
	s_or_b64 exec, exec, s[6:7]
	s_nop 0
	v_mfma_f32_16x16x4f32 a[0:3], v2, v3, a[0:3]
	s_movk_i32 s4, 0x7f
	v_cmp_gt_i16_sdwa s[6:7], v9, s4 src0_sel:BYTE_0 src1_sel:DWORD
	s_mov_b64 s[4:5], 0
                                        ; implicit-def: $sgpr10
	s_and_saveexec_b64 s[8:9], s[6:7]
	s_xor_b64 s[6:7], exec, s[8:9]
	s_cbranch_execz .LBB1_5985
; %bb.41825:
	s_getpc_b64 s[14:15]
.Lpost_getpc6576:
	s_add_u32 s14, s14, (.LBB1_20321-.Lpost_getpc6576)&4294967295
	s_addc_u32 s15, s15, (.LBB1_20321-.Lpost_getpc6576)>>32
	s_setpc_b64 s[14:15]
.LBB1_5985:
	s_or_saveexec_b64 s[6:7], s[6:7]
	v_mov_b32_e32 v2, s10
	s_xor_b64 exec, exec, s[6:7]
	s_cbranch_execz .LBB1_5986
; %bb.41827:
	s_getpc_b64 s[14:15]
.Lpost_getpc6577:
	s_add_u32 s14, s14, (.LBB1_20324-.Lpost_getpc6577)&4294967295
	s_addc_u32 s15, s15, (.LBB1_20324-.Lpost_getpc6577)>>32
	s_setpc_b64 s[14:15]
.LBB1_5986:
	s_or_b64 exec, exec, s[6:7]
	s_and_saveexec_b64 s[6:7], s[4:5]
	s_cbranch_execz .LBB1_5988
.LBB1_5987:
	v_mov_b32_e32 v2, 8
	v_and_b32_e32 v3, 7, v9
	v_lshrrev_b32_sdwa v2, v2, v9 dst_sel:BYTE_1 dst_unused:UNUSED_PAD src0_sel:DWORD src1_sel:DWORD
	v_ffbh_u32_e32 v4, v3
	v_or_b32_sdwa v2, v9, v2 dst_sel:DWORD dst_unused:UNUSED_PAD src0_sel:BYTE_0 src1_sel:DWORD
	v_min_u32_e32 v4, 32, v4
	v_lshrrev_b16_e32 v2, 3, v2
	v_subrev_u32_e32 v6, 28, v4
	v_and_b32_e32 v2, 15, v2
	v_lshlrev_b32_e32 v6, v6, v9
	v_sub_u32_e32 v4, 29, v4
	v_and_b32_e32 v6, 7, v6
	v_cmp_eq_u16_e32 vcc, 0, v2
	v_cndmask_b32_e32 v3, v3, v6, vcc
	v_cndmask_b32_e32 v2, v2, v4, vcc
	v_lshlrev_b32_e32 v4, 24, v9
	v_mov_b32_e32 v6, 0x3b800000
	v_lshlrev_b32_e32 v3, 20, v3
	v_and_b32_e32 v4, 0x80000000, v4
	v_lshl_add_u32 v2, v2, 23, v6
	v_or3_b32 v2, v4, v2, v3
.LBB1_5988:
	s_or_b64 exec, exec, s[6:7]
	s_movk_i32 s4, 0x7f
	v_cmp_gt_i16_sdwa s[6:7], v5, s4 src0_sel:BYTE_0 src1_sel:DWORD
	s_mov_b64 s[4:5], 0
                                        ; implicit-def: $sgpr10
	s_and_saveexec_b64 s[8:9], s[6:7]
	s_xor_b64 s[6:7], exec, s[8:9]
	s_cbranch_execz .LBB1_5989
; %bb.41829:
	s_getpc_b64 s[14:15]
.Lpost_getpc6578:
	s_add_u32 s14, s14, (.LBB1_20325-.Lpost_getpc6578)&4294967295
	s_addc_u32 s15, s15, (.LBB1_20325-.Lpost_getpc6578)>>32
	s_setpc_b64 s[14:15]
.LBB1_5989:
	s_or_saveexec_b64 s[6:7], s[6:7]
	v_mov_b32_e32 v3, s10
	s_xor_b64 exec, exec, s[6:7]
	s_cbranch_execz .LBB1_5990
; %bb.41831:
	s_getpc_b64 s[14:15]
.Lpost_getpc6579:
	s_add_u32 s14, s14, (.LBB1_20328-.Lpost_getpc6579)&4294967295
	s_addc_u32 s15, s15, (.LBB1_20328-.Lpost_getpc6579)>>32
	s_setpc_b64 s[14:15]
.LBB1_5990:
	s_or_b64 exec, exec, s[6:7]
	s_and_saveexec_b64 s[6:7], s[4:5]
	s_cbranch_execz .LBB1_5992
.LBB1_5991:
	v_mov_b32_e32 v3, 8
	v_and_b32_e32 v4, 7, v5
	v_lshrrev_b32_sdwa v3, v3, v5 dst_sel:BYTE_1 dst_unused:UNUSED_PAD src0_sel:DWORD src1_sel:DWORD
	v_ffbh_u32_e32 v6, v4
	v_or_b32_sdwa v3, v5, v3 dst_sel:DWORD dst_unused:UNUSED_PAD src0_sel:BYTE_0 src1_sel:DWORD
	v_min_u32_e32 v6, 32, v6
	v_lshrrev_b16_e32 v3, 3, v3
	v_subrev_u32_e32 v7, 28, v6
	v_and_b32_e32 v3, 15, v3
	v_lshlrev_b32_e32 v7, v7, v5
	v_sub_u32_e32 v6, 29, v6
	v_and_b32_e32 v7, 7, v7
	v_cmp_eq_u16_e32 vcc, 0, v3
	v_cndmask_b32_e32 v4, v4, v7, vcc
	v_cndmask_b32_e32 v3, v3, v6, vcc
	v_lshlrev_b32_e32 v6, 24, v5
	v_mov_b32_e32 v7, 0x3b800000
	v_lshlrev_b32_e32 v4, 20, v4
	v_and_b32_e32 v6, 0x80000000, v6
	v_lshl_add_u32 v3, v3, 23, v7
	v_or3_b32 v3, v6, v3, v4
.LBB1_5992:
	s_or_b64 exec, exec, s[6:7]
	s_nop 0
	v_mfma_f32_16x16x4f32 a[0:3], v2, v3, a[0:3]
	v_lshrrev_b32_e32 v3, 8, v9
	s_movk_i32 s4, 0x7f
	v_cmp_gt_i16_sdwa s[6:7], v3, s4 src0_sel:BYTE_0 src1_sel:DWORD
	s_mov_b64 s[4:5], 0
                                        ; implicit-def: $sgpr10
	s_and_saveexec_b64 s[8:9], s[6:7]
	s_xor_b64 s[6:7], exec, s[8:9]
	s_cbranch_execz .LBB1_5993
; %bb.41833:
	s_getpc_b64 s[14:15]
.Lpost_getpc6580:
	s_add_u32 s14, s14, (.LBB1_20329-.Lpost_getpc6580)&4294967295
	s_addc_u32 s15, s15, (.LBB1_20329-.Lpost_getpc6580)>>32
	s_setpc_b64 s[14:15]
.LBB1_5993:
	s_or_saveexec_b64 s[6:7], s[6:7]
	v_mov_b32_e32 v2, s10
	s_xor_b64 exec, exec, s[6:7]
	s_cbranch_execz .LBB1_5994
; %bb.41835:
	s_getpc_b64 s[14:15]
.Lpost_getpc6581:
	s_add_u32 s14, s14, (.LBB1_20332-.Lpost_getpc6581)&4294967295
	s_addc_u32 s15, s15, (.LBB1_20332-.Lpost_getpc6581)>>32
	s_setpc_b64 s[14:15]
.LBB1_5994:
	s_or_b64 exec, exec, s[6:7]
	s_and_saveexec_b64 s[6:7], s[4:5]
	s_cbranch_execz .LBB1_5996
.LBB1_5995:
	v_bfe_u32 v2, v9, 8, 3
	v_ffbh_u32_e32 v6, v2
	v_min_u32_e32 v6, 32, v6
	v_lshrrev_b16_e32 v4, 3, v3
	v_subrev_u32_e32 v7, 28, v6
	v_and_b32_e32 v4, 15, v4
	v_lshlrev_b32_e32 v3, v7, v3
	v_sub_u32_e32 v6, 29, v6
	v_and_b32_e32 v3, 7, v3
	v_cmp_eq_u16_e32 vcc, 0, v4
	v_cndmask_b32_e32 v2, v2, v3, vcc
	v_cndmask_b32_e32 v3, v4, v6, vcc
	v_lshlrev_b32_e32 v4, 16, v9
	v_mov_b32_e32 v6, 0x3b800000
	v_lshlrev_b32_e32 v2, 20, v2
	v_and_b32_e32 v4, 0x80000000, v4
	v_lshl_add_u32 v3, v3, 23, v6
	v_or3_b32 v2, v4, v3, v2
.LBB1_5996:
	s_or_b64 exec, exec, s[6:7]
	v_lshrrev_b32_e32 v3, 8, v5
	s_movk_i32 s4, 0x7f
	v_cmp_gt_i16_sdwa s[6:7], v3, s4 src0_sel:BYTE_0 src1_sel:DWORD
	s_mov_b64 s[4:5], 0
                                        ; implicit-def: $sgpr10
	s_and_saveexec_b64 s[8:9], s[6:7]
	s_xor_b64 s[6:7], exec, s[8:9]
	s_cbranch_execz .LBB1_5997
; %bb.41837:
	s_getpc_b64 s[14:15]
.Lpost_getpc6582:
	s_add_u32 s14, s14, (.LBB1_20333-.Lpost_getpc6582)&4294967295
	s_addc_u32 s15, s15, (.LBB1_20333-.Lpost_getpc6582)>>32
	s_setpc_b64 s[14:15]
.LBB1_5997:
	s_or_saveexec_b64 s[6:7], s[6:7]
	v_mov_b32_e32 v4, s10
	s_xor_b64 exec, exec, s[6:7]
	s_cbranch_execz .LBB1_5998
; %bb.41839:
	s_getpc_b64 s[14:15]
.Lpost_getpc6583:
	s_add_u32 s14, s14, (.LBB1_20336-.Lpost_getpc6583)&4294967295
	s_addc_u32 s15, s15, (.LBB1_20336-.Lpost_getpc6583)>>32
	s_setpc_b64 s[14:15]
.LBB1_5998:
	s_or_b64 exec, exec, s[6:7]
	s_and_saveexec_b64 s[6:7], s[4:5]
	s_cbranch_execz .LBB1_6000
.LBB1_5999:
	v_bfe_u32 v4, v5, 8, 3
	v_ffbh_u32_e32 v7, v4
	v_min_u32_e32 v7, 32, v7
	v_lshrrev_b16_e32 v6, 3, v3
	v_subrev_u32_e32 v8, 28, v7
	v_and_b32_e32 v6, 15, v6
	v_lshlrev_b32_e32 v3, v8, v3
	v_sub_u32_e32 v7, 29, v7
	v_and_b32_e32 v3, 7, v3
	v_cmp_eq_u16_e32 vcc, 0, v6
	v_cndmask_b32_e32 v3, v4, v3, vcc
	v_cndmask_b32_e32 v4, v6, v7, vcc
	v_lshlrev_b32_e32 v6, 16, v5
	v_mov_b32_e32 v7, 0x3b800000
	v_lshlrev_b32_e32 v3, 20, v3
	v_and_b32_e32 v6, 0x80000000, v6
	v_lshl_add_u32 v4, v4, 23, v7
	v_or3_b32 v4, v6, v4, v3
.LBB1_6000:
	s_or_b64 exec, exec, s[6:7]
	s_nop 0
	v_mfma_f32_16x16x4f32 a[0:3], v2, v4, a[0:3]
	s_movk_i32 s4, 0xff
	v_and_b32_sdwa v3, v9, s4 dst_sel:DWORD dst_unused:UNUSED_PAD src0_sel:WORD_1 src1_sel:DWORD
	s_movk_i32 s4, 0x7f
	v_cmp_lt_i16_e32 vcc, s4, v3
	s_mov_b64 s[4:5], 0
                                        ; implicit-def: $sgpr10
	s_and_saveexec_b64 s[6:7], vcc
	s_xor_b64 s[6:7], exec, s[6:7]
	s_cbranch_execz .LBB1_6001
; %bb.41841:
	s_getpc_b64 s[14:15]
.Lpost_getpc6584:
	s_add_u32 s14, s14, (.LBB1_20337-.Lpost_getpc6584)&4294967295
	s_addc_u32 s15, s15, (.LBB1_20337-.Lpost_getpc6584)>>32
	s_setpc_b64 s[14:15]
.LBB1_6001:
	s_or_saveexec_b64 s[6:7], s[6:7]
	v_mov_b32_e32 v2, s10
	s_xor_b64 exec, exec, s[6:7]
	s_cbranch_execz .LBB1_6002
; %bb.41843:
	s_getpc_b64 s[14:15]
.Lpost_getpc6585:
	s_add_u32 s14, s14, (.LBB1_20340-.Lpost_getpc6585)&4294967295
	s_addc_u32 s15, s15, (.LBB1_20340-.Lpost_getpc6585)>>32
	s_setpc_b64 s[14:15]
.LBB1_6002:
	s_or_b64 exec, exec, s[6:7]
	s_and_saveexec_b64 s[6:7], s[4:5]
	s_cbranch_execz .LBB1_6004
.LBB1_6003:
	v_bfe_u32 v2, v9, 16, 3
	v_ffbh_u32_e32 v6, v2
	v_min_u32_e32 v6, 32, v6
	v_lshrrev_b32_e32 v3, 19, v9
	v_subrev_u32_e32 v7, 28, v6
	v_and_b32_e32 v3, 15, v3
	v_lshlrev_b32_sdwa v7, v7, v9 dst_sel:DWORD dst_unused:UNUSED_PAD src0_sel:DWORD src1_sel:WORD_1
	v_bfe_u32 v4, v9, 19, 4
	v_sub_u32_e32 v6, 29, v6
	v_and_b32_e32 v7, 7, v7
	v_cmp_eq_u16_e32 vcc, 0, v3
	v_cndmask_b32_e32 v2, v2, v7, vcc
	v_cndmask_b32_e32 v3, v4, v6, vcc
	v_lshlrev_b32_e32 v4, 8, v9
	v_mov_b32_e32 v6, 0x3b800000
	v_lshlrev_b32_e32 v2, 20, v2
	v_and_b32_e32 v4, 0x80000000, v4
	v_lshl_add_u32 v3, v3, 23, v6
	v_or3_b32 v2, v4, v3, v2
.LBB1_6004:
	s_or_b64 exec, exec, s[6:7]
	s_movk_i32 s4, 0xff
	v_and_b32_sdwa v3, v5, s4 dst_sel:DWORD dst_unused:UNUSED_PAD src0_sel:WORD_1 src1_sel:DWORD
	s_movk_i32 s4, 0x7f
	v_cmp_lt_i16_e32 vcc, s4, v3
	s_mov_b64 s[4:5], 0
                                        ; implicit-def: $sgpr10
	s_and_saveexec_b64 s[6:7], vcc
	s_xor_b64 s[6:7], exec, s[6:7]
	s_cbranch_execz .LBB1_6005
; %bb.41845:
	s_getpc_b64 s[14:15]
.Lpost_getpc6586:
	s_add_u32 s14, s14, (.LBB1_20341-.Lpost_getpc6586)&4294967295
	s_addc_u32 s15, s15, (.LBB1_20341-.Lpost_getpc6586)>>32
	s_setpc_b64 s[14:15]
.LBB1_6005:
	s_or_saveexec_b64 s[6:7], s[6:7]
	v_mov_b32_e32 v4, s10
	s_xor_b64 exec, exec, s[6:7]
	s_cbranch_execz .LBB1_6006
; %bb.41847:
	s_getpc_b64 s[14:15]
.Lpost_getpc6587:
	s_add_u32 s14, s14, (.LBB1_20344-.Lpost_getpc6587)&4294967295
	s_addc_u32 s15, s15, (.LBB1_20344-.Lpost_getpc6587)>>32
	s_setpc_b64 s[14:15]
.LBB1_6006:
	s_or_b64 exec, exec, s[6:7]
	s_and_saveexec_b64 s[6:7], s[4:5]
	s_cbranch_execz .LBB1_6008
.LBB1_6007:
	v_bfe_u32 v3, v5, 16, 3
	v_ffbh_u32_e32 v7, v3
	v_min_u32_e32 v7, 32, v7
	v_lshrrev_b32_e32 v4, 19, v5
	v_subrev_u32_e32 v8, 28, v7
	v_and_b32_e32 v4, 15, v4
	v_lshlrev_b32_sdwa v8, v8, v5 dst_sel:DWORD dst_unused:UNUSED_PAD src0_sel:DWORD src1_sel:WORD_1
	v_bfe_u32 v6, v5, 19, 4
	v_sub_u32_e32 v7, 29, v7
	v_and_b32_e32 v8, 7, v8
	v_cmp_eq_u16_e32 vcc, 0, v4
	v_cndmask_b32_e32 v3, v3, v8, vcc
	v_cndmask_b32_e32 v4, v6, v7, vcc
	v_lshlrev_b32_e32 v6, 8, v5
	v_mov_b32_e32 v7, 0x3b800000
	v_lshlrev_b32_e32 v3, 20, v3
	v_and_b32_e32 v6, 0x80000000, v6
	v_lshl_add_u32 v4, v4, 23, v7
	v_or3_b32 v4, v6, v4, v3
.LBB1_6008:
	s_or_b64 exec, exec, s[6:7]
	s_nop 0
	v_mfma_f32_16x16x4f32 a[0:3], v2, v4, a[0:3]
	s_movk_i32 s4, 0x7f
	v_cmp_gt_i16_sdwa s[6:7], v9, s4 src0_sel:BYTE_3 src1_sel:DWORD
	s_mov_b64 s[4:5], 0
                                        ; implicit-def: $sgpr10
	s_and_saveexec_b64 s[8:9], s[6:7]
	s_xor_b64 s[6:7], exec, s[8:9]
	s_cbranch_execz .LBB1_6009
; %bb.41849:
	s_getpc_b64 s[14:15]
.Lpost_getpc6588:
	s_add_u32 s14, s14, (.LBB1_20345-.Lpost_getpc6588)&4294967295
	s_addc_u32 s15, s15, (.LBB1_20345-.Lpost_getpc6588)>>32
	s_setpc_b64 s[14:15]
.LBB1_6009:
	s_or_saveexec_b64 s[6:7], s[6:7]
	v_mov_b32_e32 v2, s10
	s_xor_b64 exec, exec, s[6:7]
	s_cbranch_execz .LBB1_6010
; %bb.41851:
	s_getpc_b64 s[14:15]
.Lpost_getpc6589:
	s_add_u32 s14, s14, (.LBB1_20348-.Lpost_getpc6589)&4294967295
	s_addc_u32 s15, s15, (.LBB1_20348-.Lpost_getpc6589)>>32
	s_setpc_b64 s[14:15]
.LBB1_6010:
	s_or_b64 exec, exec, s[6:7]
	s_and_saveexec_b64 s[6:7], s[4:5]
	s_cbranch_execz .LBB1_6012
.LBB1_6011:
	v_bfe_u32 v2, v9, 24, 3
	v_ffbh_u32_e32 v7, v2
	v_min_u32_e32 v7, 32, v7
	v_lshrrev_b32_e32 v4, 27, v9
	v_subrev_u32_e32 v8, 28, v7
	v_and_b32_e32 v4, 15, v4
	v_lshlrev_b32_sdwa v8, v8, v9 dst_sel:DWORD dst_unused:UNUSED_PAD src0_sel:DWORD src1_sel:BYTE_3
	v_bfe_u32 v6, v9, 27, 4
	v_sub_u32_e32 v7, 29, v7
	v_and_b32_e32 v8, 7, v8
	v_cmp_eq_u16_e32 vcc, 0, v4
	v_cndmask_b32_e32 v2, v2, v8, vcc
	v_cndmask_b32_e32 v4, v6, v7, vcc
	v_mov_b32_e32 v6, 0x3b800000
	v_and_b32_e32 v3, 0x80000000, v9
	v_lshlrev_b32_e32 v2, 20, v2
	v_lshl_add_u32 v4, v4, 23, v6
	v_or3_b32 v2, v3, v4, v2
.LBB1_6012:
	s_or_b64 exec, exec, s[6:7]
	s_movk_i32 s4, 0x7f
	v_cmp_gt_i16_sdwa s[6:7], v5, s4 src0_sel:BYTE_3 src1_sel:DWORD
	s_mov_b64 s[4:5], 0
                                        ; implicit-def: $sgpr10
	s_and_saveexec_b64 s[8:9], s[6:7]
	s_xor_b64 s[6:7], exec, s[8:9]
	s_cbranch_execz .LBB1_6013
; %bb.41853:
	s_getpc_b64 s[14:15]
.Lpost_getpc6590:
	s_add_u32 s14, s14, (.LBB1_20349-.Lpost_getpc6590)&4294967295
	s_addc_u32 s15, s15, (.LBB1_20349-.Lpost_getpc6590)>>32
	s_setpc_b64 s[14:15]
.LBB1_6013:
	s_or_saveexec_b64 s[6:7], s[6:7]
	v_mov_b32_e32 v3, s10
	s_xor_b64 exec, exec, s[6:7]
	s_cbranch_execz .LBB1_6014
; %bb.41855:
	s_getpc_b64 s[14:15]
.Lpost_getpc6591:
	s_add_u32 s14, s14, (.LBB1_20352-.Lpost_getpc6591)&4294967295
	s_addc_u32 s15, s15, (.LBB1_20352-.Lpost_getpc6591)>>32
	s_setpc_b64 s[14:15]
.LBB1_6014:
	s_or_b64 exec, exec, s[6:7]
	s_and_saveexec_b64 s[6:7], s[4:5]
	s_cbranch_execz .LBB1_6016
.LBB1_6015:
	v_bfe_u32 v3, v5, 24, 3
	v_ffbh_u32_e32 v8, v3
	v_min_u32_e32 v8, 32, v8
	v_lshrrev_b32_e32 v6, 27, v5
	v_subrev_u32_e32 v9, 28, v8
	v_and_b32_e32 v4, 0x80000000, v5
	v_and_b32_e32 v6, 15, v6
	v_bfe_u32 v7, v5, 27, 4
	v_lshlrev_b32_sdwa v5, v9, v5 dst_sel:DWORD dst_unused:UNUSED_PAD src0_sel:DWORD src1_sel:BYTE_3
	v_sub_u32_e32 v8, 29, v8
	v_and_b32_e32 v5, 7, v5
	v_cmp_eq_u16_e32 vcc, 0, v6
	v_cndmask_b32_e32 v3, v3, v5, vcc
	v_cndmask_b32_e32 v5, v7, v8, vcc
	v_mov_b32_e32 v6, 0x3b800000
	v_lshlrev_b32_e32 v3, 20, v3
	v_lshl_add_u32 v5, v5, 23, v6
	v_or3_b32 v3, v4, v5, v3
.LBB1_6016:
	s_or_b64 exec, exec, s[6:7]
	s_nop 0
	v_mfma_f32_16x16x4f32 a[0:3], v2, v3, a[0:3]
	s_movk_i32 s4, 0x7f
                                        ; implicit-def: $sgpr10
	s_nop 7
	s_nop 1
	flat_store_dwordx4 v[10:11], a[0:3] offset:736
	flat_load_dwordx4 v[12:15], v[0:1]
	s_nop 0
	flat_load_dwordx2 v[10:11], v[0:1] offset:16
	s_waitcnt vmcnt(0) lgkmcnt(0)
	flat_load_dwordx4 v[6:9], v[12:13] offset:80
	flat_load_dwordx4 v[2:5], v[14:15] offset:112
	s_waitcnt vmcnt(0) lgkmcnt(0)
	v_cmp_gt_i16_sdwa s[6:7], v6, s4 src0_sel:BYTE_0 src1_sel:DWORD
	s_mov_b64 s[4:5], 0
	s_and_saveexec_b64 s[8:9], s[6:7]
	s_xor_b64 s[6:7], exec, s[8:9]
	s_cbranch_execz .LBB1_6017
; %bb.41857:
	s_getpc_b64 s[14:15]
.Lpost_getpc6592:
	s_add_u32 s14, s14, (.LBB1_20353-.Lpost_getpc6592)&4294967295
	s_addc_u32 s15, s15, (.LBB1_20353-.Lpost_getpc6592)>>32
	s_setpc_b64 s[14:15]
.LBB1_6017:
	s_or_saveexec_b64 s[6:7], s[6:7]
	v_mov_b32_e32 v12, s10
	s_xor_b64 exec, exec, s[6:7]
	s_cbranch_execz .LBB1_6018
; %bb.41859:
	s_getpc_b64 s[14:15]
.Lpost_getpc6593:
	s_add_u32 s14, s14, (.LBB1_20356-.Lpost_getpc6593)&4294967295
	s_addc_u32 s15, s15, (.LBB1_20356-.Lpost_getpc6593)>>32
	s_setpc_b64 s[14:15]
.LBB1_6018:
	s_or_b64 exec, exec, s[6:7]
	s_and_saveexec_b64 s[6:7], s[4:5]
	s_cbranch_execz .LBB1_6020
.LBB1_6019:
	v_and_b32_e32 v12, 7, v6
	v_ffbh_u32_e32 v14, v12
	v_min_u32_e32 v14, 32, v14
	v_lshrrev_b16_e32 v13, 3, v6
	v_subrev_u32_e32 v15, 28, v14
	v_and_b32_e32 v13, 15, v13
	v_lshlrev_b32_e32 v15, v15, v6
	v_sub_u32_e32 v14, 29, v14
	v_and_b32_e32 v15, 7, v15
	v_cmp_eq_u16_e32 vcc, 0, v13
	v_cndmask_b32_e32 v12, v12, v15, vcc
	v_cndmask_b32_e32 v13, v13, v14, vcc
	v_lshlrev_b32_e32 v14, 24, v6
	v_mov_b32_e32 v15, 0x3b800000
	v_lshlrev_b32_e32 v12, 20, v12
	v_and_b32_e32 v14, 0x80000000, v14
	v_lshl_add_u32 v13, v13, 23, v15
	v_or3_b32 v12, v14, v13, v12
.LBB1_6020:
	s_or_b64 exec, exec, s[6:7]
	s_movk_i32 s4, 0x7f
	v_cmp_gt_i16_sdwa s[6:7], v2, s4 src0_sel:BYTE_0 src1_sel:DWORD
	s_mov_b64 s[4:5], 0
                                        ; implicit-def: $sgpr10
	s_and_saveexec_b64 s[8:9], s[6:7]
	s_xor_b64 s[6:7], exec, s[8:9]
	s_cbranch_execz .LBB1_6021
; %bb.41861:
	s_getpc_b64 s[14:15]
.Lpost_getpc6594:
	s_add_u32 s14, s14, (.LBB1_20357-.Lpost_getpc6594)&4294967295
	s_addc_u32 s15, s15, (.LBB1_20357-.Lpost_getpc6594)>>32
	s_setpc_b64 s[14:15]
.LBB1_6021:
	s_or_saveexec_b64 s[6:7], s[6:7]
	v_mov_b32_e32 v13, s10
	s_xor_b64 exec, exec, s[6:7]
	s_cbranch_execz .LBB1_6022
; %bb.41863:
	s_getpc_b64 s[14:15]
.Lpost_getpc6595:
	s_add_u32 s14, s14, (.LBB1_20360-.Lpost_getpc6595)&4294967295
	s_addc_u32 s15, s15, (.LBB1_20360-.Lpost_getpc6595)>>32
	s_setpc_b64 s[14:15]
.LBB1_6022:
	s_or_b64 exec, exec, s[6:7]
	s_and_saveexec_b64 s[6:7], s[4:5]
	s_cbranch_execz .LBB1_6024
.LBB1_6023:
	v_and_b32_e32 v13, 7, v2
	v_ffbh_u32_e32 v15, v13
	v_min_u32_e32 v15, 32, v15
	v_lshrrev_b16_e32 v14, 3, v2
	v_subrev_u32_e32 v16, 28, v15
	v_and_b32_e32 v14, 15, v14
	v_lshlrev_b32_e32 v16, v16, v2
	v_sub_u32_e32 v15, 29, v15
	v_and_b32_e32 v16, 7, v16
	v_cmp_eq_u16_e32 vcc, 0, v14
	v_cndmask_b32_e32 v13, v13, v16, vcc
	v_cndmask_b32_e32 v14, v14, v15, vcc
	v_lshlrev_b32_e32 v15, 24, v2
	v_mov_b32_e32 v16, 0x3b800000
	v_lshlrev_b32_e32 v13, 20, v13
	v_and_b32_e32 v15, 0x80000000, v15
	v_lshl_add_u32 v14, v14, 23, v16
	v_or3_b32 v13, v15, v14, v13
.LBB1_6024:
	s_or_b64 exec, exec, s[6:7]
	flat_load_dwordx4 a[0:3], v[10:11] offset:752
	s_movk_i32 s4, 0x7f
                                        ; implicit-def: $sgpr10
	s_waitcnt vmcnt(0) lgkmcnt(0)
	v_mfma_f32_16x16x4f32 a[0:3], v12, v13, a[0:3]
	v_lshrrev_b32_e32 v13, 8, v6
	v_cmp_gt_i16_sdwa s[6:7], v13, s4 src0_sel:BYTE_0 src1_sel:DWORD
	s_mov_b64 s[4:5], 0
	s_and_saveexec_b64 s[8:9], s[6:7]
	s_xor_b64 s[6:7], exec, s[8:9]
	s_cbranch_execz .LBB1_6025
; %bb.41865:
	s_getpc_b64 s[14:15]
.Lpost_getpc6596:
	s_add_u32 s14, s14, (.LBB1_20361-.Lpost_getpc6596)&4294967295
	s_addc_u32 s15, s15, (.LBB1_20361-.Lpost_getpc6596)>>32
	s_setpc_b64 s[14:15]
.LBB1_6025:
	s_or_saveexec_b64 s[6:7], s[6:7]
	v_mov_b32_e32 v12, s10
	s_xor_b64 exec, exec, s[6:7]
	s_cbranch_execz .LBB1_6026
; %bb.41867:
	s_getpc_b64 s[14:15]
.Lpost_getpc6597:
	s_add_u32 s14, s14, (.LBB1_20364-.Lpost_getpc6597)&4294967295
	s_addc_u32 s15, s15, (.LBB1_20364-.Lpost_getpc6597)>>32
	s_setpc_b64 s[14:15]
.LBB1_6026:
	s_or_b64 exec, exec, s[6:7]
	s_and_saveexec_b64 s[6:7], s[4:5]
	s_cbranch_execz .LBB1_6028
.LBB1_6027:
	v_bfe_u32 v12, v6, 8, 3
	v_ffbh_u32_e32 v15, v12
	v_min_u32_e32 v15, 32, v15
	v_lshrrev_b16_e32 v14, 3, v13
	v_subrev_u32_e32 v16, 28, v15
	v_and_b32_e32 v14, 15, v14
	v_lshlrev_b32_e32 v13, v16, v13
	v_sub_u32_e32 v15, 29, v15
	v_and_b32_e32 v13, 7, v13
	v_cmp_eq_u16_e32 vcc, 0, v14
	v_cndmask_b32_e32 v12, v12, v13, vcc
	v_cndmask_b32_e32 v13, v14, v15, vcc
	v_lshlrev_b32_e32 v14, 16, v6
	v_mov_b32_e32 v15, 0x3b800000
	v_lshlrev_b32_e32 v12, 20, v12
	v_and_b32_e32 v14, 0x80000000, v14
	v_lshl_add_u32 v13, v13, 23, v15
	v_or3_b32 v12, v14, v13, v12
.LBB1_6028:
	s_or_b64 exec, exec, s[6:7]
	v_lshrrev_b32_e32 v13, 8, v2
	s_movk_i32 s4, 0x7f
	v_cmp_gt_i16_sdwa s[6:7], v13, s4 src0_sel:BYTE_0 src1_sel:DWORD
	s_mov_b64 s[4:5], 0
                                        ; implicit-def: $sgpr10
	s_and_saveexec_b64 s[8:9], s[6:7]
	s_xor_b64 s[6:7], exec, s[8:9]
	s_cbranch_execz .LBB1_6029
; %bb.41869:
	s_getpc_b64 s[14:15]
.Lpost_getpc6598:
	s_add_u32 s14, s14, (.LBB1_20365-.Lpost_getpc6598)&4294967295
	s_addc_u32 s15, s15, (.LBB1_20365-.Lpost_getpc6598)>>32
	s_setpc_b64 s[14:15]
.LBB1_6029:
	s_or_saveexec_b64 s[6:7], s[6:7]
	v_mov_b32_e32 v14, s10
	s_xor_b64 exec, exec, s[6:7]
	s_cbranch_execz .LBB1_6030
; %bb.41871:
	s_getpc_b64 s[14:15]
.Lpost_getpc6599:
	s_add_u32 s14, s14, (.LBB1_20368-.Lpost_getpc6599)&4294967295
	s_addc_u32 s15, s15, (.LBB1_20368-.Lpost_getpc6599)>>32
	s_setpc_b64 s[14:15]
.LBB1_6030:
	s_or_b64 exec, exec, s[6:7]
	s_and_saveexec_b64 s[6:7], s[4:5]
	s_cbranch_execz .LBB1_6032
.LBB1_6031:
	v_bfe_u32 v14, v2, 8, 3
	v_ffbh_u32_e32 v16, v14
	v_min_u32_e32 v16, 32, v16
	v_lshrrev_b16_e32 v15, 3, v13
	v_subrev_u32_e32 v17, 28, v16
	v_and_b32_e32 v15, 15, v15
	v_lshlrev_b32_e32 v13, v17, v13
	v_sub_u32_e32 v16, 29, v16
	v_and_b32_e32 v13, 7, v13
	v_cmp_eq_u16_e32 vcc, 0, v15
	v_cndmask_b32_e32 v13, v14, v13, vcc
	v_cndmask_b32_e32 v14, v15, v16, vcc
	v_lshlrev_b32_e32 v15, 16, v2
	v_mov_b32_e32 v16, 0x3b800000
	v_lshlrev_b32_e32 v13, 20, v13
	v_and_b32_e32 v15, 0x80000000, v15
	v_lshl_add_u32 v14, v14, 23, v16
	v_or3_b32 v14, v15, v14, v13
.LBB1_6032:
	s_or_b64 exec, exec, s[6:7]
	s_nop 0
	v_mfma_f32_16x16x4f32 a[0:3], v12, v14, a[0:3]
	s_movk_i32 s4, 0xff
	v_and_b32_sdwa v13, v6, s4 dst_sel:DWORD dst_unused:UNUSED_PAD src0_sel:WORD_1 src1_sel:DWORD
	s_movk_i32 s4, 0x7f
	v_cmp_lt_i16_e32 vcc, s4, v13
	s_mov_b64 s[4:5], 0
                                        ; implicit-def: $sgpr10
	s_and_saveexec_b64 s[6:7], vcc
	s_xor_b64 s[6:7], exec, s[6:7]
	s_cbranch_execz .LBB1_6033
; %bb.41873:
	s_getpc_b64 s[14:15]
.Lpost_getpc6600:
	s_add_u32 s14, s14, (.LBB1_20369-.Lpost_getpc6600)&4294967295
	s_addc_u32 s15, s15, (.LBB1_20369-.Lpost_getpc6600)>>32
	s_setpc_b64 s[14:15]
.LBB1_6033:
	s_or_saveexec_b64 s[6:7], s[6:7]
	v_mov_b32_e32 v12, s10
	s_xor_b64 exec, exec, s[6:7]
	s_cbranch_execz .LBB1_6034
; %bb.41875:
	s_getpc_b64 s[14:15]
.Lpost_getpc6601:
	s_add_u32 s14, s14, (.LBB1_20372-.Lpost_getpc6601)&4294967295
	s_addc_u32 s15, s15, (.LBB1_20372-.Lpost_getpc6601)>>32
	s_setpc_b64 s[14:15]
.LBB1_6034:
	s_or_b64 exec, exec, s[6:7]
	s_and_saveexec_b64 s[6:7], s[4:5]
	s_cbranch_execz .LBB1_6036
.LBB1_6035:
	v_bfe_u32 v12, v6, 16, 3
	v_ffbh_u32_e32 v15, v12
	v_min_u32_e32 v15, 32, v15
	v_lshrrev_b32_e32 v13, 19, v6
	v_subrev_u32_e32 v16, 28, v15
	v_and_b32_e32 v13, 15, v13
	v_lshlrev_b32_sdwa v16, v16, v6 dst_sel:DWORD dst_unused:UNUSED_PAD src0_sel:DWORD src1_sel:WORD_1
	v_bfe_u32 v14, v6, 19, 4
	v_sub_u32_e32 v15, 29, v15
	v_and_b32_e32 v16, 7, v16
	v_cmp_eq_u16_e32 vcc, 0, v13
	v_cndmask_b32_e32 v12, v12, v16, vcc
	v_cndmask_b32_e32 v13, v14, v15, vcc
	v_lshlrev_b32_e32 v14, 8, v6
	v_mov_b32_e32 v15, 0x3b800000
	v_lshlrev_b32_e32 v12, 20, v12
	v_and_b32_e32 v14, 0x80000000, v14
	v_lshl_add_u32 v13, v13, 23, v15
	v_or3_b32 v12, v14, v13, v12
.LBB1_6036:
	s_or_b64 exec, exec, s[6:7]
	s_movk_i32 s4, 0xff
	v_and_b32_sdwa v13, v2, s4 dst_sel:DWORD dst_unused:UNUSED_PAD src0_sel:WORD_1 src1_sel:DWORD
	s_movk_i32 s4, 0x7f
	v_cmp_lt_i16_e32 vcc, s4, v13
	s_mov_b64 s[4:5], 0
                                        ; implicit-def: $sgpr10
	s_and_saveexec_b64 s[6:7], vcc
	s_xor_b64 s[6:7], exec, s[6:7]
	s_cbranch_execz .LBB1_6037
; %bb.41877:
	s_getpc_b64 s[14:15]
.Lpost_getpc6602:
	s_add_u32 s14, s14, (.LBB1_20373-.Lpost_getpc6602)&4294967295
	s_addc_u32 s15, s15, (.LBB1_20373-.Lpost_getpc6602)>>32
	s_setpc_b64 s[14:15]
.LBB1_6037:
	s_or_saveexec_b64 s[6:7], s[6:7]
	v_mov_b32_e32 v14, s10
	s_xor_b64 exec, exec, s[6:7]
	s_cbranch_execz .LBB1_6038
; %bb.41879:
	s_getpc_b64 s[14:15]
.Lpost_getpc6603:
	s_add_u32 s14, s14, (.LBB1_20376-.Lpost_getpc6603)&4294967295
	s_addc_u32 s15, s15, (.LBB1_20376-.Lpost_getpc6603)>>32
	s_setpc_b64 s[14:15]
.LBB1_6038:
	s_or_b64 exec, exec, s[6:7]
	s_and_saveexec_b64 s[6:7], s[4:5]
	s_cbranch_execz .LBB1_6040
.LBB1_6039:
	v_bfe_u32 v13, v2, 16, 3
	v_ffbh_u32_e32 v16, v13
	v_min_u32_e32 v16, 32, v16
	v_lshrrev_b32_e32 v14, 19, v2
	v_subrev_u32_e32 v17, 28, v16
	v_and_b32_e32 v14, 15, v14
	v_lshlrev_b32_sdwa v17, v17, v2 dst_sel:DWORD dst_unused:UNUSED_PAD src0_sel:DWORD src1_sel:WORD_1
	v_bfe_u32 v15, v2, 19, 4
	v_sub_u32_e32 v16, 29, v16
	v_and_b32_e32 v17, 7, v17
	v_cmp_eq_u16_e32 vcc, 0, v14
	v_cndmask_b32_e32 v13, v13, v17, vcc
	v_cndmask_b32_e32 v14, v15, v16, vcc
	v_lshlrev_b32_e32 v15, 8, v2
	v_mov_b32_e32 v16, 0x3b800000
	v_lshlrev_b32_e32 v13, 20, v13
	v_and_b32_e32 v15, 0x80000000, v15
	v_lshl_add_u32 v14, v14, 23, v16
	v_or3_b32 v14, v15, v14, v13
.LBB1_6040:
	s_or_b64 exec, exec, s[6:7]
	s_nop 0
	v_mfma_f32_16x16x4f32 a[0:3], v12, v14, a[0:3]
	s_movk_i32 s4, 0x7f
	v_cmp_gt_i16_sdwa s[6:7], v6, s4 src0_sel:BYTE_3 src1_sel:DWORD
	s_mov_b64 s[4:5], 0
                                        ; implicit-def: $sgpr10
	s_and_saveexec_b64 s[8:9], s[6:7]
	s_xor_b64 s[6:7], exec, s[8:9]
	s_cbranch_execz .LBB1_6041
; %bb.41881:
	s_getpc_b64 s[14:15]
.Lpost_getpc6604:
	s_add_u32 s14, s14, (.LBB1_20377-.Lpost_getpc6604)&4294967295
	s_addc_u32 s15, s15, (.LBB1_20377-.Lpost_getpc6604)>>32
	s_setpc_b64 s[14:15]
.LBB1_6041:
	s_or_saveexec_b64 s[6:7], s[6:7]
	v_mov_b32_e32 v12, s10
	s_xor_b64 exec, exec, s[6:7]
	s_cbranch_execz .LBB1_6042
; %bb.41883:
	s_getpc_b64 s[14:15]
.Lpost_getpc6605:
	s_add_u32 s14, s14, (.LBB1_20380-.Lpost_getpc6605)&4294967295
	s_addc_u32 s15, s15, (.LBB1_20380-.Lpost_getpc6605)>>32
	s_setpc_b64 s[14:15]
.LBB1_6042:
	s_or_b64 exec, exec, s[6:7]
	s_and_saveexec_b64 s[6:7], s[4:5]
	s_cbranch_execz .LBB1_6044
.LBB1_6043:
	v_bfe_u32 v12, v6, 24, 3
	v_ffbh_u32_e32 v16, v12
	v_min_u32_e32 v16, 32, v16
	v_lshrrev_b32_e32 v14, 27, v6
	v_subrev_u32_e32 v17, 28, v16
	v_and_b32_e32 v13, 0x80000000, v6
	v_and_b32_e32 v14, 15, v14
	v_bfe_u32 v15, v6, 27, 4
	v_lshlrev_b32_sdwa v6, v17, v6 dst_sel:DWORD dst_unused:UNUSED_PAD src0_sel:DWORD src1_sel:BYTE_3
	v_sub_u32_e32 v16, 29, v16
	v_and_b32_e32 v6, 7, v6
	v_cmp_eq_u16_e32 vcc, 0, v14
	v_cndmask_b32_e32 v6, v12, v6, vcc
	v_cndmask_b32_e32 v12, v15, v16, vcc
	v_mov_b32_e32 v14, 0x3b800000
	v_lshlrev_b32_e32 v6, 20, v6
	v_lshl_add_u32 v12, v12, 23, v14
	v_or3_b32 v12, v13, v12, v6
.LBB1_6044:
	s_or_b64 exec, exec, s[6:7]
	s_movk_i32 s4, 0x7f
	v_cmp_gt_i16_sdwa s[6:7], v2, s4 src0_sel:BYTE_3 src1_sel:DWORD
	s_mov_b64 s[4:5], 0
                                        ; implicit-def: $sgpr10
	s_and_saveexec_b64 s[8:9], s[6:7]
	s_xor_b64 s[6:7], exec, s[8:9]
	s_cbranch_execz .LBB1_6045
; %bb.41885:
	s_getpc_b64 s[14:15]
.Lpost_getpc6606:
	s_add_u32 s14, s14, (.LBB1_20381-.Lpost_getpc6606)&4294967295
	s_addc_u32 s15, s15, (.LBB1_20381-.Lpost_getpc6606)>>32
	s_setpc_b64 s[14:15]
.LBB1_6045:
	s_or_saveexec_b64 s[6:7], s[6:7]
	v_mov_b32_e32 v6, s10
	s_xor_b64 exec, exec, s[6:7]
	s_cbranch_execz .LBB1_6046
; %bb.41887:
	s_getpc_b64 s[14:15]
.Lpost_getpc6607:
	s_add_u32 s14, s14, (.LBB1_20384-.Lpost_getpc6607)&4294967295
	s_addc_u32 s15, s15, (.LBB1_20384-.Lpost_getpc6607)>>32
	s_setpc_b64 s[14:15]
.LBB1_6046:
	s_or_b64 exec, exec, s[6:7]
	s_and_saveexec_b64 s[6:7], s[4:5]
	s_cbranch_execz .LBB1_6048
.LBB1_6047:
	v_bfe_u32 v6, v2, 24, 3
	v_ffbh_u32_e32 v16, v6
	v_min_u32_e32 v16, 32, v16
	v_lshrrev_b32_e32 v14, 27, v2
	v_subrev_u32_e32 v17, 28, v16
	v_and_b32_e32 v13, 0x80000000, v2
	v_and_b32_e32 v14, 15, v14
	v_bfe_u32 v15, v2, 27, 4
	v_lshlrev_b32_sdwa v2, v17, v2 dst_sel:DWORD dst_unused:UNUSED_PAD src0_sel:DWORD src1_sel:BYTE_3
	v_sub_u32_e32 v16, 29, v16
	v_and_b32_e32 v2, 7, v2
	v_cmp_eq_u16_e32 vcc, 0, v14
	v_cndmask_b32_e32 v2, v6, v2, vcc
	v_cndmask_b32_e32 v6, v15, v16, vcc
	v_mov_b32_e32 v14, 0x3b800000
	v_lshlrev_b32_e32 v2, 20, v2
	v_lshl_add_u32 v6, v6, 23, v14
	v_or3_b32 v6, v13, v6, v2
.LBB1_6048:
	s_or_b64 exec, exec, s[6:7]
	s_nop 0
	v_mfma_f32_16x16x4f32 a[0:3], v12, v6, a[0:3]
	s_movk_i32 s4, 0x7f
	v_cmp_gt_i16_sdwa s[6:7], v7, s4 src0_sel:BYTE_0 src1_sel:DWORD
	s_mov_b64 s[4:5], 0
                                        ; implicit-def: $sgpr10
	s_and_saveexec_b64 s[8:9], s[6:7]
	s_xor_b64 s[6:7], exec, s[8:9]
	s_cbranch_execz .LBB1_6049
; %bb.41889:
	s_getpc_b64 s[14:15]
.Lpost_getpc6608:
	s_add_u32 s14, s14, (.LBB1_20385-.Lpost_getpc6608)&4294967295
	s_addc_u32 s15, s15, (.LBB1_20385-.Lpost_getpc6608)>>32
	s_setpc_b64 s[14:15]
.LBB1_6049:
	s_or_saveexec_b64 s[6:7], s[6:7]
	v_mov_b32_e32 v2, s10
	s_xor_b64 exec, exec, s[6:7]
	s_cbranch_execz .LBB1_6050
; %bb.41891:
	s_getpc_b64 s[14:15]
.Lpost_getpc6609:
	s_add_u32 s14, s14, (.LBB1_20388-.Lpost_getpc6609)&4294967295
	s_addc_u32 s15, s15, (.LBB1_20388-.Lpost_getpc6609)>>32
	s_setpc_b64 s[14:15]
.LBB1_6050:
	s_or_b64 exec, exec, s[6:7]
	s_and_saveexec_b64 s[6:7], s[4:5]
	s_cbranch_execz .LBB1_6052
.LBB1_6051:
	v_and_b32_e32 v2, 7, v7
	v_ffbh_u32_e32 v12, v2
	v_min_u32_e32 v12, 32, v12
	v_lshrrev_b16_e32 v6, 3, v7
	v_subrev_u32_e32 v13, 28, v12
	v_and_b32_e32 v6, 15, v6
	v_lshlrev_b32_e32 v13, v13, v7
	v_sub_u32_e32 v12, 29, v12
	v_and_b32_e32 v13, 7, v13
	v_cmp_eq_u16_e32 vcc, 0, v6
	v_cndmask_b32_e32 v2, v2, v13, vcc
	v_cndmask_b32_e32 v6, v6, v12, vcc
	v_lshlrev_b32_e32 v12, 24, v7
	v_mov_b32_e32 v13, 0x3b800000
	v_lshlrev_b32_e32 v2, 20, v2
	v_and_b32_e32 v12, 0x80000000, v12
	v_lshl_add_u32 v6, v6, 23, v13
	v_or3_b32 v2, v12, v6, v2
.LBB1_6052:
	s_or_b64 exec, exec, s[6:7]
	s_movk_i32 s4, 0x7f
	v_cmp_gt_i16_sdwa s[6:7], v3, s4 src0_sel:BYTE_0 src1_sel:DWORD
	s_mov_b64 s[4:5], 0
                                        ; implicit-def: $sgpr10
	s_and_saveexec_b64 s[8:9], s[6:7]
	s_xor_b64 s[6:7], exec, s[8:9]
	s_cbranch_execz .LBB1_6053
; %bb.41893:
	s_getpc_b64 s[14:15]
.Lpost_getpc6610:
	s_add_u32 s14, s14, (.LBB1_20389-.Lpost_getpc6610)&4294967295
	s_addc_u32 s15, s15, (.LBB1_20389-.Lpost_getpc6610)>>32
	s_setpc_b64 s[14:15]
.LBB1_6053:
	s_or_saveexec_b64 s[6:7], s[6:7]
	v_mov_b32_e32 v6, s10
	s_xor_b64 exec, exec, s[6:7]
	s_cbranch_execz .LBB1_6054
; %bb.41895:
	s_getpc_b64 s[14:15]
.Lpost_getpc6611:
	s_add_u32 s14, s14, (.LBB1_20392-.Lpost_getpc6611)&4294967295
	s_addc_u32 s15, s15, (.LBB1_20392-.Lpost_getpc6611)>>32
	s_setpc_b64 s[14:15]
.LBB1_6054:
	s_or_b64 exec, exec, s[6:7]
	s_and_saveexec_b64 s[6:7], s[4:5]
	s_cbranch_execz .LBB1_6056
.LBB1_6055:
	v_and_b32_e32 v6, 7, v3
	v_ffbh_u32_e32 v13, v6
	v_min_u32_e32 v13, 32, v13
	v_lshrrev_b16_e32 v12, 3, v3
	v_subrev_u32_e32 v14, 28, v13
	v_and_b32_e32 v12, 15, v12
	v_lshlrev_b32_e32 v14, v14, v3
	v_sub_u32_e32 v13, 29, v13
	v_and_b32_e32 v14, 7, v14
	v_cmp_eq_u16_e32 vcc, 0, v12
	v_cndmask_b32_e32 v6, v6, v14, vcc
	v_cndmask_b32_e32 v12, v12, v13, vcc
	v_lshlrev_b32_e32 v13, 24, v3
	v_mov_b32_e32 v14, 0x3b800000
	v_lshlrev_b32_e32 v6, 20, v6
	v_and_b32_e32 v13, 0x80000000, v13
	v_lshl_add_u32 v12, v12, 23, v14
	v_or3_b32 v6, v13, v12, v6
.LBB1_6056:
	s_or_b64 exec, exec, s[6:7]
	s_nop 0
	v_mfma_f32_16x16x4f32 a[0:3], v2, v6, a[0:3]
	v_lshrrev_b32_e32 v6, 8, v7
	s_movk_i32 s4, 0x7f
	v_cmp_gt_i16_sdwa s[6:7], v6, s4 src0_sel:BYTE_0 src1_sel:DWORD
	s_mov_b64 s[4:5], 0
                                        ; implicit-def: $sgpr10
	s_and_saveexec_b64 s[8:9], s[6:7]
	s_xor_b64 s[6:7], exec, s[8:9]
	s_cbranch_execz .LBB1_6057
; %bb.41897:
	s_getpc_b64 s[14:15]
.Lpost_getpc6612:
	s_add_u32 s14, s14, (.LBB1_20393-.Lpost_getpc6612)&4294967295
	s_addc_u32 s15, s15, (.LBB1_20393-.Lpost_getpc6612)>>32
	s_setpc_b64 s[14:15]
.LBB1_6057:
	s_or_saveexec_b64 s[6:7], s[6:7]
	v_mov_b32_e32 v2, s10
	s_xor_b64 exec, exec, s[6:7]
	s_cbranch_execz .LBB1_6058
; %bb.41899:
	s_getpc_b64 s[14:15]
.Lpost_getpc6613:
	s_add_u32 s14, s14, (.LBB1_20396-.Lpost_getpc6613)&4294967295
	s_addc_u32 s15, s15, (.LBB1_20396-.Lpost_getpc6613)>>32
	s_setpc_b64 s[14:15]
.LBB1_6058:
	s_or_b64 exec, exec, s[6:7]
	s_and_saveexec_b64 s[6:7], s[4:5]
	s_cbranch_execz .LBB1_6060
.LBB1_6059:
	v_bfe_u32 v2, v7, 8, 3
	v_ffbh_u32_e32 v13, v2
	v_min_u32_e32 v13, 32, v13
	v_lshrrev_b16_e32 v12, 3, v6
	v_subrev_u32_e32 v14, 28, v13
	v_and_b32_e32 v12, 15, v12
	v_lshlrev_b32_e32 v6, v14, v6
	v_sub_u32_e32 v13, 29, v13
	v_and_b32_e32 v6, 7, v6
	v_cmp_eq_u16_e32 vcc, 0, v12
	v_cndmask_b32_e32 v2, v2, v6, vcc
	v_cndmask_b32_e32 v6, v12, v13, vcc
	v_lshlrev_b32_e32 v12, 16, v7
	v_mov_b32_e32 v13, 0x3b800000
	v_lshlrev_b32_e32 v2, 20, v2
	v_and_b32_e32 v12, 0x80000000, v12
	v_lshl_add_u32 v6, v6, 23, v13
	v_or3_b32 v2, v12, v6, v2
.LBB1_6060:
	s_or_b64 exec, exec, s[6:7]
	v_lshrrev_b32_e32 v6, 8, v3
	s_movk_i32 s4, 0x7f
	v_cmp_gt_i16_sdwa s[6:7], v6, s4 src0_sel:BYTE_0 src1_sel:DWORD
	s_mov_b64 s[4:5], 0
                                        ; implicit-def: $sgpr10
	s_and_saveexec_b64 s[8:9], s[6:7]
	s_xor_b64 s[6:7], exec, s[8:9]
	s_cbranch_execz .LBB1_6061
; %bb.41901:
	s_getpc_b64 s[14:15]
.Lpost_getpc6614:
	s_add_u32 s14, s14, (.LBB1_20397-.Lpost_getpc6614)&4294967295
	s_addc_u32 s15, s15, (.LBB1_20397-.Lpost_getpc6614)>>32
	s_setpc_b64 s[14:15]
.LBB1_6061:
	s_or_saveexec_b64 s[6:7], s[6:7]
	v_mov_b32_e32 v12, s10
	s_xor_b64 exec, exec, s[6:7]
	s_cbranch_execz .LBB1_6062
; %bb.41903:
	s_getpc_b64 s[14:15]
.Lpost_getpc6615:
	s_add_u32 s14, s14, (.LBB1_20400-.Lpost_getpc6615)&4294967295
	s_addc_u32 s15, s15, (.LBB1_20400-.Lpost_getpc6615)>>32
	s_setpc_b64 s[14:15]
.LBB1_6062:
	s_or_b64 exec, exec, s[6:7]
	s_and_saveexec_b64 s[6:7], s[4:5]
	s_cbranch_execz .LBB1_6064
.LBB1_6063:
	v_bfe_u32 v12, v3, 8, 3
	v_ffbh_u32_e32 v14, v12
	v_min_u32_e32 v14, 32, v14
	v_lshrrev_b16_e32 v13, 3, v6
	v_subrev_u32_e32 v15, 28, v14
	v_and_b32_e32 v13, 15, v13
	v_lshlrev_b32_e32 v6, v15, v6
	v_sub_u32_e32 v14, 29, v14
	v_and_b32_e32 v6, 7, v6
	v_cmp_eq_u16_e32 vcc, 0, v13
	v_cndmask_b32_e32 v6, v12, v6, vcc
	v_cndmask_b32_e32 v12, v13, v14, vcc
	v_lshlrev_b32_e32 v13, 16, v3
	v_mov_b32_e32 v14, 0x3b800000
	v_lshlrev_b32_e32 v6, 20, v6
	v_and_b32_e32 v13, 0x80000000, v13
	v_lshl_add_u32 v12, v12, 23, v14
	v_or3_b32 v12, v13, v12, v6
.LBB1_6064:
	s_or_b64 exec, exec, s[6:7]
	s_nop 0
	v_mfma_f32_16x16x4f32 a[0:3], v2, v12, a[0:3]
	s_movk_i32 s4, 0xff
	v_and_b32_sdwa v6, v7, s4 dst_sel:DWORD dst_unused:UNUSED_PAD src0_sel:WORD_1 src1_sel:DWORD
	s_movk_i32 s4, 0x7f
	v_cmp_lt_i16_e32 vcc, s4, v6
	s_mov_b64 s[4:5], 0
                                        ; implicit-def: $sgpr10
	s_and_saveexec_b64 s[6:7], vcc
	s_xor_b64 s[6:7], exec, s[6:7]
	s_cbranch_execz .LBB1_6065
; %bb.41905:
	s_getpc_b64 s[14:15]
.Lpost_getpc6616:
	s_add_u32 s14, s14, (.LBB1_20401-.Lpost_getpc6616)&4294967295
	s_addc_u32 s15, s15, (.LBB1_20401-.Lpost_getpc6616)>>32
	s_setpc_b64 s[14:15]
.LBB1_6065:
	s_or_saveexec_b64 s[6:7], s[6:7]
	v_mov_b32_e32 v2, s10
	s_xor_b64 exec, exec, s[6:7]
	s_cbranch_execz .LBB1_6066
; %bb.41907:
	s_getpc_b64 s[14:15]
.Lpost_getpc6617:
	s_add_u32 s14, s14, (.LBB1_20404-.Lpost_getpc6617)&4294967295
	s_addc_u32 s15, s15, (.LBB1_20404-.Lpost_getpc6617)>>32
	s_setpc_b64 s[14:15]
.LBB1_6066:
	s_or_b64 exec, exec, s[6:7]
	s_and_saveexec_b64 s[6:7], s[4:5]
	s_cbranch_execz .LBB1_6068
.LBB1_6067:
	v_bfe_u32 v2, v7, 16, 3
	v_ffbh_u32_e32 v13, v2
	v_min_u32_e32 v13, 32, v13
	v_lshrrev_b32_e32 v6, 19, v7
	v_subrev_u32_e32 v14, 28, v13
	v_and_b32_e32 v6, 15, v6
	v_lshlrev_b32_sdwa v14, v14, v7 dst_sel:DWORD dst_unused:UNUSED_PAD src0_sel:DWORD src1_sel:WORD_1
	v_bfe_u32 v12, v7, 19, 4
	v_sub_u32_e32 v13, 29, v13
	v_and_b32_e32 v14, 7, v14
	v_cmp_eq_u16_e32 vcc, 0, v6
	v_cndmask_b32_e32 v2, v2, v14, vcc
	v_cndmask_b32_e32 v6, v12, v13, vcc
	v_lshlrev_b32_e32 v12, 8, v7
	v_mov_b32_e32 v13, 0x3b800000
	v_lshlrev_b32_e32 v2, 20, v2
	v_and_b32_e32 v12, 0x80000000, v12
	v_lshl_add_u32 v6, v6, 23, v13
	v_or3_b32 v2, v12, v6, v2
.LBB1_6068:
	s_or_b64 exec, exec, s[6:7]
	s_movk_i32 s4, 0xff
	v_and_b32_sdwa v6, v3, s4 dst_sel:DWORD dst_unused:UNUSED_PAD src0_sel:WORD_1 src1_sel:DWORD
	s_movk_i32 s4, 0x7f
	v_cmp_lt_i16_e32 vcc, s4, v6
	s_mov_b64 s[4:5], 0
                                        ; implicit-def: $sgpr10
	s_and_saveexec_b64 s[6:7], vcc
	s_xor_b64 s[6:7], exec, s[6:7]
	s_cbranch_execz .LBB1_6069
; %bb.41909:
	s_getpc_b64 s[14:15]
.Lpost_getpc6618:
	s_add_u32 s14, s14, (.LBB1_20405-.Lpost_getpc6618)&4294967295
	s_addc_u32 s15, s15, (.LBB1_20405-.Lpost_getpc6618)>>32
	s_setpc_b64 s[14:15]
.LBB1_6069:
	s_or_saveexec_b64 s[6:7], s[6:7]
	v_mov_b32_e32 v12, s10
	s_xor_b64 exec, exec, s[6:7]
	s_cbranch_execz .LBB1_6070
; %bb.41911:
	s_getpc_b64 s[14:15]
.Lpost_getpc6619:
	s_add_u32 s14, s14, (.LBB1_20408-.Lpost_getpc6619)&4294967295
	s_addc_u32 s15, s15, (.LBB1_20408-.Lpost_getpc6619)>>32
	s_setpc_b64 s[14:15]
.LBB1_6070:
	s_or_b64 exec, exec, s[6:7]
	s_and_saveexec_b64 s[6:7], s[4:5]
	s_cbranch_execz .LBB1_6072
.LBB1_6071:
	v_bfe_u32 v6, v3, 16, 3
	v_ffbh_u32_e32 v14, v6
	v_min_u32_e32 v14, 32, v14
	v_lshrrev_b32_e32 v12, 19, v3
	v_subrev_u32_e32 v15, 28, v14
	v_and_b32_e32 v12, 15, v12
	v_lshlrev_b32_sdwa v15, v15, v3 dst_sel:DWORD dst_unused:UNUSED_PAD src0_sel:DWORD src1_sel:WORD_1
	v_bfe_u32 v13, v3, 19, 4
	v_sub_u32_e32 v14, 29, v14
	v_and_b32_e32 v15, 7, v15
	v_cmp_eq_u16_e32 vcc, 0, v12
	v_cndmask_b32_e32 v6, v6, v15, vcc
	v_cndmask_b32_e32 v12, v13, v14, vcc
	v_lshlrev_b32_e32 v13, 8, v3
	v_mov_b32_e32 v14, 0x3b800000
	v_lshlrev_b32_e32 v6, 20, v6
	v_and_b32_e32 v13, 0x80000000, v13
	v_lshl_add_u32 v12, v12, 23, v14
	v_or3_b32 v12, v13, v12, v6
.LBB1_6072:
	s_or_b64 exec, exec, s[6:7]
	s_nop 0
	v_mfma_f32_16x16x4f32 a[0:3], v2, v12, a[0:3]
	s_movk_i32 s4, 0x7f
	v_cmp_gt_i16_sdwa s[6:7], v7, s4 src0_sel:BYTE_3 src1_sel:DWORD
	s_mov_b64 s[4:5], 0
                                        ; implicit-def: $sgpr10
	s_and_saveexec_b64 s[8:9], s[6:7]
	s_xor_b64 s[6:7], exec, s[8:9]
	s_cbranch_execz .LBB1_6073
; %bb.41913:
	s_getpc_b64 s[14:15]
.Lpost_getpc6620:
	s_add_u32 s14, s14, (.LBB1_20409-.Lpost_getpc6620)&4294967295
	s_addc_u32 s15, s15, (.LBB1_20409-.Lpost_getpc6620)>>32
	s_setpc_b64 s[14:15]
.LBB1_6073:
	s_or_saveexec_b64 s[6:7], s[6:7]
	v_mov_b32_e32 v2, s10
	s_xor_b64 exec, exec, s[6:7]
	s_cbranch_execz .LBB1_6074
; %bb.41915:
	s_getpc_b64 s[14:15]
.Lpost_getpc6621:
	s_add_u32 s14, s14, (.LBB1_20412-.Lpost_getpc6621)&4294967295
	s_addc_u32 s15, s15, (.LBB1_20412-.Lpost_getpc6621)>>32
	s_setpc_b64 s[14:15]
.LBB1_6074:
	s_or_b64 exec, exec, s[6:7]
	s_and_saveexec_b64 s[6:7], s[4:5]
	s_cbranch_execz .LBB1_6076
.LBB1_6075:
	v_bfe_u32 v2, v7, 24, 3
	v_ffbh_u32_e32 v14, v2
	v_min_u32_e32 v14, 32, v14
	v_lshrrev_b32_e32 v12, 27, v7
	v_subrev_u32_e32 v15, 28, v14
	v_and_b32_e32 v6, 0x80000000, v7
	v_and_b32_e32 v12, 15, v12
	v_bfe_u32 v13, v7, 27, 4
	v_lshlrev_b32_sdwa v7, v15, v7 dst_sel:DWORD dst_unused:UNUSED_PAD src0_sel:DWORD src1_sel:BYTE_3
	v_sub_u32_e32 v14, 29, v14
	v_and_b32_e32 v7, 7, v7
	v_cmp_eq_u16_e32 vcc, 0, v12
	v_cndmask_b32_e32 v2, v2, v7, vcc
	v_cndmask_b32_e32 v7, v13, v14, vcc
	v_mov_b32_e32 v12, 0x3b800000
	v_lshlrev_b32_e32 v2, 20, v2
	v_lshl_add_u32 v7, v7, 23, v12
	v_or3_b32 v2, v6, v7, v2
.LBB1_6076:
	s_or_b64 exec, exec, s[6:7]
	s_movk_i32 s4, 0x7f
	v_cmp_gt_i16_sdwa s[6:7], v3, s4 src0_sel:BYTE_3 src1_sel:DWORD
	s_mov_b64 s[4:5], 0
                                        ; implicit-def: $sgpr10
	s_and_saveexec_b64 s[8:9], s[6:7]
	s_xor_b64 s[6:7], exec, s[8:9]
	s_cbranch_execz .LBB1_6077
; %bb.41917:
	s_getpc_b64 s[14:15]
.Lpost_getpc6622:
	s_add_u32 s14, s14, (.LBB1_20413-.Lpost_getpc6622)&4294967295
	s_addc_u32 s15, s15, (.LBB1_20413-.Lpost_getpc6622)>>32
	s_setpc_b64 s[14:15]
.LBB1_6077:
	s_or_saveexec_b64 s[6:7], s[6:7]
	v_mov_b32_e32 v6, s10
	s_xor_b64 exec, exec, s[6:7]
	s_cbranch_execz .LBB1_6078
; %bb.41919:
	s_getpc_b64 s[14:15]
.Lpost_getpc6623:
	s_add_u32 s14, s14, (.LBB1_20416-.Lpost_getpc6623)&4294967295
	s_addc_u32 s15, s15, (.LBB1_20416-.Lpost_getpc6623)>>32
	s_setpc_b64 s[14:15]
.LBB1_6078:
	s_or_b64 exec, exec, s[6:7]
	s_and_saveexec_b64 s[6:7], s[4:5]
	s_cbranch_execz .LBB1_6080
.LBB1_6079:
	v_bfe_u32 v6, v3, 24, 3
	v_ffbh_u32_e32 v14, v6
	v_min_u32_e32 v14, 32, v14
	v_lshrrev_b32_e32 v12, 27, v3
	v_subrev_u32_e32 v15, 28, v14
	v_and_b32_e32 v7, 0x80000000, v3
	v_and_b32_e32 v12, 15, v12
	v_bfe_u32 v13, v3, 27, 4
	v_lshlrev_b32_sdwa v3, v15, v3 dst_sel:DWORD dst_unused:UNUSED_PAD src0_sel:DWORD src1_sel:BYTE_3
	v_sub_u32_e32 v14, 29, v14
	v_and_b32_e32 v3, 7, v3
	v_cmp_eq_u16_e32 vcc, 0, v12
	v_cndmask_b32_e32 v3, v6, v3, vcc
	v_cndmask_b32_e32 v6, v13, v14, vcc
	v_mov_b32_e32 v12, 0x3b800000
	v_lshlrev_b32_e32 v3, 20, v3
	v_lshl_add_u32 v6, v6, 23, v12
	v_or3_b32 v6, v7, v6, v3
.LBB1_6080:
	s_or_b64 exec, exec, s[6:7]
	s_nop 0
	v_mfma_f32_16x16x4f32 a[0:3], v2, v6, a[0:3]
	s_movk_i32 s4, 0x7f
	v_cmp_gt_i16_sdwa s[6:7], v8, s4 src0_sel:BYTE_0 src1_sel:DWORD
	s_mov_b64 s[4:5], 0
                                        ; implicit-def: $sgpr10
	s_and_saveexec_b64 s[8:9], s[6:7]
	s_xor_b64 s[6:7], exec, s[8:9]
	s_cbranch_execz .LBB1_6081
; %bb.41921:
	s_getpc_b64 s[14:15]
.Lpost_getpc6624:
	s_add_u32 s14, s14, (.LBB1_20417-.Lpost_getpc6624)&4294967295
	s_addc_u32 s15, s15, (.LBB1_20417-.Lpost_getpc6624)>>32
	s_setpc_b64 s[14:15]
.LBB1_6081:
	s_or_saveexec_b64 s[6:7], s[6:7]
	v_mov_b32_e32 v2, s10
	s_xor_b64 exec, exec, s[6:7]
	s_cbranch_execz .LBB1_6082
; %bb.41923:
	s_getpc_b64 s[14:15]
.Lpost_getpc6625:
	s_add_u32 s14, s14, (.LBB1_20420-.Lpost_getpc6625)&4294967295
	s_addc_u32 s15, s15, (.LBB1_20420-.Lpost_getpc6625)>>32
	s_setpc_b64 s[14:15]
.LBB1_6082:
	s_or_b64 exec, exec, s[6:7]
	s_and_saveexec_b64 s[6:7], s[4:5]
	s_cbranch_execz .LBB1_6084
.LBB1_6083:
	v_and_b32_e32 v2, 7, v8
	v_ffbh_u32_e32 v6, v2
	v_min_u32_e32 v6, 32, v6
	v_lshrrev_b16_e32 v3, 3, v8
	v_subrev_u32_e32 v7, 28, v6
	v_and_b32_e32 v3, 15, v3
	v_lshlrev_b32_e32 v7, v7, v8
	v_sub_u32_e32 v6, 29, v6
	v_and_b32_e32 v7, 7, v7
	v_cmp_eq_u16_e32 vcc, 0, v3
	v_cndmask_b32_e32 v2, v2, v7, vcc
	v_cndmask_b32_e32 v3, v3, v6, vcc
	v_lshlrev_b32_e32 v6, 24, v8
	v_mov_b32_e32 v7, 0x3b800000
	v_lshlrev_b32_e32 v2, 20, v2
	v_and_b32_e32 v6, 0x80000000, v6
	v_lshl_add_u32 v3, v3, 23, v7
	v_or3_b32 v2, v6, v3, v2
.LBB1_6084:
	s_or_b64 exec, exec, s[6:7]
	s_movk_i32 s4, 0x7f
	v_cmp_gt_i16_sdwa s[6:7], v4, s4 src0_sel:BYTE_0 src1_sel:DWORD
	s_mov_b64 s[4:5], 0
                                        ; implicit-def: $sgpr10
	s_and_saveexec_b64 s[8:9], s[6:7]
	s_xor_b64 s[6:7], exec, s[8:9]
	s_cbranch_execz .LBB1_6085
; %bb.41925:
	s_getpc_b64 s[14:15]
.Lpost_getpc6626:
	s_add_u32 s14, s14, (.LBB1_20421-.Lpost_getpc6626)&4294967295
	s_addc_u32 s15, s15, (.LBB1_20421-.Lpost_getpc6626)>>32
	s_setpc_b64 s[14:15]
.LBB1_6085:
	s_or_saveexec_b64 s[6:7], s[6:7]
	v_mov_b32_e32 v3, s10
	s_xor_b64 exec, exec, s[6:7]
	s_cbranch_execz .LBB1_6086
; %bb.41927:
	s_getpc_b64 s[14:15]
.Lpost_getpc6627:
	s_add_u32 s14, s14, (.LBB1_20424-.Lpost_getpc6627)&4294967295
	s_addc_u32 s15, s15, (.LBB1_20424-.Lpost_getpc6627)>>32
	s_setpc_b64 s[14:15]
.LBB1_6086:
	s_or_b64 exec, exec, s[6:7]
	s_and_saveexec_b64 s[6:7], s[4:5]
	s_cbranch_execz .LBB1_6088
.LBB1_6087:
	v_and_b32_e32 v3, 7, v4
	v_ffbh_u32_e32 v7, v3
	v_min_u32_e32 v7, 32, v7
	v_lshrrev_b16_e32 v6, 3, v4
	v_subrev_u32_e32 v12, 28, v7
	v_and_b32_e32 v6, 15, v6
	v_lshlrev_b32_e32 v12, v12, v4
	v_sub_u32_e32 v7, 29, v7
	v_and_b32_e32 v12, 7, v12
	v_cmp_eq_u16_e32 vcc, 0, v6
	v_cndmask_b32_e32 v3, v3, v12, vcc
	v_cndmask_b32_e32 v6, v6, v7, vcc
	v_lshlrev_b32_e32 v7, 24, v4
	v_mov_b32_e32 v12, 0x3b800000
	v_lshlrev_b32_e32 v3, 20, v3
	v_and_b32_e32 v7, 0x80000000, v7
	v_lshl_add_u32 v6, v6, 23, v12
	v_or3_b32 v3, v7, v6, v3
.LBB1_6088:
	s_or_b64 exec, exec, s[6:7]
	s_nop 0
	v_mfma_f32_16x16x4f32 a[0:3], v2, v3, a[0:3]
	v_lshrrev_b32_e32 v3, 8, v8
	s_movk_i32 s4, 0x7f
	v_cmp_gt_i16_sdwa s[6:7], v3, s4 src0_sel:BYTE_0 src1_sel:DWORD
	s_mov_b64 s[4:5], 0
                                        ; implicit-def: $sgpr10
	s_and_saveexec_b64 s[8:9], s[6:7]
	s_xor_b64 s[6:7], exec, s[8:9]
	s_cbranch_execz .LBB1_6089
; %bb.41929:
	s_getpc_b64 s[14:15]
.Lpost_getpc6628:
	s_add_u32 s14, s14, (.LBB1_20425-.Lpost_getpc6628)&4294967295
	s_addc_u32 s15, s15, (.LBB1_20425-.Lpost_getpc6628)>>32
	s_setpc_b64 s[14:15]
.LBB1_6089:
	s_or_saveexec_b64 s[6:7], s[6:7]
	v_mov_b32_e32 v2, s10
	s_xor_b64 exec, exec, s[6:7]
	s_cbranch_execz .LBB1_6090
; %bb.41931:
	s_getpc_b64 s[14:15]
.Lpost_getpc6629:
	s_add_u32 s14, s14, (.LBB1_20428-.Lpost_getpc6629)&4294967295
	s_addc_u32 s15, s15, (.LBB1_20428-.Lpost_getpc6629)>>32
	s_setpc_b64 s[14:15]
.LBB1_6090:
	s_or_b64 exec, exec, s[6:7]
	s_and_saveexec_b64 s[6:7], s[4:5]
	s_cbranch_execz .LBB1_6092
.LBB1_6091:
	v_bfe_u32 v2, v8, 8, 3
	v_ffbh_u32_e32 v7, v2
	v_min_u32_e32 v7, 32, v7
	v_lshrrev_b16_e32 v6, 3, v3
	v_subrev_u32_e32 v12, 28, v7
	v_and_b32_e32 v6, 15, v6
	v_lshlrev_b32_e32 v3, v12, v3
	v_sub_u32_e32 v7, 29, v7
	v_and_b32_e32 v3, 7, v3
	v_cmp_eq_u16_e32 vcc, 0, v6
	v_cndmask_b32_e32 v2, v2, v3, vcc
	v_cndmask_b32_e32 v3, v6, v7, vcc
	v_lshlrev_b32_e32 v6, 16, v8
	v_mov_b32_e32 v7, 0x3b800000
	v_lshlrev_b32_e32 v2, 20, v2
	v_and_b32_e32 v6, 0x80000000, v6
	v_lshl_add_u32 v3, v3, 23, v7
	v_or3_b32 v2, v6, v3, v2
.LBB1_6092:
	s_or_b64 exec, exec, s[6:7]
	v_lshrrev_b32_e32 v3, 8, v4
	s_movk_i32 s4, 0x7f
	v_cmp_gt_i16_sdwa s[6:7], v3, s4 src0_sel:BYTE_0 src1_sel:DWORD
	s_mov_b64 s[4:5], 0
                                        ; implicit-def: $sgpr10
	s_and_saveexec_b64 s[8:9], s[6:7]
	s_xor_b64 s[6:7], exec, s[8:9]
	s_cbranch_execz .LBB1_6093
; %bb.41933:
	s_getpc_b64 s[14:15]
.Lpost_getpc6630:
	s_add_u32 s14, s14, (.LBB1_20429-.Lpost_getpc6630)&4294967295
	s_addc_u32 s15, s15, (.LBB1_20429-.Lpost_getpc6630)>>32
	s_setpc_b64 s[14:15]
.LBB1_6093:
	s_or_saveexec_b64 s[6:7], s[6:7]
	v_mov_b32_e32 v6, s10
	s_xor_b64 exec, exec, s[6:7]
	s_cbranch_execz .LBB1_6094
; %bb.41935:
	s_getpc_b64 s[14:15]
.Lpost_getpc6631:
	s_add_u32 s14, s14, (.LBB1_20432-.Lpost_getpc6631)&4294967295
	s_addc_u32 s15, s15, (.LBB1_20432-.Lpost_getpc6631)>>32
	s_setpc_b64 s[14:15]
.LBB1_6094:
	s_or_b64 exec, exec, s[6:7]
	s_and_saveexec_b64 s[6:7], s[4:5]
	s_cbranch_execz .LBB1_6096
.LBB1_6095:
	v_bfe_u32 v6, v4, 8, 3
	v_ffbh_u32_e32 v12, v6
	v_min_u32_e32 v12, 32, v12
	v_lshrrev_b16_e32 v7, 3, v3
	v_subrev_u32_e32 v13, 28, v12
	v_and_b32_e32 v7, 15, v7
	v_lshlrev_b32_e32 v3, v13, v3
	v_sub_u32_e32 v12, 29, v12
	v_and_b32_e32 v3, 7, v3
	v_cmp_eq_u16_e32 vcc, 0, v7
	v_cndmask_b32_e32 v3, v6, v3, vcc
	v_cndmask_b32_e32 v6, v7, v12, vcc
	v_lshlrev_b32_e32 v7, 16, v4
	v_mov_b32_e32 v12, 0x3b800000
	v_lshlrev_b32_e32 v3, 20, v3
	v_and_b32_e32 v7, 0x80000000, v7
	v_lshl_add_u32 v6, v6, 23, v12
	v_or3_b32 v6, v7, v6, v3
.LBB1_6096:
	s_or_b64 exec, exec, s[6:7]
	s_nop 0
	v_mfma_f32_16x16x4f32 a[0:3], v2, v6, a[0:3]
	s_movk_i32 s4, 0xff
	v_and_b32_sdwa v3, v8, s4 dst_sel:DWORD dst_unused:UNUSED_PAD src0_sel:WORD_1 src1_sel:DWORD
	s_movk_i32 s4, 0x7f
	v_cmp_lt_i16_e32 vcc, s4, v3
	s_mov_b64 s[4:5], 0
                                        ; implicit-def: $sgpr10
	s_and_saveexec_b64 s[6:7], vcc
	s_xor_b64 s[6:7], exec, s[6:7]
	s_cbranch_execz .LBB1_6097
; %bb.41937:
	s_getpc_b64 s[14:15]
.Lpost_getpc6632:
	s_add_u32 s14, s14, (.LBB1_20433-.Lpost_getpc6632)&4294967295
	s_addc_u32 s15, s15, (.LBB1_20433-.Lpost_getpc6632)>>32
	s_setpc_b64 s[14:15]
.LBB1_6097:
	s_or_saveexec_b64 s[6:7], s[6:7]
	v_mov_b32_e32 v2, s10
	s_xor_b64 exec, exec, s[6:7]
	s_cbranch_execz .LBB1_6098
; %bb.41939:
	s_getpc_b64 s[14:15]
.Lpost_getpc6633:
	s_add_u32 s14, s14, (.LBB1_20436-.Lpost_getpc6633)&4294967295
	s_addc_u32 s15, s15, (.LBB1_20436-.Lpost_getpc6633)>>32
	s_setpc_b64 s[14:15]
.LBB1_6098:
	s_or_b64 exec, exec, s[6:7]
	s_and_saveexec_b64 s[6:7], s[4:5]
	s_cbranch_execz .LBB1_6100
.LBB1_6099:
	v_bfe_u32 v2, v8, 16, 3
	v_ffbh_u32_e32 v7, v2
	v_min_u32_e32 v7, 32, v7
	v_lshrrev_b32_e32 v3, 19, v8
	v_subrev_u32_e32 v12, 28, v7
	v_and_b32_e32 v3, 15, v3
	v_lshlrev_b32_sdwa v12, v12, v8 dst_sel:DWORD dst_unused:UNUSED_PAD src0_sel:DWORD src1_sel:WORD_1
	v_bfe_u32 v6, v8, 19, 4
	v_sub_u32_e32 v7, 29, v7
	v_and_b32_e32 v12, 7, v12
	v_cmp_eq_u16_e32 vcc, 0, v3
	v_cndmask_b32_e32 v2, v2, v12, vcc
	v_cndmask_b32_e32 v3, v6, v7, vcc
	v_lshlrev_b32_e32 v6, 8, v8
	v_mov_b32_e32 v7, 0x3b800000
	v_lshlrev_b32_e32 v2, 20, v2
	v_and_b32_e32 v6, 0x80000000, v6
	v_lshl_add_u32 v3, v3, 23, v7
	v_or3_b32 v2, v6, v3, v2
.LBB1_6100:
	s_or_b64 exec, exec, s[6:7]
	s_movk_i32 s4, 0xff
	v_and_b32_sdwa v3, v4, s4 dst_sel:DWORD dst_unused:UNUSED_PAD src0_sel:WORD_1 src1_sel:DWORD
	s_movk_i32 s4, 0x7f
	v_cmp_lt_i16_e32 vcc, s4, v3
	s_mov_b64 s[4:5], 0
                                        ; implicit-def: $sgpr10
	s_and_saveexec_b64 s[6:7], vcc
	s_xor_b64 s[6:7], exec, s[6:7]
	s_cbranch_execz .LBB1_6101
; %bb.41941:
	s_getpc_b64 s[14:15]
.Lpost_getpc6634:
	s_add_u32 s14, s14, (.LBB1_20437-.Lpost_getpc6634)&4294967295
	s_addc_u32 s15, s15, (.LBB1_20437-.Lpost_getpc6634)>>32
	s_setpc_b64 s[14:15]
.LBB1_6101:
	s_or_saveexec_b64 s[6:7], s[6:7]
	v_mov_b32_e32 v6, s10
	s_xor_b64 exec, exec, s[6:7]
	s_cbranch_execz .LBB1_6102
; %bb.41943:
	s_getpc_b64 s[14:15]
.Lpost_getpc6635:
	s_add_u32 s14, s14, (.LBB1_20440-.Lpost_getpc6635)&4294967295
	s_addc_u32 s15, s15, (.LBB1_20440-.Lpost_getpc6635)>>32
	s_setpc_b64 s[14:15]
.LBB1_6102:
	s_or_b64 exec, exec, s[6:7]
	s_and_saveexec_b64 s[6:7], s[4:5]
	s_cbranch_execz .LBB1_6104
.LBB1_6103:
	v_bfe_u32 v3, v4, 16, 3
	v_ffbh_u32_e32 v12, v3
	v_min_u32_e32 v12, 32, v12
	v_lshrrev_b32_e32 v6, 19, v4
	v_subrev_u32_e32 v13, 28, v12
	v_and_b32_e32 v6, 15, v6
	v_lshlrev_b32_sdwa v13, v13, v4 dst_sel:DWORD dst_unused:UNUSED_PAD src0_sel:DWORD src1_sel:WORD_1
	v_bfe_u32 v7, v4, 19, 4
	v_sub_u32_e32 v12, 29, v12
	v_and_b32_e32 v13, 7, v13
	v_cmp_eq_u16_e32 vcc, 0, v6
	v_cndmask_b32_e32 v3, v3, v13, vcc
	v_cndmask_b32_e32 v6, v7, v12, vcc
	v_lshlrev_b32_e32 v7, 8, v4
	v_mov_b32_e32 v12, 0x3b800000
	v_lshlrev_b32_e32 v3, 20, v3
	v_and_b32_e32 v7, 0x80000000, v7
	v_lshl_add_u32 v6, v6, 23, v12
	v_or3_b32 v6, v7, v6, v3
.LBB1_6104:
	s_or_b64 exec, exec, s[6:7]
	s_nop 0
	v_mfma_f32_16x16x4f32 a[0:3], v2, v6, a[0:3]
	s_movk_i32 s4, 0x7f
	v_cmp_gt_i16_sdwa s[6:7], v8, s4 src0_sel:BYTE_3 src1_sel:DWORD
	s_mov_b64 s[4:5], 0
                                        ; implicit-def: $sgpr10
	s_and_saveexec_b64 s[8:9], s[6:7]
	s_xor_b64 s[6:7], exec, s[8:9]
	s_cbranch_execz .LBB1_6105
; %bb.41945:
	s_getpc_b64 s[14:15]
.Lpost_getpc6636:
	s_add_u32 s14, s14, (.LBB1_20441-.Lpost_getpc6636)&4294967295
	s_addc_u32 s15, s15, (.LBB1_20441-.Lpost_getpc6636)>>32
	s_setpc_b64 s[14:15]
.LBB1_6105:
	s_or_saveexec_b64 s[6:7], s[6:7]
	v_mov_b32_e32 v2, s10
	s_xor_b64 exec, exec, s[6:7]
	s_cbranch_execz .LBB1_6106
; %bb.41947:
	s_getpc_b64 s[14:15]
.Lpost_getpc6637:
	s_add_u32 s14, s14, (.LBB1_20444-.Lpost_getpc6637)&4294967295
	s_addc_u32 s15, s15, (.LBB1_20444-.Lpost_getpc6637)>>32
	s_setpc_b64 s[14:15]
.LBB1_6106:
	s_or_b64 exec, exec, s[6:7]
	s_and_saveexec_b64 s[6:7], s[4:5]
	s_cbranch_execz .LBB1_6108
.LBB1_6107:
	v_bfe_u32 v2, v8, 24, 3
	v_ffbh_u32_e32 v12, v2
	v_min_u32_e32 v12, 32, v12
	v_lshrrev_b32_e32 v6, 27, v8
	v_subrev_u32_e32 v13, 28, v12
	v_and_b32_e32 v3, 0x80000000, v8
	v_and_b32_e32 v6, 15, v6
	v_bfe_u32 v7, v8, 27, 4
	v_lshlrev_b32_sdwa v8, v13, v8 dst_sel:DWORD dst_unused:UNUSED_PAD src0_sel:DWORD src1_sel:BYTE_3
	v_sub_u32_e32 v12, 29, v12
	v_and_b32_e32 v8, 7, v8
	v_cmp_eq_u16_e32 vcc, 0, v6
	v_cndmask_b32_e32 v2, v2, v8, vcc
	v_cndmask_b32_e32 v6, v7, v12, vcc
	v_mov_b32_e32 v7, 0x3b800000
	v_lshlrev_b32_e32 v2, 20, v2
	v_lshl_add_u32 v6, v6, 23, v7
	v_or3_b32 v2, v3, v6, v2
.LBB1_6108:
	s_or_b64 exec, exec, s[6:7]
	s_movk_i32 s4, 0x7f
	v_cmp_gt_i16_sdwa s[6:7], v4, s4 src0_sel:BYTE_3 src1_sel:DWORD
	s_mov_b64 s[4:5], 0
                                        ; implicit-def: $sgpr10
	s_and_saveexec_b64 s[8:9], s[6:7]
	s_xor_b64 s[6:7], exec, s[8:9]
	s_cbranch_execz .LBB1_6109
; %bb.41949:
	s_getpc_b64 s[14:15]
.Lpost_getpc6638:
	s_add_u32 s14, s14, (.LBB1_20445-.Lpost_getpc6638)&4294967295
	s_addc_u32 s15, s15, (.LBB1_20445-.Lpost_getpc6638)>>32
	s_setpc_b64 s[14:15]
.LBB1_6109:
	s_or_saveexec_b64 s[6:7], s[6:7]
	v_mov_b32_e32 v3, s10
	s_xor_b64 exec, exec, s[6:7]
	s_cbranch_execz .LBB1_6110
; %bb.41951:
	s_getpc_b64 s[14:15]
.Lpost_getpc6639:
	s_add_u32 s14, s14, (.LBB1_20448-.Lpost_getpc6639)&4294967295
	s_addc_u32 s15, s15, (.LBB1_20448-.Lpost_getpc6639)>>32
	s_setpc_b64 s[14:15]
.LBB1_6110:
	s_or_b64 exec, exec, s[6:7]
	s_and_saveexec_b64 s[6:7], s[4:5]
	s_cbranch_execz .LBB1_6112
.LBB1_6111:
	v_bfe_u32 v3, v4, 24, 3
	v_ffbh_u32_e32 v12, v3
	v_min_u32_e32 v12, 32, v12
	v_lshrrev_b32_e32 v7, 27, v4
	v_subrev_u32_e32 v13, 28, v12
	v_and_b32_e32 v6, 0x80000000, v4
	v_and_b32_e32 v7, 15, v7
	v_bfe_u32 v8, v4, 27, 4
	v_lshlrev_b32_sdwa v4, v13, v4 dst_sel:DWORD dst_unused:UNUSED_PAD src0_sel:DWORD src1_sel:BYTE_3
	v_sub_u32_e32 v12, 29, v12
	v_and_b32_e32 v4, 7, v4
	v_cmp_eq_u16_e32 vcc, 0, v7
	v_cndmask_b32_e32 v3, v3, v4, vcc
	v_cndmask_b32_e32 v4, v8, v12, vcc
	v_mov_b32_e32 v7, 0x3b800000
	v_lshlrev_b32_e32 v3, 20, v3
	v_lshl_add_u32 v4, v4, 23, v7
	v_or3_b32 v3, v6, v4, v3
.LBB1_6112:
	s_or_b64 exec, exec, s[6:7]
	s_nop 0
	v_mfma_f32_16x16x4f32 a[0:3], v2, v3, a[0:3]
	s_movk_i32 s4, 0x7f
	v_cmp_gt_i16_sdwa s[6:7], v9, s4 src0_sel:BYTE_0 src1_sel:DWORD
	s_mov_b64 s[4:5], 0
                                        ; implicit-def: $sgpr10
	s_and_saveexec_b64 s[8:9], s[6:7]
	s_xor_b64 s[6:7], exec, s[8:9]
	s_cbranch_execz .LBB1_6113
; %bb.41953:
	s_getpc_b64 s[14:15]
.Lpost_getpc6640:
	s_add_u32 s14, s14, (.LBB1_20449-.Lpost_getpc6640)&4294967295
	s_addc_u32 s15, s15, (.LBB1_20449-.Lpost_getpc6640)>>32
	s_setpc_b64 s[14:15]
.LBB1_6113:
	s_or_saveexec_b64 s[6:7], s[6:7]
	v_mov_b32_e32 v2, s10
	s_xor_b64 exec, exec, s[6:7]
	s_cbranch_execz .LBB1_6114
; %bb.41955:
	s_getpc_b64 s[14:15]
.Lpost_getpc6641:
	s_add_u32 s14, s14, (.LBB1_20452-.Lpost_getpc6641)&4294967295
	s_addc_u32 s15, s15, (.LBB1_20452-.Lpost_getpc6641)>>32
	s_setpc_b64 s[14:15]
.LBB1_6114:
	s_or_b64 exec, exec, s[6:7]
	s_and_saveexec_b64 s[6:7], s[4:5]
	s_cbranch_execz .LBB1_6116
.LBB1_6115:
	v_mov_b32_e32 v2, 8
	v_and_b32_e32 v3, 7, v9
	v_lshrrev_b32_sdwa v2, v2, v9 dst_sel:BYTE_1 dst_unused:UNUSED_PAD src0_sel:DWORD src1_sel:DWORD
	v_ffbh_u32_e32 v4, v3
	v_or_b32_sdwa v2, v9, v2 dst_sel:DWORD dst_unused:UNUSED_PAD src0_sel:BYTE_0 src1_sel:DWORD
	v_min_u32_e32 v4, 32, v4
	v_lshrrev_b16_e32 v2, 3, v2
	v_subrev_u32_e32 v6, 28, v4
	v_and_b32_e32 v2, 15, v2
	v_lshlrev_b32_e32 v6, v6, v9
	v_sub_u32_e32 v4, 29, v4
	v_and_b32_e32 v6, 7, v6
	v_cmp_eq_u16_e32 vcc, 0, v2
	v_cndmask_b32_e32 v3, v3, v6, vcc
	v_cndmask_b32_e32 v2, v2, v4, vcc
	v_lshlrev_b32_e32 v4, 24, v9
	v_mov_b32_e32 v6, 0x3b800000
	v_lshlrev_b32_e32 v3, 20, v3
	v_and_b32_e32 v4, 0x80000000, v4
	v_lshl_add_u32 v2, v2, 23, v6
	v_or3_b32 v2, v4, v2, v3
.LBB1_6116:
	s_or_b64 exec, exec, s[6:7]
	s_movk_i32 s4, 0x7f
	v_cmp_gt_i16_sdwa s[6:7], v5, s4 src0_sel:BYTE_0 src1_sel:DWORD
	s_mov_b64 s[4:5], 0
                                        ; implicit-def: $sgpr10
	s_and_saveexec_b64 s[8:9], s[6:7]
	s_xor_b64 s[6:7], exec, s[8:9]
	s_cbranch_execz .LBB1_6117
; %bb.41957:
	s_getpc_b64 s[14:15]
.Lpost_getpc6642:
	s_add_u32 s14, s14, (.LBB1_20453-.Lpost_getpc6642)&4294967295
	s_addc_u32 s15, s15, (.LBB1_20453-.Lpost_getpc6642)>>32
	s_setpc_b64 s[14:15]
.LBB1_6117:
	s_or_saveexec_b64 s[6:7], s[6:7]
	v_mov_b32_e32 v3, s10
	s_xor_b64 exec, exec, s[6:7]
	s_cbranch_execz .LBB1_6118
; %bb.41959:
	s_getpc_b64 s[14:15]
.Lpost_getpc6643:
	s_add_u32 s14, s14, (.LBB1_20456-.Lpost_getpc6643)&4294967295
	s_addc_u32 s15, s15, (.LBB1_20456-.Lpost_getpc6643)>>32
	s_setpc_b64 s[14:15]
.LBB1_6118:
	s_or_b64 exec, exec, s[6:7]
	s_and_saveexec_b64 s[6:7], s[4:5]
	s_cbranch_execz .LBB1_6120
.LBB1_6119:
	v_mov_b32_e32 v3, 8
	v_and_b32_e32 v4, 7, v5
	v_lshrrev_b32_sdwa v3, v3, v5 dst_sel:BYTE_1 dst_unused:UNUSED_PAD src0_sel:DWORD src1_sel:DWORD
	v_ffbh_u32_e32 v6, v4
	v_or_b32_sdwa v3, v5, v3 dst_sel:DWORD dst_unused:UNUSED_PAD src0_sel:BYTE_0 src1_sel:DWORD
	v_min_u32_e32 v6, 32, v6
	v_lshrrev_b16_e32 v3, 3, v3
	v_subrev_u32_e32 v7, 28, v6
	v_and_b32_e32 v3, 15, v3
	v_lshlrev_b32_e32 v7, v7, v5
	v_sub_u32_e32 v6, 29, v6
	v_and_b32_e32 v7, 7, v7
	v_cmp_eq_u16_e32 vcc, 0, v3
	v_cndmask_b32_e32 v4, v4, v7, vcc
	v_cndmask_b32_e32 v3, v3, v6, vcc
	v_lshlrev_b32_e32 v6, 24, v5
	v_mov_b32_e32 v7, 0x3b800000
	v_lshlrev_b32_e32 v4, 20, v4
	v_and_b32_e32 v6, 0x80000000, v6
	v_lshl_add_u32 v3, v3, 23, v7
	v_or3_b32 v3, v6, v3, v4
.LBB1_6120:
	s_or_b64 exec, exec, s[6:7]
	s_nop 0
	v_mfma_f32_16x16x4f32 a[0:3], v2, v3, a[0:3]
	v_lshrrev_b32_e32 v3, 8, v9
	s_movk_i32 s4, 0x7f
	v_cmp_gt_i16_sdwa s[6:7], v3, s4 src0_sel:BYTE_0 src1_sel:DWORD
	s_mov_b64 s[4:5], 0
                                        ; implicit-def: $sgpr10
	s_and_saveexec_b64 s[8:9], s[6:7]
	s_xor_b64 s[6:7], exec, s[8:9]
	s_cbranch_execz .LBB1_6121
; %bb.41961:
	s_getpc_b64 s[14:15]
.Lpost_getpc6644:
	s_add_u32 s14, s14, (.LBB1_20457-.Lpost_getpc6644)&4294967295
	s_addc_u32 s15, s15, (.LBB1_20457-.Lpost_getpc6644)>>32
	s_setpc_b64 s[14:15]
.LBB1_6121:
	s_or_saveexec_b64 s[6:7], s[6:7]
	v_mov_b32_e32 v2, s10
	s_xor_b64 exec, exec, s[6:7]
	s_cbranch_execz .LBB1_6122
; %bb.41963:
	s_getpc_b64 s[14:15]
.Lpost_getpc6645:
	s_add_u32 s14, s14, (.LBB1_20460-.Lpost_getpc6645)&4294967295
	s_addc_u32 s15, s15, (.LBB1_20460-.Lpost_getpc6645)>>32
	s_setpc_b64 s[14:15]
.LBB1_6122:
	s_or_b64 exec, exec, s[6:7]
	s_and_saveexec_b64 s[6:7], s[4:5]
	s_cbranch_execz .LBB1_6124
.LBB1_6123:
	v_bfe_u32 v2, v9, 8, 3
	v_ffbh_u32_e32 v6, v2
	v_min_u32_e32 v6, 32, v6
	v_lshrrev_b16_e32 v4, 3, v3
	v_subrev_u32_e32 v7, 28, v6
	v_and_b32_e32 v4, 15, v4
	v_lshlrev_b32_e32 v3, v7, v3
	v_sub_u32_e32 v6, 29, v6
	v_and_b32_e32 v3, 7, v3
	v_cmp_eq_u16_e32 vcc, 0, v4
	v_cndmask_b32_e32 v2, v2, v3, vcc
	v_cndmask_b32_e32 v3, v4, v6, vcc
	v_lshlrev_b32_e32 v4, 16, v9
	v_mov_b32_e32 v6, 0x3b800000
	v_lshlrev_b32_e32 v2, 20, v2
	v_and_b32_e32 v4, 0x80000000, v4
	v_lshl_add_u32 v3, v3, 23, v6
	v_or3_b32 v2, v4, v3, v2
.LBB1_6124:
	s_or_b64 exec, exec, s[6:7]
	v_lshrrev_b32_e32 v3, 8, v5
	s_movk_i32 s4, 0x7f
	v_cmp_gt_i16_sdwa s[6:7], v3, s4 src0_sel:BYTE_0 src1_sel:DWORD
	s_mov_b64 s[4:5], 0
                                        ; implicit-def: $sgpr10
	s_and_saveexec_b64 s[8:9], s[6:7]
	s_xor_b64 s[6:7], exec, s[8:9]
	s_cbranch_execz .LBB1_6125
; %bb.41965:
	s_getpc_b64 s[14:15]
.Lpost_getpc6646:
	s_add_u32 s14, s14, (.LBB1_20461-.Lpost_getpc6646)&4294967295
	s_addc_u32 s15, s15, (.LBB1_20461-.Lpost_getpc6646)>>32
	s_setpc_b64 s[14:15]
.LBB1_6125:
	s_or_saveexec_b64 s[6:7], s[6:7]
	v_mov_b32_e32 v4, s10
	s_xor_b64 exec, exec, s[6:7]
	s_cbranch_execz .LBB1_6126
; %bb.41967:
	s_getpc_b64 s[14:15]
.Lpost_getpc6647:
	s_add_u32 s14, s14, (.LBB1_20464-.Lpost_getpc6647)&4294967295
	s_addc_u32 s15, s15, (.LBB1_20464-.Lpost_getpc6647)>>32
	s_setpc_b64 s[14:15]
.LBB1_6126:
	s_or_b64 exec, exec, s[6:7]
	s_and_saveexec_b64 s[6:7], s[4:5]
	s_cbranch_execz .LBB1_6128
.LBB1_6127:
	v_bfe_u32 v4, v5, 8, 3
	v_ffbh_u32_e32 v7, v4
	v_min_u32_e32 v7, 32, v7
	v_lshrrev_b16_e32 v6, 3, v3
	v_subrev_u32_e32 v8, 28, v7
	v_and_b32_e32 v6, 15, v6
	v_lshlrev_b32_e32 v3, v8, v3
	v_sub_u32_e32 v7, 29, v7
	v_and_b32_e32 v3, 7, v3
	v_cmp_eq_u16_e32 vcc, 0, v6
	v_cndmask_b32_e32 v3, v4, v3, vcc
	v_cndmask_b32_e32 v4, v6, v7, vcc
	v_lshlrev_b32_e32 v6, 16, v5
	v_mov_b32_e32 v7, 0x3b800000
	v_lshlrev_b32_e32 v3, 20, v3
	v_and_b32_e32 v6, 0x80000000, v6
	v_lshl_add_u32 v4, v4, 23, v7
	v_or3_b32 v4, v6, v4, v3
.LBB1_6128:
	s_or_b64 exec, exec, s[6:7]
	s_nop 0
	v_mfma_f32_16x16x4f32 a[0:3], v2, v4, a[0:3]
	s_movk_i32 s4, 0xff
	v_and_b32_sdwa v3, v9, s4 dst_sel:DWORD dst_unused:UNUSED_PAD src0_sel:WORD_1 src1_sel:DWORD
	s_movk_i32 s4, 0x7f
	v_cmp_lt_i16_e32 vcc, s4, v3
	s_mov_b64 s[4:5], 0
                                        ; implicit-def: $sgpr10
	s_and_saveexec_b64 s[6:7], vcc
	s_xor_b64 s[6:7], exec, s[6:7]
	s_cbranch_execz .LBB1_6129
; %bb.41969:
	s_getpc_b64 s[14:15]
.Lpost_getpc6648:
	s_add_u32 s14, s14, (.LBB1_20465-.Lpost_getpc6648)&4294967295
	s_addc_u32 s15, s15, (.LBB1_20465-.Lpost_getpc6648)>>32
	s_setpc_b64 s[14:15]
.LBB1_6129:
	s_or_saveexec_b64 s[6:7], s[6:7]
	v_mov_b32_e32 v2, s10
	s_xor_b64 exec, exec, s[6:7]
	s_cbranch_execz .LBB1_6130
; %bb.41971:
	s_getpc_b64 s[14:15]
.Lpost_getpc6649:
	s_add_u32 s14, s14, (.LBB1_20468-.Lpost_getpc6649)&4294967295
	s_addc_u32 s15, s15, (.LBB1_20468-.Lpost_getpc6649)>>32
	s_setpc_b64 s[14:15]
.LBB1_6130:
	s_or_b64 exec, exec, s[6:7]
	s_and_saveexec_b64 s[6:7], s[4:5]
	s_cbranch_execz .LBB1_6132
.LBB1_6131:
	v_bfe_u32 v2, v9, 16, 3
	v_ffbh_u32_e32 v6, v2
	v_min_u32_e32 v6, 32, v6
	v_lshrrev_b32_e32 v3, 19, v9
	v_subrev_u32_e32 v7, 28, v6
	v_and_b32_e32 v3, 15, v3
	v_lshlrev_b32_sdwa v7, v7, v9 dst_sel:DWORD dst_unused:UNUSED_PAD src0_sel:DWORD src1_sel:WORD_1
	v_bfe_u32 v4, v9, 19, 4
	v_sub_u32_e32 v6, 29, v6
	v_and_b32_e32 v7, 7, v7
	v_cmp_eq_u16_e32 vcc, 0, v3
	v_cndmask_b32_e32 v2, v2, v7, vcc
	v_cndmask_b32_e32 v3, v4, v6, vcc
	v_lshlrev_b32_e32 v4, 8, v9
	v_mov_b32_e32 v6, 0x3b800000
	v_lshlrev_b32_e32 v2, 20, v2
	v_and_b32_e32 v4, 0x80000000, v4
	v_lshl_add_u32 v3, v3, 23, v6
	v_or3_b32 v2, v4, v3, v2
.LBB1_6132:
	s_or_b64 exec, exec, s[6:7]
	s_movk_i32 s4, 0xff
	v_and_b32_sdwa v3, v5, s4 dst_sel:DWORD dst_unused:UNUSED_PAD src0_sel:WORD_1 src1_sel:DWORD
	s_movk_i32 s4, 0x7f
	v_cmp_lt_i16_e32 vcc, s4, v3
	s_mov_b64 s[4:5], 0
                                        ; implicit-def: $sgpr10
	s_and_saveexec_b64 s[6:7], vcc
	s_xor_b64 s[6:7], exec, s[6:7]
	s_cbranch_execz .LBB1_6133
; %bb.41973:
	s_getpc_b64 s[14:15]
.Lpost_getpc6650:
	s_add_u32 s14, s14, (.LBB1_20469-.Lpost_getpc6650)&4294967295
	s_addc_u32 s15, s15, (.LBB1_20469-.Lpost_getpc6650)>>32
	s_setpc_b64 s[14:15]
.LBB1_6133:
	s_or_saveexec_b64 s[6:7], s[6:7]
	v_mov_b32_e32 v4, s10
	s_xor_b64 exec, exec, s[6:7]
	s_cbranch_execz .LBB1_6134
; %bb.41975:
	s_getpc_b64 s[14:15]
.Lpost_getpc6651:
	s_add_u32 s14, s14, (.LBB1_20472-.Lpost_getpc6651)&4294967295
	s_addc_u32 s15, s15, (.LBB1_20472-.Lpost_getpc6651)>>32
	s_setpc_b64 s[14:15]
.LBB1_6134:
	s_or_b64 exec, exec, s[6:7]
	s_and_saveexec_b64 s[6:7], s[4:5]
	s_cbranch_execz .LBB1_6136
.LBB1_6135:
	v_bfe_u32 v3, v5, 16, 3
	v_ffbh_u32_e32 v7, v3
	v_min_u32_e32 v7, 32, v7
	v_lshrrev_b32_e32 v4, 19, v5
	v_subrev_u32_e32 v8, 28, v7
	v_and_b32_e32 v4, 15, v4
	v_lshlrev_b32_sdwa v8, v8, v5 dst_sel:DWORD dst_unused:UNUSED_PAD src0_sel:DWORD src1_sel:WORD_1
	v_bfe_u32 v6, v5, 19, 4
	v_sub_u32_e32 v7, 29, v7
	v_and_b32_e32 v8, 7, v8
	v_cmp_eq_u16_e32 vcc, 0, v4
	v_cndmask_b32_e32 v3, v3, v8, vcc
	v_cndmask_b32_e32 v4, v6, v7, vcc
	v_lshlrev_b32_e32 v6, 8, v5
	v_mov_b32_e32 v7, 0x3b800000
	v_lshlrev_b32_e32 v3, 20, v3
	v_and_b32_e32 v6, 0x80000000, v6
	v_lshl_add_u32 v4, v4, 23, v7
	v_or3_b32 v4, v6, v4, v3
.LBB1_6136:
	s_or_b64 exec, exec, s[6:7]
	s_nop 0
	v_mfma_f32_16x16x4f32 a[0:3], v2, v4, a[0:3]
	s_movk_i32 s4, 0x7f
	v_cmp_gt_i16_sdwa s[6:7], v9, s4 src0_sel:BYTE_3 src1_sel:DWORD
	s_mov_b64 s[4:5], 0
                                        ; implicit-def: $sgpr10
	s_and_saveexec_b64 s[8:9], s[6:7]
	s_xor_b64 s[6:7], exec, s[8:9]
	s_cbranch_execz .LBB1_6137
; %bb.41977:
	s_getpc_b64 s[14:15]
.Lpost_getpc6652:
	s_add_u32 s14, s14, (.LBB1_20473-.Lpost_getpc6652)&4294967295
	s_addc_u32 s15, s15, (.LBB1_20473-.Lpost_getpc6652)>>32
	s_setpc_b64 s[14:15]
.LBB1_6137:
	s_or_saveexec_b64 s[6:7], s[6:7]
	v_mov_b32_e32 v2, s10
	s_xor_b64 exec, exec, s[6:7]
	s_cbranch_execz .LBB1_6138
; %bb.41979:
	s_getpc_b64 s[14:15]
.Lpost_getpc6653:
	s_add_u32 s14, s14, (.LBB1_20476-.Lpost_getpc6653)&4294967295
	s_addc_u32 s15, s15, (.LBB1_20476-.Lpost_getpc6653)>>32
	s_setpc_b64 s[14:15]
.LBB1_6138:
	s_or_b64 exec, exec, s[6:7]
	s_and_saveexec_b64 s[6:7], s[4:5]
	s_cbranch_execz .LBB1_6140
.LBB1_6139:
	v_bfe_u32 v2, v9, 24, 3
	v_ffbh_u32_e32 v7, v2
	v_min_u32_e32 v7, 32, v7
	v_lshrrev_b32_e32 v4, 27, v9
	v_subrev_u32_e32 v8, 28, v7
	v_and_b32_e32 v4, 15, v4
	v_lshlrev_b32_sdwa v8, v8, v9 dst_sel:DWORD dst_unused:UNUSED_PAD src0_sel:DWORD src1_sel:BYTE_3
	v_bfe_u32 v6, v9, 27, 4
	v_sub_u32_e32 v7, 29, v7
	v_and_b32_e32 v8, 7, v8
	v_cmp_eq_u16_e32 vcc, 0, v4
	v_cndmask_b32_e32 v2, v2, v8, vcc
	v_cndmask_b32_e32 v4, v6, v7, vcc
	v_mov_b32_e32 v6, 0x3b800000
	v_and_b32_e32 v3, 0x80000000, v9
	v_lshlrev_b32_e32 v2, 20, v2
	v_lshl_add_u32 v4, v4, 23, v6
	v_or3_b32 v2, v3, v4, v2
.LBB1_6140:
	s_or_b64 exec, exec, s[6:7]
	s_movk_i32 s4, 0x7f
	v_cmp_gt_i16_sdwa s[6:7], v5, s4 src0_sel:BYTE_3 src1_sel:DWORD
	s_mov_b64 s[4:5], 0
                                        ; implicit-def: $sgpr10
	s_and_saveexec_b64 s[8:9], s[6:7]
	s_xor_b64 s[6:7], exec, s[8:9]
	s_cbranch_execz .LBB1_6141
; %bb.41981:
	s_getpc_b64 s[14:15]
.Lpost_getpc6654:
	s_add_u32 s14, s14, (.LBB1_20477-.Lpost_getpc6654)&4294967295
	s_addc_u32 s15, s15, (.LBB1_20477-.Lpost_getpc6654)>>32
	s_setpc_b64 s[14:15]
.LBB1_6141:
	s_or_saveexec_b64 s[6:7], s[6:7]
	v_mov_b32_e32 v3, s10
	s_xor_b64 exec, exec, s[6:7]
	s_cbranch_execz .LBB1_6142
; %bb.41983:
	s_getpc_b64 s[14:15]
.Lpost_getpc6655:
	s_add_u32 s14, s14, (.LBB1_20480-.Lpost_getpc6655)&4294967295
	s_addc_u32 s15, s15, (.LBB1_20480-.Lpost_getpc6655)>>32
	s_setpc_b64 s[14:15]
.LBB1_6142:
	s_or_b64 exec, exec, s[6:7]
	s_and_saveexec_b64 s[6:7], s[4:5]
	s_cbranch_execz .LBB1_6144
.LBB1_6143:
	v_bfe_u32 v3, v5, 24, 3
	v_ffbh_u32_e32 v8, v3
	v_min_u32_e32 v8, 32, v8
	v_lshrrev_b32_e32 v6, 27, v5
	v_subrev_u32_e32 v9, 28, v8
	v_and_b32_e32 v4, 0x80000000, v5
	v_and_b32_e32 v6, 15, v6
	v_bfe_u32 v7, v5, 27, 4
	v_lshlrev_b32_sdwa v5, v9, v5 dst_sel:DWORD dst_unused:UNUSED_PAD src0_sel:DWORD src1_sel:BYTE_3
	v_sub_u32_e32 v8, 29, v8
	v_and_b32_e32 v5, 7, v5
	v_cmp_eq_u16_e32 vcc, 0, v6
	v_cndmask_b32_e32 v3, v3, v5, vcc
	v_cndmask_b32_e32 v5, v7, v8, vcc
	v_mov_b32_e32 v6, 0x3b800000
	v_lshlrev_b32_e32 v3, 20, v3
	v_lshl_add_u32 v5, v5, 23, v6
	v_or3_b32 v3, v4, v5, v3
.LBB1_6144:
	s_or_b64 exec, exec, s[6:7]
	s_nop 0
	v_mfma_f32_16x16x4f32 a[0:3], v2, v3, a[0:3]
	s_movk_i32 s4, 0x7f
                                        ; implicit-def: $sgpr10
	s_nop 7
	s_nop 1
	flat_store_dwordx4 v[10:11], a[0:3] offset:752
	flat_load_dwordx4 v[12:15], v[0:1]
	s_nop 0
	flat_load_dwordx2 v[10:11], v[0:1] offset:16
	s_waitcnt vmcnt(0) lgkmcnt(0)
	flat_load_dwordx4 v[6:9], v[12:13] offset:96
	flat_load_dwordx4 v[2:5], v[14:15]
	s_waitcnt vmcnt(0) lgkmcnt(0)
	v_cmp_gt_i16_sdwa s[6:7], v6, s4 src0_sel:BYTE_0 src1_sel:DWORD
	s_mov_b64 s[4:5], 0
	s_and_saveexec_b64 s[8:9], s[6:7]
	s_xor_b64 s[6:7], exec, s[8:9]
	s_cbranch_execz .LBB1_6145
; %bb.41985:
	s_getpc_b64 s[14:15]
.Lpost_getpc6656:
	s_add_u32 s14, s14, (.LBB1_20481-.Lpost_getpc6656)&4294967295
	s_addc_u32 s15, s15, (.LBB1_20481-.Lpost_getpc6656)>>32
	s_setpc_b64 s[14:15]
.LBB1_6145:
	s_or_saveexec_b64 s[6:7], s[6:7]
	v_mov_b32_e32 v12, s10
	s_xor_b64 exec, exec, s[6:7]
	s_cbranch_execz .LBB1_6146
; %bb.41987:
	s_getpc_b64 s[14:15]
.Lpost_getpc6657:
	s_add_u32 s14, s14, (.LBB1_20484-.Lpost_getpc6657)&4294967295
	s_addc_u32 s15, s15, (.LBB1_20484-.Lpost_getpc6657)>>32
	s_setpc_b64 s[14:15]
.LBB1_6146:
	s_or_b64 exec, exec, s[6:7]
	s_and_saveexec_b64 s[6:7], s[4:5]
	s_cbranch_execz .LBB1_6148
.LBB1_6147:
	v_and_b32_e32 v12, 7, v6
	v_ffbh_u32_e32 v14, v12
	v_min_u32_e32 v14, 32, v14
	v_lshrrev_b16_e32 v13, 3, v6
	v_subrev_u32_e32 v15, 28, v14
	v_and_b32_e32 v13, 15, v13
	v_lshlrev_b32_e32 v15, v15, v6
	v_sub_u32_e32 v14, 29, v14
	v_and_b32_e32 v15, 7, v15
	v_cmp_eq_u16_e32 vcc, 0, v13
	v_cndmask_b32_e32 v12, v12, v15, vcc
	v_cndmask_b32_e32 v13, v13, v14, vcc
	v_lshlrev_b32_e32 v14, 24, v6
	v_mov_b32_e32 v15, 0x3b800000
	v_lshlrev_b32_e32 v12, 20, v12
	v_and_b32_e32 v14, 0x80000000, v14
	v_lshl_add_u32 v13, v13, 23, v15
	v_or3_b32 v12, v14, v13, v12
.LBB1_6148:
	s_or_b64 exec, exec, s[6:7]
	s_movk_i32 s4, 0x7f
	v_cmp_gt_i16_sdwa s[6:7], v2, s4 src0_sel:BYTE_0 src1_sel:DWORD
	s_mov_b64 s[4:5], 0
                                        ; implicit-def: $sgpr10
	s_and_saveexec_b64 s[8:9], s[6:7]
	s_xor_b64 s[6:7], exec, s[8:9]
	s_cbranch_execz .LBB1_6149
; %bb.41989:
	s_getpc_b64 s[14:15]
.Lpost_getpc6658:
	s_add_u32 s14, s14, (.LBB1_20485-.Lpost_getpc6658)&4294967295
	s_addc_u32 s15, s15, (.LBB1_20485-.Lpost_getpc6658)>>32
	s_setpc_b64 s[14:15]
.LBB1_6149:
	s_or_saveexec_b64 s[6:7], s[6:7]
	v_mov_b32_e32 v13, s10
	s_xor_b64 exec, exec, s[6:7]
	s_cbranch_execz .LBB1_6150
; %bb.41991:
	s_getpc_b64 s[14:15]
.Lpost_getpc6659:
	s_add_u32 s14, s14, (.LBB1_20488-.Lpost_getpc6659)&4294967295
	s_addc_u32 s15, s15, (.LBB1_20488-.Lpost_getpc6659)>>32
	s_setpc_b64 s[14:15]
.LBB1_6150:
	s_or_b64 exec, exec, s[6:7]
	s_and_saveexec_b64 s[6:7], s[4:5]
	s_cbranch_execz .LBB1_6152
.LBB1_6151:
	v_and_b32_e32 v13, 7, v2
	v_ffbh_u32_e32 v15, v13
	v_min_u32_e32 v15, 32, v15
	v_lshrrev_b16_e32 v14, 3, v2
	v_subrev_u32_e32 v16, 28, v15
	v_and_b32_e32 v14, 15, v14
	v_lshlrev_b32_e32 v16, v16, v2
	v_sub_u32_e32 v15, 29, v15
	v_and_b32_e32 v16, 7, v16
	v_cmp_eq_u16_e32 vcc, 0, v14
	v_cndmask_b32_e32 v13, v13, v16, vcc
	v_cndmask_b32_e32 v14, v14, v15, vcc
	v_lshlrev_b32_e32 v15, 24, v2
	v_mov_b32_e32 v16, 0x3b800000
	v_lshlrev_b32_e32 v13, 20, v13
	v_and_b32_e32 v15, 0x80000000, v15
	v_lshl_add_u32 v14, v14, 23, v16
	v_or3_b32 v13, v15, v14, v13
.LBB1_6152:
	s_or_b64 exec, exec, s[6:7]
	flat_load_dwordx4 a[0:3], v[10:11] offset:768
	s_movk_i32 s4, 0x7f
                                        ; implicit-def: $sgpr10
	s_waitcnt vmcnt(0) lgkmcnt(0)
	v_mfma_f32_16x16x4f32 a[0:3], v12, v13, a[0:3]
	v_lshrrev_b32_e32 v13, 8, v6
	v_cmp_gt_i16_sdwa s[6:7], v13, s4 src0_sel:BYTE_0 src1_sel:DWORD
	s_mov_b64 s[4:5], 0
	s_and_saveexec_b64 s[8:9], s[6:7]
	s_xor_b64 s[6:7], exec, s[8:9]
	s_cbranch_execz .LBB1_6153
; %bb.41993:
	s_getpc_b64 s[14:15]
.Lpost_getpc6660:
	s_add_u32 s14, s14, (.LBB1_20489-.Lpost_getpc6660)&4294967295
	s_addc_u32 s15, s15, (.LBB1_20489-.Lpost_getpc6660)>>32
	s_setpc_b64 s[14:15]
.LBB1_6153:
	s_or_saveexec_b64 s[6:7], s[6:7]
	v_mov_b32_e32 v12, s10
	s_xor_b64 exec, exec, s[6:7]
	s_cbranch_execz .LBB1_6154
; %bb.41995:
	s_getpc_b64 s[14:15]
.Lpost_getpc6661:
	s_add_u32 s14, s14, (.LBB1_20492-.Lpost_getpc6661)&4294967295
	s_addc_u32 s15, s15, (.LBB1_20492-.Lpost_getpc6661)>>32
	s_setpc_b64 s[14:15]
.LBB1_6154:
	s_or_b64 exec, exec, s[6:7]
	s_and_saveexec_b64 s[6:7], s[4:5]
	s_cbranch_execz .LBB1_6156
.LBB1_6155:
	v_bfe_u32 v12, v6, 8, 3
	v_ffbh_u32_e32 v15, v12
	v_min_u32_e32 v15, 32, v15
	v_lshrrev_b16_e32 v14, 3, v13
	v_subrev_u32_e32 v16, 28, v15
	v_and_b32_e32 v14, 15, v14
	v_lshlrev_b32_e32 v13, v16, v13
	v_sub_u32_e32 v15, 29, v15
	v_and_b32_e32 v13, 7, v13
	v_cmp_eq_u16_e32 vcc, 0, v14
	v_cndmask_b32_e32 v12, v12, v13, vcc
	v_cndmask_b32_e32 v13, v14, v15, vcc
	v_lshlrev_b32_e32 v14, 16, v6
	v_mov_b32_e32 v15, 0x3b800000
	v_lshlrev_b32_e32 v12, 20, v12
	v_and_b32_e32 v14, 0x80000000, v14
	v_lshl_add_u32 v13, v13, 23, v15
	v_or3_b32 v12, v14, v13, v12
.LBB1_6156:
	s_or_b64 exec, exec, s[6:7]
	v_lshrrev_b32_e32 v13, 8, v2
	s_movk_i32 s4, 0x7f
	v_cmp_gt_i16_sdwa s[6:7], v13, s4 src0_sel:BYTE_0 src1_sel:DWORD
	s_mov_b64 s[4:5], 0
                                        ; implicit-def: $sgpr10
	s_and_saveexec_b64 s[8:9], s[6:7]
	s_xor_b64 s[6:7], exec, s[8:9]
	s_cbranch_execz .LBB1_6157
; %bb.41997:
	s_getpc_b64 s[14:15]
.Lpost_getpc6662:
	s_add_u32 s14, s14, (.LBB1_20493-.Lpost_getpc6662)&4294967295
	s_addc_u32 s15, s15, (.LBB1_20493-.Lpost_getpc6662)>>32
	s_setpc_b64 s[14:15]
.LBB1_6157:
	s_or_saveexec_b64 s[6:7], s[6:7]
	v_mov_b32_e32 v14, s10
	s_xor_b64 exec, exec, s[6:7]
	s_cbranch_execz .LBB1_6158
; %bb.41999:
	s_getpc_b64 s[14:15]
.Lpost_getpc6663:
	s_add_u32 s14, s14, (.LBB1_20496-.Lpost_getpc6663)&4294967295
	s_addc_u32 s15, s15, (.LBB1_20496-.Lpost_getpc6663)>>32
	s_setpc_b64 s[14:15]
.LBB1_6158:
	s_or_b64 exec, exec, s[6:7]
	s_and_saveexec_b64 s[6:7], s[4:5]
	s_cbranch_execz .LBB1_6160
.LBB1_6159:
	v_bfe_u32 v14, v2, 8, 3
	v_ffbh_u32_e32 v16, v14
	v_min_u32_e32 v16, 32, v16
	v_lshrrev_b16_e32 v15, 3, v13
	v_subrev_u32_e32 v17, 28, v16
	v_and_b32_e32 v15, 15, v15
	v_lshlrev_b32_e32 v13, v17, v13
	v_sub_u32_e32 v16, 29, v16
	v_and_b32_e32 v13, 7, v13
	v_cmp_eq_u16_e32 vcc, 0, v15
	v_cndmask_b32_e32 v13, v14, v13, vcc
	v_cndmask_b32_e32 v14, v15, v16, vcc
	v_lshlrev_b32_e32 v15, 16, v2
	v_mov_b32_e32 v16, 0x3b800000
	v_lshlrev_b32_e32 v13, 20, v13
	v_and_b32_e32 v15, 0x80000000, v15
	v_lshl_add_u32 v14, v14, 23, v16
	v_or3_b32 v14, v15, v14, v13
.LBB1_6160:
	s_or_b64 exec, exec, s[6:7]
	s_nop 0
	v_mfma_f32_16x16x4f32 a[0:3], v12, v14, a[0:3]
	s_movk_i32 s4, 0xff
	v_and_b32_sdwa v13, v6, s4 dst_sel:DWORD dst_unused:UNUSED_PAD src0_sel:WORD_1 src1_sel:DWORD
	s_movk_i32 s4, 0x7f
	v_cmp_lt_i16_e32 vcc, s4, v13
	s_mov_b64 s[4:5], 0
                                        ; implicit-def: $sgpr10
	s_and_saveexec_b64 s[6:7], vcc
	s_xor_b64 s[6:7], exec, s[6:7]
	s_cbranch_execz .LBB1_6161
; %bb.42001:
	s_getpc_b64 s[14:15]
.Lpost_getpc6664:
	s_add_u32 s14, s14, (.LBB1_20497-.Lpost_getpc6664)&4294967295
	s_addc_u32 s15, s15, (.LBB1_20497-.Lpost_getpc6664)>>32
	s_setpc_b64 s[14:15]
.LBB1_6161:
	s_or_saveexec_b64 s[6:7], s[6:7]
	v_mov_b32_e32 v12, s10
	s_xor_b64 exec, exec, s[6:7]
	s_cbranch_execz .LBB1_6162
; %bb.42003:
	s_getpc_b64 s[14:15]
.Lpost_getpc6665:
	s_add_u32 s14, s14, (.LBB1_20500-.Lpost_getpc6665)&4294967295
	s_addc_u32 s15, s15, (.LBB1_20500-.Lpost_getpc6665)>>32
	s_setpc_b64 s[14:15]
.LBB1_6162:
	s_or_b64 exec, exec, s[6:7]
	s_and_saveexec_b64 s[6:7], s[4:5]
	s_cbranch_execz .LBB1_6164
.LBB1_6163:
	v_bfe_u32 v12, v6, 16, 3
	v_ffbh_u32_e32 v15, v12
	v_min_u32_e32 v15, 32, v15
	v_lshrrev_b32_e32 v13, 19, v6
	v_subrev_u32_e32 v16, 28, v15
	v_and_b32_e32 v13, 15, v13
	v_lshlrev_b32_sdwa v16, v16, v6 dst_sel:DWORD dst_unused:UNUSED_PAD src0_sel:DWORD src1_sel:WORD_1
	v_bfe_u32 v14, v6, 19, 4
	v_sub_u32_e32 v15, 29, v15
	v_and_b32_e32 v16, 7, v16
	v_cmp_eq_u16_e32 vcc, 0, v13
	v_cndmask_b32_e32 v12, v12, v16, vcc
	v_cndmask_b32_e32 v13, v14, v15, vcc
	v_lshlrev_b32_e32 v14, 8, v6
	v_mov_b32_e32 v15, 0x3b800000
	v_lshlrev_b32_e32 v12, 20, v12
	v_and_b32_e32 v14, 0x80000000, v14
	v_lshl_add_u32 v13, v13, 23, v15
	v_or3_b32 v12, v14, v13, v12
.LBB1_6164:
	s_or_b64 exec, exec, s[6:7]
	s_movk_i32 s4, 0xff
	v_and_b32_sdwa v13, v2, s4 dst_sel:DWORD dst_unused:UNUSED_PAD src0_sel:WORD_1 src1_sel:DWORD
	s_movk_i32 s4, 0x7f
	v_cmp_lt_i16_e32 vcc, s4, v13
	s_mov_b64 s[4:5], 0
                                        ; implicit-def: $sgpr10
	s_and_saveexec_b64 s[6:7], vcc
	s_xor_b64 s[6:7], exec, s[6:7]
	s_cbranch_execz .LBB1_6165
; %bb.42005:
	s_getpc_b64 s[14:15]
.Lpost_getpc6666:
	s_add_u32 s14, s14, (.LBB1_20501-.Lpost_getpc6666)&4294967295
	s_addc_u32 s15, s15, (.LBB1_20501-.Lpost_getpc6666)>>32
	s_setpc_b64 s[14:15]
.LBB1_6165:
	s_or_saveexec_b64 s[6:7], s[6:7]
	v_mov_b32_e32 v14, s10
	s_xor_b64 exec, exec, s[6:7]
	s_cbranch_execz .LBB1_6166
; %bb.42007:
	s_getpc_b64 s[14:15]
.Lpost_getpc6667:
	s_add_u32 s14, s14, (.LBB1_20504-.Lpost_getpc6667)&4294967295
	s_addc_u32 s15, s15, (.LBB1_20504-.Lpost_getpc6667)>>32
	s_setpc_b64 s[14:15]
.LBB1_6166:
	s_or_b64 exec, exec, s[6:7]
	s_and_saveexec_b64 s[6:7], s[4:5]
	s_cbranch_execz .LBB1_6168
.LBB1_6167:
	v_bfe_u32 v13, v2, 16, 3
	v_ffbh_u32_e32 v16, v13
	v_min_u32_e32 v16, 32, v16
	v_lshrrev_b32_e32 v14, 19, v2
	v_subrev_u32_e32 v17, 28, v16
	v_and_b32_e32 v14, 15, v14
	v_lshlrev_b32_sdwa v17, v17, v2 dst_sel:DWORD dst_unused:UNUSED_PAD src0_sel:DWORD src1_sel:WORD_1
	v_bfe_u32 v15, v2, 19, 4
	v_sub_u32_e32 v16, 29, v16
	v_and_b32_e32 v17, 7, v17
	v_cmp_eq_u16_e32 vcc, 0, v14
	v_cndmask_b32_e32 v13, v13, v17, vcc
	v_cndmask_b32_e32 v14, v15, v16, vcc
	v_lshlrev_b32_e32 v15, 8, v2
	v_mov_b32_e32 v16, 0x3b800000
	v_lshlrev_b32_e32 v13, 20, v13
	v_and_b32_e32 v15, 0x80000000, v15
	v_lshl_add_u32 v14, v14, 23, v16
	v_or3_b32 v14, v15, v14, v13
.LBB1_6168:
	s_or_b64 exec, exec, s[6:7]
	s_nop 0
	v_mfma_f32_16x16x4f32 a[0:3], v12, v14, a[0:3]
	s_movk_i32 s4, 0x7f
	v_cmp_gt_i16_sdwa s[6:7], v6, s4 src0_sel:BYTE_3 src1_sel:DWORD
	s_mov_b64 s[4:5], 0
                                        ; implicit-def: $sgpr10
	s_and_saveexec_b64 s[8:9], s[6:7]
	s_xor_b64 s[6:7], exec, s[8:9]
	s_cbranch_execz .LBB1_6169
; %bb.42009:
	s_getpc_b64 s[14:15]
.Lpost_getpc6668:
	s_add_u32 s14, s14, (.LBB1_20505-.Lpost_getpc6668)&4294967295
	s_addc_u32 s15, s15, (.LBB1_20505-.Lpost_getpc6668)>>32
	s_setpc_b64 s[14:15]
.LBB1_6169:
	s_or_saveexec_b64 s[6:7], s[6:7]
	v_mov_b32_e32 v12, s10
	s_xor_b64 exec, exec, s[6:7]
	s_cbranch_execz .LBB1_6170
; %bb.42011:
	s_getpc_b64 s[14:15]
.Lpost_getpc6669:
	s_add_u32 s14, s14, (.LBB1_20508-.Lpost_getpc6669)&4294967295
	s_addc_u32 s15, s15, (.LBB1_20508-.Lpost_getpc6669)>>32
	s_setpc_b64 s[14:15]
.LBB1_6170:
	s_or_b64 exec, exec, s[6:7]
	s_and_saveexec_b64 s[6:7], s[4:5]
	s_cbranch_execz .LBB1_6172
.LBB1_6171:
	v_bfe_u32 v12, v6, 24, 3
	v_ffbh_u32_e32 v16, v12
	v_min_u32_e32 v16, 32, v16
	v_lshrrev_b32_e32 v14, 27, v6
	v_subrev_u32_e32 v17, 28, v16
	v_and_b32_e32 v13, 0x80000000, v6
	v_and_b32_e32 v14, 15, v14
	v_bfe_u32 v15, v6, 27, 4
	v_lshlrev_b32_sdwa v6, v17, v6 dst_sel:DWORD dst_unused:UNUSED_PAD src0_sel:DWORD src1_sel:BYTE_3
	v_sub_u32_e32 v16, 29, v16
	v_and_b32_e32 v6, 7, v6
	v_cmp_eq_u16_e32 vcc, 0, v14
	v_cndmask_b32_e32 v6, v12, v6, vcc
	v_cndmask_b32_e32 v12, v15, v16, vcc
	v_mov_b32_e32 v14, 0x3b800000
	v_lshlrev_b32_e32 v6, 20, v6
	v_lshl_add_u32 v12, v12, 23, v14
	v_or3_b32 v12, v13, v12, v6
.LBB1_6172:
	s_or_b64 exec, exec, s[6:7]
	s_movk_i32 s4, 0x7f
	v_cmp_gt_i16_sdwa s[6:7], v2, s4 src0_sel:BYTE_3 src1_sel:DWORD
	s_mov_b64 s[4:5], 0
                                        ; implicit-def: $sgpr10
	s_and_saveexec_b64 s[8:9], s[6:7]
	s_xor_b64 s[6:7], exec, s[8:9]
	s_cbranch_execz .LBB1_6173
; %bb.42013:
	s_getpc_b64 s[14:15]
.Lpost_getpc6670:
	s_add_u32 s14, s14, (.LBB1_20509-.Lpost_getpc6670)&4294967295
	s_addc_u32 s15, s15, (.LBB1_20509-.Lpost_getpc6670)>>32
	s_setpc_b64 s[14:15]
.LBB1_6173:
	s_or_saveexec_b64 s[6:7], s[6:7]
	v_mov_b32_e32 v6, s10
	s_xor_b64 exec, exec, s[6:7]
	s_cbranch_execz .LBB1_6174
; %bb.42015:
	s_getpc_b64 s[14:15]
.Lpost_getpc6671:
	s_add_u32 s14, s14, (.LBB1_20512-.Lpost_getpc6671)&4294967295
	s_addc_u32 s15, s15, (.LBB1_20512-.Lpost_getpc6671)>>32
	s_setpc_b64 s[14:15]
.LBB1_6174:
	s_or_b64 exec, exec, s[6:7]
	s_and_saveexec_b64 s[6:7], s[4:5]
	s_cbranch_execz .LBB1_6176
.LBB1_6175:
	v_bfe_u32 v6, v2, 24, 3
	v_ffbh_u32_e32 v16, v6
	v_min_u32_e32 v16, 32, v16
	v_lshrrev_b32_e32 v14, 27, v2
	v_subrev_u32_e32 v17, 28, v16
	v_and_b32_e32 v13, 0x80000000, v2
	v_and_b32_e32 v14, 15, v14
	v_bfe_u32 v15, v2, 27, 4
	v_lshlrev_b32_sdwa v2, v17, v2 dst_sel:DWORD dst_unused:UNUSED_PAD src0_sel:DWORD src1_sel:BYTE_3
	v_sub_u32_e32 v16, 29, v16
	v_and_b32_e32 v2, 7, v2
	v_cmp_eq_u16_e32 vcc, 0, v14
	v_cndmask_b32_e32 v2, v6, v2, vcc
	v_cndmask_b32_e32 v6, v15, v16, vcc
	v_mov_b32_e32 v14, 0x3b800000
	v_lshlrev_b32_e32 v2, 20, v2
	v_lshl_add_u32 v6, v6, 23, v14
	v_or3_b32 v6, v13, v6, v2
.LBB1_6176:
	s_or_b64 exec, exec, s[6:7]
	s_nop 0
	v_mfma_f32_16x16x4f32 a[0:3], v12, v6, a[0:3]
	s_movk_i32 s4, 0x7f
	v_cmp_gt_i16_sdwa s[6:7], v7, s4 src0_sel:BYTE_0 src1_sel:DWORD
	s_mov_b64 s[4:5], 0
                                        ; implicit-def: $sgpr10
	s_and_saveexec_b64 s[8:9], s[6:7]
	s_xor_b64 s[6:7], exec, s[8:9]
	s_cbranch_execz .LBB1_6177
; %bb.42017:
	s_getpc_b64 s[14:15]
.Lpost_getpc6672:
	s_add_u32 s14, s14, (.LBB1_20513-.Lpost_getpc6672)&4294967295
	s_addc_u32 s15, s15, (.LBB1_20513-.Lpost_getpc6672)>>32
	s_setpc_b64 s[14:15]
.LBB1_6177:
	s_or_saveexec_b64 s[6:7], s[6:7]
	v_mov_b32_e32 v2, s10
	s_xor_b64 exec, exec, s[6:7]
	s_cbranch_execz .LBB1_6178
; %bb.42019:
	s_getpc_b64 s[14:15]
.Lpost_getpc6673:
	s_add_u32 s14, s14, (.LBB1_20516-.Lpost_getpc6673)&4294967295
	s_addc_u32 s15, s15, (.LBB1_20516-.Lpost_getpc6673)>>32
	s_setpc_b64 s[14:15]
.LBB1_6178:
	s_or_b64 exec, exec, s[6:7]
	s_and_saveexec_b64 s[6:7], s[4:5]
	s_cbranch_execz .LBB1_6180
.LBB1_6179:
	v_and_b32_e32 v2, 7, v7
	v_ffbh_u32_e32 v12, v2
	v_min_u32_e32 v12, 32, v12
	v_lshrrev_b16_e32 v6, 3, v7
	v_subrev_u32_e32 v13, 28, v12
	v_and_b32_e32 v6, 15, v6
	v_lshlrev_b32_e32 v13, v13, v7
	v_sub_u32_e32 v12, 29, v12
	v_and_b32_e32 v13, 7, v13
	v_cmp_eq_u16_e32 vcc, 0, v6
	v_cndmask_b32_e32 v2, v2, v13, vcc
	v_cndmask_b32_e32 v6, v6, v12, vcc
	v_lshlrev_b32_e32 v12, 24, v7
	v_mov_b32_e32 v13, 0x3b800000
	v_lshlrev_b32_e32 v2, 20, v2
	v_and_b32_e32 v12, 0x80000000, v12
	v_lshl_add_u32 v6, v6, 23, v13
	v_or3_b32 v2, v12, v6, v2
.LBB1_6180:
	s_or_b64 exec, exec, s[6:7]
	s_movk_i32 s4, 0x7f
	v_cmp_gt_i16_sdwa s[6:7], v3, s4 src0_sel:BYTE_0 src1_sel:DWORD
	s_mov_b64 s[4:5], 0
                                        ; implicit-def: $sgpr10
	s_and_saveexec_b64 s[8:9], s[6:7]
	s_xor_b64 s[6:7], exec, s[8:9]
	s_cbranch_execz .LBB1_6181
; %bb.42021:
	s_getpc_b64 s[14:15]
.Lpost_getpc6674:
	s_add_u32 s14, s14, (.LBB1_20517-.Lpost_getpc6674)&4294967295
	s_addc_u32 s15, s15, (.LBB1_20517-.Lpost_getpc6674)>>32
	s_setpc_b64 s[14:15]
.LBB1_6181:
	s_or_saveexec_b64 s[6:7], s[6:7]
	v_mov_b32_e32 v6, s10
	s_xor_b64 exec, exec, s[6:7]
	s_cbranch_execz .LBB1_6182
; %bb.42023:
	s_getpc_b64 s[14:15]
.Lpost_getpc6675:
	s_add_u32 s14, s14, (.LBB1_20520-.Lpost_getpc6675)&4294967295
	s_addc_u32 s15, s15, (.LBB1_20520-.Lpost_getpc6675)>>32
	s_setpc_b64 s[14:15]
.LBB1_6182:
	s_or_b64 exec, exec, s[6:7]
	s_and_saveexec_b64 s[6:7], s[4:5]
	s_cbranch_execz .LBB1_6184
.LBB1_6183:
	v_and_b32_e32 v6, 7, v3
	v_ffbh_u32_e32 v13, v6
	v_min_u32_e32 v13, 32, v13
	v_lshrrev_b16_e32 v12, 3, v3
	v_subrev_u32_e32 v14, 28, v13
	v_and_b32_e32 v12, 15, v12
	v_lshlrev_b32_e32 v14, v14, v3
	v_sub_u32_e32 v13, 29, v13
	v_and_b32_e32 v14, 7, v14
	v_cmp_eq_u16_e32 vcc, 0, v12
	v_cndmask_b32_e32 v6, v6, v14, vcc
	v_cndmask_b32_e32 v12, v12, v13, vcc
	v_lshlrev_b32_e32 v13, 24, v3
	v_mov_b32_e32 v14, 0x3b800000
	v_lshlrev_b32_e32 v6, 20, v6
	v_and_b32_e32 v13, 0x80000000, v13
	v_lshl_add_u32 v12, v12, 23, v14
	v_or3_b32 v6, v13, v12, v6
.LBB1_6184:
	s_or_b64 exec, exec, s[6:7]
	s_nop 0
	v_mfma_f32_16x16x4f32 a[0:3], v2, v6, a[0:3]
	v_lshrrev_b32_e32 v6, 8, v7
	s_movk_i32 s4, 0x7f
	v_cmp_gt_i16_sdwa s[6:7], v6, s4 src0_sel:BYTE_0 src1_sel:DWORD
	s_mov_b64 s[4:5], 0
                                        ; implicit-def: $sgpr10
	s_and_saveexec_b64 s[8:9], s[6:7]
	s_xor_b64 s[6:7], exec, s[8:9]
	s_cbranch_execz .LBB1_6185
; %bb.42025:
	s_getpc_b64 s[14:15]
.Lpost_getpc6676:
	s_add_u32 s14, s14, (.LBB1_20521-.Lpost_getpc6676)&4294967295
	s_addc_u32 s15, s15, (.LBB1_20521-.Lpost_getpc6676)>>32
	s_setpc_b64 s[14:15]
.LBB1_6185:
	s_or_saveexec_b64 s[6:7], s[6:7]
	v_mov_b32_e32 v2, s10
	s_xor_b64 exec, exec, s[6:7]
	s_cbranch_execz .LBB1_6186
; %bb.42027:
	s_getpc_b64 s[14:15]
.Lpost_getpc6677:
	s_add_u32 s14, s14, (.LBB1_20524-.Lpost_getpc6677)&4294967295
	s_addc_u32 s15, s15, (.LBB1_20524-.Lpost_getpc6677)>>32
	s_setpc_b64 s[14:15]
.LBB1_6186:
	s_or_b64 exec, exec, s[6:7]
	s_and_saveexec_b64 s[6:7], s[4:5]
	s_cbranch_execz .LBB1_6188
.LBB1_6187:
	v_bfe_u32 v2, v7, 8, 3
	v_ffbh_u32_e32 v13, v2
	v_min_u32_e32 v13, 32, v13
	v_lshrrev_b16_e32 v12, 3, v6
	v_subrev_u32_e32 v14, 28, v13
	v_and_b32_e32 v12, 15, v12
	v_lshlrev_b32_e32 v6, v14, v6
	v_sub_u32_e32 v13, 29, v13
	v_and_b32_e32 v6, 7, v6
	v_cmp_eq_u16_e32 vcc, 0, v12
	v_cndmask_b32_e32 v2, v2, v6, vcc
	v_cndmask_b32_e32 v6, v12, v13, vcc
	v_lshlrev_b32_e32 v12, 16, v7
	v_mov_b32_e32 v13, 0x3b800000
	v_lshlrev_b32_e32 v2, 20, v2
	v_and_b32_e32 v12, 0x80000000, v12
	v_lshl_add_u32 v6, v6, 23, v13
	v_or3_b32 v2, v12, v6, v2
.LBB1_6188:
	s_or_b64 exec, exec, s[6:7]
	v_lshrrev_b32_e32 v6, 8, v3
	s_movk_i32 s4, 0x7f
	v_cmp_gt_i16_sdwa s[6:7], v6, s4 src0_sel:BYTE_0 src1_sel:DWORD
	s_mov_b64 s[4:5], 0
                                        ; implicit-def: $sgpr10
	s_and_saveexec_b64 s[8:9], s[6:7]
	s_xor_b64 s[6:7], exec, s[8:9]
	s_cbranch_execz .LBB1_6189
; %bb.42029:
	s_getpc_b64 s[14:15]
.Lpost_getpc6678:
	s_add_u32 s14, s14, (.LBB1_20525-.Lpost_getpc6678)&4294967295
	s_addc_u32 s15, s15, (.LBB1_20525-.Lpost_getpc6678)>>32
	s_setpc_b64 s[14:15]
.LBB1_6189:
	s_or_saveexec_b64 s[6:7], s[6:7]
	v_mov_b32_e32 v12, s10
	s_xor_b64 exec, exec, s[6:7]
	s_cbranch_execz .LBB1_6190
; %bb.42031:
	s_getpc_b64 s[14:15]
.Lpost_getpc6679:
	s_add_u32 s14, s14, (.LBB1_20528-.Lpost_getpc6679)&4294967295
	s_addc_u32 s15, s15, (.LBB1_20528-.Lpost_getpc6679)>>32
	s_setpc_b64 s[14:15]
.LBB1_6190:
	s_or_b64 exec, exec, s[6:7]
	s_and_saveexec_b64 s[6:7], s[4:5]
	s_cbranch_execz .LBB1_6192
.LBB1_6191:
	v_bfe_u32 v12, v3, 8, 3
	v_ffbh_u32_e32 v14, v12
	v_min_u32_e32 v14, 32, v14
	v_lshrrev_b16_e32 v13, 3, v6
	v_subrev_u32_e32 v15, 28, v14
	v_and_b32_e32 v13, 15, v13
	v_lshlrev_b32_e32 v6, v15, v6
	v_sub_u32_e32 v14, 29, v14
	v_and_b32_e32 v6, 7, v6
	v_cmp_eq_u16_e32 vcc, 0, v13
	v_cndmask_b32_e32 v6, v12, v6, vcc
	v_cndmask_b32_e32 v12, v13, v14, vcc
	v_lshlrev_b32_e32 v13, 16, v3
	v_mov_b32_e32 v14, 0x3b800000
	v_lshlrev_b32_e32 v6, 20, v6
	v_and_b32_e32 v13, 0x80000000, v13
	v_lshl_add_u32 v12, v12, 23, v14
	v_or3_b32 v12, v13, v12, v6
.LBB1_6192:
	s_or_b64 exec, exec, s[6:7]
	s_nop 0
	v_mfma_f32_16x16x4f32 a[0:3], v2, v12, a[0:3]
	s_movk_i32 s4, 0xff
	v_and_b32_sdwa v6, v7, s4 dst_sel:DWORD dst_unused:UNUSED_PAD src0_sel:WORD_1 src1_sel:DWORD
	s_movk_i32 s4, 0x7f
	v_cmp_lt_i16_e32 vcc, s4, v6
	s_mov_b64 s[4:5], 0
                                        ; implicit-def: $sgpr10
	s_and_saveexec_b64 s[6:7], vcc
	s_xor_b64 s[6:7], exec, s[6:7]
	s_cbranch_execz .LBB1_6193
; %bb.42033:
	s_getpc_b64 s[14:15]
.Lpost_getpc6680:
	s_add_u32 s14, s14, (.LBB1_20529-.Lpost_getpc6680)&4294967295
	s_addc_u32 s15, s15, (.LBB1_20529-.Lpost_getpc6680)>>32
	s_setpc_b64 s[14:15]
.LBB1_6193:
	s_or_saveexec_b64 s[6:7], s[6:7]
	v_mov_b32_e32 v2, s10
	s_xor_b64 exec, exec, s[6:7]
	s_cbranch_execz .LBB1_6194
; %bb.42035:
	s_getpc_b64 s[14:15]
.Lpost_getpc6681:
	s_add_u32 s14, s14, (.LBB1_20532-.Lpost_getpc6681)&4294967295
	s_addc_u32 s15, s15, (.LBB1_20532-.Lpost_getpc6681)>>32
	s_setpc_b64 s[14:15]
.LBB1_6194:
	s_or_b64 exec, exec, s[6:7]
	s_and_saveexec_b64 s[6:7], s[4:5]
	s_cbranch_execz .LBB1_6196
.LBB1_6195:
	v_bfe_u32 v2, v7, 16, 3
	v_ffbh_u32_e32 v13, v2
	v_min_u32_e32 v13, 32, v13
	v_lshrrev_b32_e32 v6, 19, v7
	v_subrev_u32_e32 v14, 28, v13
	v_and_b32_e32 v6, 15, v6
	v_lshlrev_b32_sdwa v14, v14, v7 dst_sel:DWORD dst_unused:UNUSED_PAD src0_sel:DWORD src1_sel:WORD_1
	v_bfe_u32 v12, v7, 19, 4
	v_sub_u32_e32 v13, 29, v13
	v_and_b32_e32 v14, 7, v14
	v_cmp_eq_u16_e32 vcc, 0, v6
	v_cndmask_b32_e32 v2, v2, v14, vcc
	v_cndmask_b32_e32 v6, v12, v13, vcc
	v_lshlrev_b32_e32 v12, 8, v7
	v_mov_b32_e32 v13, 0x3b800000
	v_lshlrev_b32_e32 v2, 20, v2
	v_and_b32_e32 v12, 0x80000000, v12
	v_lshl_add_u32 v6, v6, 23, v13
	v_or3_b32 v2, v12, v6, v2
.LBB1_6196:
	s_or_b64 exec, exec, s[6:7]
	s_movk_i32 s4, 0xff
	v_and_b32_sdwa v6, v3, s4 dst_sel:DWORD dst_unused:UNUSED_PAD src0_sel:WORD_1 src1_sel:DWORD
	s_movk_i32 s4, 0x7f
	v_cmp_lt_i16_e32 vcc, s4, v6
	s_mov_b64 s[4:5], 0
                                        ; implicit-def: $sgpr10
	s_and_saveexec_b64 s[6:7], vcc
	s_xor_b64 s[6:7], exec, s[6:7]
	s_cbranch_execz .LBB1_6197
; %bb.42037:
	s_getpc_b64 s[14:15]
.Lpost_getpc6682:
	s_add_u32 s14, s14, (.LBB1_20533-.Lpost_getpc6682)&4294967295
	s_addc_u32 s15, s15, (.LBB1_20533-.Lpost_getpc6682)>>32
	s_setpc_b64 s[14:15]
.LBB1_6197:
	s_or_saveexec_b64 s[6:7], s[6:7]
	v_mov_b32_e32 v12, s10
	s_xor_b64 exec, exec, s[6:7]
	s_cbranch_execz .LBB1_6198
; %bb.42039:
	s_getpc_b64 s[14:15]
.Lpost_getpc6683:
	s_add_u32 s14, s14, (.LBB1_20536-.Lpost_getpc6683)&4294967295
	s_addc_u32 s15, s15, (.LBB1_20536-.Lpost_getpc6683)>>32
	s_setpc_b64 s[14:15]
.LBB1_6198:
	s_or_b64 exec, exec, s[6:7]
	s_and_saveexec_b64 s[6:7], s[4:5]
	s_cbranch_execz .LBB1_6200
.LBB1_6199:
	v_bfe_u32 v6, v3, 16, 3
	v_ffbh_u32_e32 v14, v6
	v_min_u32_e32 v14, 32, v14
	v_lshrrev_b32_e32 v12, 19, v3
	v_subrev_u32_e32 v15, 28, v14
	v_and_b32_e32 v12, 15, v12
	v_lshlrev_b32_sdwa v15, v15, v3 dst_sel:DWORD dst_unused:UNUSED_PAD src0_sel:DWORD src1_sel:WORD_1
	v_bfe_u32 v13, v3, 19, 4
	v_sub_u32_e32 v14, 29, v14
	v_and_b32_e32 v15, 7, v15
	v_cmp_eq_u16_e32 vcc, 0, v12
	v_cndmask_b32_e32 v6, v6, v15, vcc
	v_cndmask_b32_e32 v12, v13, v14, vcc
	v_lshlrev_b32_e32 v13, 8, v3
	v_mov_b32_e32 v14, 0x3b800000
	v_lshlrev_b32_e32 v6, 20, v6
	v_and_b32_e32 v13, 0x80000000, v13
	v_lshl_add_u32 v12, v12, 23, v14
	v_or3_b32 v12, v13, v12, v6
.LBB1_6200:
	s_or_b64 exec, exec, s[6:7]
	s_nop 0
	v_mfma_f32_16x16x4f32 a[0:3], v2, v12, a[0:3]
	s_movk_i32 s4, 0x7f
	v_cmp_gt_i16_sdwa s[6:7], v7, s4 src0_sel:BYTE_3 src1_sel:DWORD
	s_mov_b64 s[4:5], 0
                                        ; implicit-def: $sgpr10
	s_and_saveexec_b64 s[8:9], s[6:7]
	s_xor_b64 s[6:7], exec, s[8:9]
	s_cbranch_execz .LBB1_6201
; %bb.42041:
	s_getpc_b64 s[14:15]
.Lpost_getpc6684:
	s_add_u32 s14, s14, (.LBB1_20537-.Lpost_getpc6684)&4294967295
	s_addc_u32 s15, s15, (.LBB1_20537-.Lpost_getpc6684)>>32
	s_setpc_b64 s[14:15]
.LBB1_6201:
	s_or_saveexec_b64 s[6:7], s[6:7]
	v_mov_b32_e32 v2, s10
	s_xor_b64 exec, exec, s[6:7]
	s_cbranch_execz .LBB1_6202
; %bb.42043:
	s_getpc_b64 s[14:15]
.Lpost_getpc6685:
	s_add_u32 s14, s14, (.LBB1_20540-.Lpost_getpc6685)&4294967295
	s_addc_u32 s15, s15, (.LBB1_20540-.Lpost_getpc6685)>>32
	s_setpc_b64 s[14:15]
.LBB1_6202:
	s_or_b64 exec, exec, s[6:7]
	s_and_saveexec_b64 s[6:7], s[4:5]
	s_cbranch_execz .LBB1_6204
.LBB1_6203:
	v_bfe_u32 v2, v7, 24, 3
	v_ffbh_u32_e32 v14, v2
	v_min_u32_e32 v14, 32, v14
	v_lshrrev_b32_e32 v12, 27, v7
	v_subrev_u32_e32 v15, 28, v14
	v_and_b32_e32 v6, 0x80000000, v7
	v_and_b32_e32 v12, 15, v12
	v_bfe_u32 v13, v7, 27, 4
	v_lshlrev_b32_sdwa v7, v15, v7 dst_sel:DWORD dst_unused:UNUSED_PAD src0_sel:DWORD src1_sel:BYTE_3
	v_sub_u32_e32 v14, 29, v14
	v_and_b32_e32 v7, 7, v7
	v_cmp_eq_u16_e32 vcc, 0, v12
	v_cndmask_b32_e32 v2, v2, v7, vcc
	v_cndmask_b32_e32 v7, v13, v14, vcc
	v_mov_b32_e32 v12, 0x3b800000
	v_lshlrev_b32_e32 v2, 20, v2
	v_lshl_add_u32 v7, v7, 23, v12
	v_or3_b32 v2, v6, v7, v2
.LBB1_6204:
	s_or_b64 exec, exec, s[6:7]
	s_movk_i32 s4, 0x7f
	v_cmp_gt_i16_sdwa s[6:7], v3, s4 src0_sel:BYTE_3 src1_sel:DWORD
	s_mov_b64 s[4:5], 0
                                        ; implicit-def: $sgpr10
	s_and_saveexec_b64 s[8:9], s[6:7]
	s_xor_b64 s[6:7], exec, s[8:9]
	s_cbranch_execz .LBB1_6205
; %bb.42045:
	s_getpc_b64 s[14:15]
.Lpost_getpc6686:
	s_add_u32 s14, s14, (.LBB1_20541-.Lpost_getpc6686)&4294967295
	s_addc_u32 s15, s15, (.LBB1_20541-.Lpost_getpc6686)>>32
	s_setpc_b64 s[14:15]
.LBB1_6205:
	s_or_saveexec_b64 s[6:7], s[6:7]
	v_mov_b32_e32 v6, s10
	s_xor_b64 exec, exec, s[6:7]
	s_cbranch_execz .LBB1_6206
; %bb.42047:
	s_getpc_b64 s[14:15]
.Lpost_getpc6687:
	s_add_u32 s14, s14, (.LBB1_20544-.Lpost_getpc6687)&4294967295
	s_addc_u32 s15, s15, (.LBB1_20544-.Lpost_getpc6687)>>32
	s_setpc_b64 s[14:15]
.LBB1_6206:
	s_or_b64 exec, exec, s[6:7]
	s_and_saveexec_b64 s[6:7], s[4:5]
	s_cbranch_execz .LBB1_6208
.LBB1_6207:
	v_bfe_u32 v6, v3, 24, 3
	v_ffbh_u32_e32 v14, v6
	v_min_u32_e32 v14, 32, v14
	v_lshrrev_b32_e32 v12, 27, v3
	v_subrev_u32_e32 v15, 28, v14
	v_and_b32_e32 v7, 0x80000000, v3
	v_and_b32_e32 v12, 15, v12
	v_bfe_u32 v13, v3, 27, 4
	v_lshlrev_b32_sdwa v3, v15, v3 dst_sel:DWORD dst_unused:UNUSED_PAD src0_sel:DWORD src1_sel:BYTE_3
	v_sub_u32_e32 v14, 29, v14
	v_and_b32_e32 v3, 7, v3
	v_cmp_eq_u16_e32 vcc, 0, v12
	v_cndmask_b32_e32 v3, v6, v3, vcc
	v_cndmask_b32_e32 v6, v13, v14, vcc
	v_mov_b32_e32 v12, 0x3b800000
	v_lshlrev_b32_e32 v3, 20, v3
	v_lshl_add_u32 v6, v6, 23, v12
	v_or3_b32 v6, v7, v6, v3
.LBB1_6208:
	s_or_b64 exec, exec, s[6:7]
	s_nop 0
	v_mfma_f32_16x16x4f32 a[0:3], v2, v6, a[0:3]
	s_movk_i32 s4, 0x7f
	v_cmp_gt_i16_sdwa s[6:7], v8, s4 src0_sel:BYTE_0 src1_sel:DWORD
	s_mov_b64 s[4:5], 0
                                        ; implicit-def: $sgpr10
	s_and_saveexec_b64 s[8:9], s[6:7]
	s_xor_b64 s[6:7], exec, s[8:9]
	s_cbranch_execz .LBB1_6209
; %bb.42049:
	s_getpc_b64 s[14:15]
.Lpost_getpc6688:
	s_add_u32 s14, s14, (.LBB1_20545-.Lpost_getpc6688)&4294967295
	s_addc_u32 s15, s15, (.LBB1_20545-.Lpost_getpc6688)>>32
	s_setpc_b64 s[14:15]
.LBB1_6209:
	s_or_saveexec_b64 s[6:7], s[6:7]
	v_mov_b32_e32 v2, s10
	s_xor_b64 exec, exec, s[6:7]
	s_cbranch_execz .LBB1_6210
; %bb.42051:
	s_getpc_b64 s[14:15]
.Lpost_getpc6689:
	s_add_u32 s14, s14, (.LBB1_20548-.Lpost_getpc6689)&4294967295
	s_addc_u32 s15, s15, (.LBB1_20548-.Lpost_getpc6689)>>32
	s_setpc_b64 s[14:15]
.LBB1_6210:
	s_or_b64 exec, exec, s[6:7]
	s_and_saveexec_b64 s[6:7], s[4:5]
	s_cbranch_execz .LBB1_6212
.LBB1_6211:
	v_and_b32_e32 v2, 7, v8
	v_ffbh_u32_e32 v6, v2
	v_min_u32_e32 v6, 32, v6
	v_lshrrev_b16_e32 v3, 3, v8
	v_subrev_u32_e32 v7, 28, v6
	v_and_b32_e32 v3, 15, v3
	v_lshlrev_b32_e32 v7, v7, v8
	v_sub_u32_e32 v6, 29, v6
	v_and_b32_e32 v7, 7, v7
	v_cmp_eq_u16_e32 vcc, 0, v3
	v_cndmask_b32_e32 v2, v2, v7, vcc
	v_cndmask_b32_e32 v3, v3, v6, vcc
	v_lshlrev_b32_e32 v6, 24, v8
	v_mov_b32_e32 v7, 0x3b800000
	v_lshlrev_b32_e32 v2, 20, v2
	v_and_b32_e32 v6, 0x80000000, v6
	v_lshl_add_u32 v3, v3, 23, v7
	v_or3_b32 v2, v6, v3, v2
.LBB1_6212:
	s_or_b64 exec, exec, s[6:7]
	s_movk_i32 s4, 0x7f
	v_cmp_gt_i16_sdwa s[6:7], v4, s4 src0_sel:BYTE_0 src1_sel:DWORD
	s_mov_b64 s[4:5], 0
                                        ; implicit-def: $sgpr10
	s_and_saveexec_b64 s[8:9], s[6:7]
	s_xor_b64 s[6:7], exec, s[8:9]
	s_cbranch_execz .LBB1_6213
; %bb.42053:
	s_getpc_b64 s[14:15]
.Lpost_getpc6690:
	s_add_u32 s14, s14, (.LBB1_20549-.Lpost_getpc6690)&4294967295
	s_addc_u32 s15, s15, (.LBB1_20549-.Lpost_getpc6690)>>32
	s_setpc_b64 s[14:15]
.LBB1_6213:
	s_or_saveexec_b64 s[6:7], s[6:7]
	v_mov_b32_e32 v3, s10
	s_xor_b64 exec, exec, s[6:7]
	s_cbranch_execz .LBB1_6214
; %bb.42055:
	s_getpc_b64 s[14:15]
.Lpost_getpc6691:
	s_add_u32 s14, s14, (.LBB1_20552-.Lpost_getpc6691)&4294967295
	s_addc_u32 s15, s15, (.LBB1_20552-.Lpost_getpc6691)>>32
	s_setpc_b64 s[14:15]
.LBB1_6214:
	s_or_b64 exec, exec, s[6:7]
	s_and_saveexec_b64 s[6:7], s[4:5]
	s_cbranch_execz .LBB1_6216
.LBB1_6215:
	v_and_b32_e32 v3, 7, v4
	v_ffbh_u32_e32 v7, v3
	v_min_u32_e32 v7, 32, v7
	v_lshrrev_b16_e32 v6, 3, v4
	v_subrev_u32_e32 v12, 28, v7
	v_and_b32_e32 v6, 15, v6
	v_lshlrev_b32_e32 v12, v12, v4
	v_sub_u32_e32 v7, 29, v7
	v_and_b32_e32 v12, 7, v12
	v_cmp_eq_u16_e32 vcc, 0, v6
	v_cndmask_b32_e32 v3, v3, v12, vcc
	v_cndmask_b32_e32 v6, v6, v7, vcc
	v_lshlrev_b32_e32 v7, 24, v4
	v_mov_b32_e32 v12, 0x3b800000
	v_lshlrev_b32_e32 v3, 20, v3
	v_and_b32_e32 v7, 0x80000000, v7
	v_lshl_add_u32 v6, v6, 23, v12
	v_or3_b32 v3, v7, v6, v3
.LBB1_6216:
	s_or_b64 exec, exec, s[6:7]
	s_nop 0
	v_mfma_f32_16x16x4f32 a[0:3], v2, v3, a[0:3]
	v_lshrrev_b32_e32 v3, 8, v8
	s_movk_i32 s4, 0x7f
	v_cmp_gt_i16_sdwa s[6:7], v3, s4 src0_sel:BYTE_0 src1_sel:DWORD
	s_mov_b64 s[4:5], 0
                                        ; implicit-def: $sgpr10
	s_and_saveexec_b64 s[8:9], s[6:7]
	s_xor_b64 s[6:7], exec, s[8:9]
	s_cbranch_execz .LBB1_6217
; %bb.42057:
	s_getpc_b64 s[14:15]
.Lpost_getpc6692:
	s_add_u32 s14, s14, (.LBB1_20553-.Lpost_getpc6692)&4294967295
	s_addc_u32 s15, s15, (.LBB1_20553-.Lpost_getpc6692)>>32
	s_setpc_b64 s[14:15]
.LBB1_6217:
	s_or_saveexec_b64 s[6:7], s[6:7]
	v_mov_b32_e32 v2, s10
	s_xor_b64 exec, exec, s[6:7]
	s_cbranch_execz .LBB1_6218
; %bb.42059:
	s_getpc_b64 s[14:15]
.Lpost_getpc6693:
	s_add_u32 s14, s14, (.LBB1_20556-.Lpost_getpc6693)&4294967295
	s_addc_u32 s15, s15, (.LBB1_20556-.Lpost_getpc6693)>>32
	s_setpc_b64 s[14:15]
.LBB1_6218:
	s_or_b64 exec, exec, s[6:7]
	s_and_saveexec_b64 s[6:7], s[4:5]
	s_cbranch_execz .LBB1_6220
.LBB1_6219:
	v_bfe_u32 v2, v8, 8, 3
	v_ffbh_u32_e32 v7, v2
	v_min_u32_e32 v7, 32, v7
	v_lshrrev_b16_e32 v6, 3, v3
	v_subrev_u32_e32 v12, 28, v7
	v_and_b32_e32 v6, 15, v6
	v_lshlrev_b32_e32 v3, v12, v3
	v_sub_u32_e32 v7, 29, v7
	v_and_b32_e32 v3, 7, v3
	v_cmp_eq_u16_e32 vcc, 0, v6
	v_cndmask_b32_e32 v2, v2, v3, vcc
	v_cndmask_b32_e32 v3, v6, v7, vcc
	v_lshlrev_b32_e32 v6, 16, v8
	v_mov_b32_e32 v7, 0x3b800000
	v_lshlrev_b32_e32 v2, 20, v2
	v_and_b32_e32 v6, 0x80000000, v6
	v_lshl_add_u32 v3, v3, 23, v7
	v_or3_b32 v2, v6, v3, v2
.LBB1_6220:
	s_or_b64 exec, exec, s[6:7]
	v_lshrrev_b32_e32 v3, 8, v4
	s_movk_i32 s4, 0x7f
	v_cmp_gt_i16_sdwa s[6:7], v3, s4 src0_sel:BYTE_0 src1_sel:DWORD
	s_mov_b64 s[4:5], 0
                                        ; implicit-def: $sgpr10
	s_and_saveexec_b64 s[8:9], s[6:7]
	s_xor_b64 s[6:7], exec, s[8:9]
	s_cbranch_execz .LBB1_6221
; %bb.42061:
	s_getpc_b64 s[14:15]
.Lpost_getpc6694:
	s_add_u32 s14, s14, (.LBB1_20557-.Lpost_getpc6694)&4294967295
	s_addc_u32 s15, s15, (.LBB1_20557-.Lpost_getpc6694)>>32
	s_setpc_b64 s[14:15]
.LBB1_6221:
	s_or_saveexec_b64 s[6:7], s[6:7]
	v_mov_b32_e32 v6, s10
	s_xor_b64 exec, exec, s[6:7]
	s_cbranch_execz .LBB1_6222
; %bb.42063:
	s_getpc_b64 s[14:15]
.Lpost_getpc6695:
	s_add_u32 s14, s14, (.LBB1_20560-.Lpost_getpc6695)&4294967295
	s_addc_u32 s15, s15, (.LBB1_20560-.Lpost_getpc6695)>>32
	s_setpc_b64 s[14:15]
.LBB1_6222:
	s_or_b64 exec, exec, s[6:7]
	s_and_saveexec_b64 s[6:7], s[4:5]
	s_cbranch_execz .LBB1_6224
.LBB1_6223:
	v_bfe_u32 v6, v4, 8, 3
	v_ffbh_u32_e32 v12, v6
	v_min_u32_e32 v12, 32, v12
	v_lshrrev_b16_e32 v7, 3, v3
	v_subrev_u32_e32 v13, 28, v12
	v_and_b32_e32 v7, 15, v7
	v_lshlrev_b32_e32 v3, v13, v3
	v_sub_u32_e32 v12, 29, v12
	v_and_b32_e32 v3, 7, v3
	v_cmp_eq_u16_e32 vcc, 0, v7
	v_cndmask_b32_e32 v3, v6, v3, vcc
	v_cndmask_b32_e32 v6, v7, v12, vcc
	v_lshlrev_b32_e32 v7, 16, v4
	v_mov_b32_e32 v12, 0x3b800000
	v_lshlrev_b32_e32 v3, 20, v3
	v_and_b32_e32 v7, 0x80000000, v7
	v_lshl_add_u32 v6, v6, 23, v12
	v_or3_b32 v6, v7, v6, v3
.LBB1_6224:
	s_or_b64 exec, exec, s[6:7]
	s_nop 0
	v_mfma_f32_16x16x4f32 a[0:3], v2, v6, a[0:3]
	s_movk_i32 s4, 0xff
	v_and_b32_sdwa v3, v8, s4 dst_sel:DWORD dst_unused:UNUSED_PAD src0_sel:WORD_1 src1_sel:DWORD
	s_movk_i32 s4, 0x7f
	v_cmp_lt_i16_e32 vcc, s4, v3
	s_mov_b64 s[4:5], 0
                                        ; implicit-def: $sgpr10
	s_and_saveexec_b64 s[6:7], vcc
	s_xor_b64 s[6:7], exec, s[6:7]
	s_cbranch_execz .LBB1_6225
; %bb.42065:
	s_getpc_b64 s[14:15]
.Lpost_getpc6696:
	s_add_u32 s14, s14, (.LBB1_20561-.Lpost_getpc6696)&4294967295
	s_addc_u32 s15, s15, (.LBB1_20561-.Lpost_getpc6696)>>32
	s_setpc_b64 s[14:15]
.LBB1_6225:
	s_or_saveexec_b64 s[6:7], s[6:7]
	v_mov_b32_e32 v2, s10
	s_xor_b64 exec, exec, s[6:7]
	s_cbranch_execz .LBB1_6226
; %bb.42067:
	s_getpc_b64 s[14:15]
.Lpost_getpc6697:
	s_add_u32 s14, s14, (.LBB1_20564-.Lpost_getpc6697)&4294967295
	s_addc_u32 s15, s15, (.LBB1_20564-.Lpost_getpc6697)>>32
	s_setpc_b64 s[14:15]
.LBB1_6226:
	s_or_b64 exec, exec, s[6:7]
	s_and_saveexec_b64 s[6:7], s[4:5]
	s_cbranch_execz .LBB1_6228
.LBB1_6227:
	v_bfe_u32 v2, v8, 16, 3
	v_ffbh_u32_e32 v7, v2
	v_min_u32_e32 v7, 32, v7
	v_lshrrev_b32_e32 v3, 19, v8
	v_subrev_u32_e32 v12, 28, v7
	v_and_b32_e32 v3, 15, v3
	v_lshlrev_b32_sdwa v12, v12, v8 dst_sel:DWORD dst_unused:UNUSED_PAD src0_sel:DWORD src1_sel:WORD_1
	v_bfe_u32 v6, v8, 19, 4
	v_sub_u32_e32 v7, 29, v7
	v_and_b32_e32 v12, 7, v12
	v_cmp_eq_u16_e32 vcc, 0, v3
	v_cndmask_b32_e32 v2, v2, v12, vcc
	v_cndmask_b32_e32 v3, v6, v7, vcc
	v_lshlrev_b32_e32 v6, 8, v8
	v_mov_b32_e32 v7, 0x3b800000
	v_lshlrev_b32_e32 v2, 20, v2
	v_and_b32_e32 v6, 0x80000000, v6
	v_lshl_add_u32 v3, v3, 23, v7
	v_or3_b32 v2, v6, v3, v2
.LBB1_6228:
	s_or_b64 exec, exec, s[6:7]
	s_movk_i32 s4, 0xff
	v_and_b32_sdwa v3, v4, s4 dst_sel:DWORD dst_unused:UNUSED_PAD src0_sel:WORD_1 src1_sel:DWORD
	s_movk_i32 s4, 0x7f
	v_cmp_lt_i16_e32 vcc, s4, v3
	s_mov_b64 s[4:5], 0
                                        ; implicit-def: $sgpr10
	s_and_saveexec_b64 s[6:7], vcc
	s_xor_b64 s[6:7], exec, s[6:7]
	s_cbranch_execz .LBB1_6229
; %bb.42069:
	s_getpc_b64 s[14:15]
.Lpost_getpc6698:
	s_add_u32 s14, s14, (.LBB1_20565-.Lpost_getpc6698)&4294967295
	s_addc_u32 s15, s15, (.LBB1_20565-.Lpost_getpc6698)>>32
	s_setpc_b64 s[14:15]
.LBB1_6229:
	s_or_saveexec_b64 s[6:7], s[6:7]
	v_mov_b32_e32 v6, s10
	s_xor_b64 exec, exec, s[6:7]
	s_cbranch_execz .LBB1_6230
; %bb.42071:
	s_getpc_b64 s[14:15]
.Lpost_getpc6699:
	s_add_u32 s14, s14, (.LBB1_20568-.Lpost_getpc6699)&4294967295
	s_addc_u32 s15, s15, (.LBB1_20568-.Lpost_getpc6699)>>32
	s_setpc_b64 s[14:15]
.LBB1_6230:
	s_or_b64 exec, exec, s[6:7]
	s_and_saveexec_b64 s[6:7], s[4:5]
	s_cbranch_execz .LBB1_6232
.LBB1_6231:
	v_bfe_u32 v3, v4, 16, 3
	v_ffbh_u32_e32 v12, v3
	v_min_u32_e32 v12, 32, v12
	v_lshrrev_b32_e32 v6, 19, v4
	v_subrev_u32_e32 v13, 28, v12
	v_and_b32_e32 v6, 15, v6
	v_lshlrev_b32_sdwa v13, v13, v4 dst_sel:DWORD dst_unused:UNUSED_PAD src0_sel:DWORD src1_sel:WORD_1
	v_bfe_u32 v7, v4, 19, 4
	v_sub_u32_e32 v12, 29, v12
	v_and_b32_e32 v13, 7, v13
	v_cmp_eq_u16_e32 vcc, 0, v6
	v_cndmask_b32_e32 v3, v3, v13, vcc
	v_cndmask_b32_e32 v6, v7, v12, vcc
	v_lshlrev_b32_e32 v7, 8, v4
	v_mov_b32_e32 v12, 0x3b800000
	v_lshlrev_b32_e32 v3, 20, v3
	v_and_b32_e32 v7, 0x80000000, v7
	v_lshl_add_u32 v6, v6, 23, v12
	v_or3_b32 v6, v7, v6, v3
.LBB1_6232:
	s_or_b64 exec, exec, s[6:7]
	s_nop 0
	v_mfma_f32_16x16x4f32 a[0:3], v2, v6, a[0:3]
	s_movk_i32 s4, 0x7f
	v_cmp_gt_i16_sdwa s[6:7], v8, s4 src0_sel:BYTE_3 src1_sel:DWORD
	s_mov_b64 s[4:5], 0
                                        ; implicit-def: $sgpr10
	s_and_saveexec_b64 s[8:9], s[6:7]
	s_xor_b64 s[6:7], exec, s[8:9]
	s_cbranch_execz .LBB1_6233
; %bb.42073:
	s_getpc_b64 s[14:15]
.Lpost_getpc6700:
	s_add_u32 s14, s14, (.LBB1_20569-.Lpost_getpc6700)&4294967295
	s_addc_u32 s15, s15, (.LBB1_20569-.Lpost_getpc6700)>>32
	s_setpc_b64 s[14:15]
.LBB1_6233:
	s_or_saveexec_b64 s[6:7], s[6:7]
	v_mov_b32_e32 v2, s10
	s_xor_b64 exec, exec, s[6:7]
	s_cbranch_execz .LBB1_6234
; %bb.42075:
	s_getpc_b64 s[14:15]
.Lpost_getpc6701:
	s_add_u32 s14, s14, (.LBB1_20572-.Lpost_getpc6701)&4294967295
	s_addc_u32 s15, s15, (.LBB1_20572-.Lpost_getpc6701)>>32
	s_setpc_b64 s[14:15]
.LBB1_6234:
	s_or_b64 exec, exec, s[6:7]
	s_and_saveexec_b64 s[6:7], s[4:5]
	s_cbranch_execz .LBB1_6236
.LBB1_6235:
	v_bfe_u32 v2, v8, 24, 3
	v_ffbh_u32_e32 v12, v2
	v_min_u32_e32 v12, 32, v12
	v_lshrrev_b32_e32 v6, 27, v8
	v_subrev_u32_e32 v13, 28, v12
	v_and_b32_e32 v3, 0x80000000, v8
	v_and_b32_e32 v6, 15, v6
	v_bfe_u32 v7, v8, 27, 4
	v_lshlrev_b32_sdwa v8, v13, v8 dst_sel:DWORD dst_unused:UNUSED_PAD src0_sel:DWORD src1_sel:BYTE_3
	v_sub_u32_e32 v12, 29, v12
	v_and_b32_e32 v8, 7, v8
	v_cmp_eq_u16_e32 vcc, 0, v6
	v_cndmask_b32_e32 v2, v2, v8, vcc
	v_cndmask_b32_e32 v6, v7, v12, vcc
	v_mov_b32_e32 v7, 0x3b800000
	v_lshlrev_b32_e32 v2, 20, v2
	v_lshl_add_u32 v6, v6, 23, v7
	v_or3_b32 v2, v3, v6, v2
.LBB1_6236:
	s_or_b64 exec, exec, s[6:7]
	s_movk_i32 s4, 0x7f
	v_cmp_gt_i16_sdwa s[6:7], v4, s4 src0_sel:BYTE_3 src1_sel:DWORD
	s_mov_b64 s[4:5], 0
                                        ; implicit-def: $sgpr10
	s_and_saveexec_b64 s[8:9], s[6:7]
	s_xor_b64 s[6:7], exec, s[8:9]
	s_cbranch_execz .LBB1_6237
; %bb.42077:
	s_getpc_b64 s[14:15]
.Lpost_getpc6702:
	s_add_u32 s14, s14, (.LBB1_20573-.Lpost_getpc6702)&4294967295
	s_addc_u32 s15, s15, (.LBB1_20573-.Lpost_getpc6702)>>32
	s_setpc_b64 s[14:15]
.LBB1_6237:
	s_or_saveexec_b64 s[6:7], s[6:7]
	v_mov_b32_e32 v3, s10
	s_xor_b64 exec, exec, s[6:7]
	s_cbranch_execz .LBB1_6238
; %bb.42079:
	s_getpc_b64 s[14:15]
.Lpost_getpc6703:
	s_add_u32 s14, s14, (.LBB1_20576-.Lpost_getpc6703)&4294967295
	s_addc_u32 s15, s15, (.LBB1_20576-.Lpost_getpc6703)>>32
	s_setpc_b64 s[14:15]
.LBB1_6238:
	s_or_b64 exec, exec, s[6:7]
	s_and_saveexec_b64 s[6:7], s[4:5]
	s_cbranch_execz .LBB1_6240
.LBB1_6239:
	v_bfe_u32 v3, v4, 24, 3
	v_ffbh_u32_e32 v12, v3
	v_min_u32_e32 v12, 32, v12
	v_lshrrev_b32_e32 v7, 27, v4
	v_subrev_u32_e32 v13, 28, v12
	v_and_b32_e32 v6, 0x80000000, v4
	v_and_b32_e32 v7, 15, v7
	v_bfe_u32 v8, v4, 27, 4
	v_lshlrev_b32_sdwa v4, v13, v4 dst_sel:DWORD dst_unused:UNUSED_PAD src0_sel:DWORD src1_sel:BYTE_3
	v_sub_u32_e32 v12, 29, v12
	v_and_b32_e32 v4, 7, v4
	v_cmp_eq_u16_e32 vcc, 0, v7
	v_cndmask_b32_e32 v3, v3, v4, vcc
	v_cndmask_b32_e32 v4, v8, v12, vcc
	v_mov_b32_e32 v7, 0x3b800000
	v_lshlrev_b32_e32 v3, 20, v3
	v_lshl_add_u32 v4, v4, 23, v7
	v_or3_b32 v3, v6, v4, v3
.LBB1_6240:
	s_or_b64 exec, exec, s[6:7]
	s_nop 0
	v_mfma_f32_16x16x4f32 a[0:3], v2, v3, a[0:3]
	s_movk_i32 s4, 0x7f
	v_cmp_gt_i16_sdwa s[6:7], v9, s4 src0_sel:BYTE_0 src1_sel:DWORD
	s_mov_b64 s[4:5], 0
                                        ; implicit-def: $sgpr10
	s_and_saveexec_b64 s[8:9], s[6:7]
	s_xor_b64 s[6:7], exec, s[8:9]
	s_cbranch_execz .LBB1_6241
; %bb.42081:
	s_getpc_b64 s[14:15]
.Lpost_getpc6704:
	s_add_u32 s14, s14, (.LBB1_20577-.Lpost_getpc6704)&4294967295
	s_addc_u32 s15, s15, (.LBB1_20577-.Lpost_getpc6704)>>32
	s_setpc_b64 s[14:15]
.LBB1_6241:
	s_or_saveexec_b64 s[6:7], s[6:7]
	v_mov_b32_e32 v2, s10
	s_xor_b64 exec, exec, s[6:7]
	s_cbranch_execz .LBB1_6242
; %bb.42083:
	s_getpc_b64 s[14:15]
.Lpost_getpc6705:
	s_add_u32 s14, s14, (.LBB1_20580-.Lpost_getpc6705)&4294967295
	s_addc_u32 s15, s15, (.LBB1_20580-.Lpost_getpc6705)>>32
	s_setpc_b64 s[14:15]
.LBB1_6242:
	s_or_b64 exec, exec, s[6:7]
	s_and_saveexec_b64 s[6:7], s[4:5]
	s_cbranch_execz .LBB1_6244
.LBB1_6243:
	v_mov_b32_e32 v2, 8
	v_and_b32_e32 v3, 7, v9
	v_lshrrev_b32_sdwa v2, v2, v9 dst_sel:BYTE_1 dst_unused:UNUSED_PAD src0_sel:DWORD src1_sel:DWORD
	v_ffbh_u32_e32 v4, v3
	v_or_b32_sdwa v2, v9, v2 dst_sel:DWORD dst_unused:UNUSED_PAD src0_sel:BYTE_0 src1_sel:DWORD
	v_min_u32_e32 v4, 32, v4
	v_lshrrev_b16_e32 v2, 3, v2
	v_subrev_u32_e32 v6, 28, v4
	v_and_b32_e32 v2, 15, v2
	v_lshlrev_b32_e32 v6, v6, v9
	v_sub_u32_e32 v4, 29, v4
	v_and_b32_e32 v6, 7, v6
	v_cmp_eq_u16_e32 vcc, 0, v2
	v_cndmask_b32_e32 v3, v3, v6, vcc
	v_cndmask_b32_e32 v2, v2, v4, vcc
	v_lshlrev_b32_e32 v4, 24, v9
	v_mov_b32_e32 v6, 0x3b800000
	v_lshlrev_b32_e32 v3, 20, v3
	v_and_b32_e32 v4, 0x80000000, v4
	v_lshl_add_u32 v2, v2, 23, v6
	v_or3_b32 v2, v4, v2, v3
.LBB1_6244:
	s_or_b64 exec, exec, s[6:7]
	s_movk_i32 s4, 0x7f
	v_cmp_gt_i16_sdwa s[6:7], v5, s4 src0_sel:BYTE_0 src1_sel:DWORD
	s_mov_b64 s[4:5], 0
                                        ; implicit-def: $sgpr10
	s_and_saveexec_b64 s[8:9], s[6:7]
	s_xor_b64 s[6:7], exec, s[8:9]
	s_cbranch_execz .LBB1_6245
; %bb.42085:
	s_getpc_b64 s[14:15]
.Lpost_getpc6706:
	s_add_u32 s14, s14, (.LBB1_20581-.Lpost_getpc6706)&4294967295
	s_addc_u32 s15, s15, (.LBB1_20581-.Lpost_getpc6706)>>32
	s_setpc_b64 s[14:15]
.LBB1_6245:
	s_or_saveexec_b64 s[6:7], s[6:7]
	v_mov_b32_e32 v3, s10
	s_xor_b64 exec, exec, s[6:7]
	s_cbranch_execz .LBB1_6246
; %bb.42087:
	s_getpc_b64 s[14:15]
.Lpost_getpc6707:
	s_add_u32 s14, s14, (.LBB1_20584-.Lpost_getpc6707)&4294967295
	s_addc_u32 s15, s15, (.LBB1_20584-.Lpost_getpc6707)>>32
	s_setpc_b64 s[14:15]
.LBB1_6246:
	s_or_b64 exec, exec, s[6:7]
	s_and_saveexec_b64 s[6:7], s[4:5]
	s_cbranch_execz .LBB1_6248
.LBB1_6247:
	v_mov_b32_e32 v3, 8
	v_and_b32_e32 v4, 7, v5
	v_lshrrev_b32_sdwa v3, v3, v5 dst_sel:BYTE_1 dst_unused:UNUSED_PAD src0_sel:DWORD src1_sel:DWORD
	v_ffbh_u32_e32 v6, v4
	v_or_b32_sdwa v3, v5, v3 dst_sel:DWORD dst_unused:UNUSED_PAD src0_sel:BYTE_0 src1_sel:DWORD
	v_min_u32_e32 v6, 32, v6
	v_lshrrev_b16_e32 v3, 3, v3
	v_subrev_u32_e32 v7, 28, v6
	v_and_b32_e32 v3, 15, v3
	v_lshlrev_b32_e32 v7, v7, v5
	v_sub_u32_e32 v6, 29, v6
	v_and_b32_e32 v7, 7, v7
	v_cmp_eq_u16_e32 vcc, 0, v3
	v_cndmask_b32_e32 v4, v4, v7, vcc
	v_cndmask_b32_e32 v3, v3, v6, vcc
	v_lshlrev_b32_e32 v6, 24, v5
	v_mov_b32_e32 v7, 0x3b800000
	v_lshlrev_b32_e32 v4, 20, v4
	v_and_b32_e32 v6, 0x80000000, v6
	v_lshl_add_u32 v3, v3, 23, v7
	v_or3_b32 v3, v6, v3, v4
.LBB1_6248:
	s_or_b64 exec, exec, s[6:7]
	s_nop 0
	v_mfma_f32_16x16x4f32 a[0:3], v2, v3, a[0:3]
	v_lshrrev_b32_e32 v3, 8, v9
	s_movk_i32 s4, 0x7f
	v_cmp_gt_i16_sdwa s[6:7], v3, s4 src0_sel:BYTE_0 src1_sel:DWORD
	s_mov_b64 s[4:5], 0
                                        ; implicit-def: $sgpr10
	s_and_saveexec_b64 s[8:9], s[6:7]
	s_xor_b64 s[6:7], exec, s[8:9]
	s_cbranch_execz .LBB1_6249
; %bb.42089:
	s_getpc_b64 s[14:15]
.Lpost_getpc6708:
	s_add_u32 s14, s14, (.LBB1_20585-.Lpost_getpc6708)&4294967295
	s_addc_u32 s15, s15, (.LBB1_20585-.Lpost_getpc6708)>>32
	s_setpc_b64 s[14:15]
.LBB1_6249:
	s_or_saveexec_b64 s[6:7], s[6:7]
	v_mov_b32_e32 v2, s10
	s_xor_b64 exec, exec, s[6:7]
	s_cbranch_execz .LBB1_6250
; %bb.42091:
	s_getpc_b64 s[14:15]
.Lpost_getpc6709:
	s_add_u32 s14, s14, (.LBB1_20588-.Lpost_getpc6709)&4294967295
	s_addc_u32 s15, s15, (.LBB1_20588-.Lpost_getpc6709)>>32
	s_setpc_b64 s[14:15]
.LBB1_6250:
	s_or_b64 exec, exec, s[6:7]
	s_and_saveexec_b64 s[6:7], s[4:5]
	s_cbranch_execz .LBB1_6252
.LBB1_6251:
	v_bfe_u32 v2, v9, 8, 3
	v_ffbh_u32_e32 v6, v2
	v_min_u32_e32 v6, 32, v6
	v_lshrrev_b16_e32 v4, 3, v3
	v_subrev_u32_e32 v7, 28, v6
	v_and_b32_e32 v4, 15, v4
	v_lshlrev_b32_e32 v3, v7, v3
	v_sub_u32_e32 v6, 29, v6
	v_and_b32_e32 v3, 7, v3
	v_cmp_eq_u16_e32 vcc, 0, v4
	v_cndmask_b32_e32 v2, v2, v3, vcc
	v_cndmask_b32_e32 v3, v4, v6, vcc
	v_lshlrev_b32_e32 v4, 16, v9
	v_mov_b32_e32 v6, 0x3b800000
	v_lshlrev_b32_e32 v2, 20, v2
	v_and_b32_e32 v4, 0x80000000, v4
	v_lshl_add_u32 v3, v3, 23, v6
	v_or3_b32 v2, v4, v3, v2
.LBB1_6252:
	s_or_b64 exec, exec, s[6:7]
	v_lshrrev_b32_e32 v3, 8, v5
	s_movk_i32 s4, 0x7f
	v_cmp_gt_i16_sdwa s[6:7], v3, s4 src0_sel:BYTE_0 src1_sel:DWORD
	s_mov_b64 s[4:5], 0
                                        ; implicit-def: $sgpr10
	s_and_saveexec_b64 s[8:9], s[6:7]
	s_xor_b64 s[6:7], exec, s[8:9]
	s_cbranch_execz .LBB1_6253
; %bb.42093:
	s_getpc_b64 s[14:15]
.Lpost_getpc6710:
	s_add_u32 s14, s14, (.LBB1_20589-.Lpost_getpc6710)&4294967295
	s_addc_u32 s15, s15, (.LBB1_20589-.Lpost_getpc6710)>>32
	s_setpc_b64 s[14:15]
.LBB1_6253:
	s_or_saveexec_b64 s[6:7], s[6:7]
	v_mov_b32_e32 v4, s10
	s_xor_b64 exec, exec, s[6:7]
	s_cbranch_execz .LBB1_6254
; %bb.42095:
	s_getpc_b64 s[14:15]
.Lpost_getpc6711:
	s_add_u32 s14, s14, (.LBB1_20592-.Lpost_getpc6711)&4294967295
	s_addc_u32 s15, s15, (.LBB1_20592-.Lpost_getpc6711)>>32
	s_setpc_b64 s[14:15]
.LBB1_6254:
	s_or_b64 exec, exec, s[6:7]
	s_and_saveexec_b64 s[6:7], s[4:5]
	s_cbranch_execz .LBB1_6256
.LBB1_6255:
	v_bfe_u32 v4, v5, 8, 3
	v_ffbh_u32_e32 v7, v4
	v_min_u32_e32 v7, 32, v7
	v_lshrrev_b16_e32 v6, 3, v3
	v_subrev_u32_e32 v8, 28, v7
	v_and_b32_e32 v6, 15, v6
	v_lshlrev_b32_e32 v3, v8, v3
	v_sub_u32_e32 v7, 29, v7
	v_and_b32_e32 v3, 7, v3
	v_cmp_eq_u16_e32 vcc, 0, v6
	v_cndmask_b32_e32 v3, v4, v3, vcc
	v_cndmask_b32_e32 v4, v6, v7, vcc
	v_lshlrev_b32_e32 v6, 16, v5
	v_mov_b32_e32 v7, 0x3b800000
	v_lshlrev_b32_e32 v3, 20, v3
	v_and_b32_e32 v6, 0x80000000, v6
	v_lshl_add_u32 v4, v4, 23, v7
	v_or3_b32 v4, v6, v4, v3
.LBB1_6256:
	s_or_b64 exec, exec, s[6:7]
	s_nop 0
	v_mfma_f32_16x16x4f32 a[0:3], v2, v4, a[0:3]
	s_movk_i32 s4, 0xff
	v_and_b32_sdwa v3, v9, s4 dst_sel:DWORD dst_unused:UNUSED_PAD src0_sel:WORD_1 src1_sel:DWORD
	s_movk_i32 s4, 0x7f
	v_cmp_lt_i16_e32 vcc, s4, v3
	s_mov_b64 s[4:5], 0
                                        ; implicit-def: $sgpr10
	s_and_saveexec_b64 s[6:7], vcc
	s_xor_b64 s[6:7], exec, s[6:7]
	s_cbranch_execz .LBB1_6257
; %bb.42097:
	s_getpc_b64 s[14:15]
.Lpost_getpc6712:
	s_add_u32 s14, s14, (.LBB1_20593-.Lpost_getpc6712)&4294967295
	s_addc_u32 s15, s15, (.LBB1_20593-.Lpost_getpc6712)>>32
	s_setpc_b64 s[14:15]
.LBB1_6257:
	s_or_saveexec_b64 s[6:7], s[6:7]
	v_mov_b32_e32 v2, s10
	s_xor_b64 exec, exec, s[6:7]
	s_cbranch_execz .LBB1_6258
; %bb.42099:
	s_getpc_b64 s[14:15]
.Lpost_getpc6713:
	s_add_u32 s14, s14, (.LBB1_20596-.Lpost_getpc6713)&4294967295
	s_addc_u32 s15, s15, (.LBB1_20596-.Lpost_getpc6713)>>32
	s_setpc_b64 s[14:15]
.LBB1_6258:
	s_or_b64 exec, exec, s[6:7]
	s_and_saveexec_b64 s[6:7], s[4:5]
	s_cbranch_execz .LBB1_6260
.LBB1_6259:
	v_bfe_u32 v2, v9, 16, 3
	v_ffbh_u32_e32 v6, v2
	v_min_u32_e32 v6, 32, v6
	v_lshrrev_b32_e32 v3, 19, v9
	v_subrev_u32_e32 v7, 28, v6
	v_and_b32_e32 v3, 15, v3
	v_lshlrev_b32_sdwa v7, v7, v9 dst_sel:DWORD dst_unused:UNUSED_PAD src0_sel:DWORD src1_sel:WORD_1
	v_bfe_u32 v4, v9, 19, 4
	v_sub_u32_e32 v6, 29, v6
	v_and_b32_e32 v7, 7, v7
	v_cmp_eq_u16_e32 vcc, 0, v3
	v_cndmask_b32_e32 v2, v2, v7, vcc
	v_cndmask_b32_e32 v3, v4, v6, vcc
	v_lshlrev_b32_e32 v4, 8, v9
	v_mov_b32_e32 v6, 0x3b800000
	v_lshlrev_b32_e32 v2, 20, v2
	v_and_b32_e32 v4, 0x80000000, v4
	v_lshl_add_u32 v3, v3, 23, v6
	v_or3_b32 v2, v4, v3, v2
.LBB1_6260:
	s_or_b64 exec, exec, s[6:7]
	s_movk_i32 s4, 0xff
	v_and_b32_sdwa v3, v5, s4 dst_sel:DWORD dst_unused:UNUSED_PAD src0_sel:WORD_1 src1_sel:DWORD
	s_movk_i32 s4, 0x7f
	v_cmp_lt_i16_e32 vcc, s4, v3
	s_mov_b64 s[4:5], 0
                                        ; implicit-def: $sgpr10
	s_and_saveexec_b64 s[6:7], vcc
	s_xor_b64 s[6:7], exec, s[6:7]
	s_cbranch_execz .LBB1_6261
; %bb.42101:
	s_getpc_b64 s[14:15]
.Lpost_getpc6714:
	s_add_u32 s14, s14, (.LBB1_20597-.Lpost_getpc6714)&4294967295
	s_addc_u32 s15, s15, (.LBB1_20597-.Lpost_getpc6714)>>32
	s_setpc_b64 s[14:15]
.LBB1_6261:
	s_or_saveexec_b64 s[6:7], s[6:7]
	v_mov_b32_e32 v4, s10
	s_xor_b64 exec, exec, s[6:7]
	s_cbranch_execz .LBB1_6262
; %bb.42103:
	s_getpc_b64 s[14:15]
.Lpost_getpc6715:
	s_add_u32 s14, s14, (.LBB1_20600-.Lpost_getpc6715)&4294967295
	s_addc_u32 s15, s15, (.LBB1_20600-.Lpost_getpc6715)>>32
	s_setpc_b64 s[14:15]
.LBB1_6262:
	s_or_b64 exec, exec, s[6:7]
	s_and_saveexec_b64 s[6:7], s[4:5]
	s_cbranch_execz .LBB1_6264
.LBB1_6263:
	v_bfe_u32 v3, v5, 16, 3
	v_ffbh_u32_e32 v7, v3
	v_min_u32_e32 v7, 32, v7
	v_lshrrev_b32_e32 v4, 19, v5
	v_subrev_u32_e32 v8, 28, v7
	v_and_b32_e32 v4, 15, v4
	v_lshlrev_b32_sdwa v8, v8, v5 dst_sel:DWORD dst_unused:UNUSED_PAD src0_sel:DWORD src1_sel:WORD_1
	v_bfe_u32 v6, v5, 19, 4
	v_sub_u32_e32 v7, 29, v7
	v_and_b32_e32 v8, 7, v8
	v_cmp_eq_u16_e32 vcc, 0, v4
	v_cndmask_b32_e32 v3, v3, v8, vcc
	v_cndmask_b32_e32 v4, v6, v7, vcc
	v_lshlrev_b32_e32 v6, 8, v5
	v_mov_b32_e32 v7, 0x3b800000
	v_lshlrev_b32_e32 v3, 20, v3
	v_and_b32_e32 v6, 0x80000000, v6
	v_lshl_add_u32 v4, v4, 23, v7
	v_or3_b32 v4, v6, v4, v3
.LBB1_6264:
	s_or_b64 exec, exec, s[6:7]
	s_nop 0
	v_mfma_f32_16x16x4f32 a[0:3], v2, v4, a[0:3]
	s_movk_i32 s4, 0x7f
	v_cmp_gt_i16_sdwa s[6:7], v9, s4 src0_sel:BYTE_3 src1_sel:DWORD
	s_mov_b64 s[4:5], 0
                                        ; implicit-def: $sgpr10
	s_and_saveexec_b64 s[8:9], s[6:7]
	s_xor_b64 s[6:7], exec, s[8:9]
	s_cbranch_execz .LBB1_6265
; %bb.42105:
	s_getpc_b64 s[14:15]
.Lpost_getpc6716:
	s_add_u32 s14, s14, (.LBB1_20601-.Lpost_getpc6716)&4294967295
	s_addc_u32 s15, s15, (.LBB1_20601-.Lpost_getpc6716)>>32
	s_setpc_b64 s[14:15]
.LBB1_6265:
	s_or_saveexec_b64 s[6:7], s[6:7]
	v_mov_b32_e32 v2, s10
	s_xor_b64 exec, exec, s[6:7]
	s_cbranch_execz .LBB1_6266
; %bb.42107:
	s_getpc_b64 s[14:15]
.Lpost_getpc6717:
	s_add_u32 s14, s14, (.LBB1_20604-.Lpost_getpc6717)&4294967295
	s_addc_u32 s15, s15, (.LBB1_20604-.Lpost_getpc6717)>>32
	s_setpc_b64 s[14:15]
.LBB1_6266:
	s_or_b64 exec, exec, s[6:7]
	s_and_saveexec_b64 s[6:7], s[4:5]
	s_cbranch_execz .LBB1_6268
.LBB1_6267:
	v_bfe_u32 v2, v9, 24, 3
	v_ffbh_u32_e32 v7, v2
	v_min_u32_e32 v7, 32, v7
	v_lshrrev_b32_e32 v4, 27, v9
	v_subrev_u32_e32 v8, 28, v7
	v_and_b32_e32 v4, 15, v4
	v_lshlrev_b32_sdwa v8, v8, v9 dst_sel:DWORD dst_unused:UNUSED_PAD src0_sel:DWORD src1_sel:BYTE_3
	v_bfe_u32 v6, v9, 27, 4
	v_sub_u32_e32 v7, 29, v7
	v_and_b32_e32 v8, 7, v8
	v_cmp_eq_u16_e32 vcc, 0, v4
	v_cndmask_b32_e32 v2, v2, v8, vcc
	v_cndmask_b32_e32 v4, v6, v7, vcc
	v_mov_b32_e32 v6, 0x3b800000
	v_and_b32_e32 v3, 0x80000000, v9
	v_lshlrev_b32_e32 v2, 20, v2
	v_lshl_add_u32 v4, v4, 23, v6
	v_or3_b32 v2, v3, v4, v2
.LBB1_6268:
	s_or_b64 exec, exec, s[6:7]
	s_movk_i32 s4, 0x7f
	v_cmp_gt_i16_sdwa s[6:7], v5, s4 src0_sel:BYTE_3 src1_sel:DWORD
	s_mov_b64 s[4:5], 0
                                        ; implicit-def: $sgpr10
	s_and_saveexec_b64 s[8:9], s[6:7]
	s_xor_b64 s[6:7], exec, s[8:9]
	s_cbranch_execz .LBB1_6269
; %bb.42109:
	s_getpc_b64 s[14:15]
.Lpost_getpc6718:
	s_add_u32 s14, s14, (.LBB1_20605-.Lpost_getpc6718)&4294967295
	s_addc_u32 s15, s15, (.LBB1_20605-.Lpost_getpc6718)>>32
	s_setpc_b64 s[14:15]
.LBB1_6269:
	s_or_saveexec_b64 s[6:7], s[6:7]
	v_mov_b32_e32 v3, s10
	s_xor_b64 exec, exec, s[6:7]
	s_cbranch_execz .LBB1_6270
; %bb.42111:
	s_getpc_b64 s[14:15]
.Lpost_getpc6719:
	s_add_u32 s14, s14, (.LBB1_20608-.Lpost_getpc6719)&4294967295
	s_addc_u32 s15, s15, (.LBB1_20608-.Lpost_getpc6719)>>32
	s_setpc_b64 s[14:15]
.LBB1_6270:
	s_or_b64 exec, exec, s[6:7]
	s_and_saveexec_b64 s[6:7], s[4:5]
	s_cbranch_execz .LBB1_6272
.LBB1_6271:
	v_bfe_u32 v3, v5, 24, 3
	v_ffbh_u32_e32 v8, v3
	v_min_u32_e32 v8, 32, v8
	v_lshrrev_b32_e32 v6, 27, v5
	v_subrev_u32_e32 v9, 28, v8
	v_and_b32_e32 v4, 0x80000000, v5
	v_and_b32_e32 v6, 15, v6
	v_bfe_u32 v7, v5, 27, 4
	v_lshlrev_b32_sdwa v5, v9, v5 dst_sel:DWORD dst_unused:UNUSED_PAD src0_sel:DWORD src1_sel:BYTE_3
	v_sub_u32_e32 v8, 29, v8
	v_and_b32_e32 v5, 7, v5
	v_cmp_eq_u16_e32 vcc, 0, v6
	v_cndmask_b32_e32 v3, v3, v5, vcc
	v_cndmask_b32_e32 v5, v7, v8, vcc
	v_mov_b32_e32 v6, 0x3b800000
	v_lshlrev_b32_e32 v3, 20, v3
	v_lshl_add_u32 v5, v5, 23, v6
	v_or3_b32 v3, v4, v5, v3
.LBB1_6272:
	s_or_b64 exec, exec, s[6:7]
	s_nop 0
	v_mfma_f32_16x16x4f32 a[0:3], v2, v3, a[0:3]
	s_movk_i32 s4, 0x7f
                                        ; implicit-def: $sgpr10
	s_nop 7
	s_nop 1
	flat_store_dwordx4 v[10:11], a[0:3] offset:768
	flat_load_dwordx4 v[12:15], v[0:1]
	s_nop 0
	flat_load_dwordx2 v[10:11], v[0:1] offset:16
	s_waitcnt vmcnt(0) lgkmcnt(0)
	flat_load_dwordx4 v[6:9], v[12:13] offset:96
	flat_load_dwordx4 v[2:5], v[14:15] offset:16
	s_waitcnt vmcnt(0) lgkmcnt(0)
	v_cmp_gt_i16_sdwa s[6:7], v6, s4 src0_sel:BYTE_0 src1_sel:DWORD
	s_mov_b64 s[4:5], 0
	s_and_saveexec_b64 s[8:9], s[6:7]
	s_xor_b64 s[6:7], exec, s[8:9]
	s_cbranch_execz .LBB1_6273
; %bb.42113:
	s_getpc_b64 s[14:15]
.Lpost_getpc6720:
	s_add_u32 s14, s14, (.LBB1_20609-.Lpost_getpc6720)&4294967295
	s_addc_u32 s15, s15, (.LBB1_20609-.Lpost_getpc6720)>>32
	s_setpc_b64 s[14:15]
.LBB1_6273:
	s_or_saveexec_b64 s[6:7], s[6:7]
	v_mov_b32_e32 v12, s10
	s_xor_b64 exec, exec, s[6:7]
	s_cbranch_execz .LBB1_6274
; %bb.42115:
	s_getpc_b64 s[14:15]
.Lpost_getpc6721:
	s_add_u32 s14, s14, (.LBB1_20612-.Lpost_getpc6721)&4294967295
	s_addc_u32 s15, s15, (.LBB1_20612-.Lpost_getpc6721)>>32
	s_setpc_b64 s[14:15]
.LBB1_6274:
	s_or_b64 exec, exec, s[6:7]
	s_and_saveexec_b64 s[6:7], s[4:5]
	s_cbranch_execz .LBB1_6276
.LBB1_6275:
	v_and_b32_e32 v12, 7, v6
	v_ffbh_u32_e32 v14, v12
	v_min_u32_e32 v14, 32, v14
	v_lshrrev_b16_e32 v13, 3, v6
	v_subrev_u32_e32 v15, 28, v14
	v_and_b32_e32 v13, 15, v13
	v_lshlrev_b32_e32 v15, v15, v6
	v_sub_u32_e32 v14, 29, v14
	v_and_b32_e32 v15, 7, v15
	v_cmp_eq_u16_e32 vcc, 0, v13
	v_cndmask_b32_e32 v12, v12, v15, vcc
	v_cndmask_b32_e32 v13, v13, v14, vcc
	v_lshlrev_b32_e32 v14, 24, v6
	v_mov_b32_e32 v15, 0x3b800000
	v_lshlrev_b32_e32 v12, 20, v12
	v_and_b32_e32 v14, 0x80000000, v14
	v_lshl_add_u32 v13, v13, 23, v15
	v_or3_b32 v12, v14, v13, v12
.LBB1_6276:
	s_or_b64 exec, exec, s[6:7]
	s_movk_i32 s4, 0x7f
	v_cmp_gt_i16_sdwa s[6:7], v2, s4 src0_sel:BYTE_0 src1_sel:DWORD
	s_mov_b64 s[4:5], 0
                                        ; implicit-def: $sgpr10
	s_and_saveexec_b64 s[8:9], s[6:7]
	s_xor_b64 s[6:7], exec, s[8:9]
	s_cbranch_execz .LBB1_6277
; %bb.42117:
	s_getpc_b64 s[14:15]
.Lpost_getpc6722:
	s_add_u32 s14, s14, (.LBB1_20613-.Lpost_getpc6722)&4294967295
	s_addc_u32 s15, s15, (.LBB1_20613-.Lpost_getpc6722)>>32
	s_setpc_b64 s[14:15]
.LBB1_6277:
	s_or_saveexec_b64 s[6:7], s[6:7]
	v_mov_b32_e32 v13, s10
	s_xor_b64 exec, exec, s[6:7]
	s_cbranch_execz .LBB1_6278
; %bb.42119:
	s_getpc_b64 s[14:15]
.Lpost_getpc6723:
	s_add_u32 s14, s14, (.LBB1_20616-.Lpost_getpc6723)&4294967295
	s_addc_u32 s15, s15, (.LBB1_20616-.Lpost_getpc6723)>>32
	s_setpc_b64 s[14:15]
.LBB1_6278:
	s_or_b64 exec, exec, s[6:7]
	s_and_saveexec_b64 s[6:7], s[4:5]
	s_cbranch_execz .LBB1_6280
.LBB1_6279:
	v_and_b32_e32 v13, 7, v2
	v_ffbh_u32_e32 v15, v13
	v_min_u32_e32 v15, 32, v15
	v_lshrrev_b16_e32 v14, 3, v2
	v_subrev_u32_e32 v16, 28, v15
	v_and_b32_e32 v14, 15, v14
	v_lshlrev_b32_e32 v16, v16, v2
	v_sub_u32_e32 v15, 29, v15
	v_and_b32_e32 v16, 7, v16
	v_cmp_eq_u16_e32 vcc, 0, v14
	v_cndmask_b32_e32 v13, v13, v16, vcc
	v_cndmask_b32_e32 v14, v14, v15, vcc
	v_lshlrev_b32_e32 v15, 24, v2
	v_mov_b32_e32 v16, 0x3b800000
	v_lshlrev_b32_e32 v13, 20, v13
	v_and_b32_e32 v15, 0x80000000, v15
	v_lshl_add_u32 v14, v14, 23, v16
	v_or3_b32 v13, v15, v14, v13
.LBB1_6280:
	s_or_b64 exec, exec, s[6:7]
	flat_load_dwordx4 a[0:3], v[10:11] offset:784
	s_movk_i32 s4, 0x7f
                                        ; implicit-def: $sgpr10
	s_waitcnt vmcnt(0) lgkmcnt(0)
	v_mfma_f32_16x16x4f32 a[0:3], v12, v13, a[0:3]
	v_lshrrev_b32_e32 v13, 8, v6
	v_cmp_gt_i16_sdwa s[6:7], v13, s4 src0_sel:BYTE_0 src1_sel:DWORD
	s_mov_b64 s[4:5], 0
	s_and_saveexec_b64 s[8:9], s[6:7]
	s_xor_b64 s[6:7], exec, s[8:9]
	s_cbranch_execz .LBB1_6281
; %bb.42121:
	s_getpc_b64 s[14:15]
.Lpost_getpc6724:
	s_add_u32 s14, s14, (.LBB1_20617-.Lpost_getpc6724)&4294967295
	s_addc_u32 s15, s15, (.LBB1_20617-.Lpost_getpc6724)>>32
	s_setpc_b64 s[14:15]
.LBB1_6281:
	s_or_saveexec_b64 s[6:7], s[6:7]
	v_mov_b32_e32 v12, s10
	s_xor_b64 exec, exec, s[6:7]
	s_cbranch_execz .LBB1_6282
; %bb.42123:
	s_getpc_b64 s[14:15]
.Lpost_getpc6725:
	s_add_u32 s14, s14, (.LBB1_20620-.Lpost_getpc6725)&4294967295
	s_addc_u32 s15, s15, (.LBB1_20620-.Lpost_getpc6725)>>32
	s_setpc_b64 s[14:15]
.LBB1_6282:
	s_or_b64 exec, exec, s[6:7]
	s_and_saveexec_b64 s[6:7], s[4:5]
	s_cbranch_execz .LBB1_6284
.LBB1_6283:
	v_bfe_u32 v12, v6, 8, 3
	v_ffbh_u32_e32 v15, v12
	v_min_u32_e32 v15, 32, v15
	v_lshrrev_b16_e32 v14, 3, v13
	v_subrev_u32_e32 v16, 28, v15
	v_and_b32_e32 v14, 15, v14
	v_lshlrev_b32_e32 v13, v16, v13
	v_sub_u32_e32 v15, 29, v15
	v_and_b32_e32 v13, 7, v13
	v_cmp_eq_u16_e32 vcc, 0, v14
	v_cndmask_b32_e32 v12, v12, v13, vcc
	v_cndmask_b32_e32 v13, v14, v15, vcc
	v_lshlrev_b32_e32 v14, 16, v6
	v_mov_b32_e32 v15, 0x3b800000
	v_lshlrev_b32_e32 v12, 20, v12
	v_and_b32_e32 v14, 0x80000000, v14
	v_lshl_add_u32 v13, v13, 23, v15
	v_or3_b32 v12, v14, v13, v12
.LBB1_6284:
	s_or_b64 exec, exec, s[6:7]
	v_lshrrev_b32_e32 v13, 8, v2
	s_movk_i32 s4, 0x7f
	v_cmp_gt_i16_sdwa s[6:7], v13, s4 src0_sel:BYTE_0 src1_sel:DWORD
	s_mov_b64 s[4:5], 0
                                        ; implicit-def: $sgpr10
	s_and_saveexec_b64 s[8:9], s[6:7]
	s_xor_b64 s[6:7], exec, s[8:9]
	s_cbranch_execz .LBB1_6285
; %bb.42125:
	s_getpc_b64 s[14:15]
.Lpost_getpc6726:
	s_add_u32 s14, s14, (.LBB1_20621-.Lpost_getpc6726)&4294967295
	s_addc_u32 s15, s15, (.LBB1_20621-.Lpost_getpc6726)>>32
	s_setpc_b64 s[14:15]
.LBB1_6285:
	s_or_saveexec_b64 s[6:7], s[6:7]
	v_mov_b32_e32 v14, s10
	s_xor_b64 exec, exec, s[6:7]
	s_cbranch_execz .LBB1_6286
; %bb.42127:
	s_getpc_b64 s[14:15]
.Lpost_getpc6727:
	s_add_u32 s14, s14, (.LBB1_20624-.Lpost_getpc6727)&4294967295
	s_addc_u32 s15, s15, (.LBB1_20624-.Lpost_getpc6727)>>32
	s_setpc_b64 s[14:15]
.LBB1_6286:
	s_or_b64 exec, exec, s[6:7]
	s_and_saveexec_b64 s[6:7], s[4:5]
	s_cbranch_execz .LBB1_6288
.LBB1_6287:
	v_bfe_u32 v14, v2, 8, 3
	v_ffbh_u32_e32 v16, v14
	v_min_u32_e32 v16, 32, v16
	v_lshrrev_b16_e32 v15, 3, v13
	v_subrev_u32_e32 v17, 28, v16
	v_and_b32_e32 v15, 15, v15
	v_lshlrev_b32_e32 v13, v17, v13
	v_sub_u32_e32 v16, 29, v16
	v_and_b32_e32 v13, 7, v13
	v_cmp_eq_u16_e32 vcc, 0, v15
	v_cndmask_b32_e32 v13, v14, v13, vcc
	v_cndmask_b32_e32 v14, v15, v16, vcc
	v_lshlrev_b32_e32 v15, 16, v2
	v_mov_b32_e32 v16, 0x3b800000
	v_lshlrev_b32_e32 v13, 20, v13
	v_and_b32_e32 v15, 0x80000000, v15
	v_lshl_add_u32 v14, v14, 23, v16
	v_or3_b32 v14, v15, v14, v13
.LBB1_6288:
	s_or_b64 exec, exec, s[6:7]
	s_nop 0
	v_mfma_f32_16x16x4f32 a[0:3], v12, v14, a[0:3]
	s_movk_i32 s4, 0xff
	v_and_b32_sdwa v13, v6, s4 dst_sel:DWORD dst_unused:UNUSED_PAD src0_sel:WORD_1 src1_sel:DWORD
	s_movk_i32 s4, 0x7f
	v_cmp_lt_i16_e32 vcc, s4, v13
	s_mov_b64 s[4:5], 0
                                        ; implicit-def: $sgpr10
	s_and_saveexec_b64 s[6:7], vcc
	s_xor_b64 s[6:7], exec, s[6:7]
	s_cbranch_execz .LBB1_6289
; %bb.42129:
	s_getpc_b64 s[14:15]
.Lpost_getpc6728:
	s_add_u32 s14, s14, (.LBB1_20625-.Lpost_getpc6728)&4294967295
	s_addc_u32 s15, s15, (.LBB1_20625-.Lpost_getpc6728)>>32
	s_setpc_b64 s[14:15]
.LBB1_6289:
	s_or_saveexec_b64 s[6:7], s[6:7]
	v_mov_b32_e32 v12, s10
	s_xor_b64 exec, exec, s[6:7]
	s_cbranch_execz .LBB1_6290
; %bb.42131:
	s_getpc_b64 s[14:15]
.Lpost_getpc6729:
	s_add_u32 s14, s14, (.LBB1_20628-.Lpost_getpc6729)&4294967295
	s_addc_u32 s15, s15, (.LBB1_20628-.Lpost_getpc6729)>>32
	s_setpc_b64 s[14:15]
.LBB1_6290:
	s_or_b64 exec, exec, s[6:7]
	s_and_saveexec_b64 s[6:7], s[4:5]
	s_cbranch_execz .LBB1_6292
.LBB1_6291:
	v_bfe_u32 v12, v6, 16, 3
	v_ffbh_u32_e32 v15, v12
	v_min_u32_e32 v15, 32, v15
	v_lshrrev_b32_e32 v13, 19, v6
	v_subrev_u32_e32 v16, 28, v15
	v_and_b32_e32 v13, 15, v13
	v_lshlrev_b32_sdwa v16, v16, v6 dst_sel:DWORD dst_unused:UNUSED_PAD src0_sel:DWORD src1_sel:WORD_1
	v_bfe_u32 v14, v6, 19, 4
	v_sub_u32_e32 v15, 29, v15
	v_and_b32_e32 v16, 7, v16
	v_cmp_eq_u16_e32 vcc, 0, v13
	v_cndmask_b32_e32 v12, v12, v16, vcc
	v_cndmask_b32_e32 v13, v14, v15, vcc
	v_lshlrev_b32_e32 v14, 8, v6
	v_mov_b32_e32 v15, 0x3b800000
	v_lshlrev_b32_e32 v12, 20, v12
	v_and_b32_e32 v14, 0x80000000, v14
	v_lshl_add_u32 v13, v13, 23, v15
	v_or3_b32 v12, v14, v13, v12
.LBB1_6292:
	s_or_b64 exec, exec, s[6:7]
	s_movk_i32 s4, 0xff
	v_and_b32_sdwa v13, v2, s4 dst_sel:DWORD dst_unused:UNUSED_PAD src0_sel:WORD_1 src1_sel:DWORD
	s_movk_i32 s4, 0x7f
	v_cmp_lt_i16_e32 vcc, s4, v13
	s_mov_b64 s[4:5], 0
                                        ; implicit-def: $sgpr10
	s_and_saveexec_b64 s[6:7], vcc
	s_xor_b64 s[6:7], exec, s[6:7]
	s_cbranch_execz .LBB1_6293
; %bb.42133:
	s_getpc_b64 s[14:15]
.Lpost_getpc6730:
	s_add_u32 s14, s14, (.LBB1_20629-.Lpost_getpc6730)&4294967295
	s_addc_u32 s15, s15, (.LBB1_20629-.Lpost_getpc6730)>>32
	s_setpc_b64 s[14:15]
.LBB1_6293:
	s_or_saveexec_b64 s[6:7], s[6:7]
	v_mov_b32_e32 v14, s10
	s_xor_b64 exec, exec, s[6:7]
	s_cbranch_execz .LBB1_6294
; %bb.42135:
	s_getpc_b64 s[14:15]
.Lpost_getpc6731:
	s_add_u32 s14, s14, (.LBB1_20632-.Lpost_getpc6731)&4294967295
	s_addc_u32 s15, s15, (.LBB1_20632-.Lpost_getpc6731)>>32
	s_setpc_b64 s[14:15]
.LBB1_6294:
	s_or_b64 exec, exec, s[6:7]
	s_and_saveexec_b64 s[6:7], s[4:5]
	s_cbranch_execz .LBB1_6296
.LBB1_6295:
	v_bfe_u32 v13, v2, 16, 3
	v_ffbh_u32_e32 v16, v13
	v_min_u32_e32 v16, 32, v16
	v_lshrrev_b32_e32 v14, 19, v2
	v_subrev_u32_e32 v17, 28, v16
	v_and_b32_e32 v14, 15, v14
	v_lshlrev_b32_sdwa v17, v17, v2 dst_sel:DWORD dst_unused:UNUSED_PAD src0_sel:DWORD src1_sel:WORD_1
	v_bfe_u32 v15, v2, 19, 4
	v_sub_u32_e32 v16, 29, v16
	v_and_b32_e32 v17, 7, v17
	v_cmp_eq_u16_e32 vcc, 0, v14
	v_cndmask_b32_e32 v13, v13, v17, vcc
	v_cndmask_b32_e32 v14, v15, v16, vcc
	v_lshlrev_b32_e32 v15, 8, v2
	v_mov_b32_e32 v16, 0x3b800000
	v_lshlrev_b32_e32 v13, 20, v13
	v_and_b32_e32 v15, 0x80000000, v15
	v_lshl_add_u32 v14, v14, 23, v16
	v_or3_b32 v14, v15, v14, v13
.LBB1_6296:
	s_or_b64 exec, exec, s[6:7]
	s_nop 0
	v_mfma_f32_16x16x4f32 a[0:3], v12, v14, a[0:3]
	s_movk_i32 s4, 0x7f
	v_cmp_gt_i16_sdwa s[6:7], v6, s4 src0_sel:BYTE_3 src1_sel:DWORD
	s_mov_b64 s[4:5], 0
                                        ; implicit-def: $sgpr10
	s_and_saveexec_b64 s[8:9], s[6:7]
	s_xor_b64 s[6:7], exec, s[8:9]
	s_cbranch_execz .LBB1_6297
; %bb.42137:
	s_getpc_b64 s[14:15]
.Lpost_getpc6732:
	s_add_u32 s14, s14, (.LBB1_20633-.Lpost_getpc6732)&4294967295
	s_addc_u32 s15, s15, (.LBB1_20633-.Lpost_getpc6732)>>32
	s_setpc_b64 s[14:15]
.LBB1_6297:
	s_or_saveexec_b64 s[6:7], s[6:7]
	v_mov_b32_e32 v12, s10
	s_xor_b64 exec, exec, s[6:7]
	s_cbranch_execz .LBB1_6298
; %bb.42139:
	s_getpc_b64 s[14:15]
.Lpost_getpc6733:
	s_add_u32 s14, s14, (.LBB1_20636-.Lpost_getpc6733)&4294967295
	s_addc_u32 s15, s15, (.LBB1_20636-.Lpost_getpc6733)>>32
	s_setpc_b64 s[14:15]
.LBB1_6298:
	s_or_b64 exec, exec, s[6:7]
	s_and_saveexec_b64 s[6:7], s[4:5]
	s_cbranch_execz .LBB1_6300
.LBB1_6299:
	v_bfe_u32 v12, v6, 24, 3
	v_ffbh_u32_e32 v16, v12
	v_min_u32_e32 v16, 32, v16
	v_lshrrev_b32_e32 v14, 27, v6
	v_subrev_u32_e32 v17, 28, v16
	v_and_b32_e32 v13, 0x80000000, v6
	v_and_b32_e32 v14, 15, v14
	v_bfe_u32 v15, v6, 27, 4
	v_lshlrev_b32_sdwa v6, v17, v6 dst_sel:DWORD dst_unused:UNUSED_PAD src0_sel:DWORD src1_sel:BYTE_3
	v_sub_u32_e32 v16, 29, v16
	v_and_b32_e32 v6, 7, v6
	v_cmp_eq_u16_e32 vcc, 0, v14
	v_cndmask_b32_e32 v6, v12, v6, vcc
	v_cndmask_b32_e32 v12, v15, v16, vcc
	v_mov_b32_e32 v14, 0x3b800000
	v_lshlrev_b32_e32 v6, 20, v6
	v_lshl_add_u32 v12, v12, 23, v14
	v_or3_b32 v12, v13, v12, v6
.LBB1_6300:
	s_or_b64 exec, exec, s[6:7]
	s_movk_i32 s4, 0x7f
	v_cmp_gt_i16_sdwa s[6:7], v2, s4 src0_sel:BYTE_3 src1_sel:DWORD
	s_mov_b64 s[4:5], 0
                                        ; implicit-def: $sgpr10
	s_and_saveexec_b64 s[8:9], s[6:7]
	s_xor_b64 s[6:7], exec, s[8:9]
	s_cbranch_execz .LBB1_6301
; %bb.42141:
	s_getpc_b64 s[14:15]
.Lpost_getpc6734:
	s_add_u32 s14, s14, (.LBB1_20637-.Lpost_getpc6734)&4294967295
	s_addc_u32 s15, s15, (.LBB1_20637-.Lpost_getpc6734)>>32
	s_setpc_b64 s[14:15]
.LBB1_6301:
	s_or_saveexec_b64 s[6:7], s[6:7]
	v_mov_b32_e32 v6, s10
	s_xor_b64 exec, exec, s[6:7]
	s_cbranch_execz .LBB1_6302
; %bb.42143:
	s_getpc_b64 s[14:15]
.Lpost_getpc6735:
	s_add_u32 s14, s14, (.LBB1_20640-.Lpost_getpc6735)&4294967295
	s_addc_u32 s15, s15, (.LBB1_20640-.Lpost_getpc6735)>>32
	s_setpc_b64 s[14:15]
.LBB1_6302:
	s_or_b64 exec, exec, s[6:7]
	s_and_saveexec_b64 s[6:7], s[4:5]
	s_cbranch_execz .LBB1_6304
.LBB1_6303:
	v_bfe_u32 v6, v2, 24, 3
	v_ffbh_u32_e32 v16, v6
	v_min_u32_e32 v16, 32, v16
	v_lshrrev_b32_e32 v14, 27, v2
	v_subrev_u32_e32 v17, 28, v16
	v_and_b32_e32 v13, 0x80000000, v2
	v_and_b32_e32 v14, 15, v14
	v_bfe_u32 v15, v2, 27, 4
	v_lshlrev_b32_sdwa v2, v17, v2 dst_sel:DWORD dst_unused:UNUSED_PAD src0_sel:DWORD src1_sel:BYTE_3
	v_sub_u32_e32 v16, 29, v16
	v_and_b32_e32 v2, 7, v2
	v_cmp_eq_u16_e32 vcc, 0, v14
	v_cndmask_b32_e32 v2, v6, v2, vcc
	v_cndmask_b32_e32 v6, v15, v16, vcc
	v_mov_b32_e32 v14, 0x3b800000
	v_lshlrev_b32_e32 v2, 20, v2
	v_lshl_add_u32 v6, v6, 23, v14
	v_or3_b32 v6, v13, v6, v2
.LBB1_6304:
	s_or_b64 exec, exec, s[6:7]
	s_nop 0
	v_mfma_f32_16x16x4f32 a[0:3], v12, v6, a[0:3]
	s_movk_i32 s4, 0x7f
	v_cmp_gt_i16_sdwa s[6:7], v7, s4 src0_sel:BYTE_0 src1_sel:DWORD
	s_mov_b64 s[4:5], 0
                                        ; implicit-def: $sgpr10
	s_and_saveexec_b64 s[8:9], s[6:7]
	s_xor_b64 s[6:7], exec, s[8:9]
	s_cbranch_execz .LBB1_6305
; %bb.42145:
	s_getpc_b64 s[14:15]
.Lpost_getpc6736:
	s_add_u32 s14, s14, (.LBB1_20641-.Lpost_getpc6736)&4294967295
	s_addc_u32 s15, s15, (.LBB1_20641-.Lpost_getpc6736)>>32
	s_setpc_b64 s[14:15]
.LBB1_6305:
	s_or_saveexec_b64 s[6:7], s[6:7]
	v_mov_b32_e32 v2, s10
	s_xor_b64 exec, exec, s[6:7]
	s_cbranch_execz .LBB1_6306
; %bb.42147:
	s_getpc_b64 s[14:15]
.Lpost_getpc6737:
	s_add_u32 s14, s14, (.LBB1_20644-.Lpost_getpc6737)&4294967295
	s_addc_u32 s15, s15, (.LBB1_20644-.Lpost_getpc6737)>>32
	s_setpc_b64 s[14:15]
.LBB1_6306:
	s_or_b64 exec, exec, s[6:7]
	s_and_saveexec_b64 s[6:7], s[4:5]
	s_cbranch_execz .LBB1_6308
.LBB1_6307:
	v_and_b32_e32 v2, 7, v7
	v_ffbh_u32_e32 v12, v2
	v_min_u32_e32 v12, 32, v12
	v_lshrrev_b16_e32 v6, 3, v7
	v_subrev_u32_e32 v13, 28, v12
	v_and_b32_e32 v6, 15, v6
	v_lshlrev_b32_e32 v13, v13, v7
	v_sub_u32_e32 v12, 29, v12
	v_and_b32_e32 v13, 7, v13
	v_cmp_eq_u16_e32 vcc, 0, v6
	v_cndmask_b32_e32 v2, v2, v13, vcc
	v_cndmask_b32_e32 v6, v6, v12, vcc
	v_lshlrev_b32_e32 v12, 24, v7
	v_mov_b32_e32 v13, 0x3b800000
	v_lshlrev_b32_e32 v2, 20, v2
	v_and_b32_e32 v12, 0x80000000, v12
	v_lshl_add_u32 v6, v6, 23, v13
	v_or3_b32 v2, v12, v6, v2
.LBB1_6308:
	s_or_b64 exec, exec, s[6:7]
	s_movk_i32 s4, 0x7f
	v_cmp_gt_i16_sdwa s[6:7], v3, s4 src0_sel:BYTE_0 src1_sel:DWORD
	s_mov_b64 s[4:5], 0
                                        ; implicit-def: $sgpr10
	s_and_saveexec_b64 s[8:9], s[6:7]
	s_xor_b64 s[6:7], exec, s[8:9]
	s_cbranch_execz .LBB1_6309
; %bb.42149:
	s_getpc_b64 s[14:15]
.Lpost_getpc6738:
	s_add_u32 s14, s14, (.LBB1_20645-.Lpost_getpc6738)&4294967295
	s_addc_u32 s15, s15, (.LBB1_20645-.Lpost_getpc6738)>>32
	s_setpc_b64 s[14:15]
.LBB1_6309:
	s_or_saveexec_b64 s[6:7], s[6:7]
	v_mov_b32_e32 v6, s10
	s_xor_b64 exec, exec, s[6:7]
	s_cbranch_execz .LBB1_6310
; %bb.42151:
	s_getpc_b64 s[14:15]
.Lpost_getpc6739:
	s_add_u32 s14, s14, (.LBB1_20648-.Lpost_getpc6739)&4294967295
	s_addc_u32 s15, s15, (.LBB1_20648-.Lpost_getpc6739)>>32
	s_setpc_b64 s[14:15]
.LBB1_6310:
	s_or_b64 exec, exec, s[6:7]
	s_and_saveexec_b64 s[6:7], s[4:5]
	s_cbranch_execz .LBB1_6312
.LBB1_6311:
	v_and_b32_e32 v6, 7, v3
	v_ffbh_u32_e32 v13, v6
	v_min_u32_e32 v13, 32, v13
	v_lshrrev_b16_e32 v12, 3, v3
	v_subrev_u32_e32 v14, 28, v13
	v_and_b32_e32 v12, 15, v12
	v_lshlrev_b32_e32 v14, v14, v3
	v_sub_u32_e32 v13, 29, v13
	v_and_b32_e32 v14, 7, v14
	v_cmp_eq_u16_e32 vcc, 0, v12
	v_cndmask_b32_e32 v6, v6, v14, vcc
	v_cndmask_b32_e32 v12, v12, v13, vcc
	v_lshlrev_b32_e32 v13, 24, v3
	v_mov_b32_e32 v14, 0x3b800000
	v_lshlrev_b32_e32 v6, 20, v6
	v_and_b32_e32 v13, 0x80000000, v13
	v_lshl_add_u32 v12, v12, 23, v14
	v_or3_b32 v6, v13, v12, v6
.LBB1_6312:
	s_or_b64 exec, exec, s[6:7]
	s_nop 0
	v_mfma_f32_16x16x4f32 a[0:3], v2, v6, a[0:3]
	v_lshrrev_b32_e32 v6, 8, v7
	s_movk_i32 s4, 0x7f
	v_cmp_gt_i16_sdwa s[6:7], v6, s4 src0_sel:BYTE_0 src1_sel:DWORD
	s_mov_b64 s[4:5], 0
                                        ; implicit-def: $sgpr10
	s_and_saveexec_b64 s[8:9], s[6:7]
	s_xor_b64 s[6:7], exec, s[8:9]
	s_cbranch_execz .LBB1_6313
; %bb.42153:
	s_getpc_b64 s[14:15]
.Lpost_getpc6740:
	s_add_u32 s14, s14, (.LBB1_20649-.Lpost_getpc6740)&4294967295
	s_addc_u32 s15, s15, (.LBB1_20649-.Lpost_getpc6740)>>32
	s_setpc_b64 s[14:15]
.LBB1_6313:
	s_or_saveexec_b64 s[6:7], s[6:7]
	v_mov_b32_e32 v2, s10
	s_xor_b64 exec, exec, s[6:7]
	s_cbranch_execz .LBB1_6314
; %bb.42155:
	s_getpc_b64 s[14:15]
.Lpost_getpc6741:
	s_add_u32 s14, s14, (.LBB1_20652-.Lpost_getpc6741)&4294967295
	s_addc_u32 s15, s15, (.LBB1_20652-.Lpost_getpc6741)>>32
	s_setpc_b64 s[14:15]
.LBB1_6314:
	s_or_b64 exec, exec, s[6:7]
	s_and_saveexec_b64 s[6:7], s[4:5]
	s_cbranch_execz .LBB1_6316
.LBB1_6315:
	v_bfe_u32 v2, v7, 8, 3
	v_ffbh_u32_e32 v13, v2
	v_min_u32_e32 v13, 32, v13
	v_lshrrev_b16_e32 v12, 3, v6
	v_subrev_u32_e32 v14, 28, v13
	v_and_b32_e32 v12, 15, v12
	v_lshlrev_b32_e32 v6, v14, v6
	v_sub_u32_e32 v13, 29, v13
	v_and_b32_e32 v6, 7, v6
	v_cmp_eq_u16_e32 vcc, 0, v12
	v_cndmask_b32_e32 v2, v2, v6, vcc
	v_cndmask_b32_e32 v6, v12, v13, vcc
	v_lshlrev_b32_e32 v12, 16, v7
	v_mov_b32_e32 v13, 0x3b800000
	v_lshlrev_b32_e32 v2, 20, v2
	v_and_b32_e32 v12, 0x80000000, v12
	v_lshl_add_u32 v6, v6, 23, v13
	v_or3_b32 v2, v12, v6, v2
.LBB1_6316:
	s_or_b64 exec, exec, s[6:7]
	v_lshrrev_b32_e32 v6, 8, v3
	s_movk_i32 s4, 0x7f
	v_cmp_gt_i16_sdwa s[6:7], v6, s4 src0_sel:BYTE_0 src1_sel:DWORD
	s_mov_b64 s[4:5], 0
                                        ; implicit-def: $sgpr10
	s_and_saveexec_b64 s[8:9], s[6:7]
	s_xor_b64 s[6:7], exec, s[8:9]
	s_cbranch_execz .LBB1_6317
; %bb.42157:
	s_getpc_b64 s[14:15]
.Lpost_getpc6742:
	s_add_u32 s14, s14, (.LBB1_20653-.Lpost_getpc6742)&4294967295
	s_addc_u32 s15, s15, (.LBB1_20653-.Lpost_getpc6742)>>32
	s_setpc_b64 s[14:15]
.LBB1_6317:
	s_or_saveexec_b64 s[6:7], s[6:7]
	v_mov_b32_e32 v12, s10
	s_xor_b64 exec, exec, s[6:7]
	s_cbranch_execz .LBB1_6318
; %bb.42159:
	s_getpc_b64 s[14:15]
.Lpost_getpc6743:
	s_add_u32 s14, s14, (.LBB1_20656-.Lpost_getpc6743)&4294967295
	s_addc_u32 s15, s15, (.LBB1_20656-.Lpost_getpc6743)>>32
	s_setpc_b64 s[14:15]
.LBB1_6318:
	s_or_b64 exec, exec, s[6:7]
	s_and_saveexec_b64 s[6:7], s[4:5]
	s_cbranch_execz .LBB1_6320
.LBB1_6319:
	v_bfe_u32 v12, v3, 8, 3
	v_ffbh_u32_e32 v14, v12
	v_min_u32_e32 v14, 32, v14
	v_lshrrev_b16_e32 v13, 3, v6
	v_subrev_u32_e32 v15, 28, v14
	v_and_b32_e32 v13, 15, v13
	v_lshlrev_b32_e32 v6, v15, v6
	v_sub_u32_e32 v14, 29, v14
	v_and_b32_e32 v6, 7, v6
	v_cmp_eq_u16_e32 vcc, 0, v13
	v_cndmask_b32_e32 v6, v12, v6, vcc
	v_cndmask_b32_e32 v12, v13, v14, vcc
	v_lshlrev_b32_e32 v13, 16, v3
	v_mov_b32_e32 v14, 0x3b800000
	v_lshlrev_b32_e32 v6, 20, v6
	v_and_b32_e32 v13, 0x80000000, v13
	v_lshl_add_u32 v12, v12, 23, v14
	v_or3_b32 v12, v13, v12, v6
.LBB1_6320:
	s_or_b64 exec, exec, s[6:7]
	s_nop 0
	v_mfma_f32_16x16x4f32 a[0:3], v2, v12, a[0:3]
	s_movk_i32 s4, 0xff
	v_and_b32_sdwa v6, v7, s4 dst_sel:DWORD dst_unused:UNUSED_PAD src0_sel:WORD_1 src1_sel:DWORD
	s_movk_i32 s4, 0x7f
	v_cmp_lt_i16_e32 vcc, s4, v6
	s_mov_b64 s[4:5], 0
                                        ; implicit-def: $sgpr10
	s_and_saveexec_b64 s[6:7], vcc
	s_xor_b64 s[6:7], exec, s[6:7]
	s_cbranch_execz .LBB1_6321
; %bb.42161:
	s_getpc_b64 s[14:15]
.Lpost_getpc6744:
	s_add_u32 s14, s14, (.LBB1_20657-.Lpost_getpc6744)&4294967295
	s_addc_u32 s15, s15, (.LBB1_20657-.Lpost_getpc6744)>>32
	s_setpc_b64 s[14:15]
.LBB1_6321:
	s_or_saveexec_b64 s[6:7], s[6:7]
	v_mov_b32_e32 v2, s10
	s_xor_b64 exec, exec, s[6:7]
	s_cbranch_execz .LBB1_6322
; %bb.42163:
	s_getpc_b64 s[14:15]
.Lpost_getpc6745:
	s_add_u32 s14, s14, (.LBB1_20660-.Lpost_getpc6745)&4294967295
	s_addc_u32 s15, s15, (.LBB1_20660-.Lpost_getpc6745)>>32
	s_setpc_b64 s[14:15]
.LBB1_6322:
	s_or_b64 exec, exec, s[6:7]
	s_and_saveexec_b64 s[6:7], s[4:5]
	s_cbranch_execz .LBB1_6324
.LBB1_6323:
	v_bfe_u32 v2, v7, 16, 3
	v_ffbh_u32_e32 v13, v2
	v_min_u32_e32 v13, 32, v13
	v_lshrrev_b32_e32 v6, 19, v7
	v_subrev_u32_e32 v14, 28, v13
	v_and_b32_e32 v6, 15, v6
	v_lshlrev_b32_sdwa v14, v14, v7 dst_sel:DWORD dst_unused:UNUSED_PAD src0_sel:DWORD src1_sel:WORD_1
	v_bfe_u32 v12, v7, 19, 4
	v_sub_u32_e32 v13, 29, v13
	v_and_b32_e32 v14, 7, v14
	v_cmp_eq_u16_e32 vcc, 0, v6
	v_cndmask_b32_e32 v2, v2, v14, vcc
	v_cndmask_b32_e32 v6, v12, v13, vcc
	v_lshlrev_b32_e32 v12, 8, v7
	v_mov_b32_e32 v13, 0x3b800000
	v_lshlrev_b32_e32 v2, 20, v2
	v_and_b32_e32 v12, 0x80000000, v12
	v_lshl_add_u32 v6, v6, 23, v13
	v_or3_b32 v2, v12, v6, v2
.LBB1_6324:
	s_or_b64 exec, exec, s[6:7]
	s_movk_i32 s4, 0xff
	v_and_b32_sdwa v6, v3, s4 dst_sel:DWORD dst_unused:UNUSED_PAD src0_sel:WORD_1 src1_sel:DWORD
	s_movk_i32 s4, 0x7f
	v_cmp_lt_i16_e32 vcc, s4, v6
	s_mov_b64 s[4:5], 0
                                        ; implicit-def: $sgpr10
	s_and_saveexec_b64 s[6:7], vcc
	s_xor_b64 s[6:7], exec, s[6:7]
	s_cbranch_execz .LBB1_6325
; %bb.42165:
	s_getpc_b64 s[14:15]
.Lpost_getpc6746:
	s_add_u32 s14, s14, (.LBB1_20661-.Lpost_getpc6746)&4294967295
	s_addc_u32 s15, s15, (.LBB1_20661-.Lpost_getpc6746)>>32
	s_setpc_b64 s[14:15]
.LBB1_6325:
	s_or_saveexec_b64 s[6:7], s[6:7]
	v_mov_b32_e32 v12, s10
	s_xor_b64 exec, exec, s[6:7]
	s_cbranch_execz .LBB1_6326
; %bb.42167:
	s_getpc_b64 s[14:15]
.Lpost_getpc6747:
	s_add_u32 s14, s14, (.LBB1_20664-.Lpost_getpc6747)&4294967295
	s_addc_u32 s15, s15, (.LBB1_20664-.Lpost_getpc6747)>>32
	s_setpc_b64 s[14:15]
.LBB1_6326:
	s_or_b64 exec, exec, s[6:7]
	s_and_saveexec_b64 s[6:7], s[4:5]
	s_cbranch_execz .LBB1_6328
.LBB1_6327:
	v_bfe_u32 v6, v3, 16, 3
	v_ffbh_u32_e32 v14, v6
	v_min_u32_e32 v14, 32, v14
	v_lshrrev_b32_e32 v12, 19, v3
	v_subrev_u32_e32 v15, 28, v14
	v_and_b32_e32 v12, 15, v12
	v_lshlrev_b32_sdwa v15, v15, v3 dst_sel:DWORD dst_unused:UNUSED_PAD src0_sel:DWORD src1_sel:WORD_1
	v_bfe_u32 v13, v3, 19, 4
	v_sub_u32_e32 v14, 29, v14
	v_and_b32_e32 v15, 7, v15
	v_cmp_eq_u16_e32 vcc, 0, v12
	v_cndmask_b32_e32 v6, v6, v15, vcc
	v_cndmask_b32_e32 v12, v13, v14, vcc
	v_lshlrev_b32_e32 v13, 8, v3
	v_mov_b32_e32 v14, 0x3b800000
	v_lshlrev_b32_e32 v6, 20, v6
	v_and_b32_e32 v13, 0x80000000, v13
	v_lshl_add_u32 v12, v12, 23, v14
	v_or3_b32 v12, v13, v12, v6
.LBB1_6328:
	s_or_b64 exec, exec, s[6:7]
	s_nop 0
	v_mfma_f32_16x16x4f32 a[0:3], v2, v12, a[0:3]
	s_movk_i32 s4, 0x7f
	v_cmp_gt_i16_sdwa s[6:7], v7, s4 src0_sel:BYTE_3 src1_sel:DWORD
	s_mov_b64 s[4:5], 0
                                        ; implicit-def: $sgpr10
	s_and_saveexec_b64 s[8:9], s[6:7]
	s_xor_b64 s[6:7], exec, s[8:9]
	s_cbranch_execz .LBB1_6329
; %bb.42169:
	s_getpc_b64 s[14:15]
.Lpost_getpc6748:
	s_add_u32 s14, s14, (.LBB1_20665-.Lpost_getpc6748)&4294967295
	s_addc_u32 s15, s15, (.LBB1_20665-.Lpost_getpc6748)>>32
	s_setpc_b64 s[14:15]
.LBB1_6329:
	s_or_saveexec_b64 s[6:7], s[6:7]
	v_mov_b32_e32 v2, s10
	s_xor_b64 exec, exec, s[6:7]
	s_cbranch_execz .LBB1_6330
; %bb.42171:
	s_getpc_b64 s[14:15]
.Lpost_getpc6749:
	s_add_u32 s14, s14, (.LBB1_20668-.Lpost_getpc6749)&4294967295
	s_addc_u32 s15, s15, (.LBB1_20668-.Lpost_getpc6749)>>32
	s_setpc_b64 s[14:15]
.LBB1_6330:
	s_or_b64 exec, exec, s[6:7]
	s_and_saveexec_b64 s[6:7], s[4:5]
	s_cbranch_execz .LBB1_6332
.LBB1_6331:
	v_bfe_u32 v2, v7, 24, 3
	v_ffbh_u32_e32 v14, v2
	v_min_u32_e32 v14, 32, v14
	v_lshrrev_b32_e32 v12, 27, v7
	v_subrev_u32_e32 v15, 28, v14
	v_and_b32_e32 v6, 0x80000000, v7
	v_and_b32_e32 v12, 15, v12
	v_bfe_u32 v13, v7, 27, 4
	v_lshlrev_b32_sdwa v7, v15, v7 dst_sel:DWORD dst_unused:UNUSED_PAD src0_sel:DWORD src1_sel:BYTE_3
	v_sub_u32_e32 v14, 29, v14
	v_and_b32_e32 v7, 7, v7
	v_cmp_eq_u16_e32 vcc, 0, v12
	v_cndmask_b32_e32 v2, v2, v7, vcc
	v_cndmask_b32_e32 v7, v13, v14, vcc
	v_mov_b32_e32 v12, 0x3b800000
	v_lshlrev_b32_e32 v2, 20, v2
	v_lshl_add_u32 v7, v7, 23, v12
	v_or3_b32 v2, v6, v7, v2
.LBB1_6332:
	s_or_b64 exec, exec, s[6:7]
	s_movk_i32 s4, 0x7f
	v_cmp_gt_i16_sdwa s[6:7], v3, s4 src0_sel:BYTE_3 src1_sel:DWORD
	s_mov_b64 s[4:5], 0
                                        ; implicit-def: $sgpr10
	s_and_saveexec_b64 s[8:9], s[6:7]
	s_xor_b64 s[6:7], exec, s[8:9]
	s_cbranch_execz .LBB1_6333
; %bb.42173:
	s_getpc_b64 s[14:15]
.Lpost_getpc6750:
	s_add_u32 s14, s14, (.LBB1_20669-.Lpost_getpc6750)&4294967295
	s_addc_u32 s15, s15, (.LBB1_20669-.Lpost_getpc6750)>>32
	s_setpc_b64 s[14:15]
.LBB1_6333:
	s_or_saveexec_b64 s[6:7], s[6:7]
	v_mov_b32_e32 v6, s10
	s_xor_b64 exec, exec, s[6:7]
	s_cbranch_execz .LBB1_6334
; %bb.42175:
	s_getpc_b64 s[14:15]
.Lpost_getpc6751:
	s_add_u32 s14, s14, (.LBB1_20672-.Lpost_getpc6751)&4294967295
	s_addc_u32 s15, s15, (.LBB1_20672-.Lpost_getpc6751)>>32
	s_setpc_b64 s[14:15]
.LBB1_6334:
	s_or_b64 exec, exec, s[6:7]
	s_and_saveexec_b64 s[6:7], s[4:5]
	s_cbranch_execz .LBB1_6336
.LBB1_6335:
	v_bfe_u32 v6, v3, 24, 3
	v_ffbh_u32_e32 v14, v6
	v_min_u32_e32 v14, 32, v14
	v_lshrrev_b32_e32 v12, 27, v3
	v_subrev_u32_e32 v15, 28, v14
	v_and_b32_e32 v7, 0x80000000, v3
	v_and_b32_e32 v12, 15, v12
	v_bfe_u32 v13, v3, 27, 4
	v_lshlrev_b32_sdwa v3, v15, v3 dst_sel:DWORD dst_unused:UNUSED_PAD src0_sel:DWORD src1_sel:BYTE_3
	v_sub_u32_e32 v14, 29, v14
	v_and_b32_e32 v3, 7, v3
	v_cmp_eq_u16_e32 vcc, 0, v12
	v_cndmask_b32_e32 v3, v6, v3, vcc
	v_cndmask_b32_e32 v6, v13, v14, vcc
	v_mov_b32_e32 v12, 0x3b800000
	v_lshlrev_b32_e32 v3, 20, v3
	v_lshl_add_u32 v6, v6, 23, v12
	v_or3_b32 v6, v7, v6, v3
.LBB1_6336:
	s_or_b64 exec, exec, s[6:7]
	s_nop 0
	v_mfma_f32_16x16x4f32 a[0:3], v2, v6, a[0:3]
	s_movk_i32 s4, 0x7f
	v_cmp_gt_i16_sdwa s[6:7], v8, s4 src0_sel:BYTE_0 src1_sel:DWORD
	s_mov_b64 s[4:5], 0
                                        ; implicit-def: $sgpr10
	s_and_saveexec_b64 s[8:9], s[6:7]
	s_xor_b64 s[6:7], exec, s[8:9]
	s_cbranch_execz .LBB1_6337
; %bb.42177:
	s_getpc_b64 s[14:15]
.Lpost_getpc6752:
	s_add_u32 s14, s14, (.LBB1_20673-.Lpost_getpc6752)&4294967295
	s_addc_u32 s15, s15, (.LBB1_20673-.Lpost_getpc6752)>>32
	s_setpc_b64 s[14:15]
.LBB1_6337:
	s_or_saveexec_b64 s[6:7], s[6:7]
	v_mov_b32_e32 v2, s10
	s_xor_b64 exec, exec, s[6:7]
	s_cbranch_execz .LBB1_6338
; %bb.42179:
	s_getpc_b64 s[14:15]
.Lpost_getpc6753:
	s_add_u32 s14, s14, (.LBB1_20676-.Lpost_getpc6753)&4294967295
	s_addc_u32 s15, s15, (.LBB1_20676-.Lpost_getpc6753)>>32
	s_setpc_b64 s[14:15]
.LBB1_6338:
	s_or_b64 exec, exec, s[6:7]
	s_and_saveexec_b64 s[6:7], s[4:5]
	s_cbranch_execz .LBB1_6340
.LBB1_6339:
	v_and_b32_e32 v2, 7, v8
	v_ffbh_u32_e32 v6, v2
	v_min_u32_e32 v6, 32, v6
	v_lshrrev_b16_e32 v3, 3, v8
	v_subrev_u32_e32 v7, 28, v6
	v_and_b32_e32 v3, 15, v3
	v_lshlrev_b32_e32 v7, v7, v8
	v_sub_u32_e32 v6, 29, v6
	v_and_b32_e32 v7, 7, v7
	v_cmp_eq_u16_e32 vcc, 0, v3
	v_cndmask_b32_e32 v2, v2, v7, vcc
	v_cndmask_b32_e32 v3, v3, v6, vcc
	v_lshlrev_b32_e32 v6, 24, v8
	v_mov_b32_e32 v7, 0x3b800000
	v_lshlrev_b32_e32 v2, 20, v2
	v_and_b32_e32 v6, 0x80000000, v6
	v_lshl_add_u32 v3, v3, 23, v7
	v_or3_b32 v2, v6, v3, v2
.LBB1_6340:
	s_or_b64 exec, exec, s[6:7]
	s_movk_i32 s4, 0x7f
	v_cmp_gt_i16_sdwa s[6:7], v4, s4 src0_sel:BYTE_0 src1_sel:DWORD
	s_mov_b64 s[4:5], 0
                                        ; implicit-def: $sgpr10
	s_and_saveexec_b64 s[8:9], s[6:7]
	s_xor_b64 s[6:7], exec, s[8:9]
	s_cbranch_execz .LBB1_6341
; %bb.42181:
	s_getpc_b64 s[14:15]
.Lpost_getpc6754:
	s_add_u32 s14, s14, (.LBB1_20677-.Lpost_getpc6754)&4294967295
	s_addc_u32 s15, s15, (.LBB1_20677-.Lpost_getpc6754)>>32
	s_setpc_b64 s[14:15]
.LBB1_6341:
	s_or_saveexec_b64 s[6:7], s[6:7]
	v_mov_b32_e32 v3, s10
	s_xor_b64 exec, exec, s[6:7]
	s_cbranch_execz .LBB1_6342
; %bb.42183:
	s_getpc_b64 s[14:15]
.Lpost_getpc6755:
	s_add_u32 s14, s14, (.LBB1_20680-.Lpost_getpc6755)&4294967295
	s_addc_u32 s15, s15, (.LBB1_20680-.Lpost_getpc6755)>>32
	s_setpc_b64 s[14:15]
.LBB1_6342:
	s_or_b64 exec, exec, s[6:7]
	s_and_saveexec_b64 s[6:7], s[4:5]
	s_cbranch_execz .LBB1_6344
.LBB1_6343:
	v_and_b32_e32 v3, 7, v4
	v_ffbh_u32_e32 v7, v3
	v_min_u32_e32 v7, 32, v7
	v_lshrrev_b16_e32 v6, 3, v4
	v_subrev_u32_e32 v12, 28, v7
	v_and_b32_e32 v6, 15, v6
	v_lshlrev_b32_e32 v12, v12, v4
	v_sub_u32_e32 v7, 29, v7
	v_and_b32_e32 v12, 7, v12
	v_cmp_eq_u16_e32 vcc, 0, v6
	v_cndmask_b32_e32 v3, v3, v12, vcc
	v_cndmask_b32_e32 v6, v6, v7, vcc
	v_lshlrev_b32_e32 v7, 24, v4
	v_mov_b32_e32 v12, 0x3b800000
	v_lshlrev_b32_e32 v3, 20, v3
	v_and_b32_e32 v7, 0x80000000, v7
	v_lshl_add_u32 v6, v6, 23, v12
	v_or3_b32 v3, v7, v6, v3
.LBB1_6344:
	s_or_b64 exec, exec, s[6:7]
	s_nop 0
	v_mfma_f32_16x16x4f32 a[0:3], v2, v3, a[0:3]
	v_lshrrev_b32_e32 v3, 8, v8
	s_movk_i32 s4, 0x7f
	v_cmp_gt_i16_sdwa s[6:7], v3, s4 src0_sel:BYTE_0 src1_sel:DWORD
	s_mov_b64 s[4:5], 0
                                        ; implicit-def: $sgpr10
	s_and_saveexec_b64 s[8:9], s[6:7]
	s_xor_b64 s[6:7], exec, s[8:9]
	s_cbranch_execz .LBB1_6345
; %bb.42185:
	s_getpc_b64 s[14:15]
.Lpost_getpc6756:
	s_add_u32 s14, s14, (.LBB1_20681-.Lpost_getpc6756)&4294967295
	s_addc_u32 s15, s15, (.LBB1_20681-.Lpost_getpc6756)>>32
	s_setpc_b64 s[14:15]
.LBB1_6345:
	s_or_saveexec_b64 s[6:7], s[6:7]
	v_mov_b32_e32 v2, s10
	s_xor_b64 exec, exec, s[6:7]
	s_cbranch_execz .LBB1_6346
; %bb.42187:
	s_getpc_b64 s[14:15]
.Lpost_getpc6757:
	s_add_u32 s14, s14, (.LBB1_20684-.Lpost_getpc6757)&4294967295
	s_addc_u32 s15, s15, (.LBB1_20684-.Lpost_getpc6757)>>32
	s_setpc_b64 s[14:15]
.LBB1_6346:
	s_or_b64 exec, exec, s[6:7]
	s_and_saveexec_b64 s[6:7], s[4:5]
	s_cbranch_execz .LBB1_6348
.LBB1_6347:
	v_bfe_u32 v2, v8, 8, 3
	v_ffbh_u32_e32 v7, v2
	v_min_u32_e32 v7, 32, v7
	v_lshrrev_b16_e32 v6, 3, v3
	v_subrev_u32_e32 v12, 28, v7
	v_and_b32_e32 v6, 15, v6
	v_lshlrev_b32_e32 v3, v12, v3
	v_sub_u32_e32 v7, 29, v7
	v_and_b32_e32 v3, 7, v3
	v_cmp_eq_u16_e32 vcc, 0, v6
	v_cndmask_b32_e32 v2, v2, v3, vcc
	v_cndmask_b32_e32 v3, v6, v7, vcc
	v_lshlrev_b32_e32 v6, 16, v8
	v_mov_b32_e32 v7, 0x3b800000
	v_lshlrev_b32_e32 v2, 20, v2
	v_and_b32_e32 v6, 0x80000000, v6
	v_lshl_add_u32 v3, v3, 23, v7
	v_or3_b32 v2, v6, v3, v2
.LBB1_6348:
	s_or_b64 exec, exec, s[6:7]
	v_lshrrev_b32_e32 v3, 8, v4
	s_movk_i32 s4, 0x7f
	v_cmp_gt_i16_sdwa s[6:7], v3, s4 src0_sel:BYTE_0 src1_sel:DWORD
	s_mov_b64 s[4:5], 0
                                        ; implicit-def: $sgpr10
	s_and_saveexec_b64 s[8:9], s[6:7]
	s_xor_b64 s[6:7], exec, s[8:9]
	s_cbranch_execz .LBB1_6349
; %bb.42189:
	s_getpc_b64 s[14:15]
.Lpost_getpc6758:
	s_add_u32 s14, s14, (.LBB1_20685-.Lpost_getpc6758)&4294967295
	s_addc_u32 s15, s15, (.LBB1_20685-.Lpost_getpc6758)>>32
	s_setpc_b64 s[14:15]
.LBB1_6349:
	s_or_saveexec_b64 s[6:7], s[6:7]
	v_mov_b32_e32 v6, s10
	s_xor_b64 exec, exec, s[6:7]
	s_cbranch_execz .LBB1_6350
; %bb.42191:
	s_getpc_b64 s[14:15]
.Lpost_getpc6759:
	s_add_u32 s14, s14, (.LBB1_20688-.Lpost_getpc6759)&4294967295
	s_addc_u32 s15, s15, (.LBB1_20688-.Lpost_getpc6759)>>32
	s_setpc_b64 s[14:15]
.LBB1_6350:
	s_or_b64 exec, exec, s[6:7]
	s_and_saveexec_b64 s[6:7], s[4:5]
	s_cbranch_execz .LBB1_6352
.LBB1_6351:
	v_bfe_u32 v6, v4, 8, 3
	v_ffbh_u32_e32 v12, v6
	v_min_u32_e32 v12, 32, v12
	v_lshrrev_b16_e32 v7, 3, v3
	v_subrev_u32_e32 v13, 28, v12
	v_and_b32_e32 v7, 15, v7
	v_lshlrev_b32_e32 v3, v13, v3
	v_sub_u32_e32 v12, 29, v12
	v_and_b32_e32 v3, 7, v3
	v_cmp_eq_u16_e32 vcc, 0, v7
	v_cndmask_b32_e32 v3, v6, v3, vcc
	v_cndmask_b32_e32 v6, v7, v12, vcc
	v_lshlrev_b32_e32 v7, 16, v4
	v_mov_b32_e32 v12, 0x3b800000
	v_lshlrev_b32_e32 v3, 20, v3
	v_and_b32_e32 v7, 0x80000000, v7
	v_lshl_add_u32 v6, v6, 23, v12
	v_or3_b32 v6, v7, v6, v3
.LBB1_6352:
	s_or_b64 exec, exec, s[6:7]
	s_nop 0
	v_mfma_f32_16x16x4f32 a[0:3], v2, v6, a[0:3]
	s_movk_i32 s4, 0xff
	v_and_b32_sdwa v3, v8, s4 dst_sel:DWORD dst_unused:UNUSED_PAD src0_sel:WORD_1 src1_sel:DWORD
	s_movk_i32 s4, 0x7f
	v_cmp_lt_i16_e32 vcc, s4, v3
	s_mov_b64 s[4:5], 0
                                        ; implicit-def: $sgpr10
	s_and_saveexec_b64 s[6:7], vcc
	s_xor_b64 s[6:7], exec, s[6:7]
	s_cbranch_execz .LBB1_6353
; %bb.42193:
	s_getpc_b64 s[14:15]
.Lpost_getpc6760:
	s_add_u32 s14, s14, (.LBB1_20689-.Lpost_getpc6760)&4294967295
	s_addc_u32 s15, s15, (.LBB1_20689-.Lpost_getpc6760)>>32
	s_setpc_b64 s[14:15]
.LBB1_6353:
	s_or_saveexec_b64 s[6:7], s[6:7]
	v_mov_b32_e32 v2, s10
	s_xor_b64 exec, exec, s[6:7]
	s_cbranch_execz .LBB1_6354
; %bb.42195:
	s_getpc_b64 s[14:15]
.Lpost_getpc6761:
	s_add_u32 s14, s14, (.LBB1_20692-.Lpost_getpc6761)&4294967295
	s_addc_u32 s15, s15, (.LBB1_20692-.Lpost_getpc6761)>>32
	s_setpc_b64 s[14:15]
.LBB1_6354:
	s_or_b64 exec, exec, s[6:7]
	s_and_saveexec_b64 s[6:7], s[4:5]
	s_cbranch_execz .LBB1_6356
.LBB1_6355:
	v_bfe_u32 v2, v8, 16, 3
	v_ffbh_u32_e32 v7, v2
	v_min_u32_e32 v7, 32, v7
	v_lshrrev_b32_e32 v3, 19, v8
	v_subrev_u32_e32 v12, 28, v7
	v_and_b32_e32 v3, 15, v3
	v_lshlrev_b32_sdwa v12, v12, v8 dst_sel:DWORD dst_unused:UNUSED_PAD src0_sel:DWORD src1_sel:WORD_1
	v_bfe_u32 v6, v8, 19, 4
	v_sub_u32_e32 v7, 29, v7
	v_and_b32_e32 v12, 7, v12
	v_cmp_eq_u16_e32 vcc, 0, v3
	v_cndmask_b32_e32 v2, v2, v12, vcc
	v_cndmask_b32_e32 v3, v6, v7, vcc
	v_lshlrev_b32_e32 v6, 8, v8
	v_mov_b32_e32 v7, 0x3b800000
	v_lshlrev_b32_e32 v2, 20, v2
	v_and_b32_e32 v6, 0x80000000, v6
	v_lshl_add_u32 v3, v3, 23, v7
	v_or3_b32 v2, v6, v3, v2
.LBB1_6356:
	s_or_b64 exec, exec, s[6:7]
	s_movk_i32 s4, 0xff
	v_and_b32_sdwa v3, v4, s4 dst_sel:DWORD dst_unused:UNUSED_PAD src0_sel:WORD_1 src1_sel:DWORD
	s_movk_i32 s4, 0x7f
	v_cmp_lt_i16_e32 vcc, s4, v3
	s_mov_b64 s[4:5], 0
                                        ; implicit-def: $sgpr10
	s_and_saveexec_b64 s[6:7], vcc
	s_xor_b64 s[6:7], exec, s[6:7]
	s_cbranch_execz .LBB1_6357
; %bb.42197:
	s_getpc_b64 s[14:15]
.Lpost_getpc6762:
	s_add_u32 s14, s14, (.LBB1_20693-.Lpost_getpc6762)&4294967295
	s_addc_u32 s15, s15, (.LBB1_20693-.Lpost_getpc6762)>>32
	s_setpc_b64 s[14:15]
.LBB1_6357:
	s_or_saveexec_b64 s[6:7], s[6:7]
	v_mov_b32_e32 v6, s10
	s_xor_b64 exec, exec, s[6:7]
	s_cbranch_execz .LBB1_6358
; %bb.42199:
	s_getpc_b64 s[14:15]
.Lpost_getpc6763:
	s_add_u32 s14, s14, (.LBB1_20696-.Lpost_getpc6763)&4294967295
	s_addc_u32 s15, s15, (.LBB1_20696-.Lpost_getpc6763)>>32
	s_setpc_b64 s[14:15]
.LBB1_6358:
	s_or_b64 exec, exec, s[6:7]
	s_and_saveexec_b64 s[6:7], s[4:5]
	s_cbranch_execz .LBB1_6360
.LBB1_6359:
	v_bfe_u32 v3, v4, 16, 3
	v_ffbh_u32_e32 v12, v3
	v_min_u32_e32 v12, 32, v12
	v_lshrrev_b32_e32 v6, 19, v4
	v_subrev_u32_e32 v13, 28, v12
	v_and_b32_e32 v6, 15, v6
	v_lshlrev_b32_sdwa v13, v13, v4 dst_sel:DWORD dst_unused:UNUSED_PAD src0_sel:DWORD src1_sel:WORD_1
	v_bfe_u32 v7, v4, 19, 4
	v_sub_u32_e32 v12, 29, v12
	v_and_b32_e32 v13, 7, v13
	v_cmp_eq_u16_e32 vcc, 0, v6
	v_cndmask_b32_e32 v3, v3, v13, vcc
	v_cndmask_b32_e32 v6, v7, v12, vcc
	v_lshlrev_b32_e32 v7, 8, v4
	v_mov_b32_e32 v12, 0x3b800000
	v_lshlrev_b32_e32 v3, 20, v3
	v_and_b32_e32 v7, 0x80000000, v7
	v_lshl_add_u32 v6, v6, 23, v12
	v_or3_b32 v6, v7, v6, v3
.LBB1_6360:
	s_or_b64 exec, exec, s[6:7]
	s_nop 0
	v_mfma_f32_16x16x4f32 a[0:3], v2, v6, a[0:3]
	s_movk_i32 s4, 0x7f
	v_cmp_gt_i16_sdwa s[6:7], v8, s4 src0_sel:BYTE_3 src1_sel:DWORD
	s_mov_b64 s[4:5], 0
                                        ; implicit-def: $sgpr10
	s_and_saveexec_b64 s[8:9], s[6:7]
	s_xor_b64 s[6:7], exec, s[8:9]
	s_cbranch_execz .LBB1_6361
; %bb.42201:
	s_getpc_b64 s[14:15]
.Lpost_getpc6764:
	s_add_u32 s14, s14, (.LBB1_20697-.Lpost_getpc6764)&4294967295
	s_addc_u32 s15, s15, (.LBB1_20697-.Lpost_getpc6764)>>32
	s_setpc_b64 s[14:15]
.LBB1_6361:
	s_or_saveexec_b64 s[6:7], s[6:7]
	v_mov_b32_e32 v2, s10
	s_xor_b64 exec, exec, s[6:7]
	s_cbranch_execz .LBB1_6362
; %bb.42203:
	s_getpc_b64 s[14:15]
.Lpost_getpc6765:
	s_add_u32 s14, s14, (.LBB1_20700-.Lpost_getpc6765)&4294967295
	s_addc_u32 s15, s15, (.LBB1_20700-.Lpost_getpc6765)>>32
	s_setpc_b64 s[14:15]
.LBB1_6362:
	s_or_b64 exec, exec, s[6:7]
	s_and_saveexec_b64 s[6:7], s[4:5]
	s_cbranch_execz .LBB1_6364
.LBB1_6363:
	v_bfe_u32 v2, v8, 24, 3
	v_ffbh_u32_e32 v12, v2
	v_min_u32_e32 v12, 32, v12
	v_lshrrev_b32_e32 v6, 27, v8
	v_subrev_u32_e32 v13, 28, v12
	v_and_b32_e32 v3, 0x80000000, v8
	v_and_b32_e32 v6, 15, v6
	v_bfe_u32 v7, v8, 27, 4
	v_lshlrev_b32_sdwa v8, v13, v8 dst_sel:DWORD dst_unused:UNUSED_PAD src0_sel:DWORD src1_sel:BYTE_3
	v_sub_u32_e32 v12, 29, v12
	v_and_b32_e32 v8, 7, v8
	v_cmp_eq_u16_e32 vcc, 0, v6
	v_cndmask_b32_e32 v2, v2, v8, vcc
	v_cndmask_b32_e32 v6, v7, v12, vcc
	v_mov_b32_e32 v7, 0x3b800000
	v_lshlrev_b32_e32 v2, 20, v2
	v_lshl_add_u32 v6, v6, 23, v7
	v_or3_b32 v2, v3, v6, v2
.LBB1_6364:
	s_or_b64 exec, exec, s[6:7]
	s_movk_i32 s4, 0x7f
	v_cmp_gt_i16_sdwa s[6:7], v4, s4 src0_sel:BYTE_3 src1_sel:DWORD
	s_mov_b64 s[4:5], 0
                                        ; implicit-def: $sgpr10
	s_and_saveexec_b64 s[8:9], s[6:7]
	s_xor_b64 s[6:7], exec, s[8:9]
	s_cbranch_execz .LBB1_6365
; %bb.42205:
	s_getpc_b64 s[14:15]
.Lpost_getpc6766:
	s_add_u32 s14, s14, (.LBB1_20701-.Lpost_getpc6766)&4294967295
	s_addc_u32 s15, s15, (.LBB1_20701-.Lpost_getpc6766)>>32
	s_setpc_b64 s[14:15]
.LBB1_6365:
	s_or_saveexec_b64 s[6:7], s[6:7]
	v_mov_b32_e32 v3, s10
	s_xor_b64 exec, exec, s[6:7]
	s_cbranch_execz .LBB1_6366
; %bb.42207:
	s_getpc_b64 s[14:15]
.Lpost_getpc6767:
	s_add_u32 s14, s14, (.LBB1_20704-.Lpost_getpc6767)&4294967295
	s_addc_u32 s15, s15, (.LBB1_20704-.Lpost_getpc6767)>>32
	s_setpc_b64 s[14:15]
.LBB1_6366:
	s_or_b64 exec, exec, s[6:7]
	s_and_saveexec_b64 s[6:7], s[4:5]
	s_cbranch_execz .LBB1_6368
.LBB1_6367:
	v_bfe_u32 v3, v4, 24, 3
	v_ffbh_u32_e32 v12, v3
	v_min_u32_e32 v12, 32, v12
	v_lshrrev_b32_e32 v7, 27, v4
	v_subrev_u32_e32 v13, 28, v12
	v_and_b32_e32 v6, 0x80000000, v4
	v_and_b32_e32 v7, 15, v7
	v_bfe_u32 v8, v4, 27, 4
	v_lshlrev_b32_sdwa v4, v13, v4 dst_sel:DWORD dst_unused:UNUSED_PAD src0_sel:DWORD src1_sel:BYTE_3
	v_sub_u32_e32 v12, 29, v12
	v_and_b32_e32 v4, 7, v4
	v_cmp_eq_u16_e32 vcc, 0, v7
	v_cndmask_b32_e32 v3, v3, v4, vcc
	v_cndmask_b32_e32 v4, v8, v12, vcc
	v_mov_b32_e32 v7, 0x3b800000
	v_lshlrev_b32_e32 v3, 20, v3
	v_lshl_add_u32 v4, v4, 23, v7
	v_or3_b32 v3, v6, v4, v3
.LBB1_6368:
	s_or_b64 exec, exec, s[6:7]
	s_nop 0
	v_mfma_f32_16x16x4f32 a[0:3], v2, v3, a[0:3]
	s_movk_i32 s4, 0x7f
	v_cmp_gt_i16_sdwa s[6:7], v9, s4 src0_sel:BYTE_0 src1_sel:DWORD
	s_mov_b64 s[4:5], 0
                                        ; implicit-def: $sgpr10
	s_and_saveexec_b64 s[8:9], s[6:7]
	s_xor_b64 s[6:7], exec, s[8:9]
	s_cbranch_execz .LBB1_6369
; %bb.42209:
	s_getpc_b64 s[14:15]
.Lpost_getpc6768:
	s_add_u32 s14, s14, (.LBB1_20705-.Lpost_getpc6768)&4294967295
	s_addc_u32 s15, s15, (.LBB1_20705-.Lpost_getpc6768)>>32
	s_setpc_b64 s[14:15]
.LBB1_6369:
	s_or_saveexec_b64 s[6:7], s[6:7]
	v_mov_b32_e32 v2, s10
	s_xor_b64 exec, exec, s[6:7]
	s_cbranch_execz .LBB1_6370
; %bb.42211:
	s_getpc_b64 s[14:15]
.Lpost_getpc6769:
	s_add_u32 s14, s14, (.LBB1_20708-.Lpost_getpc6769)&4294967295
	s_addc_u32 s15, s15, (.LBB1_20708-.Lpost_getpc6769)>>32
	s_setpc_b64 s[14:15]
.LBB1_6370:
	s_or_b64 exec, exec, s[6:7]
	s_and_saveexec_b64 s[6:7], s[4:5]
	s_cbranch_execz .LBB1_6372
.LBB1_6371:
	v_mov_b32_e32 v2, 8
	v_and_b32_e32 v3, 7, v9
	v_lshrrev_b32_sdwa v2, v2, v9 dst_sel:BYTE_1 dst_unused:UNUSED_PAD src0_sel:DWORD src1_sel:DWORD
	v_ffbh_u32_e32 v4, v3
	v_or_b32_sdwa v2, v9, v2 dst_sel:DWORD dst_unused:UNUSED_PAD src0_sel:BYTE_0 src1_sel:DWORD
	v_min_u32_e32 v4, 32, v4
	v_lshrrev_b16_e32 v2, 3, v2
	v_subrev_u32_e32 v6, 28, v4
	v_and_b32_e32 v2, 15, v2
	v_lshlrev_b32_e32 v6, v6, v9
	v_sub_u32_e32 v4, 29, v4
	v_and_b32_e32 v6, 7, v6
	v_cmp_eq_u16_e32 vcc, 0, v2
	v_cndmask_b32_e32 v3, v3, v6, vcc
	v_cndmask_b32_e32 v2, v2, v4, vcc
	v_lshlrev_b32_e32 v4, 24, v9
	v_mov_b32_e32 v6, 0x3b800000
	v_lshlrev_b32_e32 v3, 20, v3
	v_and_b32_e32 v4, 0x80000000, v4
	v_lshl_add_u32 v2, v2, 23, v6
	v_or3_b32 v2, v4, v2, v3
.LBB1_6372:
	s_or_b64 exec, exec, s[6:7]
	s_movk_i32 s4, 0x7f
	v_cmp_gt_i16_sdwa s[6:7], v5, s4 src0_sel:BYTE_0 src1_sel:DWORD
	s_mov_b64 s[4:5], 0
                                        ; implicit-def: $sgpr10
	s_and_saveexec_b64 s[8:9], s[6:7]
	s_xor_b64 s[6:7], exec, s[8:9]
	s_cbranch_execz .LBB1_6373
; %bb.42213:
	s_getpc_b64 s[14:15]
.Lpost_getpc6770:
	s_add_u32 s14, s14, (.LBB1_20709-.Lpost_getpc6770)&4294967295
	s_addc_u32 s15, s15, (.LBB1_20709-.Lpost_getpc6770)>>32
	s_setpc_b64 s[14:15]
.LBB1_6373:
	s_or_saveexec_b64 s[6:7], s[6:7]
	v_mov_b32_e32 v3, s10
	s_xor_b64 exec, exec, s[6:7]
	s_cbranch_execz .LBB1_6374
; %bb.42215:
	s_getpc_b64 s[14:15]
.Lpost_getpc6771:
	s_add_u32 s14, s14, (.LBB1_20712-.Lpost_getpc6771)&4294967295
	s_addc_u32 s15, s15, (.LBB1_20712-.Lpost_getpc6771)>>32
	s_setpc_b64 s[14:15]
.LBB1_6374:
	s_or_b64 exec, exec, s[6:7]
	s_and_saveexec_b64 s[6:7], s[4:5]
	s_cbranch_execz .LBB1_6376
.LBB1_6375:
	v_mov_b32_e32 v3, 8
	v_and_b32_e32 v4, 7, v5
	v_lshrrev_b32_sdwa v3, v3, v5 dst_sel:BYTE_1 dst_unused:UNUSED_PAD src0_sel:DWORD src1_sel:DWORD
	v_ffbh_u32_e32 v6, v4
	v_or_b32_sdwa v3, v5, v3 dst_sel:DWORD dst_unused:UNUSED_PAD src0_sel:BYTE_0 src1_sel:DWORD
	v_min_u32_e32 v6, 32, v6
	v_lshrrev_b16_e32 v3, 3, v3
	v_subrev_u32_e32 v7, 28, v6
	v_and_b32_e32 v3, 15, v3
	v_lshlrev_b32_e32 v7, v7, v5
	v_sub_u32_e32 v6, 29, v6
	v_and_b32_e32 v7, 7, v7
	v_cmp_eq_u16_e32 vcc, 0, v3
	v_cndmask_b32_e32 v4, v4, v7, vcc
	v_cndmask_b32_e32 v3, v3, v6, vcc
	v_lshlrev_b32_e32 v6, 24, v5
	v_mov_b32_e32 v7, 0x3b800000
	v_lshlrev_b32_e32 v4, 20, v4
	v_and_b32_e32 v6, 0x80000000, v6
	v_lshl_add_u32 v3, v3, 23, v7
	v_or3_b32 v3, v6, v3, v4
.LBB1_6376:
	s_or_b64 exec, exec, s[6:7]
	s_nop 0
	v_mfma_f32_16x16x4f32 a[0:3], v2, v3, a[0:3]
	v_lshrrev_b32_e32 v3, 8, v9
	s_movk_i32 s4, 0x7f
	v_cmp_gt_i16_sdwa s[6:7], v3, s4 src0_sel:BYTE_0 src1_sel:DWORD
	s_mov_b64 s[4:5], 0
                                        ; implicit-def: $sgpr10
	s_and_saveexec_b64 s[8:9], s[6:7]
	s_xor_b64 s[6:7], exec, s[8:9]
	s_cbranch_execz .LBB1_6377
; %bb.42217:
	s_getpc_b64 s[14:15]
.Lpost_getpc6772:
	s_add_u32 s14, s14, (.LBB1_20713-.Lpost_getpc6772)&4294967295
	s_addc_u32 s15, s15, (.LBB1_20713-.Lpost_getpc6772)>>32
	s_setpc_b64 s[14:15]
.LBB1_6377:
	s_or_saveexec_b64 s[6:7], s[6:7]
	v_mov_b32_e32 v2, s10
	s_xor_b64 exec, exec, s[6:7]
	s_cbranch_execz .LBB1_6378
; %bb.42219:
	s_getpc_b64 s[14:15]
.Lpost_getpc6773:
	s_add_u32 s14, s14, (.LBB1_20716-.Lpost_getpc6773)&4294967295
	s_addc_u32 s15, s15, (.LBB1_20716-.Lpost_getpc6773)>>32
	s_setpc_b64 s[14:15]
.LBB1_6378:
	s_or_b64 exec, exec, s[6:7]
	s_and_saveexec_b64 s[6:7], s[4:5]
	s_cbranch_execz .LBB1_6380
.LBB1_6379:
	v_bfe_u32 v2, v9, 8, 3
	v_ffbh_u32_e32 v6, v2
	v_min_u32_e32 v6, 32, v6
	v_lshrrev_b16_e32 v4, 3, v3
	v_subrev_u32_e32 v7, 28, v6
	v_and_b32_e32 v4, 15, v4
	v_lshlrev_b32_e32 v3, v7, v3
	v_sub_u32_e32 v6, 29, v6
	v_and_b32_e32 v3, 7, v3
	v_cmp_eq_u16_e32 vcc, 0, v4
	v_cndmask_b32_e32 v2, v2, v3, vcc
	v_cndmask_b32_e32 v3, v4, v6, vcc
	v_lshlrev_b32_e32 v4, 16, v9
	v_mov_b32_e32 v6, 0x3b800000
	v_lshlrev_b32_e32 v2, 20, v2
	v_and_b32_e32 v4, 0x80000000, v4
	v_lshl_add_u32 v3, v3, 23, v6
	v_or3_b32 v2, v4, v3, v2
.LBB1_6380:
	s_or_b64 exec, exec, s[6:7]
	v_lshrrev_b32_e32 v3, 8, v5
	s_movk_i32 s4, 0x7f
	v_cmp_gt_i16_sdwa s[6:7], v3, s4 src0_sel:BYTE_0 src1_sel:DWORD
	s_mov_b64 s[4:5], 0
                                        ; implicit-def: $sgpr10
	s_and_saveexec_b64 s[8:9], s[6:7]
	s_xor_b64 s[6:7], exec, s[8:9]
	s_cbranch_execz .LBB1_6381
; %bb.42221:
	s_getpc_b64 s[14:15]
.Lpost_getpc6774:
	s_add_u32 s14, s14, (.LBB1_20717-.Lpost_getpc6774)&4294967295
	s_addc_u32 s15, s15, (.LBB1_20717-.Lpost_getpc6774)>>32
	s_setpc_b64 s[14:15]
.LBB1_6381:
	s_or_saveexec_b64 s[6:7], s[6:7]
	v_mov_b32_e32 v4, s10
	s_xor_b64 exec, exec, s[6:7]
	s_cbranch_execz .LBB1_6382
; %bb.42223:
	s_getpc_b64 s[14:15]
.Lpost_getpc6775:
	s_add_u32 s14, s14, (.LBB1_20720-.Lpost_getpc6775)&4294967295
	s_addc_u32 s15, s15, (.LBB1_20720-.Lpost_getpc6775)>>32
	s_setpc_b64 s[14:15]
.LBB1_6382:
	s_or_b64 exec, exec, s[6:7]
	s_and_saveexec_b64 s[6:7], s[4:5]
	s_cbranch_execz .LBB1_6384
.LBB1_6383:
	v_bfe_u32 v4, v5, 8, 3
	v_ffbh_u32_e32 v7, v4
	v_min_u32_e32 v7, 32, v7
	v_lshrrev_b16_e32 v6, 3, v3
	v_subrev_u32_e32 v8, 28, v7
	v_and_b32_e32 v6, 15, v6
	v_lshlrev_b32_e32 v3, v8, v3
	v_sub_u32_e32 v7, 29, v7
	v_and_b32_e32 v3, 7, v3
	v_cmp_eq_u16_e32 vcc, 0, v6
	v_cndmask_b32_e32 v3, v4, v3, vcc
	v_cndmask_b32_e32 v4, v6, v7, vcc
	v_lshlrev_b32_e32 v6, 16, v5
	v_mov_b32_e32 v7, 0x3b800000
	v_lshlrev_b32_e32 v3, 20, v3
	v_and_b32_e32 v6, 0x80000000, v6
	v_lshl_add_u32 v4, v4, 23, v7
	v_or3_b32 v4, v6, v4, v3
.LBB1_6384:
	s_or_b64 exec, exec, s[6:7]
	s_nop 0
	v_mfma_f32_16x16x4f32 a[0:3], v2, v4, a[0:3]
	s_movk_i32 s4, 0xff
	v_and_b32_sdwa v3, v9, s4 dst_sel:DWORD dst_unused:UNUSED_PAD src0_sel:WORD_1 src1_sel:DWORD
	s_movk_i32 s4, 0x7f
	v_cmp_lt_i16_e32 vcc, s4, v3
	s_mov_b64 s[4:5], 0
                                        ; implicit-def: $sgpr10
	s_and_saveexec_b64 s[6:7], vcc
	s_xor_b64 s[6:7], exec, s[6:7]
	s_cbranch_execz .LBB1_6385
; %bb.42225:
	s_getpc_b64 s[14:15]
.Lpost_getpc6776:
	s_add_u32 s14, s14, (.LBB1_20721-.Lpost_getpc6776)&4294967295
	s_addc_u32 s15, s15, (.LBB1_20721-.Lpost_getpc6776)>>32
	s_setpc_b64 s[14:15]
.LBB1_6385:
	s_or_saveexec_b64 s[6:7], s[6:7]
	v_mov_b32_e32 v2, s10
	s_xor_b64 exec, exec, s[6:7]
	s_cbranch_execz .LBB1_6386
; %bb.42227:
	s_getpc_b64 s[14:15]
.Lpost_getpc6777:
	s_add_u32 s14, s14, (.LBB1_20724-.Lpost_getpc6777)&4294967295
	s_addc_u32 s15, s15, (.LBB1_20724-.Lpost_getpc6777)>>32
	s_setpc_b64 s[14:15]
.LBB1_6386:
	s_or_b64 exec, exec, s[6:7]
	s_and_saveexec_b64 s[6:7], s[4:5]
	s_cbranch_execz .LBB1_6388
.LBB1_6387:
	v_bfe_u32 v2, v9, 16, 3
	v_ffbh_u32_e32 v6, v2
	v_min_u32_e32 v6, 32, v6
	v_lshrrev_b32_e32 v3, 19, v9
	v_subrev_u32_e32 v7, 28, v6
	v_and_b32_e32 v3, 15, v3
	v_lshlrev_b32_sdwa v7, v7, v9 dst_sel:DWORD dst_unused:UNUSED_PAD src0_sel:DWORD src1_sel:WORD_1
	v_bfe_u32 v4, v9, 19, 4
	v_sub_u32_e32 v6, 29, v6
	v_and_b32_e32 v7, 7, v7
	v_cmp_eq_u16_e32 vcc, 0, v3
	v_cndmask_b32_e32 v2, v2, v7, vcc
	v_cndmask_b32_e32 v3, v4, v6, vcc
	v_lshlrev_b32_e32 v4, 8, v9
	v_mov_b32_e32 v6, 0x3b800000
	v_lshlrev_b32_e32 v2, 20, v2
	v_and_b32_e32 v4, 0x80000000, v4
	v_lshl_add_u32 v3, v3, 23, v6
	v_or3_b32 v2, v4, v3, v2
.LBB1_6388:
	s_or_b64 exec, exec, s[6:7]
	s_movk_i32 s4, 0xff
	v_and_b32_sdwa v3, v5, s4 dst_sel:DWORD dst_unused:UNUSED_PAD src0_sel:WORD_1 src1_sel:DWORD
	s_movk_i32 s4, 0x7f
	v_cmp_lt_i16_e32 vcc, s4, v3
	s_mov_b64 s[4:5], 0
                                        ; implicit-def: $sgpr10
	s_and_saveexec_b64 s[6:7], vcc
	s_xor_b64 s[6:7], exec, s[6:7]
	s_cbranch_execz .LBB1_6389
; %bb.42229:
	s_getpc_b64 s[14:15]
.Lpost_getpc6778:
	s_add_u32 s14, s14, (.LBB1_20725-.Lpost_getpc6778)&4294967295
	s_addc_u32 s15, s15, (.LBB1_20725-.Lpost_getpc6778)>>32
	s_setpc_b64 s[14:15]
.LBB1_6389:
	s_or_saveexec_b64 s[6:7], s[6:7]
	v_mov_b32_e32 v4, s10
	s_xor_b64 exec, exec, s[6:7]
	s_cbranch_execz .LBB1_6390
; %bb.42231:
	s_getpc_b64 s[14:15]
.Lpost_getpc6779:
	s_add_u32 s14, s14, (.LBB1_20728-.Lpost_getpc6779)&4294967295
	s_addc_u32 s15, s15, (.LBB1_20728-.Lpost_getpc6779)>>32
	s_setpc_b64 s[14:15]
.LBB1_6390:
	s_or_b64 exec, exec, s[6:7]
	s_and_saveexec_b64 s[6:7], s[4:5]
	s_cbranch_execz .LBB1_6392
.LBB1_6391:
	v_bfe_u32 v3, v5, 16, 3
	v_ffbh_u32_e32 v7, v3
	v_min_u32_e32 v7, 32, v7
	v_lshrrev_b32_e32 v4, 19, v5
	v_subrev_u32_e32 v8, 28, v7
	v_and_b32_e32 v4, 15, v4
	v_lshlrev_b32_sdwa v8, v8, v5 dst_sel:DWORD dst_unused:UNUSED_PAD src0_sel:DWORD src1_sel:WORD_1
	v_bfe_u32 v6, v5, 19, 4
	v_sub_u32_e32 v7, 29, v7
	v_and_b32_e32 v8, 7, v8
	v_cmp_eq_u16_e32 vcc, 0, v4
	v_cndmask_b32_e32 v3, v3, v8, vcc
	v_cndmask_b32_e32 v4, v6, v7, vcc
	v_lshlrev_b32_e32 v6, 8, v5
	v_mov_b32_e32 v7, 0x3b800000
	v_lshlrev_b32_e32 v3, 20, v3
	v_and_b32_e32 v6, 0x80000000, v6
	v_lshl_add_u32 v4, v4, 23, v7
	v_or3_b32 v4, v6, v4, v3
.LBB1_6392:
	s_or_b64 exec, exec, s[6:7]
	s_nop 0
	v_mfma_f32_16x16x4f32 a[0:3], v2, v4, a[0:3]
	s_movk_i32 s4, 0x7f
	v_cmp_gt_i16_sdwa s[6:7], v9, s4 src0_sel:BYTE_3 src1_sel:DWORD
	s_mov_b64 s[4:5], 0
                                        ; implicit-def: $sgpr10
	s_and_saveexec_b64 s[8:9], s[6:7]
	s_xor_b64 s[6:7], exec, s[8:9]
	s_cbranch_execz .LBB1_6393
; %bb.42233:
	s_getpc_b64 s[14:15]
.Lpost_getpc6780:
	s_add_u32 s14, s14, (.LBB1_20729-.Lpost_getpc6780)&4294967295
	s_addc_u32 s15, s15, (.LBB1_20729-.Lpost_getpc6780)>>32
	s_setpc_b64 s[14:15]
.LBB1_6393:
	s_or_saveexec_b64 s[6:7], s[6:7]
	v_mov_b32_e32 v2, s10
	s_xor_b64 exec, exec, s[6:7]
	s_cbranch_execz .LBB1_6394
; %bb.42235:
	s_getpc_b64 s[14:15]
.Lpost_getpc6781:
	s_add_u32 s14, s14, (.LBB1_20732-.Lpost_getpc6781)&4294967295
	s_addc_u32 s15, s15, (.LBB1_20732-.Lpost_getpc6781)>>32
	s_setpc_b64 s[14:15]
.LBB1_6394:
	s_or_b64 exec, exec, s[6:7]
	s_and_saveexec_b64 s[6:7], s[4:5]
	s_cbranch_execz .LBB1_6396
.LBB1_6395:
	v_bfe_u32 v2, v9, 24, 3
	v_ffbh_u32_e32 v7, v2
	v_min_u32_e32 v7, 32, v7
	v_lshrrev_b32_e32 v4, 27, v9
	v_subrev_u32_e32 v8, 28, v7
	v_and_b32_e32 v4, 15, v4
	v_lshlrev_b32_sdwa v8, v8, v9 dst_sel:DWORD dst_unused:UNUSED_PAD src0_sel:DWORD src1_sel:BYTE_3
	v_bfe_u32 v6, v9, 27, 4
	v_sub_u32_e32 v7, 29, v7
	v_and_b32_e32 v8, 7, v8
	v_cmp_eq_u16_e32 vcc, 0, v4
	v_cndmask_b32_e32 v2, v2, v8, vcc
	v_cndmask_b32_e32 v4, v6, v7, vcc
	v_mov_b32_e32 v6, 0x3b800000
	v_and_b32_e32 v3, 0x80000000, v9
	v_lshlrev_b32_e32 v2, 20, v2
	v_lshl_add_u32 v4, v4, 23, v6
	v_or3_b32 v2, v3, v4, v2
.LBB1_6396:
	s_or_b64 exec, exec, s[6:7]
	s_movk_i32 s4, 0x7f
	v_cmp_gt_i16_sdwa s[6:7], v5, s4 src0_sel:BYTE_3 src1_sel:DWORD
	s_mov_b64 s[4:5], 0
                                        ; implicit-def: $sgpr10
	s_and_saveexec_b64 s[8:9], s[6:7]
	s_xor_b64 s[6:7], exec, s[8:9]
	s_cbranch_execz .LBB1_6397
; %bb.42237:
	s_getpc_b64 s[14:15]
.Lpost_getpc6782:
	s_add_u32 s14, s14, (.LBB1_20733-.Lpost_getpc6782)&4294967295
	s_addc_u32 s15, s15, (.LBB1_20733-.Lpost_getpc6782)>>32
	s_setpc_b64 s[14:15]
.LBB1_6397:
	s_or_saveexec_b64 s[6:7], s[6:7]
	v_mov_b32_e32 v3, s10
	s_xor_b64 exec, exec, s[6:7]
	s_cbranch_execz .LBB1_6398
; %bb.42239:
	s_getpc_b64 s[14:15]
.Lpost_getpc6783:
	s_add_u32 s14, s14, (.LBB1_20736-.Lpost_getpc6783)&4294967295
	s_addc_u32 s15, s15, (.LBB1_20736-.Lpost_getpc6783)>>32
	s_setpc_b64 s[14:15]
.LBB1_6398:
	s_or_b64 exec, exec, s[6:7]
	s_and_saveexec_b64 s[6:7], s[4:5]
	s_cbranch_execz .LBB1_6400
.LBB1_6399:
	v_bfe_u32 v3, v5, 24, 3
	v_ffbh_u32_e32 v8, v3
	v_min_u32_e32 v8, 32, v8
	v_lshrrev_b32_e32 v6, 27, v5
	v_subrev_u32_e32 v9, 28, v8
	v_and_b32_e32 v4, 0x80000000, v5
	v_and_b32_e32 v6, 15, v6
	v_bfe_u32 v7, v5, 27, 4
	v_lshlrev_b32_sdwa v5, v9, v5 dst_sel:DWORD dst_unused:UNUSED_PAD src0_sel:DWORD src1_sel:BYTE_3
	v_sub_u32_e32 v8, 29, v8
	v_and_b32_e32 v5, 7, v5
	v_cmp_eq_u16_e32 vcc, 0, v6
	v_cndmask_b32_e32 v3, v3, v5, vcc
	v_cndmask_b32_e32 v5, v7, v8, vcc
	v_mov_b32_e32 v6, 0x3b800000
	v_lshlrev_b32_e32 v3, 20, v3
	v_lshl_add_u32 v5, v5, 23, v6
	v_or3_b32 v3, v4, v5, v3
.LBB1_6400:
	s_or_b64 exec, exec, s[6:7]
	s_nop 0
	v_mfma_f32_16x16x4f32 a[0:3], v2, v3, a[0:3]
	s_movk_i32 s4, 0x7f
                                        ; implicit-def: $sgpr10
	s_nop 7
	s_nop 1
	flat_store_dwordx4 v[10:11], a[0:3] offset:784
	flat_load_dwordx4 v[12:15], v[0:1]
	s_nop 0
	flat_load_dwordx2 v[10:11], v[0:1] offset:16
	s_waitcnt vmcnt(0) lgkmcnt(0)
	flat_load_dwordx4 v[6:9], v[12:13] offset:96
	flat_load_dwordx4 v[2:5], v[14:15] offset:32
	s_waitcnt vmcnt(0) lgkmcnt(0)
	v_cmp_gt_i16_sdwa s[6:7], v6, s4 src0_sel:BYTE_0 src1_sel:DWORD
	s_mov_b64 s[4:5], 0
	s_and_saveexec_b64 s[8:9], s[6:7]
	s_xor_b64 s[6:7], exec, s[8:9]
	s_cbranch_execz .LBB1_6401
; %bb.42241:
	s_getpc_b64 s[14:15]
.Lpost_getpc6784:
	s_add_u32 s14, s14, (.LBB1_20737-.Lpost_getpc6784)&4294967295
	s_addc_u32 s15, s15, (.LBB1_20737-.Lpost_getpc6784)>>32
	s_setpc_b64 s[14:15]
.LBB1_6401:
	s_or_saveexec_b64 s[6:7], s[6:7]
	v_mov_b32_e32 v12, s10
	s_xor_b64 exec, exec, s[6:7]
	s_cbranch_execz .LBB1_6402
; %bb.42243:
	s_getpc_b64 s[14:15]
.Lpost_getpc6785:
	s_add_u32 s14, s14, (.LBB1_20740-.Lpost_getpc6785)&4294967295
	s_addc_u32 s15, s15, (.LBB1_20740-.Lpost_getpc6785)>>32
	s_setpc_b64 s[14:15]
.LBB1_6402:
	s_or_b64 exec, exec, s[6:7]
	s_and_saveexec_b64 s[6:7], s[4:5]
	s_cbranch_execz .LBB1_6404
.LBB1_6403:
	v_and_b32_e32 v12, 7, v6
	v_ffbh_u32_e32 v14, v12
	v_min_u32_e32 v14, 32, v14
	v_lshrrev_b16_e32 v13, 3, v6
	v_subrev_u32_e32 v15, 28, v14
	v_and_b32_e32 v13, 15, v13
	v_lshlrev_b32_e32 v15, v15, v6
	v_sub_u32_e32 v14, 29, v14
	v_and_b32_e32 v15, 7, v15
	v_cmp_eq_u16_e32 vcc, 0, v13
	v_cndmask_b32_e32 v12, v12, v15, vcc
	v_cndmask_b32_e32 v13, v13, v14, vcc
	v_lshlrev_b32_e32 v14, 24, v6
	v_mov_b32_e32 v15, 0x3b800000
	v_lshlrev_b32_e32 v12, 20, v12
	v_and_b32_e32 v14, 0x80000000, v14
	v_lshl_add_u32 v13, v13, 23, v15
	v_or3_b32 v12, v14, v13, v12
.LBB1_6404:
	s_or_b64 exec, exec, s[6:7]
	s_movk_i32 s4, 0x7f
	v_cmp_gt_i16_sdwa s[6:7], v2, s4 src0_sel:BYTE_0 src1_sel:DWORD
	s_mov_b64 s[4:5], 0
                                        ; implicit-def: $sgpr10
	s_and_saveexec_b64 s[8:9], s[6:7]
	s_xor_b64 s[6:7], exec, s[8:9]
	s_cbranch_execz .LBB1_6405
; %bb.42245:
	s_getpc_b64 s[14:15]
.Lpost_getpc6786:
	s_add_u32 s14, s14, (.LBB1_20741-.Lpost_getpc6786)&4294967295
	s_addc_u32 s15, s15, (.LBB1_20741-.Lpost_getpc6786)>>32
	s_setpc_b64 s[14:15]
.LBB1_6405:
	s_or_saveexec_b64 s[6:7], s[6:7]
	v_mov_b32_e32 v13, s10
	s_xor_b64 exec, exec, s[6:7]
	s_cbranch_execz .LBB1_6406
; %bb.42247:
	s_getpc_b64 s[14:15]
.Lpost_getpc6787:
	s_add_u32 s14, s14, (.LBB1_20744-.Lpost_getpc6787)&4294967295
	s_addc_u32 s15, s15, (.LBB1_20744-.Lpost_getpc6787)>>32
	s_setpc_b64 s[14:15]
.LBB1_6406:
	s_or_b64 exec, exec, s[6:7]
	s_and_saveexec_b64 s[6:7], s[4:5]
	s_cbranch_execz .LBB1_6408
.LBB1_6407:
	v_and_b32_e32 v13, 7, v2
	v_ffbh_u32_e32 v15, v13
	v_min_u32_e32 v15, 32, v15
	v_lshrrev_b16_e32 v14, 3, v2
	v_subrev_u32_e32 v16, 28, v15
	v_and_b32_e32 v14, 15, v14
	v_lshlrev_b32_e32 v16, v16, v2
	v_sub_u32_e32 v15, 29, v15
	v_and_b32_e32 v16, 7, v16
	v_cmp_eq_u16_e32 vcc, 0, v14
	v_cndmask_b32_e32 v13, v13, v16, vcc
	v_cndmask_b32_e32 v14, v14, v15, vcc
	v_lshlrev_b32_e32 v15, 24, v2
	v_mov_b32_e32 v16, 0x3b800000
	v_lshlrev_b32_e32 v13, 20, v13
	v_and_b32_e32 v15, 0x80000000, v15
	v_lshl_add_u32 v14, v14, 23, v16
	v_or3_b32 v13, v15, v14, v13
.LBB1_6408:
	s_or_b64 exec, exec, s[6:7]
	flat_load_dwordx4 a[0:3], v[10:11] offset:800
	s_movk_i32 s4, 0x7f
                                        ; implicit-def: $sgpr10
	s_waitcnt vmcnt(0) lgkmcnt(0)
	v_mfma_f32_16x16x4f32 a[0:3], v12, v13, a[0:3]
	v_lshrrev_b32_e32 v13, 8, v6
	v_cmp_gt_i16_sdwa s[6:7], v13, s4 src0_sel:BYTE_0 src1_sel:DWORD
	s_mov_b64 s[4:5], 0
	s_and_saveexec_b64 s[8:9], s[6:7]
	s_xor_b64 s[6:7], exec, s[8:9]
	s_cbranch_execz .LBB1_6409
; %bb.42249:
	s_getpc_b64 s[14:15]
.Lpost_getpc6788:
	s_add_u32 s14, s14, (.LBB1_20745-.Lpost_getpc6788)&4294967295
	s_addc_u32 s15, s15, (.LBB1_20745-.Lpost_getpc6788)>>32
	s_setpc_b64 s[14:15]
.LBB1_6409:
	s_or_saveexec_b64 s[6:7], s[6:7]
	v_mov_b32_e32 v12, s10
	s_xor_b64 exec, exec, s[6:7]
	s_cbranch_execz .LBB1_6410
; %bb.42251:
	s_getpc_b64 s[14:15]
.Lpost_getpc6789:
	s_add_u32 s14, s14, (.LBB1_20748-.Lpost_getpc6789)&4294967295
	s_addc_u32 s15, s15, (.LBB1_20748-.Lpost_getpc6789)>>32
	s_setpc_b64 s[14:15]
.LBB1_6410:
	s_or_b64 exec, exec, s[6:7]
	s_and_saveexec_b64 s[6:7], s[4:5]
	s_cbranch_execz .LBB1_6412
.LBB1_6411:
	v_bfe_u32 v12, v6, 8, 3
	v_ffbh_u32_e32 v15, v12
	v_min_u32_e32 v15, 32, v15
	v_lshrrev_b16_e32 v14, 3, v13
	v_subrev_u32_e32 v16, 28, v15
	v_and_b32_e32 v14, 15, v14
	v_lshlrev_b32_e32 v13, v16, v13
	v_sub_u32_e32 v15, 29, v15
	v_and_b32_e32 v13, 7, v13
	v_cmp_eq_u16_e32 vcc, 0, v14
	v_cndmask_b32_e32 v12, v12, v13, vcc
	v_cndmask_b32_e32 v13, v14, v15, vcc
	v_lshlrev_b32_e32 v14, 16, v6
	v_mov_b32_e32 v15, 0x3b800000
	v_lshlrev_b32_e32 v12, 20, v12
	v_and_b32_e32 v14, 0x80000000, v14
	v_lshl_add_u32 v13, v13, 23, v15
	v_or3_b32 v12, v14, v13, v12
.LBB1_6412:
	s_or_b64 exec, exec, s[6:7]
	v_lshrrev_b32_e32 v13, 8, v2
	s_movk_i32 s4, 0x7f
	v_cmp_gt_i16_sdwa s[6:7], v13, s4 src0_sel:BYTE_0 src1_sel:DWORD
	s_mov_b64 s[4:5], 0
                                        ; implicit-def: $sgpr10
	s_and_saveexec_b64 s[8:9], s[6:7]
	s_xor_b64 s[6:7], exec, s[8:9]
	s_cbranch_execz .LBB1_6413
; %bb.42253:
	s_getpc_b64 s[14:15]
.Lpost_getpc6790:
	s_add_u32 s14, s14, (.LBB1_20749-.Lpost_getpc6790)&4294967295
	s_addc_u32 s15, s15, (.LBB1_20749-.Lpost_getpc6790)>>32
	s_setpc_b64 s[14:15]
.LBB1_6413:
	s_or_saveexec_b64 s[6:7], s[6:7]
	v_mov_b32_e32 v14, s10
	s_xor_b64 exec, exec, s[6:7]
	s_cbranch_execz .LBB1_6414
; %bb.42255:
	s_getpc_b64 s[14:15]
.Lpost_getpc6791:
	s_add_u32 s14, s14, (.LBB1_20752-.Lpost_getpc6791)&4294967295
	s_addc_u32 s15, s15, (.LBB1_20752-.Lpost_getpc6791)>>32
	s_setpc_b64 s[14:15]
.LBB1_6414:
	s_or_b64 exec, exec, s[6:7]
	s_and_saveexec_b64 s[6:7], s[4:5]
	s_cbranch_execz .LBB1_6416
.LBB1_6415:
	v_bfe_u32 v14, v2, 8, 3
	v_ffbh_u32_e32 v16, v14
	v_min_u32_e32 v16, 32, v16
	v_lshrrev_b16_e32 v15, 3, v13
	v_subrev_u32_e32 v17, 28, v16
	v_and_b32_e32 v15, 15, v15
	v_lshlrev_b32_e32 v13, v17, v13
	v_sub_u32_e32 v16, 29, v16
	v_and_b32_e32 v13, 7, v13
	v_cmp_eq_u16_e32 vcc, 0, v15
	v_cndmask_b32_e32 v13, v14, v13, vcc
	v_cndmask_b32_e32 v14, v15, v16, vcc
	v_lshlrev_b32_e32 v15, 16, v2
	v_mov_b32_e32 v16, 0x3b800000
	v_lshlrev_b32_e32 v13, 20, v13
	v_and_b32_e32 v15, 0x80000000, v15
	v_lshl_add_u32 v14, v14, 23, v16
	v_or3_b32 v14, v15, v14, v13
.LBB1_6416:
	s_or_b64 exec, exec, s[6:7]
	s_nop 0
	v_mfma_f32_16x16x4f32 a[0:3], v12, v14, a[0:3]
	s_movk_i32 s4, 0xff
	v_and_b32_sdwa v13, v6, s4 dst_sel:DWORD dst_unused:UNUSED_PAD src0_sel:WORD_1 src1_sel:DWORD
	s_movk_i32 s4, 0x7f
	v_cmp_lt_i16_e32 vcc, s4, v13
	s_mov_b64 s[4:5], 0
                                        ; implicit-def: $sgpr10
	s_and_saveexec_b64 s[6:7], vcc
	s_xor_b64 s[6:7], exec, s[6:7]
	s_cbranch_execz .LBB1_6417
; %bb.42257:
	s_getpc_b64 s[14:15]
.Lpost_getpc6792:
	s_add_u32 s14, s14, (.LBB1_20753-.Lpost_getpc6792)&4294967295
	s_addc_u32 s15, s15, (.LBB1_20753-.Lpost_getpc6792)>>32
	s_setpc_b64 s[14:15]
.LBB1_6417:
	s_or_saveexec_b64 s[6:7], s[6:7]
	v_mov_b32_e32 v12, s10
	s_xor_b64 exec, exec, s[6:7]
	s_cbranch_execz .LBB1_6418
; %bb.42259:
	s_getpc_b64 s[14:15]
.Lpost_getpc6793:
	s_add_u32 s14, s14, (.LBB1_20756-.Lpost_getpc6793)&4294967295
	s_addc_u32 s15, s15, (.LBB1_20756-.Lpost_getpc6793)>>32
	s_setpc_b64 s[14:15]
.LBB1_6418:
	s_or_b64 exec, exec, s[6:7]
	s_and_saveexec_b64 s[6:7], s[4:5]
	s_cbranch_execz .LBB1_6420
.LBB1_6419:
	v_bfe_u32 v12, v6, 16, 3
	v_ffbh_u32_e32 v15, v12
	v_min_u32_e32 v15, 32, v15
	v_lshrrev_b32_e32 v13, 19, v6
	v_subrev_u32_e32 v16, 28, v15
	v_and_b32_e32 v13, 15, v13
	v_lshlrev_b32_sdwa v16, v16, v6 dst_sel:DWORD dst_unused:UNUSED_PAD src0_sel:DWORD src1_sel:WORD_1
	v_bfe_u32 v14, v6, 19, 4
	v_sub_u32_e32 v15, 29, v15
	v_and_b32_e32 v16, 7, v16
	v_cmp_eq_u16_e32 vcc, 0, v13
	v_cndmask_b32_e32 v12, v12, v16, vcc
	v_cndmask_b32_e32 v13, v14, v15, vcc
	v_lshlrev_b32_e32 v14, 8, v6
	v_mov_b32_e32 v15, 0x3b800000
	v_lshlrev_b32_e32 v12, 20, v12
	v_and_b32_e32 v14, 0x80000000, v14
	v_lshl_add_u32 v13, v13, 23, v15
	v_or3_b32 v12, v14, v13, v12
.LBB1_6420:
	s_or_b64 exec, exec, s[6:7]
	s_movk_i32 s4, 0xff
	v_and_b32_sdwa v13, v2, s4 dst_sel:DWORD dst_unused:UNUSED_PAD src0_sel:WORD_1 src1_sel:DWORD
	s_movk_i32 s4, 0x7f
	v_cmp_lt_i16_e32 vcc, s4, v13
	s_mov_b64 s[4:5], 0
                                        ; implicit-def: $sgpr10
	s_and_saveexec_b64 s[6:7], vcc
	s_xor_b64 s[6:7], exec, s[6:7]
	s_cbranch_execz .LBB1_6421
; %bb.42261:
	s_getpc_b64 s[14:15]
.Lpost_getpc6794:
	s_add_u32 s14, s14, (.LBB1_20757-.Lpost_getpc6794)&4294967295
	s_addc_u32 s15, s15, (.LBB1_20757-.Lpost_getpc6794)>>32
	s_setpc_b64 s[14:15]
.LBB1_6421:
	s_or_saveexec_b64 s[6:7], s[6:7]
	v_mov_b32_e32 v14, s10
	s_xor_b64 exec, exec, s[6:7]
	s_cbranch_execz .LBB1_6422
; %bb.42263:
	s_getpc_b64 s[14:15]
.Lpost_getpc6795:
	s_add_u32 s14, s14, (.LBB1_20760-.Lpost_getpc6795)&4294967295
	s_addc_u32 s15, s15, (.LBB1_20760-.Lpost_getpc6795)>>32
	s_setpc_b64 s[14:15]
.LBB1_6422:
	s_or_b64 exec, exec, s[6:7]
	s_and_saveexec_b64 s[6:7], s[4:5]
	s_cbranch_execz .LBB1_6424
.LBB1_6423:
	v_bfe_u32 v13, v2, 16, 3
	v_ffbh_u32_e32 v16, v13
	v_min_u32_e32 v16, 32, v16
	v_lshrrev_b32_e32 v14, 19, v2
	v_subrev_u32_e32 v17, 28, v16
	v_and_b32_e32 v14, 15, v14
	v_lshlrev_b32_sdwa v17, v17, v2 dst_sel:DWORD dst_unused:UNUSED_PAD src0_sel:DWORD src1_sel:WORD_1
	v_bfe_u32 v15, v2, 19, 4
	v_sub_u32_e32 v16, 29, v16
	v_and_b32_e32 v17, 7, v17
	v_cmp_eq_u16_e32 vcc, 0, v14
	v_cndmask_b32_e32 v13, v13, v17, vcc
	v_cndmask_b32_e32 v14, v15, v16, vcc
	v_lshlrev_b32_e32 v15, 8, v2
	v_mov_b32_e32 v16, 0x3b800000
	v_lshlrev_b32_e32 v13, 20, v13
	v_and_b32_e32 v15, 0x80000000, v15
	v_lshl_add_u32 v14, v14, 23, v16
	v_or3_b32 v14, v15, v14, v13
.LBB1_6424:
	s_or_b64 exec, exec, s[6:7]
	s_nop 0
	v_mfma_f32_16x16x4f32 a[0:3], v12, v14, a[0:3]
	s_movk_i32 s4, 0x7f
	v_cmp_gt_i16_sdwa s[6:7], v6, s4 src0_sel:BYTE_3 src1_sel:DWORD
	s_mov_b64 s[4:5], 0
                                        ; implicit-def: $sgpr10
	s_and_saveexec_b64 s[8:9], s[6:7]
	s_xor_b64 s[6:7], exec, s[8:9]
	s_cbranch_execz .LBB1_6425
; %bb.42265:
	s_getpc_b64 s[14:15]
.Lpost_getpc6796:
	s_add_u32 s14, s14, (.LBB1_20761-.Lpost_getpc6796)&4294967295
	s_addc_u32 s15, s15, (.LBB1_20761-.Lpost_getpc6796)>>32
	s_setpc_b64 s[14:15]
.LBB1_6425:
	s_or_saveexec_b64 s[6:7], s[6:7]
	v_mov_b32_e32 v12, s10
	s_xor_b64 exec, exec, s[6:7]
	s_cbranch_execz .LBB1_6426
; %bb.42267:
	s_getpc_b64 s[14:15]
.Lpost_getpc6797:
	s_add_u32 s14, s14, (.LBB1_20764-.Lpost_getpc6797)&4294967295
	s_addc_u32 s15, s15, (.LBB1_20764-.Lpost_getpc6797)>>32
	s_setpc_b64 s[14:15]
.LBB1_6426:
	s_or_b64 exec, exec, s[6:7]
	s_and_saveexec_b64 s[6:7], s[4:5]
	s_cbranch_execz .LBB1_6428
.LBB1_6427:
	v_bfe_u32 v12, v6, 24, 3
	v_ffbh_u32_e32 v16, v12
	v_min_u32_e32 v16, 32, v16
	v_lshrrev_b32_e32 v14, 27, v6
	v_subrev_u32_e32 v17, 28, v16
	v_and_b32_e32 v13, 0x80000000, v6
	v_and_b32_e32 v14, 15, v14
	v_bfe_u32 v15, v6, 27, 4
	v_lshlrev_b32_sdwa v6, v17, v6 dst_sel:DWORD dst_unused:UNUSED_PAD src0_sel:DWORD src1_sel:BYTE_3
	v_sub_u32_e32 v16, 29, v16
	v_and_b32_e32 v6, 7, v6
	v_cmp_eq_u16_e32 vcc, 0, v14
	v_cndmask_b32_e32 v6, v12, v6, vcc
	v_cndmask_b32_e32 v12, v15, v16, vcc
	v_mov_b32_e32 v14, 0x3b800000
	v_lshlrev_b32_e32 v6, 20, v6
	v_lshl_add_u32 v12, v12, 23, v14
	v_or3_b32 v12, v13, v12, v6
.LBB1_6428:
	s_or_b64 exec, exec, s[6:7]
	s_movk_i32 s4, 0x7f
	v_cmp_gt_i16_sdwa s[6:7], v2, s4 src0_sel:BYTE_3 src1_sel:DWORD
	s_mov_b64 s[4:5], 0
                                        ; implicit-def: $sgpr10
	s_and_saveexec_b64 s[8:9], s[6:7]
	s_xor_b64 s[6:7], exec, s[8:9]
	s_cbranch_execz .LBB1_6429
; %bb.42269:
	s_getpc_b64 s[14:15]
.Lpost_getpc6798:
	s_add_u32 s14, s14, (.LBB1_20765-.Lpost_getpc6798)&4294967295
	s_addc_u32 s15, s15, (.LBB1_20765-.Lpost_getpc6798)>>32
	s_setpc_b64 s[14:15]
.LBB1_6429:
	s_or_saveexec_b64 s[6:7], s[6:7]
	v_mov_b32_e32 v6, s10
	s_xor_b64 exec, exec, s[6:7]
	s_cbranch_execz .LBB1_6430
; %bb.42271:
	s_getpc_b64 s[14:15]
.Lpost_getpc6799:
	s_add_u32 s14, s14, (.LBB1_20768-.Lpost_getpc6799)&4294967295
	s_addc_u32 s15, s15, (.LBB1_20768-.Lpost_getpc6799)>>32
	s_setpc_b64 s[14:15]
.LBB1_6430:
	s_or_b64 exec, exec, s[6:7]
	s_and_saveexec_b64 s[6:7], s[4:5]
	s_cbranch_execz .LBB1_6432
.LBB1_6431:
	v_bfe_u32 v6, v2, 24, 3
	v_ffbh_u32_e32 v16, v6
	v_min_u32_e32 v16, 32, v16
	v_lshrrev_b32_e32 v14, 27, v2
	v_subrev_u32_e32 v17, 28, v16
	v_and_b32_e32 v13, 0x80000000, v2
	v_and_b32_e32 v14, 15, v14
	v_bfe_u32 v15, v2, 27, 4
	v_lshlrev_b32_sdwa v2, v17, v2 dst_sel:DWORD dst_unused:UNUSED_PAD src0_sel:DWORD src1_sel:BYTE_3
	v_sub_u32_e32 v16, 29, v16
	v_and_b32_e32 v2, 7, v2
	v_cmp_eq_u16_e32 vcc, 0, v14
	v_cndmask_b32_e32 v2, v6, v2, vcc
	v_cndmask_b32_e32 v6, v15, v16, vcc
	v_mov_b32_e32 v14, 0x3b800000
	v_lshlrev_b32_e32 v2, 20, v2
	v_lshl_add_u32 v6, v6, 23, v14
	v_or3_b32 v6, v13, v6, v2
.LBB1_6432:
	s_or_b64 exec, exec, s[6:7]
	s_nop 0
	v_mfma_f32_16x16x4f32 a[0:3], v12, v6, a[0:3]
	s_movk_i32 s4, 0x7f
	v_cmp_gt_i16_sdwa s[6:7], v7, s4 src0_sel:BYTE_0 src1_sel:DWORD
	s_mov_b64 s[4:5], 0
                                        ; implicit-def: $sgpr10
	s_and_saveexec_b64 s[8:9], s[6:7]
	s_xor_b64 s[6:7], exec, s[8:9]
	s_cbranch_execz .LBB1_6433
; %bb.42273:
	s_getpc_b64 s[14:15]
.Lpost_getpc6800:
	s_add_u32 s14, s14, (.LBB1_20769-.Lpost_getpc6800)&4294967295
	s_addc_u32 s15, s15, (.LBB1_20769-.Lpost_getpc6800)>>32
	s_setpc_b64 s[14:15]
.LBB1_6433:
	s_or_saveexec_b64 s[6:7], s[6:7]
	v_mov_b32_e32 v2, s10
	s_xor_b64 exec, exec, s[6:7]
	s_cbranch_execz .LBB1_6434
; %bb.42275:
	s_getpc_b64 s[14:15]
.Lpost_getpc6801:
	s_add_u32 s14, s14, (.LBB1_20772-.Lpost_getpc6801)&4294967295
	s_addc_u32 s15, s15, (.LBB1_20772-.Lpost_getpc6801)>>32
	s_setpc_b64 s[14:15]
.LBB1_6434:
	s_or_b64 exec, exec, s[6:7]
	s_and_saveexec_b64 s[6:7], s[4:5]
	s_cbranch_execz .LBB1_6436
.LBB1_6435:
	v_and_b32_e32 v2, 7, v7
	v_ffbh_u32_e32 v12, v2
	v_min_u32_e32 v12, 32, v12
	v_lshrrev_b16_e32 v6, 3, v7
	v_subrev_u32_e32 v13, 28, v12
	v_and_b32_e32 v6, 15, v6
	v_lshlrev_b32_e32 v13, v13, v7
	v_sub_u32_e32 v12, 29, v12
	v_and_b32_e32 v13, 7, v13
	v_cmp_eq_u16_e32 vcc, 0, v6
	v_cndmask_b32_e32 v2, v2, v13, vcc
	v_cndmask_b32_e32 v6, v6, v12, vcc
	v_lshlrev_b32_e32 v12, 24, v7
	v_mov_b32_e32 v13, 0x3b800000
	v_lshlrev_b32_e32 v2, 20, v2
	v_and_b32_e32 v12, 0x80000000, v12
	v_lshl_add_u32 v6, v6, 23, v13
	v_or3_b32 v2, v12, v6, v2
.LBB1_6436:
	s_or_b64 exec, exec, s[6:7]
	s_movk_i32 s4, 0x7f
	v_cmp_gt_i16_sdwa s[6:7], v3, s4 src0_sel:BYTE_0 src1_sel:DWORD
	s_mov_b64 s[4:5], 0
                                        ; implicit-def: $sgpr10
	s_and_saveexec_b64 s[8:9], s[6:7]
	s_xor_b64 s[6:7], exec, s[8:9]
	s_cbranch_execz .LBB1_6437
; %bb.42277:
	s_getpc_b64 s[14:15]
.Lpost_getpc6802:
	s_add_u32 s14, s14, (.LBB1_20773-.Lpost_getpc6802)&4294967295
	s_addc_u32 s15, s15, (.LBB1_20773-.Lpost_getpc6802)>>32
	s_setpc_b64 s[14:15]
.LBB1_6437:
	s_or_saveexec_b64 s[6:7], s[6:7]
	v_mov_b32_e32 v6, s10
	s_xor_b64 exec, exec, s[6:7]
	s_cbranch_execz .LBB1_6438
; %bb.42279:
	s_getpc_b64 s[14:15]
.Lpost_getpc6803:
	s_add_u32 s14, s14, (.LBB1_20776-.Lpost_getpc6803)&4294967295
	s_addc_u32 s15, s15, (.LBB1_20776-.Lpost_getpc6803)>>32
	s_setpc_b64 s[14:15]
.LBB1_6438:
	s_or_b64 exec, exec, s[6:7]
	s_and_saveexec_b64 s[6:7], s[4:5]
	s_cbranch_execz .LBB1_6440
.LBB1_6439:
	v_and_b32_e32 v6, 7, v3
	v_ffbh_u32_e32 v13, v6
	v_min_u32_e32 v13, 32, v13
	v_lshrrev_b16_e32 v12, 3, v3
	v_subrev_u32_e32 v14, 28, v13
	v_and_b32_e32 v12, 15, v12
	v_lshlrev_b32_e32 v14, v14, v3
	v_sub_u32_e32 v13, 29, v13
	v_and_b32_e32 v14, 7, v14
	v_cmp_eq_u16_e32 vcc, 0, v12
	v_cndmask_b32_e32 v6, v6, v14, vcc
	v_cndmask_b32_e32 v12, v12, v13, vcc
	v_lshlrev_b32_e32 v13, 24, v3
	v_mov_b32_e32 v14, 0x3b800000
	v_lshlrev_b32_e32 v6, 20, v6
	v_and_b32_e32 v13, 0x80000000, v13
	v_lshl_add_u32 v12, v12, 23, v14
	v_or3_b32 v6, v13, v12, v6
.LBB1_6440:
	s_or_b64 exec, exec, s[6:7]
	s_nop 0
	v_mfma_f32_16x16x4f32 a[0:3], v2, v6, a[0:3]
	v_lshrrev_b32_e32 v6, 8, v7
	s_movk_i32 s4, 0x7f
	v_cmp_gt_i16_sdwa s[6:7], v6, s4 src0_sel:BYTE_0 src1_sel:DWORD
	s_mov_b64 s[4:5], 0
                                        ; implicit-def: $sgpr10
	s_and_saveexec_b64 s[8:9], s[6:7]
	s_xor_b64 s[6:7], exec, s[8:9]
	s_cbranch_execz .LBB1_6441
; %bb.42281:
	s_getpc_b64 s[14:15]
.Lpost_getpc6804:
	s_add_u32 s14, s14, (.LBB1_20777-.Lpost_getpc6804)&4294967295
	s_addc_u32 s15, s15, (.LBB1_20777-.Lpost_getpc6804)>>32
	s_setpc_b64 s[14:15]
.LBB1_6441:
	s_or_saveexec_b64 s[6:7], s[6:7]
	v_mov_b32_e32 v2, s10
	s_xor_b64 exec, exec, s[6:7]
	s_cbranch_execz .LBB1_6442
; %bb.42283:
	s_getpc_b64 s[14:15]
.Lpost_getpc6805:
	s_add_u32 s14, s14, (.LBB1_20780-.Lpost_getpc6805)&4294967295
	s_addc_u32 s15, s15, (.LBB1_20780-.Lpost_getpc6805)>>32
	s_setpc_b64 s[14:15]
.LBB1_6442:
	s_or_b64 exec, exec, s[6:7]
	s_and_saveexec_b64 s[6:7], s[4:5]
	s_cbranch_execz .LBB1_6444
.LBB1_6443:
	v_bfe_u32 v2, v7, 8, 3
	v_ffbh_u32_e32 v13, v2
	v_min_u32_e32 v13, 32, v13
	v_lshrrev_b16_e32 v12, 3, v6
	v_subrev_u32_e32 v14, 28, v13
	v_and_b32_e32 v12, 15, v12
	v_lshlrev_b32_e32 v6, v14, v6
	v_sub_u32_e32 v13, 29, v13
	v_and_b32_e32 v6, 7, v6
	v_cmp_eq_u16_e32 vcc, 0, v12
	v_cndmask_b32_e32 v2, v2, v6, vcc
	v_cndmask_b32_e32 v6, v12, v13, vcc
	v_lshlrev_b32_e32 v12, 16, v7
	v_mov_b32_e32 v13, 0x3b800000
	v_lshlrev_b32_e32 v2, 20, v2
	v_and_b32_e32 v12, 0x80000000, v12
	v_lshl_add_u32 v6, v6, 23, v13
	v_or3_b32 v2, v12, v6, v2
.LBB1_6444:
	s_or_b64 exec, exec, s[6:7]
	v_lshrrev_b32_e32 v6, 8, v3
	s_movk_i32 s4, 0x7f
	v_cmp_gt_i16_sdwa s[6:7], v6, s4 src0_sel:BYTE_0 src1_sel:DWORD
	s_mov_b64 s[4:5], 0
                                        ; implicit-def: $sgpr10
	s_and_saveexec_b64 s[8:9], s[6:7]
	s_xor_b64 s[6:7], exec, s[8:9]
	s_cbranch_execz .LBB1_6445
; %bb.42285:
	s_getpc_b64 s[14:15]
.Lpost_getpc6806:
	s_add_u32 s14, s14, (.LBB1_20781-.Lpost_getpc6806)&4294967295
	s_addc_u32 s15, s15, (.LBB1_20781-.Lpost_getpc6806)>>32
	s_setpc_b64 s[14:15]
.LBB1_6445:
	s_or_saveexec_b64 s[6:7], s[6:7]
	v_mov_b32_e32 v12, s10
	s_xor_b64 exec, exec, s[6:7]
	s_cbranch_execz .LBB1_6446
; %bb.42287:
	s_getpc_b64 s[14:15]
.Lpost_getpc6807:
	s_add_u32 s14, s14, (.LBB1_20784-.Lpost_getpc6807)&4294967295
	s_addc_u32 s15, s15, (.LBB1_20784-.Lpost_getpc6807)>>32
	s_setpc_b64 s[14:15]
.LBB1_6446:
	s_or_b64 exec, exec, s[6:7]
	s_and_saveexec_b64 s[6:7], s[4:5]
	s_cbranch_execz .LBB1_6448
.LBB1_6447:
	v_bfe_u32 v12, v3, 8, 3
	v_ffbh_u32_e32 v14, v12
	v_min_u32_e32 v14, 32, v14
	v_lshrrev_b16_e32 v13, 3, v6
	v_subrev_u32_e32 v15, 28, v14
	v_and_b32_e32 v13, 15, v13
	v_lshlrev_b32_e32 v6, v15, v6
	v_sub_u32_e32 v14, 29, v14
	v_and_b32_e32 v6, 7, v6
	v_cmp_eq_u16_e32 vcc, 0, v13
	v_cndmask_b32_e32 v6, v12, v6, vcc
	v_cndmask_b32_e32 v12, v13, v14, vcc
	v_lshlrev_b32_e32 v13, 16, v3
	v_mov_b32_e32 v14, 0x3b800000
	v_lshlrev_b32_e32 v6, 20, v6
	v_and_b32_e32 v13, 0x80000000, v13
	v_lshl_add_u32 v12, v12, 23, v14
	v_or3_b32 v12, v13, v12, v6
.LBB1_6448:
	s_or_b64 exec, exec, s[6:7]
	s_nop 0
	v_mfma_f32_16x16x4f32 a[0:3], v2, v12, a[0:3]
	s_movk_i32 s4, 0xff
	v_and_b32_sdwa v6, v7, s4 dst_sel:DWORD dst_unused:UNUSED_PAD src0_sel:WORD_1 src1_sel:DWORD
	s_movk_i32 s4, 0x7f
	v_cmp_lt_i16_e32 vcc, s4, v6
	s_mov_b64 s[4:5], 0
                                        ; implicit-def: $sgpr10
	s_and_saveexec_b64 s[6:7], vcc
	s_xor_b64 s[6:7], exec, s[6:7]
	s_cbranch_execz .LBB1_6449
; %bb.42289:
	s_getpc_b64 s[14:15]
.Lpost_getpc6808:
	s_add_u32 s14, s14, (.LBB1_20785-.Lpost_getpc6808)&4294967295
	s_addc_u32 s15, s15, (.LBB1_20785-.Lpost_getpc6808)>>32
	s_setpc_b64 s[14:15]
.LBB1_6449:
	s_or_saveexec_b64 s[6:7], s[6:7]
	v_mov_b32_e32 v2, s10
	s_xor_b64 exec, exec, s[6:7]
	s_cbranch_execz .LBB1_6450
; %bb.42291:
	s_getpc_b64 s[14:15]
.Lpost_getpc6809:
	s_add_u32 s14, s14, (.LBB1_20788-.Lpost_getpc6809)&4294967295
	s_addc_u32 s15, s15, (.LBB1_20788-.Lpost_getpc6809)>>32
	s_setpc_b64 s[14:15]
.LBB1_6450:
	s_or_b64 exec, exec, s[6:7]
	s_and_saveexec_b64 s[6:7], s[4:5]
	s_cbranch_execz .LBB1_6452
.LBB1_6451:
	v_bfe_u32 v2, v7, 16, 3
	v_ffbh_u32_e32 v13, v2
	v_min_u32_e32 v13, 32, v13
	v_lshrrev_b32_e32 v6, 19, v7
	v_subrev_u32_e32 v14, 28, v13
	v_and_b32_e32 v6, 15, v6
	v_lshlrev_b32_sdwa v14, v14, v7 dst_sel:DWORD dst_unused:UNUSED_PAD src0_sel:DWORD src1_sel:WORD_1
	v_bfe_u32 v12, v7, 19, 4
	v_sub_u32_e32 v13, 29, v13
	v_and_b32_e32 v14, 7, v14
	v_cmp_eq_u16_e32 vcc, 0, v6
	v_cndmask_b32_e32 v2, v2, v14, vcc
	v_cndmask_b32_e32 v6, v12, v13, vcc
	v_lshlrev_b32_e32 v12, 8, v7
	v_mov_b32_e32 v13, 0x3b800000
	v_lshlrev_b32_e32 v2, 20, v2
	v_and_b32_e32 v12, 0x80000000, v12
	v_lshl_add_u32 v6, v6, 23, v13
	v_or3_b32 v2, v12, v6, v2
.LBB1_6452:
	s_or_b64 exec, exec, s[6:7]
	s_movk_i32 s4, 0xff
	v_and_b32_sdwa v6, v3, s4 dst_sel:DWORD dst_unused:UNUSED_PAD src0_sel:WORD_1 src1_sel:DWORD
	s_movk_i32 s4, 0x7f
	v_cmp_lt_i16_e32 vcc, s4, v6
	s_mov_b64 s[4:5], 0
                                        ; implicit-def: $sgpr10
	s_and_saveexec_b64 s[6:7], vcc
	s_xor_b64 s[6:7], exec, s[6:7]
	s_cbranch_execz .LBB1_6453
; %bb.42293:
	s_getpc_b64 s[14:15]
.Lpost_getpc6810:
	s_add_u32 s14, s14, (.LBB1_20789-.Lpost_getpc6810)&4294967295
	s_addc_u32 s15, s15, (.LBB1_20789-.Lpost_getpc6810)>>32
	s_setpc_b64 s[14:15]
.LBB1_6453:
	s_or_saveexec_b64 s[6:7], s[6:7]
	v_mov_b32_e32 v12, s10
	s_xor_b64 exec, exec, s[6:7]
	s_cbranch_execz .LBB1_6454
; %bb.42295:
	s_getpc_b64 s[14:15]
.Lpost_getpc6811:
	s_add_u32 s14, s14, (.LBB1_20792-.Lpost_getpc6811)&4294967295
	s_addc_u32 s15, s15, (.LBB1_20792-.Lpost_getpc6811)>>32
	s_setpc_b64 s[14:15]
.LBB1_6454:
	s_or_b64 exec, exec, s[6:7]
	s_and_saveexec_b64 s[6:7], s[4:5]
	s_cbranch_execz .LBB1_6456
.LBB1_6455:
	v_bfe_u32 v6, v3, 16, 3
	v_ffbh_u32_e32 v14, v6
	v_min_u32_e32 v14, 32, v14
	v_lshrrev_b32_e32 v12, 19, v3
	v_subrev_u32_e32 v15, 28, v14
	v_and_b32_e32 v12, 15, v12
	v_lshlrev_b32_sdwa v15, v15, v3 dst_sel:DWORD dst_unused:UNUSED_PAD src0_sel:DWORD src1_sel:WORD_1
	v_bfe_u32 v13, v3, 19, 4
	v_sub_u32_e32 v14, 29, v14
	v_and_b32_e32 v15, 7, v15
	v_cmp_eq_u16_e32 vcc, 0, v12
	v_cndmask_b32_e32 v6, v6, v15, vcc
	v_cndmask_b32_e32 v12, v13, v14, vcc
	v_lshlrev_b32_e32 v13, 8, v3
	v_mov_b32_e32 v14, 0x3b800000
	v_lshlrev_b32_e32 v6, 20, v6
	v_and_b32_e32 v13, 0x80000000, v13
	v_lshl_add_u32 v12, v12, 23, v14
	v_or3_b32 v12, v13, v12, v6
.LBB1_6456:
	s_or_b64 exec, exec, s[6:7]
	s_nop 0
	v_mfma_f32_16x16x4f32 a[0:3], v2, v12, a[0:3]
	s_movk_i32 s4, 0x7f
	v_cmp_gt_i16_sdwa s[6:7], v7, s4 src0_sel:BYTE_3 src1_sel:DWORD
	s_mov_b64 s[4:5], 0
                                        ; implicit-def: $sgpr10
	s_and_saveexec_b64 s[8:9], s[6:7]
	s_xor_b64 s[6:7], exec, s[8:9]
	s_cbranch_execz .LBB1_6457
; %bb.42297:
	s_getpc_b64 s[14:15]
.Lpost_getpc6812:
	s_add_u32 s14, s14, (.LBB1_20793-.Lpost_getpc6812)&4294967295
	s_addc_u32 s15, s15, (.LBB1_20793-.Lpost_getpc6812)>>32
	s_setpc_b64 s[14:15]
.LBB1_6457:
	s_or_saveexec_b64 s[6:7], s[6:7]
	v_mov_b32_e32 v2, s10
	s_xor_b64 exec, exec, s[6:7]
	s_cbranch_execz .LBB1_6458
; %bb.42299:
	s_getpc_b64 s[14:15]
.Lpost_getpc6813:
	s_add_u32 s14, s14, (.LBB1_20796-.Lpost_getpc6813)&4294967295
	s_addc_u32 s15, s15, (.LBB1_20796-.Lpost_getpc6813)>>32
	s_setpc_b64 s[14:15]
.LBB1_6458:
	s_or_b64 exec, exec, s[6:7]
	s_and_saveexec_b64 s[6:7], s[4:5]
	s_cbranch_execz .LBB1_6460
.LBB1_6459:
	v_bfe_u32 v2, v7, 24, 3
	v_ffbh_u32_e32 v14, v2
	v_min_u32_e32 v14, 32, v14
	v_lshrrev_b32_e32 v12, 27, v7
	v_subrev_u32_e32 v15, 28, v14
	v_and_b32_e32 v6, 0x80000000, v7
	v_and_b32_e32 v12, 15, v12
	v_bfe_u32 v13, v7, 27, 4
	v_lshlrev_b32_sdwa v7, v15, v7 dst_sel:DWORD dst_unused:UNUSED_PAD src0_sel:DWORD src1_sel:BYTE_3
	v_sub_u32_e32 v14, 29, v14
	v_and_b32_e32 v7, 7, v7
	v_cmp_eq_u16_e32 vcc, 0, v12
	v_cndmask_b32_e32 v2, v2, v7, vcc
	v_cndmask_b32_e32 v7, v13, v14, vcc
	v_mov_b32_e32 v12, 0x3b800000
	v_lshlrev_b32_e32 v2, 20, v2
	v_lshl_add_u32 v7, v7, 23, v12
	v_or3_b32 v2, v6, v7, v2
.LBB1_6460:
	s_or_b64 exec, exec, s[6:7]
	s_movk_i32 s4, 0x7f
	v_cmp_gt_i16_sdwa s[6:7], v3, s4 src0_sel:BYTE_3 src1_sel:DWORD
	s_mov_b64 s[4:5], 0
                                        ; implicit-def: $sgpr10
	s_and_saveexec_b64 s[8:9], s[6:7]
	s_xor_b64 s[6:7], exec, s[8:9]
	s_cbranch_execz .LBB1_6461
; %bb.42301:
	s_getpc_b64 s[14:15]
.Lpost_getpc6814:
	s_add_u32 s14, s14, (.LBB1_20797-.Lpost_getpc6814)&4294967295
	s_addc_u32 s15, s15, (.LBB1_20797-.Lpost_getpc6814)>>32
	s_setpc_b64 s[14:15]
.LBB1_6461:
	s_or_saveexec_b64 s[6:7], s[6:7]
	v_mov_b32_e32 v6, s10
	s_xor_b64 exec, exec, s[6:7]
	s_cbranch_execz .LBB1_6462
; %bb.42303:
	s_getpc_b64 s[14:15]
.Lpost_getpc6815:
	s_add_u32 s14, s14, (.LBB1_20800-.Lpost_getpc6815)&4294967295
	s_addc_u32 s15, s15, (.LBB1_20800-.Lpost_getpc6815)>>32
	s_setpc_b64 s[14:15]
.LBB1_6462:
	s_or_b64 exec, exec, s[6:7]
	s_and_saveexec_b64 s[6:7], s[4:5]
	s_cbranch_execz .LBB1_6464
.LBB1_6463:
	v_bfe_u32 v6, v3, 24, 3
	v_ffbh_u32_e32 v14, v6
	v_min_u32_e32 v14, 32, v14
	v_lshrrev_b32_e32 v12, 27, v3
	v_subrev_u32_e32 v15, 28, v14
	v_and_b32_e32 v7, 0x80000000, v3
	v_and_b32_e32 v12, 15, v12
	v_bfe_u32 v13, v3, 27, 4
	v_lshlrev_b32_sdwa v3, v15, v3 dst_sel:DWORD dst_unused:UNUSED_PAD src0_sel:DWORD src1_sel:BYTE_3
	v_sub_u32_e32 v14, 29, v14
	v_and_b32_e32 v3, 7, v3
	v_cmp_eq_u16_e32 vcc, 0, v12
	v_cndmask_b32_e32 v3, v6, v3, vcc
	v_cndmask_b32_e32 v6, v13, v14, vcc
	v_mov_b32_e32 v12, 0x3b800000
	v_lshlrev_b32_e32 v3, 20, v3
	v_lshl_add_u32 v6, v6, 23, v12
	v_or3_b32 v6, v7, v6, v3
.LBB1_6464:
	s_or_b64 exec, exec, s[6:7]
	s_nop 0
	v_mfma_f32_16x16x4f32 a[0:3], v2, v6, a[0:3]
	s_movk_i32 s4, 0x7f
	v_cmp_gt_i16_sdwa s[6:7], v8, s4 src0_sel:BYTE_0 src1_sel:DWORD
	s_mov_b64 s[4:5], 0
                                        ; implicit-def: $sgpr10
	s_and_saveexec_b64 s[8:9], s[6:7]
	s_xor_b64 s[6:7], exec, s[8:9]
	s_cbranch_execz .LBB1_6465
; %bb.42305:
	s_getpc_b64 s[14:15]
.Lpost_getpc6816:
	s_add_u32 s14, s14, (.LBB1_20801-.Lpost_getpc6816)&4294967295
	s_addc_u32 s15, s15, (.LBB1_20801-.Lpost_getpc6816)>>32
	s_setpc_b64 s[14:15]
.LBB1_6465:
	s_or_saveexec_b64 s[6:7], s[6:7]
	v_mov_b32_e32 v2, s10
	s_xor_b64 exec, exec, s[6:7]
	s_cbranch_execz .LBB1_6466
; %bb.42307:
	s_getpc_b64 s[14:15]
.Lpost_getpc6817:
	s_add_u32 s14, s14, (.LBB1_20804-.Lpost_getpc6817)&4294967295
	s_addc_u32 s15, s15, (.LBB1_20804-.Lpost_getpc6817)>>32
	s_setpc_b64 s[14:15]
.LBB1_6466:
	s_or_b64 exec, exec, s[6:7]
	s_and_saveexec_b64 s[6:7], s[4:5]
	s_cbranch_execz .LBB1_6468
.LBB1_6467:
	v_and_b32_e32 v2, 7, v8
	v_ffbh_u32_e32 v6, v2
	v_min_u32_e32 v6, 32, v6
	v_lshrrev_b16_e32 v3, 3, v8
	v_subrev_u32_e32 v7, 28, v6
	v_and_b32_e32 v3, 15, v3
	v_lshlrev_b32_e32 v7, v7, v8
	v_sub_u32_e32 v6, 29, v6
	v_and_b32_e32 v7, 7, v7
	v_cmp_eq_u16_e32 vcc, 0, v3
	v_cndmask_b32_e32 v2, v2, v7, vcc
	v_cndmask_b32_e32 v3, v3, v6, vcc
	v_lshlrev_b32_e32 v6, 24, v8
	v_mov_b32_e32 v7, 0x3b800000
	v_lshlrev_b32_e32 v2, 20, v2
	v_and_b32_e32 v6, 0x80000000, v6
	v_lshl_add_u32 v3, v3, 23, v7
	v_or3_b32 v2, v6, v3, v2
.LBB1_6468:
	s_or_b64 exec, exec, s[6:7]
	s_movk_i32 s4, 0x7f
	v_cmp_gt_i16_sdwa s[6:7], v4, s4 src0_sel:BYTE_0 src1_sel:DWORD
	s_mov_b64 s[4:5], 0
                                        ; implicit-def: $sgpr10
	s_and_saveexec_b64 s[8:9], s[6:7]
	s_xor_b64 s[6:7], exec, s[8:9]
	s_cbranch_execz .LBB1_6469
; %bb.42309:
	s_getpc_b64 s[14:15]
.Lpost_getpc6818:
	s_add_u32 s14, s14, (.LBB1_20805-.Lpost_getpc6818)&4294967295
	s_addc_u32 s15, s15, (.LBB1_20805-.Lpost_getpc6818)>>32
	s_setpc_b64 s[14:15]
.LBB1_6469:
	s_or_saveexec_b64 s[6:7], s[6:7]
	v_mov_b32_e32 v3, s10
	s_xor_b64 exec, exec, s[6:7]
	s_cbranch_execz .LBB1_6470
; %bb.42311:
	s_getpc_b64 s[14:15]
.Lpost_getpc6819:
	s_add_u32 s14, s14, (.LBB1_20808-.Lpost_getpc6819)&4294967295
	s_addc_u32 s15, s15, (.LBB1_20808-.Lpost_getpc6819)>>32
	s_setpc_b64 s[14:15]
.LBB1_6470:
	s_or_b64 exec, exec, s[6:7]
	s_and_saveexec_b64 s[6:7], s[4:5]
	s_cbranch_execz .LBB1_6472
.LBB1_6471:
	v_and_b32_e32 v3, 7, v4
	v_ffbh_u32_e32 v7, v3
	v_min_u32_e32 v7, 32, v7
	v_lshrrev_b16_e32 v6, 3, v4
	v_subrev_u32_e32 v12, 28, v7
	v_and_b32_e32 v6, 15, v6
	v_lshlrev_b32_e32 v12, v12, v4
	v_sub_u32_e32 v7, 29, v7
	v_and_b32_e32 v12, 7, v12
	v_cmp_eq_u16_e32 vcc, 0, v6
	v_cndmask_b32_e32 v3, v3, v12, vcc
	v_cndmask_b32_e32 v6, v6, v7, vcc
	v_lshlrev_b32_e32 v7, 24, v4
	v_mov_b32_e32 v12, 0x3b800000
	v_lshlrev_b32_e32 v3, 20, v3
	v_and_b32_e32 v7, 0x80000000, v7
	v_lshl_add_u32 v6, v6, 23, v12
	v_or3_b32 v3, v7, v6, v3
.LBB1_6472:
	s_or_b64 exec, exec, s[6:7]
	s_nop 0
	v_mfma_f32_16x16x4f32 a[0:3], v2, v3, a[0:3]
	v_lshrrev_b32_e32 v3, 8, v8
	s_movk_i32 s4, 0x7f
	v_cmp_gt_i16_sdwa s[6:7], v3, s4 src0_sel:BYTE_0 src1_sel:DWORD
	s_mov_b64 s[4:5], 0
                                        ; implicit-def: $sgpr10
	s_and_saveexec_b64 s[8:9], s[6:7]
	s_xor_b64 s[6:7], exec, s[8:9]
	s_cbranch_execz .LBB1_6473
; %bb.42313:
	s_getpc_b64 s[14:15]
.Lpost_getpc6820:
	s_add_u32 s14, s14, (.LBB1_20809-.Lpost_getpc6820)&4294967295
	s_addc_u32 s15, s15, (.LBB1_20809-.Lpost_getpc6820)>>32
	s_setpc_b64 s[14:15]
.LBB1_6473:
	s_or_saveexec_b64 s[6:7], s[6:7]
	v_mov_b32_e32 v2, s10
	s_xor_b64 exec, exec, s[6:7]
	s_cbranch_execz .LBB1_6474
; %bb.42315:
	s_getpc_b64 s[14:15]
.Lpost_getpc6821:
	s_add_u32 s14, s14, (.LBB1_20812-.Lpost_getpc6821)&4294967295
	s_addc_u32 s15, s15, (.LBB1_20812-.Lpost_getpc6821)>>32
	s_setpc_b64 s[14:15]
.LBB1_6474:
	s_or_b64 exec, exec, s[6:7]
	s_and_saveexec_b64 s[6:7], s[4:5]
	s_cbranch_execz .LBB1_6476
.LBB1_6475:
	v_bfe_u32 v2, v8, 8, 3
	v_ffbh_u32_e32 v7, v2
	v_min_u32_e32 v7, 32, v7
	v_lshrrev_b16_e32 v6, 3, v3
	v_subrev_u32_e32 v12, 28, v7
	v_and_b32_e32 v6, 15, v6
	v_lshlrev_b32_e32 v3, v12, v3
	v_sub_u32_e32 v7, 29, v7
	v_and_b32_e32 v3, 7, v3
	v_cmp_eq_u16_e32 vcc, 0, v6
	v_cndmask_b32_e32 v2, v2, v3, vcc
	v_cndmask_b32_e32 v3, v6, v7, vcc
	v_lshlrev_b32_e32 v6, 16, v8
	v_mov_b32_e32 v7, 0x3b800000
	v_lshlrev_b32_e32 v2, 20, v2
	v_and_b32_e32 v6, 0x80000000, v6
	v_lshl_add_u32 v3, v3, 23, v7
	v_or3_b32 v2, v6, v3, v2
.LBB1_6476:
	s_or_b64 exec, exec, s[6:7]
	v_lshrrev_b32_e32 v3, 8, v4
	s_movk_i32 s4, 0x7f
	v_cmp_gt_i16_sdwa s[6:7], v3, s4 src0_sel:BYTE_0 src1_sel:DWORD
	s_mov_b64 s[4:5], 0
                                        ; implicit-def: $sgpr10
	s_and_saveexec_b64 s[8:9], s[6:7]
	s_xor_b64 s[6:7], exec, s[8:9]
	s_cbranch_execz .LBB1_6477
; %bb.42317:
	s_getpc_b64 s[14:15]
.Lpost_getpc6822:
	s_add_u32 s14, s14, (.LBB1_20813-.Lpost_getpc6822)&4294967295
	s_addc_u32 s15, s15, (.LBB1_20813-.Lpost_getpc6822)>>32
	s_setpc_b64 s[14:15]
.LBB1_6477:
	s_or_saveexec_b64 s[6:7], s[6:7]
	v_mov_b32_e32 v6, s10
	s_xor_b64 exec, exec, s[6:7]
	s_cbranch_execz .LBB1_6478
; %bb.42319:
	s_getpc_b64 s[14:15]
.Lpost_getpc6823:
	s_add_u32 s14, s14, (.LBB1_20816-.Lpost_getpc6823)&4294967295
	s_addc_u32 s15, s15, (.LBB1_20816-.Lpost_getpc6823)>>32
	s_setpc_b64 s[14:15]
.LBB1_6478:
	s_or_b64 exec, exec, s[6:7]
	s_and_saveexec_b64 s[6:7], s[4:5]
	s_cbranch_execz .LBB1_6480
.LBB1_6479:
	v_bfe_u32 v6, v4, 8, 3
	v_ffbh_u32_e32 v12, v6
	v_min_u32_e32 v12, 32, v12
	v_lshrrev_b16_e32 v7, 3, v3
	v_subrev_u32_e32 v13, 28, v12
	v_and_b32_e32 v7, 15, v7
	v_lshlrev_b32_e32 v3, v13, v3
	v_sub_u32_e32 v12, 29, v12
	v_and_b32_e32 v3, 7, v3
	v_cmp_eq_u16_e32 vcc, 0, v7
	v_cndmask_b32_e32 v3, v6, v3, vcc
	v_cndmask_b32_e32 v6, v7, v12, vcc
	v_lshlrev_b32_e32 v7, 16, v4
	v_mov_b32_e32 v12, 0x3b800000
	v_lshlrev_b32_e32 v3, 20, v3
	v_and_b32_e32 v7, 0x80000000, v7
	v_lshl_add_u32 v6, v6, 23, v12
	v_or3_b32 v6, v7, v6, v3
.LBB1_6480:
	s_or_b64 exec, exec, s[6:7]
	s_nop 0
	v_mfma_f32_16x16x4f32 a[0:3], v2, v6, a[0:3]
	s_movk_i32 s4, 0xff
	v_and_b32_sdwa v3, v8, s4 dst_sel:DWORD dst_unused:UNUSED_PAD src0_sel:WORD_1 src1_sel:DWORD
	s_movk_i32 s4, 0x7f
	v_cmp_lt_i16_e32 vcc, s4, v3
	s_mov_b64 s[4:5], 0
                                        ; implicit-def: $sgpr10
	s_and_saveexec_b64 s[6:7], vcc
	s_xor_b64 s[6:7], exec, s[6:7]
	s_cbranch_execz .LBB1_6481
; %bb.42321:
	s_getpc_b64 s[14:15]
.Lpost_getpc6824:
	s_add_u32 s14, s14, (.LBB1_20817-.Lpost_getpc6824)&4294967295
	s_addc_u32 s15, s15, (.LBB1_20817-.Lpost_getpc6824)>>32
	s_setpc_b64 s[14:15]
.LBB1_6481:
	s_or_saveexec_b64 s[6:7], s[6:7]
	v_mov_b32_e32 v2, s10
	s_xor_b64 exec, exec, s[6:7]
	s_cbranch_execz .LBB1_6482
; %bb.42323:
	s_getpc_b64 s[14:15]
.Lpost_getpc6825:
	s_add_u32 s14, s14, (.LBB1_20820-.Lpost_getpc6825)&4294967295
	s_addc_u32 s15, s15, (.LBB1_20820-.Lpost_getpc6825)>>32
	s_setpc_b64 s[14:15]
.LBB1_6482:
	s_or_b64 exec, exec, s[6:7]
	s_and_saveexec_b64 s[6:7], s[4:5]
	s_cbranch_execz .LBB1_6484
.LBB1_6483:
	v_bfe_u32 v2, v8, 16, 3
	v_ffbh_u32_e32 v7, v2
	v_min_u32_e32 v7, 32, v7
	v_lshrrev_b32_e32 v3, 19, v8
	v_subrev_u32_e32 v12, 28, v7
	v_and_b32_e32 v3, 15, v3
	v_lshlrev_b32_sdwa v12, v12, v8 dst_sel:DWORD dst_unused:UNUSED_PAD src0_sel:DWORD src1_sel:WORD_1
	v_bfe_u32 v6, v8, 19, 4
	v_sub_u32_e32 v7, 29, v7
	v_and_b32_e32 v12, 7, v12
	v_cmp_eq_u16_e32 vcc, 0, v3
	v_cndmask_b32_e32 v2, v2, v12, vcc
	v_cndmask_b32_e32 v3, v6, v7, vcc
	v_lshlrev_b32_e32 v6, 8, v8
	v_mov_b32_e32 v7, 0x3b800000
	v_lshlrev_b32_e32 v2, 20, v2
	v_and_b32_e32 v6, 0x80000000, v6
	v_lshl_add_u32 v3, v3, 23, v7
	v_or3_b32 v2, v6, v3, v2
.LBB1_6484:
	s_or_b64 exec, exec, s[6:7]
	s_movk_i32 s4, 0xff
	v_and_b32_sdwa v3, v4, s4 dst_sel:DWORD dst_unused:UNUSED_PAD src0_sel:WORD_1 src1_sel:DWORD
	s_movk_i32 s4, 0x7f
	v_cmp_lt_i16_e32 vcc, s4, v3
	s_mov_b64 s[4:5], 0
                                        ; implicit-def: $sgpr10
	s_and_saveexec_b64 s[6:7], vcc
	s_xor_b64 s[6:7], exec, s[6:7]
	s_cbranch_execz .LBB1_6485
; %bb.42325:
	s_getpc_b64 s[14:15]
.Lpost_getpc6826:
	s_add_u32 s14, s14, (.LBB1_20821-.Lpost_getpc6826)&4294967295
	s_addc_u32 s15, s15, (.LBB1_20821-.Lpost_getpc6826)>>32
	s_setpc_b64 s[14:15]
.LBB1_6485:
	s_or_saveexec_b64 s[6:7], s[6:7]
	v_mov_b32_e32 v6, s10
	s_xor_b64 exec, exec, s[6:7]
	s_cbranch_execz .LBB1_6486
; %bb.42327:
	s_getpc_b64 s[14:15]
.Lpost_getpc6827:
	s_add_u32 s14, s14, (.LBB1_20824-.Lpost_getpc6827)&4294967295
	s_addc_u32 s15, s15, (.LBB1_20824-.Lpost_getpc6827)>>32
	s_setpc_b64 s[14:15]
.LBB1_6486:
	s_or_b64 exec, exec, s[6:7]
	s_and_saveexec_b64 s[6:7], s[4:5]
	s_cbranch_execz .LBB1_6488
.LBB1_6487:
	v_bfe_u32 v3, v4, 16, 3
	v_ffbh_u32_e32 v12, v3
	v_min_u32_e32 v12, 32, v12
	v_lshrrev_b32_e32 v6, 19, v4
	v_subrev_u32_e32 v13, 28, v12
	v_and_b32_e32 v6, 15, v6
	v_lshlrev_b32_sdwa v13, v13, v4 dst_sel:DWORD dst_unused:UNUSED_PAD src0_sel:DWORD src1_sel:WORD_1
	v_bfe_u32 v7, v4, 19, 4
	v_sub_u32_e32 v12, 29, v12
	v_and_b32_e32 v13, 7, v13
	v_cmp_eq_u16_e32 vcc, 0, v6
	v_cndmask_b32_e32 v3, v3, v13, vcc
	v_cndmask_b32_e32 v6, v7, v12, vcc
	v_lshlrev_b32_e32 v7, 8, v4
	v_mov_b32_e32 v12, 0x3b800000
	v_lshlrev_b32_e32 v3, 20, v3
	v_and_b32_e32 v7, 0x80000000, v7
	v_lshl_add_u32 v6, v6, 23, v12
	v_or3_b32 v6, v7, v6, v3
.LBB1_6488:
	s_or_b64 exec, exec, s[6:7]
	s_nop 0
	v_mfma_f32_16x16x4f32 a[0:3], v2, v6, a[0:3]
	s_movk_i32 s4, 0x7f
	v_cmp_gt_i16_sdwa s[6:7], v8, s4 src0_sel:BYTE_3 src1_sel:DWORD
	s_mov_b64 s[4:5], 0
                                        ; implicit-def: $sgpr10
	s_and_saveexec_b64 s[8:9], s[6:7]
	s_xor_b64 s[6:7], exec, s[8:9]
	s_cbranch_execz .LBB1_6489
; %bb.42329:
	s_getpc_b64 s[14:15]
.Lpost_getpc6828:
	s_add_u32 s14, s14, (.LBB1_20825-.Lpost_getpc6828)&4294967295
	s_addc_u32 s15, s15, (.LBB1_20825-.Lpost_getpc6828)>>32
	s_setpc_b64 s[14:15]
.LBB1_6489:
	s_or_saveexec_b64 s[6:7], s[6:7]
	v_mov_b32_e32 v2, s10
	s_xor_b64 exec, exec, s[6:7]
	s_cbranch_execz .LBB1_6490
; %bb.42331:
	s_getpc_b64 s[14:15]
.Lpost_getpc6829:
	s_add_u32 s14, s14, (.LBB1_20828-.Lpost_getpc6829)&4294967295
	s_addc_u32 s15, s15, (.LBB1_20828-.Lpost_getpc6829)>>32
	s_setpc_b64 s[14:15]
.LBB1_6490:
	s_or_b64 exec, exec, s[6:7]
	s_and_saveexec_b64 s[6:7], s[4:5]
	s_cbranch_execz .LBB1_6492
.LBB1_6491:
	v_bfe_u32 v2, v8, 24, 3
	v_ffbh_u32_e32 v12, v2
	v_min_u32_e32 v12, 32, v12
	v_lshrrev_b32_e32 v6, 27, v8
	v_subrev_u32_e32 v13, 28, v12
	v_and_b32_e32 v3, 0x80000000, v8
	v_and_b32_e32 v6, 15, v6
	v_bfe_u32 v7, v8, 27, 4
	v_lshlrev_b32_sdwa v8, v13, v8 dst_sel:DWORD dst_unused:UNUSED_PAD src0_sel:DWORD src1_sel:BYTE_3
	v_sub_u32_e32 v12, 29, v12
	v_and_b32_e32 v8, 7, v8
	v_cmp_eq_u16_e32 vcc, 0, v6
	v_cndmask_b32_e32 v2, v2, v8, vcc
	v_cndmask_b32_e32 v6, v7, v12, vcc
	v_mov_b32_e32 v7, 0x3b800000
	v_lshlrev_b32_e32 v2, 20, v2
	v_lshl_add_u32 v6, v6, 23, v7
	v_or3_b32 v2, v3, v6, v2
.LBB1_6492:
	s_or_b64 exec, exec, s[6:7]
	s_movk_i32 s4, 0x7f
	v_cmp_gt_i16_sdwa s[6:7], v4, s4 src0_sel:BYTE_3 src1_sel:DWORD
	s_mov_b64 s[4:5], 0
                                        ; implicit-def: $sgpr10
	s_and_saveexec_b64 s[8:9], s[6:7]
	s_xor_b64 s[6:7], exec, s[8:9]
	s_cbranch_execz .LBB1_6493
; %bb.42333:
	s_getpc_b64 s[14:15]
.Lpost_getpc6830:
	s_add_u32 s14, s14, (.LBB1_20829-.Lpost_getpc6830)&4294967295
	s_addc_u32 s15, s15, (.LBB1_20829-.Lpost_getpc6830)>>32
	s_setpc_b64 s[14:15]
.LBB1_6493:
	s_or_saveexec_b64 s[6:7], s[6:7]
	v_mov_b32_e32 v3, s10
	s_xor_b64 exec, exec, s[6:7]
	s_cbranch_execz .LBB1_6494
; %bb.42335:
	s_getpc_b64 s[14:15]
.Lpost_getpc6831:
	s_add_u32 s14, s14, (.LBB1_20832-.Lpost_getpc6831)&4294967295
	s_addc_u32 s15, s15, (.LBB1_20832-.Lpost_getpc6831)>>32
	s_setpc_b64 s[14:15]
.LBB1_6494:
	s_or_b64 exec, exec, s[6:7]
	s_and_saveexec_b64 s[6:7], s[4:5]
	s_cbranch_execz .LBB1_6496
.LBB1_6495:
	v_bfe_u32 v3, v4, 24, 3
	v_ffbh_u32_e32 v12, v3
	v_min_u32_e32 v12, 32, v12
	v_lshrrev_b32_e32 v7, 27, v4
	v_subrev_u32_e32 v13, 28, v12
	v_and_b32_e32 v6, 0x80000000, v4
	v_and_b32_e32 v7, 15, v7
	v_bfe_u32 v8, v4, 27, 4
	v_lshlrev_b32_sdwa v4, v13, v4 dst_sel:DWORD dst_unused:UNUSED_PAD src0_sel:DWORD src1_sel:BYTE_3
	v_sub_u32_e32 v12, 29, v12
	v_and_b32_e32 v4, 7, v4
	v_cmp_eq_u16_e32 vcc, 0, v7
	v_cndmask_b32_e32 v3, v3, v4, vcc
	v_cndmask_b32_e32 v4, v8, v12, vcc
	v_mov_b32_e32 v7, 0x3b800000
	v_lshlrev_b32_e32 v3, 20, v3
	v_lshl_add_u32 v4, v4, 23, v7
	v_or3_b32 v3, v6, v4, v3
.LBB1_6496:
	s_or_b64 exec, exec, s[6:7]
	s_nop 0
	v_mfma_f32_16x16x4f32 a[0:3], v2, v3, a[0:3]
	s_movk_i32 s4, 0x7f
	v_cmp_gt_i16_sdwa s[6:7], v9, s4 src0_sel:BYTE_0 src1_sel:DWORD
	s_mov_b64 s[4:5], 0
                                        ; implicit-def: $sgpr10
	s_and_saveexec_b64 s[8:9], s[6:7]
	s_xor_b64 s[6:7], exec, s[8:9]
	s_cbranch_execz .LBB1_6497
; %bb.42337:
	s_getpc_b64 s[14:15]
.Lpost_getpc6832:
	s_add_u32 s14, s14, (.LBB1_20833-.Lpost_getpc6832)&4294967295
	s_addc_u32 s15, s15, (.LBB1_20833-.Lpost_getpc6832)>>32
	s_setpc_b64 s[14:15]
.LBB1_6497:
	s_or_saveexec_b64 s[6:7], s[6:7]
	v_mov_b32_e32 v2, s10
	s_xor_b64 exec, exec, s[6:7]
	s_cbranch_execz .LBB1_6498
; %bb.42339:
	s_getpc_b64 s[14:15]
.Lpost_getpc6833:
	s_add_u32 s14, s14, (.LBB1_20836-.Lpost_getpc6833)&4294967295
	s_addc_u32 s15, s15, (.LBB1_20836-.Lpost_getpc6833)>>32
	s_setpc_b64 s[14:15]
.LBB1_6498:
	s_or_b64 exec, exec, s[6:7]
	s_and_saveexec_b64 s[6:7], s[4:5]
	s_cbranch_execz .LBB1_6500
.LBB1_6499:
	v_mov_b32_e32 v2, 8
	v_and_b32_e32 v3, 7, v9
	v_lshrrev_b32_sdwa v2, v2, v9 dst_sel:BYTE_1 dst_unused:UNUSED_PAD src0_sel:DWORD src1_sel:DWORD
	v_ffbh_u32_e32 v4, v3
	v_or_b32_sdwa v2, v9, v2 dst_sel:DWORD dst_unused:UNUSED_PAD src0_sel:BYTE_0 src1_sel:DWORD
	v_min_u32_e32 v4, 32, v4
	v_lshrrev_b16_e32 v2, 3, v2
	v_subrev_u32_e32 v6, 28, v4
	v_and_b32_e32 v2, 15, v2
	v_lshlrev_b32_e32 v6, v6, v9
	v_sub_u32_e32 v4, 29, v4
	v_and_b32_e32 v6, 7, v6
	v_cmp_eq_u16_e32 vcc, 0, v2
	v_cndmask_b32_e32 v3, v3, v6, vcc
	v_cndmask_b32_e32 v2, v2, v4, vcc
	v_lshlrev_b32_e32 v4, 24, v9
	v_mov_b32_e32 v6, 0x3b800000
	v_lshlrev_b32_e32 v3, 20, v3
	v_and_b32_e32 v4, 0x80000000, v4
	v_lshl_add_u32 v2, v2, 23, v6
	v_or3_b32 v2, v4, v2, v3
.LBB1_6500:
	s_or_b64 exec, exec, s[6:7]
	s_movk_i32 s4, 0x7f
	v_cmp_gt_i16_sdwa s[6:7], v5, s4 src0_sel:BYTE_0 src1_sel:DWORD
	s_mov_b64 s[4:5], 0
                                        ; implicit-def: $sgpr10
	s_and_saveexec_b64 s[8:9], s[6:7]
	s_xor_b64 s[6:7], exec, s[8:9]
	s_cbranch_execz .LBB1_6501
; %bb.42341:
	s_getpc_b64 s[14:15]
.Lpost_getpc6834:
	s_add_u32 s14, s14, (.LBB1_20837-.Lpost_getpc6834)&4294967295
	s_addc_u32 s15, s15, (.LBB1_20837-.Lpost_getpc6834)>>32
	s_setpc_b64 s[14:15]
.LBB1_6501:
	s_or_saveexec_b64 s[6:7], s[6:7]
	v_mov_b32_e32 v3, s10
	s_xor_b64 exec, exec, s[6:7]
	s_cbranch_execz .LBB1_6502
; %bb.42343:
	s_getpc_b64 s[14:15]
.Lpost_getpc6835:
	s_add_u32 s14, s14, (.LBB1_20840-.Lpost_getpc6835)&4294967295
	s_addc_u32 s15, s15, (.LBB1_20840-.Lpost_getpc6835)>>32
	s_setpc_b64 s[14:15]
.LBB1_6502:
	s_or_b64 exec, exec, s[6:7]
	s_and_saveexec_b64 s[6:7], s[4:5]
	s_cbranch_execz .LBB1_6504
.LBB1_6503:
	v_mov_b32_e32 v3, 8
	v_and_b32_e32 v4, 7, v5
	v_lshrrev_b32_sdwa v3, v3, v5 dst_sel:BYTE_1 dst_unused:UNUSED_PAD src0_sel:DWORD src1_sel:DWORD
	v_ffbh_u32_e32 v6, v4
	v_or_b32_sdwa v3, v5, v3 dst_sel:DWORD dst_unused:UNUSED_PAD src0_sel:BYTE_0 src1_sel:DWORD
	v_min_u32_e32 v6, 32, v6
	v_lshrrev_b16_e32 v3, 3, v3
	v_subrev_u32_e32 v7, 28, v6
	v_and_b32_e32 v3, 15, v3
	v_lshlrev_b32_e32 v7, v7, v5
	v_sub_u32_e32 v6, 29, v6
	v_and_b32_e32 v7, 7, v7
	v_cmp_eq_u16_e32 vcc, 0, v3
	v_cndmask_b32_e32 v4, v4, v7, vcc
	v_cndmask_b32_e32 v3, v3, v6, vcc
	v_lshlrev_b32_e32 v6, 24, v5
	v_mov_b32_e32 v7, 0x3b800000
	v_lshlrev_b32_e32 v4, 20, v4
	v_and_b32_e32 v6, 0x80000000, v6
	v_lshl_add_u32 v3, v3, 23, v7
	v_or3_b32 v3, v6, v3, v4
.LBB1_6504:
	s_or_b64 exec, exec, s[6:7]
	s_nop 0
	v_mfma_f32_16x16x4f32 a[0:3], v2, v3, a[0:3]
	v_lshrrev_b32_e32 v3, 8, v9
	s_movk_i32 s4, 0x7f
	v_cmp_gt_i16_sdwa s[6:7], v3, s4 src0_sel:BYTE_0 src1_sel:DWORD
	s_mov_b64 s[4:5], 0
                                        ; implicit-def: $sgpr10
	s_and_saveexec_b64 s[8:9], s[6:7]
	s_xor_b64 s[6:7], exec, s[8:9]
	s_cbranch_execz .LBB1_6505
; %bb.42345:
	s_getpc_b64 s[14:15]
.Lpost_getpc6836:
	s_add_u32 s14, s14, (.LBB1_20841-.Lpost_getpc6836)&4294967295
	s_addc_u32 s15, s15, (.LBB1_20841-.Lpost_getpc6836)>>32
	s_setpc_b64 s[14:15]
.LBB1_6505:
	s_or_saveexec_b64 s[6:7], s[6:7]
	v_mov_b32_e32 v2, s10
	s_xor_b64 exec, exec, s[6:7]
	s_cbranch_execz .LBB1_6506
; %bb.42347:
	s_getpc_b64 s[14:15]
.Lpost_getpc6837:
	s_add_u32 s14, s14, (.LBB1_20844-.Lpost_getpc6837)&4294967295
	s_addc_u32 s15, s15, (.LBB1_20844-.Lpost_getpc6837)>>32
	s_setpc_b64 s[14:15]
.LBB1_6506:
	s_or_b64 exec, exec, s[6:7]
	s_and_saveexec_b64 s[6:7], s[4:5]
	s_cbranch_execz .LBB1_6508
.LBB1_6507:
	v_bfe_u32 v2, v9, 8, 3
	v_ffbh_u32_e32 v6, v2
	v_min_u32_e32 v6, 32, v6
	v_lshrrev_b16_e32 v4, 3, v3
	v_subrev_u32_e32 v7, 28, v6
	v_and_b32_e32 v4, 15, v4
	v_lshlrev_b32_e32 v3, v7, v3
	v_sub_u32_e32 v6, 29, v6
	v_and_b32_e32 v3, 7, v3
	v_cmp_eq_u16_e32 vcc, 0, v4
	v_cndmask_b32_e32 v2, v2, v3, vcc
	v_cndmask_b32_e32 v3, v4, v6, vcc
	v_lshlrev_b32_e32 v4, 16, v9
	v_mov_b32_e32 v6, 0x3b800000
	v_lshlrev_b32_e32 v2, 20, v2
	v_and_b32_e32 v4, 0x80000000, v4
	v_lshl_add_u32 v3, v3, 23, v6
	v_or3_b32 v2, v4, v3, v2
.LBB1_6508:
	s_or_b64 exec, exec, s[6:7]
	v_lshrrev_b32_e32 v3, 8, v5
	s_movk_i32 s4, 0x7f
	v_cmp_gt_i16_sdwa s[6:7], v3, s4 src0_sel:BYTE_0 src1_sel:DWORD
	s_mov_b64 s[4:5], 0
                                        ; implicit-def: $sgpr10
	s_and_saveexec_b64 s[8:9], s[6:7]
	s_xor_b64 s[6:7], exec, s[8:9]
	s_cbranch_execz .LBB1_6509
; %bb.42349:
	s_getpc_b64 s[14:15]
.Lpost_getpc6838:
	s_add_u32 s14, s14, (.LBB1_20845-.Lpost_getpc6838)&4294967295
	s_addc_u32 s15, s15, (.LBB1_20845-.Lpost_getpc6838)>>32
	s_setpc_b64 s[14:15]
.LBB1_6509:
	s_or_saveexec_b64 s[6:7], s[6:7]
	v_mov_b32_e32 v4, s10
	s_xor_b64 exec, exec, s[6:7]
	s_cbranch_execz .LBB1_6510
; %bb.42351:
	s_getpc_b64 s[14:15]
.Lpost_getpc6839:
	s_add_u32 s14, s14, (.LBB1_20848-.Lpost_getpc6839)&4294967295
	s_addc_u32 s15, s15, (.LBB1_20848-.Lpost_getpc6839)>>32
	s_setpc_b64 s[14:15]
.LBB1_6510:
	s_or_b64 exec, exec, s[6:7]
	s_and_saveexec_b64 s[6:7], s[4:5]
	s_cbranch_execz .LBB1_6512
.LBB1_6511:
	v_bfe_u32 v4, v5, 8, 3
	v_ffbh_u32_e32 v7, v4
	v_min_u32_e32 v7, 32, v7
	v_lshrrev_b16_e32 v6, 3, v3
	v_subrev_u32_e32 v8, 28, v7
	v_and_b32_e32 v6, 15, v6
	v_lshlrev_b32_e32 v3, v8, v3
	v_sub_u32_e32 v7, 29, v7
	v_and_b32_e32 v3, 7, v3
	v_cmp_eq_u16_e32 vcc, 0, v6
	v_cndmask_b32_e32 v3, v4, v3, vcc
	v_cndmask_b32_e32 v4, v6, v7, vcc
	v_lshlrev_b32_e32 v6, 16, v5
	v_mov_b32_e32 v7, 0x3b800000
	v_lshlrev_b32_e32 v3, 20, v3
	v_and_b32_e32 v6, 0x80000000, v6
	v_lshl_add_u32 v4, v4, 23, v7
	v_or3_b32 v4, v6, v4, v3
.LBB1_6512:
	s_or_b64 exec, exec, s[6:7]
	s_nop 0
	v_mfma_f32_16x16x4f32 a[0:3], v2, v4, a[0:3]
	s_movk_i32 s4, 0xff
	v_and_b32_sdwa v3, v9, s4 dst_sel:DWORD dst_unused:UNUSED_PAD src0_sel:WORD_1 src1_sel:DWORD
	s_movk_i32 s4, 0x7f
	v_cmp_lt_i16_e32 vcc, s4, v3
	s_mov_b64 s[4:5], 0
                                        ; implicit-def: $sgpr10
	s_and_saveexec_b64 s[6:7], vcc
	s_xor_b64 s[6:7], exec, s[6:7]
	s_cbranch_execz .LBB1_6513
; %bb.42353:
	s_getpc_b64 s[14:15]
.Lpost_getpc6840:
	s_add_u32 s14, s14, (.LBB1_20849-.Lpost_getpc6840)&4294967295
	s_addc_u32 s15, s15, (.LBB1_20849-.Lpost_getpc6840)>>32
	s_setpc_b64 s[14:15]
.LBB1_6513:
	s_or_saveexec_b64 s[6:7], s[6:7]
	v_mov_b32_e32 v2, s10
	s_xor_b64 exec, exec, s[6:7]
	s_cbranch_execz .LBB1_6514
; %bb.42355:
	s_getpc_b64 s[14:15]
.Lpost_getpc6841:
	s_add_u32 s14, s14, (.LBB1_20852-.Lpost_getpc6841)&4294967295
	s_addc_u32 s15, s15, (.LBB1_20852-.Lpost_getpc6841)>>32
	s_setpc_b64 s[14:15]
.LBB1_6514:
	s_or_b64 exec, exec, s[6:7]
	s_and_saveexec_b64 s[6:7], s[4:5]
	s_cbranch_execz .LBB1_6516
.LBB1_6515:
	v_bfe_u32 v2, v9, 16, 3
	v_ffbh_u32_e32 v6, v2
	v_min_u32_e32 v6, 32, v6
	v_lshrrev_b32_e32 v3, 19, v9
	v_subrev_u32_e32 v7, 28, v6
	v_and_b32_e32 v3, 15, v3
	v_lshlrev_b32_sdwa v7, v7, v9 dst_sel:DWORD dst_unused:UNUSED_PAD src0_sel:DWORD src1_sel:WORD_1
	v_bfe_u32 v4, v9, 19, 4
	v_sub_u32_e32 v6, 29, v6
	v_and_b32_e32 v7, 7, v7
	v_cmp_eq_u16_e32 vcc, 0, v3
	v_cndmask_b32_e32 v2, v2, v7, vcc
	v_cndmask_b32_e32 v3, v4, v6, vcc
	v_lshlrev_b32_e32 v4, 8, v9
	v_mov_b32_e32 v6, 0x3b800000
	v_lshlrev_b32_e32 v2, 20, v2
	v_and_b32_e32 v4, 0x80000000, v4
	v_lshl_add_u32 v3, v3, 23, v6
	v_or3_b32 v2, v4, v3, v2
.LBB1_6516:
	s_or_b64 exec, exec, s[6:7]
	s_movk_i32 s4, 0xff
	v_and_b32_sdwa v3, v5, s4 dst_sel:DWORD dst_unused:UNUSED_PAD src0_sel:WORD_1 src1_sel:DWORD
	s_movk_i32 s4, 0x7f
	v_cmp_lt_i16_e32 vcc, s4, v3
	s_mov_b64 s[4:5], 0
                                        ; implicit-def: $sgpr10
	s_and_saveexec_b64 s[6:7], vcc
	s_xor_b64 s[6:7], exec, s[6:7]
	s_cbranch_execz .LBB1_6517
; %bb.42357:
	s_getpc_b64 s[14:15]
.Lpost_getpc6842:
	s_add_u32 s14, s14, (.LBB1_20853-.Lpost_getpc6842)&4294967295
	s_addc_u32 s15, s15, (.LBB1_20853-.Lpost_getpc6842)>>32
	s_setpc_b64 s[14:15]
.LBB1_6517:
	s_or_saveexec_b64 s[6:7], s[6:7]
	v_mov_b32_e32 v4, s10
	s_xor_b64 exec, exec, s[6:7]
	s_cbranch_execz .LBB1_6518
; %bb.42359:
	s_getpc_b64 s[14:15]
.Lpost_getpc6843:
	s_add_u32 s14, s14, (.LBB1_20856-.Lpost_getpc6843)&4294967295
	s_addc_u32 s15, s15, (.LBB1_20856-.Lpost_getpc6843)>>32
	s_setpc_b64 s[14:15]
.LBB1_6518:
	s_or_b64 exec, exec, s[6:7]
	s_and_saveexec_b64 s[6:7], s[4:5]
	s_cbranch_execz .LBB1_6520
.LBB1_6519:
	v_bfe_u32 v3, v5, 16, 3
	v_ffbh_u32_e32 v7, v3
	v_min_u32_e32 v7, 32, v7
	v_lshrrev_b32_e32 v4, 19, v5
	v_subrev_u32_e32 v8, 28, v7
	v_and_b32_e32 v4, 15, v4
	v_lshlrev_b32_sdwa v8, v8, v5 dst_sel:DWORD dst_unused:UNUSED_PAD src0_sel:DWORD src1_sel:WORD_1
	v_bfe_u32 v6, v5, 19, 4
	v_sub_u32_e32 v7, 29, v7
	v_and_b32_e32 v8, 7, v8
	v_cmp_eq_u16_e32 vcc, 0, v4
	v_cndmask_b32_e32 v3, v3, v8, vcc
	v_cndmask_b32_e32 v4, v6, v7, vcc
	v_lshlrev_b32_e32 v6, 8, v5
	v_mov_b32_e32 v7, 0x3b800000
	v_lshlrev_b32_e32 v3, 20, v3
	v_and_b32_e32 v6, 0x80000000, v6
	v_lshl_add_u32 v4, v4, 23, v7
	v_or3_b32 v4, v6, v4, v3
.LBB1_6520:
	s_or_b64 exec, exec, s[6:7]
	s_nop 0
	v_mfma_f32_16x16x4f32 a[0:3], v2, v4, a[0:3]
	s_movk_i32 s4, 0x7f
	v_cmp_gt_i16_sdwa s[6:7], v9, s4 src0_sel:BYTE_3 src1_sel:DWORD
	s_mov_b64 s[4:5], 0
                                        ; implicit-def: $sgpr10
	s_and_saveexec_b64 s[8:9], s[6:7]
	s_xor_b64 s[6:7], exec, s[8:9]
	s_cbranch_execz .LBB1_6521
; %bb.42361:
	s_getpc_b64 s[14:15]
.Lpost_getpc6844:
	s_add_u32 s14, s14, (.LBB1_20857-.Lpost_getpc6844)&4294967295
	s_addc_u32 s15, s15, (.LBB1_20857-.Lpost_getpc6844)>>32
	s_setpc_b64 s[14:15]
.LBB1_6521:
	s_or_saveexec_b64 s[6:7], s[6:7]
	v_mov_b32_e32 v2, s10
	s_xor_b64 exec, exec, s[6:7]
	s_cbranch_execz .LBB1_6522
; %bb.42363:
	s_getpc_b64 s[14:15]
.Lpost_getpc6845:
	s_add_u32 s14, s14, (.LBB1_20860-.Lpost_getpc6845)&4294967295
	s_addc_u32 s15, s15, (.LBB1_20860-.Lpost_getpc6845)>>32
	s_setpc_b64 s[14:15]
.LBB1_6522:
	s_or_b64 exec, exec, s[6:7]
	s_and_saveexec_b64 s[6:7], s[4:5]
	s_cbranch_execz .LBB1_6524
.LBB1_6523:
	v_bfe_u32 v2, v9, 24, 3
	v_ffbh_u32_e32 v7, v2
	v_min_u32_e32 v7, 32, v7
	v_lshrrev_b32_e32 v4, 27, v9
	v_subrev_u32_e32 v8, 28, v7
	v_and_b32_e32 v4, 15, v4
	v_lshlrev_b32_sdwa v8, v8, v9 dst_sel:DWORD dst_unused:UNUSED_PAD src0_sel:DWORD src1_sel:BYTE_3
	v_bfe_u32 v6, v9, 27, 4
	v_sub_u32_e32 v7, 29, v7
	v_and_b32_e32 v8, 7, v8
	v_cmp_eq_u16_e32 vcc, 0, v4
	v_cndmask_b32_e32 v2, v2, v8, vcc
	v_cndmask_b32_e32 v4, v6, v7, vcc
	v_mov_b32_e32 v6, 0x3b800000
	v_and_b32_e32 v3, 0x80000000, v9
	v_lshlrev_b32_e32 v2, 20, v2
	v_lshl_add_u32 v4, v4, 23, v6
	v_or3_b32 v2, v3, v4, v2
.LBB1_6524:
	s_or_b64 exec, exec, s[6:7]
	s_movk_i32 s4, 0x7f
	v_cmp_gt_i16_sdwa s[6:7], v5, s4 src0_sel:BYTE_3 src1_sel:DWORD
	s_mov_b64 s[4:5], 0
                                        ; implicit-def: $sgpr10
	s_and_saveexec_b64 s[8:9], s[6:7]
	s_xor_b64 s[6:7], exec, s[8:9]
	s_cbranch_execz .LBB1_6525
; %bb.42365:
	s_getpc_b64 s[14:15]
.Lpost_getpc6846:
	s_add_u32 s14, s14, (.LBB1_20861-.Lpost_getpc6846)&4294967295
	s_addc_u32 s15, s15, (.LBB1_20861-.Lpost_getpc6846)>>32
	s_setpc_b64 s[14:15]
.LBB1_6525:
	s_or_saveexec_b64 s[6:7], s[6:7]
	v_mov_b32_e32 v3, s10
	s_xor_b64 exec, exec, s[6:7]
	s_cbranch_execz .LBB1_6526
; %bb.42367:
	s_getpc_b64 s[14:15]
.Lpost_getpc6847:
	s_add_u32 s14, s14, (.LBB1_20864-.Lpost_getpc6847)&4294967295
	s_addc_u32 s15, s15, (.LBB1_20864-.Lpost_getpc6847)>>32
	s_setpc_b64 s[14:15]
.LBB1_6526:
	s_or_b64 exec, exec, s[6:7]
	s_and_saveexec_b64 s[6:7], s[4:5]
	s_cbranch_execz .LBB1_6528
.LBB1_6527:
	v_bfe_u32 v3, v5, 24, 3
	v_ffbh_u32_e32 v8, v3
	v_min_u32_e32 v8, 32, v8
	v_lshrrev_b32_e32 v6, 27, v5
	v_subrev_u32_e32 v9, 28, v8
	v_and_b32_e32 v4, 0x80000000, v5
	v_and_b32_e32 v6, 15, v6
	v_bfe_u32 v7, v5, 27, 4
	v_lshlrev_b32_sdwa v5, v9, v5 dst_sel:DWORD dst_unused:UNUSED_PAD src0_sel:DWORD src1_sel:BYTE_3
	v_sub_u32_e32 v8, 29, v8
	v_and_b32_e32 v5, 7, v5
	v_cmp_eq_u16_e32 vcc, 0, v6
	v_cndmask_b32_e32 v3, v3, v5, vcc
	v_cndmask_b32_e32 v5, v7, v8, vcc
	v_mov_b32_e32 v6, 0x3b800000
	v_lshlrev_b32_e32 v3, 20, v3
	v_lshl_add_u32 v5, v5, 23, v6
	v_or3_b32 v3, v4, v5, v3
.LBB1_6528:
	s_or_b64 exec, exec, s[6:7]
	s_nop 0
	v_mfma_f32_16x16x4f32 a[0:3], v2, v3, a[0:3]
	s_movk_i32 s4, 0x7f
                                        ; implicit-def: $sgpr10
	s_nop 7
	s_nop 1
	flat_store_dwordx4 v[10:11], a[0:3] offset:800
	flat_load_dwordx4 v[12:15], v[0:1]
	s_nop 0
	flat_load_dwordx2 v[10:11], v[0:1] offset:16
	s_waitcnt vmcnt(0) lgkmcnt(0)
	flat_load_dwordx4 v[6:9], v[12:13] offset:96
	flat_load_dwordx4 v[2:5], v[14:15] offset:48
	s_waitcnt vmcnt(0) lgkmcnt(0)
	v_cmp_gt_i16_sdwa s[6:7], v6, s4 src0_sel:BYTE_0 src1_sel:DWORD
	s_mov_b64 s[4:5], 0
	s_and_saveexec_b64 s[8:9], s[6:7]
	s_xor_b64 s[6:7], exec, s[8:9]
	s_cbranch_execz .LBB1_6529
; %bb.42369:
	s_getpc_b64 s[14:15]
.Lpost_getpc6848:
	s_add_u32 s14, s14, (.LBB1_20865-.Lpost_getpc6848)&4294967295
	s_addc_u32 s15, s15, (.LBB1_20865-.Lpost_getpc6848)>>32
	s_setpc_b64 s[14:15]
.LBB1_6529:
	s_or_saveexec_b64 s[6:7], s[6:7]
	v_mov_b32_e32 v12, s10
	s_xor_b64 exec, exec, s[6:7]
	s_cbranch_execz .LBB1_6530
; %bb.42371:
	s_getpc_b64 s[14:15]
.Lpost_getpc6849:
	s_add_u32 s14, s14, (.LBB1_20868-.Lpost_getpc6849)&4294967295
	s_addc_u32 s15, s15, (.LBB1_20868-.Lpost_getpc6849)>>32
	s_setpc_b64 s[14:15]
.LBB1_6530:
	s_or_b64 exec, exec, s[6:7]
	s_and_saveexec_b64 s[6:7], s[4:5]
	s_cbranch_execz .LBB1_6532
.LBB1_6531:
	v_and_b32_e32 v12, 7, v6
	v_ffbh_u32_e32 v14, v12
	v_min_u32_e32 v14, 32, v14
	v_lshrrev_b16_e32 v13, 3, v6
	v_subrev_u32_e32 v15, 28, v14
	v_and_b32_e32 v13, 15, v13
	v_lshlrev_b32_e32 v15, v15, v6
	v_sub_u32_e32 v14, 29, v14
	v_and_b32_e32 v15, 7, v15
	v_cmp_eq_u16_e32 vcc, 0, v13
	v_cndmask_b32_e32 v12, v12, v15, vcc
	v_cndmask_b32_e32 v13, v13, v14, vcc
	v_lshlrev_b32_e32 v14, 24, v6
	v_mov_b32_e32 v15, 0x3b800000
	v_lshlrev_b32_e32 v12, 20, v12
	v_and_b32_e32 v14, 0x80000000, v14
	v_lshl_add_u32 v13, v13, 23, v15
	v_or3_b32 v12, v14, v13, v12
.LBB1_6532:
	s_or_b64 exec, exec, s[6:7]
	s_movk_i32 s4, 0x7f
	v_cmp_gt_i16_sdwa s[6:7], v2, s4 src0_sel:BYTE_0 src1_sel:DWORD
	s_mov_b64 s[4:5], 0
                                        ; implicit-def: $sgpr10
	s_and_saveexec_b64 s[8:9], s[6:7]
	s_xor_b64 s[6:7], exec, s[8:9]
	s_cbranch_execz .LBB1_6533
; %bb.42373:
	s_getpc_b64 s[14:15]
.Lpost_getpc6850:
	s_add_u32 s14, s14, (.LBB1_20869-.Lpost_getpc6850)&4294967295
	s_addc_u32 s15, s15, (.LBB1_20869-.Lpost_getpc6850)>>32
	s_setpc_b64 s[14:15]
.LBB1_6533:
	s_or_saveexec_b64 s[6:7], s[6:7]
	v_mov_b32_e32 v13, s10
	s_xor_b64 exec, exec, s[6:7]
	s_cbranch_execz .LBB1_6534
; %bb.42375:
	s_getpc_b64 s[14:15]
.Lpost_getpc6851:
	s_add_u32 s14, s14, (.LBB1_20872-.Lpost_getpc6851)&4294967295
	s_addc_u32 s15, s15, (.LBB1_20872-.Lpost_getpc6851)>>32
	s_setpc_b64 s[14:15]
.LBB1_6534:
	s_or_b64 exec, exec, s[6:7]
	s_and_saveexec_b64 s[6:7], s[4:5]
	s_cbranch_execz .LBB1_6536
.LBB1_6535:
	v_and_b32_e32 v13, 7, v2
	v_ffbh_u32_e32 v15, v13
	v_min_u32_e32 v15, 32, v15
	v_lshrrev_b16_e32 v14, 3, v2
	v_subrev_u32_e32 v16, 28, v15
	v_and_b32_e32 v14, 15, v14
	v_lshlrev_b32_e32 v16, v16, v2
	v_sub_u32_e32 v15, 29, v15
	v_and_b32_e32 v16, 7, v16
	v_cmp_eq_u16_e32 vcc, 0, v14
	v_cndmask_b32_e32 v13, v13, v16, vcc
	v_cndmask_b32_e32 v14, v14, v15, vcc
	v_lshlrev_b32_e32 v15, 24, v2
	v_mov_b32_e32 v16, 0x3b800000
	v_lshlrev_b32_e32 v13, 20, v13
	v_and_b32_e32 v15, 0x80000000, v15
	v_lshl_add_u32 v14, v14, 23, v16
	v_or3_b32 v13, v15, v14, v13
.LBB1_6536:
	s_or_b64 exec, exec, s[6:7]
	flat_load_dwordx4 a[0:3], v[10:11] offset:816
	s_movk_i32 s4, 0x7f
                                        ; implicit-def: $sgpr10
	s_waitcnt vmcnt(0) lgkmcnt(0)
	v_mfma_f32_16x16x4f32 a[0:3], v12, v13, a[0:3]
	v_lshrrev_b32_e32 v13, 8, v6
	v_cmp_gt_i16_sdwa s[6:7], v13, s4 src0_sel:BYTE_0 src1_sel:DWORD
	s_mov_b64 s[4:5], 0
	s_and_saveexec_b64 s[8:9], s[6:7]
	s_xor_b64 s[6:7], exec, s[8:9]
	s_cbranch_execz .LBB1_6537
; %bb.42377:
	s_getpc_b64 s[14:15]
.Lpost_getpc6852:
	s_add_u32 s14, s14, (.LBB1_20873-.Lpost_getpc6852)&4294967295
	s_addc_u32 s15, s15, (.LBB1_20873-.Lpost_getpc6852)>>32
	s_setpc_b64 s[14:15]
.LBB1_6537:
	s_or_saveexec_b64 s[6:7], s[6:7]
	v_mov_b32_e32 v12, s10
	s_xor_b64 exec, exec, s[6:7]
	s_cbranch_execz .LBB1_6538
; %bb.42379:
	s_getpc_b64 s[14:15]
.Lpost_getpc6853:
	s_add_u32 s14, s14, (.LBB1_20876-.Lpost_getpc6853)&4294967295
	s_addc_u32 s15, s15, (.LBB1_20876-.Lpost_getpc6853)>>32
	s_setpc_b64 s[14:15]
.LBB1_6538:
	s_or_b64 exec, exec, s[6:7]
	s_and_saveexec_b64 s[6:7], s[4:5]
	s_cbranch_execz .LBB1_6540
.LBB1_6539:
	v_bfe_u32 v12, v6, 8, 3
	v_ffbh_u32_e32 v15, v12
	v_min_u32_e32 v15, 32, v15
	v_lshrrev_b16_e32 v14, 3, v13
	v_subrev_u32_e32 v16, 28, v15
	v_and_b32_e32 v14, 15, v14
	v_lshlrev_b32_e32 v13, v16, v13
	v_sub_u32_e32 v15, 29, v15
	v_and_b32_e32 v13, 7, v13
	v_cmp_eq_u16_e32 vcc, 0, v14
	v_cndmask_b32_e32 v12, v12, v13, vcc
	v_cndmask_b32_e32 v13, v14, v15, vcc
	v_lshlrev_b32_e32 v14, 16, v6
	v_mov_b32_e32 v15, 0x3b800000
	v_lshlrev_b32_e32 v12, 20, v12
	v_and_b32_e32 v14, 0x80000000, v14
	v_lshl_add_u32 v13, v13, 23, v15
	v_or3_b32 v12, v14, v13, v12
.LBB1_6540:
	s_or_b64 exec, exec, s[6:7]
	v_lshrrev_b32_e32 v13, 8, v2
	s_movk_i32 s4, 0x7f
	v_cmp_gt_i16_sdwa s[6:7], v13, s4 src0_sel:BYTE_0 src1_sel:DWORD
	s_mov_b64 s[4:5], 0
                                        ; implicit-def: $sgpr10
	s_and_saveexec_b64 s[8:9], s[6:7]
	s_xor_b64 s[6:7], exec, s[8:9]
	s_cbranch_execz .LBB1_6541
; %bb.42381:
	s_getpc_b64 s[14:15]
.Lpost_getpc6854:
	s_add_u32 s14, s14, (.LBB1_20877-.Lpost_getpc6854)&4294967295
	s_addc_u32 s15, s15, (.LBB1_20877-.Lpost_getpc6854)>>32
	s_setpc_b64 s[14:15]
.LBB1_6541:
	s_or_saveexec_b64 s[6:7], s[6:7]
	v_mov_b32_e32 v14, s10
	s_xor_b64 exec, exec, s[6:7]
	s_cbranch_execz .LBB1_6542
; %bb.42383:
	s_getpc_b64 s[14:15]
.Lpost_getpc6855:
	s_add_u32 s14, s14, (.LBB1_20880-.Lpost_getpc6855)&4294967295
	s_addc_u32 s15, s15, (.LBB1_20880-.Lpost_getpc6855)>>32
	s_setpc_b64 s[14:15]
.LBB1_6542:
	s_or_b64 exec, exec, s[6:7]
	s_and_saveexec_b64 s[6:7], s[4:5]
	s_cbranch_execz .LBB1_6544
.LBB1_6543:
	v_bfe_u32 v14, v2, 8, 3
	v_ffbh_u32_e32 v16, v14
	v_min_u32_e32 v16, 32, v16
	v_lshrrev_b16_e32 v15, 3, v13
	v_subrev_u32_e32 v17, 28, v16
	v_and_b32_e32 v15, 15, v15
	v_lshlrev_b32_e32 v13, v17, v13
	v_sub_u32_e32 v16, 29, v16
	v_and_b32_e32 v13, 7, v13
	v_cmp_eq_u16_e32 vcc, 0, v15
	v_cndmask_b32_e32 v13, v14, v13, vcc
	v_cndmask_b32_e32 v14, v15, v16, vcc
	v_lshlrev_b32_e32 v15, 16, v2
	v_mov_b32_e32 v16, 0x3b800000
	v_lshlrev_b32_e32 v13, 20, v13
	v_and_b32_e32 v15, 0x80000000, v15
	v_lshl_add_u32 v14, v14, 23, v16
	v_or3_b32 v14, v15, v14, v13
.LBB1_6544:
	s_or_b64 exec, exec, s[6:7]
	s_nop 0
	v_mfma_f32_16x16x4f32 a[0:3], v12, v14, a[0:3]
	s_movk_i32 s4, 0xff
	v_and_b32_sdwa v13, v6, s4 dst_sel:DWORD dst_unused:UNUSED_PAD src0_sel:WORD_1 src1_sel:DWORD
	s_movk_i32 s4, 0x7f
	v_cmp_lt_i16_e32 vcc, s4, v13
	s_mov_b64 s[4:5], 0
                                        ; implicit-def: $sgpr10
	s_and_saveexec_b64 s[6:7], vcc
	s_xor_b64 s[6:7], exec, s[6:7]
	s_cbranch_execz .LBB1_6545
; %bb.42385:
	s_getpc_b64 s[14:15]
.Lpost_getpc6856:
	s_add_u32 s14, s14, (.LBB1_20881-.Lpost_getpc6856)&4294967295
	s_addc_u32 s15, s15, (.LBB1_20881-.Lpost_getpc6856)>>32
	s_setpc_b64 s[14:15]
.LBB1_6545:
	s_or_saveexec_b64 s[6:7], s[6:7]
	v_mov_b32_e32 v12, s10
	s_xor_b64 exec, exec, s[6:7]
	s_cbranch_execz .LBB1_6546
; %bb.42387:
	s_getpc_b64 s[14:15]
.Lpost_getpc6857:
	s_add_u32 s14, s14, (.LBB1_20884-.Lpost_getpc6857)&4294967295
	s_addc_u32 s15, s15, (.LBB1_20884-.Lpost_getpc6857)>>32
	s_setpc_b64 s[14:15]
.LBB1_6546:
	s_or_b64 exec, exec, s[6:7]
	s_and_saveexec_b64 s[6:7], s[4:5]
	s_cbranch_execz .LBB1_6548
.LBB1_6547:
	v_bfe_u32 v12, v6, 16, 3
	v_ffbh_u32_e32 v15, v12
	v_min_u32_e32 v15, 32, v15
	v_lshrrev_b32_e32 v13, 19, v6
	v_subrev_u32_e32 v16, 28, v15
	v_and_b32_e32 v13, 15, v13
	v_lshlrev_b32_sdwa v16, v16, v6 dst_sel:DWORD dst_unused:UNUSED_PAD src0_sel:DWORD src1_sel:WORD_1
	v_bfe_u32 v14, v6, 19, 4
	v_sub_u32_e32 v15, 29, v15
	v_and_b32_e32 v16, 7, v16
	v_cmp_eq_u16_e32 vcc, 0, v13
	v_cndmask_b32_e32 v12, v12, v16, vcc
	v_cndmask_b32_e32 v13, v14, v15, vcc
	v_lshlrev_b32_e32 v14, 8, v6
	v_mov_b32_e32 v15, 0x3b800000
	v_lshlrev_b32_e32 v12, 20, v12
	v_and_b32_e32 v14, 0x80000000, v14
	v_lshl_add_u32 v13, v13, 23, v15
	v_or3_b32 v12, v14, v13, v12
.LBB1_6548:
	s_or_b64 exec, exec, s[6:7]
	s_movk_i32 s4, 0xff
	v_and_b32_sdwa v13, v2, s4 dst_sel:DWORD dst_unused:UNUSED_PAD src0_sel:WORD_1 src1_sel:DWORD
	s_movk_i32 s4, 0x7f
	v_cmp_lt_i16_e32 vcc, s4, v13
	s_mov_b64 s[4:5], 0
                                        ; implicit-def: $sgpr10
	s_and_saveexec_b64 s[6:7], vcc
	s_xor_b64 s[6:7], exec, s[6:7]
	s_cbranch_execz .LBB1_6549
; %bb.42389:
	s_getpc_b64 s[14:15]
.Lpost_getpc6858:
	s_add_u32 s14, s14, (.LBB1_20885-.Lpost_getpc6858)&4294967295
	s_addc_u32 s15, s15, (.LBB1_20885-.Lpost_getpc6858)>>32
	s_setpc_b64 s[14:15]
.LBB1_6549:
	s_or_saveexec_b64 s[6:7], s[6:7]
	v_mov_b32_e32 v14, s10
	s_xor_b64 exec, exec, s[6:7]
	s_cbranch_execz .LBB1_6550
; %bb.42391:
	s_getpc_b64 s[14:15]
.Lpost_getpc6859:
	s_add_u32 s14, s14, (.LBB1_20888-.Lpost_getpc6859)&4294967295
	s_addc_u32 s15, s15, (.LBB1_20888-.Lpost_getpc6859)>>32
	s_setpc_b64 s[14:15]
.LBB1_6550:
	s_or_b64 exec, exec, s[6:7]
	s_and_saveexec_b64 s[6:7], s[4:5]
	s_cbranch_execz .LBB1_6552
.LBB1_6551:
	v_bfe_u32 v13, v2, 16, 3
	v_ffbh_u32_e32 v16, v13
	v_min_u32_e32 v16, 32, v16
	v_lshrrev_b32_e32 v14, 19, v2
	v_subrev_u32_e32 v17, 28, v16
	v_and_b32_e32 v14, 15, v14
	v_lshlrev_b32_sdwa v17, v17, v2 dst_sel:DWORD dst_unused:UNUSED_PAD src0_sel:DWORD src1_sel:WORD_1
	v_bfe_u32 v15, v2, 19, 4
	v_sub_u32_e32 v16, 29, v16
	v_and_b32_e32 v17, 7, v17
	v_cmp_eq_u16_e32 vcc, 0, v14
	v_cndmask_b32_e32 v13, v13, v17, vcc
	v_cndmask_b32_e32 v14, v15, v16, vcc
	v_lshlrev_b32_e32 v15, 8, v2
	v_mov_b32_e32 v16, 0x3b800000
	v_lshlrev_b32_e32 v13, 20, v13
	v_and_b32_e32 v15, 0x80000000, v15
	v_lshl_add_u32 v14, v14, 23, v16
	v_or3_b32 v14, v15, v14, v13
.LBB1_6552:
	s_or_b64 exec, exec, s[6:7]
	s_nop 0
	v_mfma_f32_16x16x4f32 a[0:3], v12, v14, a[0:3]
	s_movk_i32 s4, 0x7f
	v_cmp_gt_i16_sdwa s[6:7], v6, s4 src0_sel:BYTE_3 src1_sel:DWORD
	s_mov_b64 s[4:5], 0
                                        ; implicit-def: $sgpr10
	s_and_saveexec_b64 s[8:9], s[6:7]
	s_xor_b64 s[6:7], exec, s[8:9]
	s_cbranch_execz .LBB1_6553
; %bb.42393:
	s_getpc_b64 s[14:15]
.Lpost_getpc6860:
	s_add_u32 s14, s14, (.LBB1_20889-.Lpost_getpc6860)&4294967295
	s_addc_u32 s15, s15, (.LBB1_20889-.Lpost_getpc6860)>>32
	s_setpc_b64 s[14:15]
.LBB1_6553:
	s_or_saveexec_b64 s[6:7], s[6:7]
	v_mov_b32_e32 v12, s10
	s_xor_b64 exec, exec, s[6:7]
	s_cbranch_execz .LBB1_6554
; %bb.42395:
	s_getpc_b64 s[14:15]
.Lpost_getpc6861:
	s_add_u32 s14, s14, (.LBB1_20892-.Lpost_getpc6861)&4294967295
	s_addc_u32 s15, s15, (.LBB1_20892-.Lpost_getpc6861)>>32
	s_setpc_b64 s[14:15]
.LBB1_6554:
	s_or_b64 exec, exec, s[6:7]
	s_and_saveexec_b64 s[6:7], s[4:5]
	s_cbranch_execz .LBB1_6556
.LBB1_6555:
	v_bfe_u32 v12, v6, 24, 3
	v_ffbh_u32_e32 v16, v12
	v_min_u32_e32 v16, 32, v16
	v_lshrrev_b32_e32 v14, 27, v6
	v_subrev_u32_e32 v17, 28, v16
	v_and_b32_e32 v13, 0x80000000, v6
	v_and_b32_e32 v14, 15, v14
	v_bfe_u32 v15, v6, 27, 4
	v_lshlrev_b32_sdwa v6, v17, v6 dst_sel:DWORD dst_unused:UNUSED_PAD src0_sel:DWORD src1_sel:BYTE_3
	v_sub_u32_e32 v16, 29, v16
	v_and_b32_e32 v6, 7, v6
	v_cmp_eq_u16_e32 vcc, 0, v14
	v_cndmask_b32_e32 v6, v12, v6, vcc
	v_cndmask_b32_e32 v12, v15, v16, vcc
	v_mov_b32_e32 v14, 0x3b800000
	v_lshlrev_b32_e32 v6, 20, v6
	v_lshl_add_u32 v12, v12, 23, v14
	v_or3_b32 v12, v13, v12, v6
.LBB1_6556:
	s_or_b64 exec, exec, s[6:7]
	s_movk_i32 s4, 0x7f
	v_cmp_gt_i16_sdwa s[6:7], v2, s4 src0_sel:BYTE_3 src1_sel:DWORD
	s_mov_b64 s[4:5], 0
                                        ; implicit-def: $sgpr10
	s_and_saveexec_b64 s[8:9], s[6:7]
	s_xor_b64 s[6:7], exec, s[8:9]
	s_cbranch_execz .LBB1_6557
; %bb.42397:
	s_getpc_b64 s[14:15]
.Lpost_getpc6862:
	s_add_u32 s14, s14, (.LBB1_20893-.Lpost_getpc6862)&4294967295
	s_addc_u32 s15, s15, (.LBB1_20893-.Lpost_getpc6862)>>32
	s_setpc_b64 s[14:15]
.LBB1_6557:
	s_or_saveexec_b64 s[6:7], s[6:7]
	v_mov_b32_e32 v6, s10
	s_xor_b64 exec, exec, s[6:7]
	s_cbranch_execz .LBB1_6558
; %bb.42399:
	s_getpc_b64 s[14:15]
.Lpost_getpc6863:
	s_add_u32 s14, s14, (.LBB1_20896-.Lpost_getpc6863)&4294967295
	s_addc_u32 s15, s15, (.LBB1_20896-.Lpost_getpc6863)>>32
	s_setpc_b64 s[14:15]
.LBB1_6558:
	s_or_b64 exec, exec, s[6:7]
	s_and_saveexec_b64 s[6:7], s[4:5]
	s_cbranch_execz .LBB1_6560
.LBB1_6559:
	v_bfe_u32 v6, v2, 24, 3
	v_ffbh_u32_e32 v16, v6
	v_min_u32_e32 v16, 32, v16
	v_lshrrev_b32_e32 v14, 27, v2
	v_subrev_u32_e32 v17, 28, v16
	v_and_b32_e32 v13, 0x80000000, v2
	v_and_b32_e32 v14, 15, v14
	v_bfe_u32 v15, v2, 27, 4
	v_lshlrev_b32_sdwa v2, v17, v2 dst_sel:DWORD dst_unused:UNUSED_PAD src0_sel:DWORD src1_sel:BYTE_3
	v_sub_u32_e32 v16, 29, v16
	v_and_b32_e32 v2, 7, v2
	v_cmp_eq_u16_e32 vcc, 0, v14
	v_cndmask_b32_e32 v2, v6, v2, vcc
	v_cndmask_b32_e32 v6, v15, v16, vcc
	v_mov_b32_e32 v14, 0x3b800000
	v_lshlrev_b32_e32 v2, 20, v2
	v_lshl_add_u32 v6, v6, 23, v14
	v_or3_b32 v6, v13, v6, v2
.LBB1_6560:
	s_or_b64 exec, exec, s[6:7]
	s_nop 0
	v_mfma_f32_16x16x4f32 a[0:3], v12, v6, a[0:3]
	s_movk_i32 s4, 0x7f
	v_cmp_gt_i16_sdwa s[6:7], v7, s4 src0_sel:BYTE_0 src1_sel:DWORD
	s_mov_b64 s[4:5], 0
                                        ; implicit-def: $sgpr10
	s_and_saveexec_b64 s[8:9], s[6:7]
	s_xor_b64 s[6:7], exec, s[8:9]
	s_cbranch_execz .LBB1_6561
; %bb.42401:
	s_getpc_b64 s[14:15]
.Lpost_getpc6864:
	s_add_u32 s14, s14, (.LBB1_20897-.Lpost_getpc6864)&4294967295
	s_addc_u32 s15, s15, (.LBB1_20897-.Lpost_getpc6864)>>32
	s_setpc_b64 s[14:15]
.LBB1_6561:
	s_or_saveexec_b64 s[6:7], s[6:7]
	v_mov_b32_e32 v2, s10
	s_xor_b64 exec, exec, s[6:7]
	s_cbranch_execz .LBB1_6562
; %bb.42403:
	s_getpc_b64 s[14:15]
.Lpost_getpc6865:
	s_add_u32 s14, s14, (.LBB1_20900-.Lpost_getpc6865)&4294967295
	s_addc_u32 s15, s15, (.LBB1_20900-.Lpost_getpc6865)>>32
	s_setpc_b64 s[14:15]
.LBB1_6562:
	s_or_b64 exec, exec, s[6:7]
	s_and_saveexec_b64 s[6:7], s[4:5]
	s_cbranch_execz .LBB1_6564
.LBB1_6563:
	v_and_b32_e32 v2, 7, v7
	v_ffbh_u32_e32 v12, v2
	v_min_u32_e32 v12, 32, v12
	v_lshrrev_b16_e32 v6, 3, v7
	v_subrev_u32_e32 v13, 28, v12
	v_and_b32_e32 v6, 15, v6
	v_lshlrev_b32_e32 v13, v13, v7
	v_sub_u32_e32 v12, 29, v12
	v_and_b32_e32 v13, 7, v13
	v_cmp_eq_u16_e32 vcc, 0, v6
	v_cndmask_b32_e32 v2, v2, v13, vcc
	v_cndmask_b32_e32 v6, v6, v12, vcc
	v_lshlrev_b32_e32 v12, 24, v7
	v_mov_b32_e32 v13, 0x3b800000
	v_lshlrev_b32_e32 v2, 20, v2
	v_and_b32_e32 v12, 0x80000000, v12
	v_lshl_add_u32 v6, v6, 23, v13
	v_or3_b32 v2, v12, v6, v2
.LBB1_6564:
	s_or_b64 exec, exec, s[6:7]
	s_movk_i32 s4, 0x7f
	v_cmp_gt_i16_sdwa s[6:7], v3, s4 src0_sel:BYTE_0 src1_sel:DWORD
	s_mov_b64 s[4:5], 0
                                        ; implicit-def: $sgpr10
	s_and_saveexec_b64 s[8:9], s[6:7]
	s_xor_b64 s[6:7], exec, s[8:9]
	s_cbranch_execz .LBB1_6565
; %bb.42405:
	s_getpc_b64 s[14:15]
.Lpost_getpc6866:
	s_add_u32 s14, s14, (.LBB1_20901-.Lpost_getpc6866)&4294967295
	s_addc_u32 s15, s15, (.LBB1_20901-.Lpost_getpc6866)>>32
	s_setpc_b64 s[14:15]
.LBB1_6565:
	s_or_saveexec_b64 s[6:7], s[6:7]
	v_mov_b32_e32 v6, s10
	s_xor_b64 exec, exec, s[6:7]
	s_cbranch_execz .LBB1_6566
; %bb.42407:
	s_getpc_b64 s[14:15]
.Lpost_getpc6867:
	s_add_u32 s14, s14, (.LBB1_20904-.Lpost_getpc6867)&4294967295
	s_addc_u32 s15, s15, (.LBB1_20904-.Lpost_getpc6867)>>32
	s_setpc_b64 s[14:15]
.LBB1_6566:
	s_or_b64 exec, exec, s[6:7]
	s_and_saveexec_b64 s[6:7], s[4:5]
	s_cbranch_execz .LBB1_6568
.LBB1_6567:
	v_and_b32_e32 v6, 7, v3
	v_ffbh_u32_e32 v13, v6
	v_min_u32_e32 v13, 32, v13
	v_lshrrev_b16_e32 v12, 3, v3
	v_subrev_u32_e32 v14, 28, v13
	v_and_b32_e32 v12, 15, v12
	v_lshlrev_b32_e32 v14, v14, v3
	v_sub_u32_e32 v13, 29, v13
	v_and_b32_e32 v14, 7, v14
	v_cmp_eq_u16_e32 vcc, 0, v12
	v_cndmask_b32_e32 v6, v6, v14, vcc
	v_cndmask_b32_e32 v12, v12, v13, vcc
	v_lshlrev_b32_e32 v13, 24, v3
	v_mov_b32_e32 v14, 0x3b800000
	v_lshlrev_b32_e32 v6, 20, v6
	v_and_b32_e32 v13, 0x80000000, v13
	v_lshl_add_u32 v12, v12, 23, v14
	v_or3_b32 v6, v13, v12, v6
.LBB1_6568:
	s_or_b64 exec, exec, s[6:7]
	s_nop 0
	v_mfma_f32_16x16x4f32 a[0:3], v2, v6, a[0:3]
	v_lshrrev_b32_e32 v6, 8, v7
	s_movk_i32 s4, 0x7f
	v_cmp_gt_i16_sdwa s[6:7], v6, s4 src0_sel:BYTE_0 src1_sel:DWORD
	s_mov_b64 s[4:5], 0
                                        ; implicit-def: $sgpr10
	s_and_saveexec_b64 s[8:9], s[6:7]
	s_xor_b64 s[6:7], exec, s[8:9]
	s_cbranch_execz .LBB1_6569
; %bb.42409:
	s_getpc_b64 s[14:15]
.Lpost_getpc6868:
	s_add_u32 s14, s14, (.LBB1_20905-.Lpost_getpc6868)&4294967295
	s_addc_u32 s15, s15, (.LBB1_20905-.Lpost_getpc6868)>>32
	s_setpc_b64 s[14:15]
.LBB1_6569:
	s_or_saveexec_b64 s[6:7], s[6:7]
	v_mov_b32_e32 v2, s10
	s_xor_b64 exec, exec, s[6:7]
	s_cbranch_execz .LBB1_6570
; %bb.42411:
	s_getpc_b64 s[14:15]
.Lpost_getpc6869:
	s_add_u32 s14, s14, (.LBB1_20908-.Lpost_getpc6869)&4294967295
	s_addc_u32 s15, s15, (.LBB1_20908-.Lpost_getpc6869)>>32
	s_setpc_b64 s[14:15]
.LBB1_6570:
	s_or_b64 exec, exec, s[6:7]
	s_and_saveexec_b64 s[6:7], s[4:5]
	s_cbranch_execz .LBB1_6572
.LBB1_6571:
	v_bfe_u32 v2, v7, 8, 3
	v_ffbh_u32_e32 v13, v2
	v_min_u32_e32 v13, 32, v13
	v_lshrrev_b16_e32 v12, 3, v6
	v_subrev_u32_e32 v14, 28, v13
	v_and_b32_e32 v12, 15, v12
	v_lshlrev_b32_e32 v6, v14, v6
	v_sub_u32_e32 v13, 29, v13
	v_and_b32_e32 v6, 7, v6
	v_cmp_eq_u16_e32 vcc, 0, v12
	v_cndmask_b32_e32 v2, v2, v6, vcc
	v_cndmask_b32_e32 v6, v12, v13, vcc
	v_lshlrev_b32_e32 v12, 16, v7
	v_mov_b32_e32 v13, 0x3b800000
	v_lshlrev_b32_e32 v2, 20, v2
	v_and_b32_e32 v12, 0x80000000, v12
	v_lshl_add_u32 v6, v6, 23, v13
	v_or3_b32 v2, v12, v6, v2
.LBB1_6572:
	s_or_b64 exec, exec, s[6:7]
	v_lshrrev_b32_e32 v6, 8, v3
	s_movk_i32 s4, 0x7f
	v_cmp_gt_i16_sdwa s[6:7], v6, s4 src0_sel:BYTE_0 src1_sel:DWORD
	s_mov_b64 s[4:5], 0
                                        ; implicit-def: $sgpr10
	s_and_saveexec_b64 s[8:9], s[6:7]
	s_xor_b64 s[6:7], exec, s[8:9]
	s_cbranch_execz .LBB1_6573
; %bb.42413:
	s_getpc_b64 s[14:15]
.Lpost_getpc6870:
	s_add_u32 s14, s14, (.LBB1_20909-.Lpost_getpc6870)&4294967295
	s_addc_u32 s15, s15, (.LBB1_20909-.Lpost_getpc6870)>>32
	s_setpc_b64 s[14:15]
.LBB1_6573:
	s_or_saveexec_b64 s[6:7], s[6:7]
	v_mov_b32_e32 v12, s10
	s_xor_b64 exec, exec, s[6:7]
	s_cbranch_execz .LBB1_6574
; %bb.42415:
	s_getpc_b64 s[14:15]
.Lpost_getpc6871:
	s_add_u32 s14, s14, (.LBB1_20912-.Lpost_getpc6871)&4294967295
	s_addc_u32 s15, s15, (.LBB1_20912-.Lpost_getpc6871)>>32
	s_setpc_b64 s[14:15]
.LBB1_6574:
	s_or_b64 exec, exec, s[6:7]
	s_and_saveexec_b64 s[6:7], s[4:5]
	s_cbranch_execz .LBB1_6576
.LBB1_6575:
	v_bfe_u32 v12, v3, 8, 3
	v_ffbh_u32_e32 v14, v12
	v_min_u32_e32 v14, 32, v14
	v_lshrrev_b16_e32 v13, 3, v6
	v_subrev_u32_e32 v15, 28, v14
	v_and_b32_e32 v13, 15, v13
	v_lshlrev_b32_e32 v6, v15, v6
	v_sub_u32_e32 v14, 29, v14
	v_and_b32_e32 v6, 7, v6
	v_cmp_eq_u16_e32 vcc, 0, v13
	v_cndmask_b32_e32 v6, v12, v6, vcc
	v_cndmask_b32_e32 v12, v13, v14, vcc
	v_lshlrev_b32_e32 v13, 16, v3
	v_mov_b32_e32 v14, 0x3b800000
	v_lshlrev_b32_e32 v6, 20, v6
	v_and_b32_e32 v13, 0x80000000, v13
	v_lshl_add_u32 v12, v12, 23, v14
	v_or3_b32 v12, v13, v12, v6
.LBB1_6576:
	s_or_b64 exec, exec, s[6:7]
	s_nop 0
	v_mfma_f32_16x16x4f32 a[0:3], v2, v12, a[0:3]
	s_movk_i32 s4, 0xff
	v_and_b32_sdwa v6, v7, s4 dst_sel:DWORD dst_unused:UNUSED_PAD src0_sel:WORD_1 src1_sel:DWORD
	s_movk_i32 s4, 0x7f
	v_cmp_lt_i16_e32 vcc, s4, v6
	s_mov_b64 s[4:5], 0
                                        ; implicit-def: $sgpr10
	s_and_saveexec_b64 s[6:7], vcc
	s_xor_b64 s[6:7], exec, s[6:7]
	s_cbranch_execz .LBB1_6577
; %bb.42417:
	s_getpc_b64 s[14:15]
.Lpost_getpc6872:
	s_add_u32 s14, s14, (.LBB1_20913-.Lpost_getpc6872)&4294967295
	s_addc_u32 s15, s15, (.LBB1_20913-.Lpost_getpc6872)>>32
	s_setpc_b64 s[14:15]
.LBB1_6577:
	s_or_saveexec_b64 s[6:7], s[6:7]
	v_mov_b32_e32 v2, s10
	s_xor_b64 exec, exec, s[6:7]
	s_cbranch_execz .LBB1_6578
; %bb.42419:
	s_getpc_b64 s[14:15]
.Lpost_getpc6873:
	s_add_u32 s14, s14, (.LBB1_20916-.Lpost_getpc6873)&4294967295
	s_addc_u32 s15, s15, (.LBB1_20916-.Lpost_getpc6873)>>32
	s_setpc_b64 s[14:15]
.LBB1_6578:
	s_or_b64 exec, exec, s[6:7]
	s_and_saveexec_b64 s[6:7], s[4:5]
	s_cbranch_execz .LBB1_6580
.LBB1_6579:
	v_bfe_u32 v2, v7, 16, 3
	v_ffbh_u32_e32 v13, v2
	v_min_u32_e32 v13, 32, v13
	v_lshrrev_b32_e32 v6, 19, v7
	v_subrev_u32_e32 v14, 28, v13
	v_and_b32_e32 v6, 15, v6
	v_lshlrev_b32_sdwa v14, v14, v7 dst_sel:DWORD dst_unused:UNUSED_PAD src0_sel:DWORD src1_sel:WORD_1
	v_bfe_u32 v12, v7, 19, 4
	v_sub_u32_e32 v13, 29, v13
	v_and_b32_e32 v14, 7, v14
	v_cmp_eq_u16_e32 vcc, 0, v6
	v_cndmask_b32_e32 v2, v2, v14, vcc
	v_cndmask_b32_e32 v6, v12, v13, vcc
	v_lshlrev_b32_e32 v12, 8, v7
	v_mov_b32_e32 v13, 0x3b800000
	v_lshlrev_b32_e32 v2, 20, v2
	v_and_b32_e32 v12, 0x80000000, v12
	v_lshl_add_u32 v6, v6, 23, v13
	v_or3_b32 v2, v12, v6, v2
.LBB1_6580:
	s_or_b64 exec, exec, s[6:7]
	s_movk_i32 s4, 0xff
	v_and_b32_sdwa v6, v3, s4 dst_sel:DWORD dst_unused:UNUSED_PAD src0_sel:WORD_1 src1_sel:DWORD
	s_movk_i32 s4, 0x7f
	v_cmp_lt_i16_e32 vcc, s4, v6
	s_mov_b64 s[4:5], 0
                                        ; implicit-def: $sgpr10
	s_and_saveexec_b64 s[6:7], vcc
	s_xor_b64 s[6:7], exec, s[6:7]
	s_cbranch_execz .LBB1_6581
; %bb.42421:
	s_getpc_b64 s[14:15]
.Lpost_getpc6874:
	s_add_u32 s14, s14, (.LBB1_20917-.Lpost_getpc6874)&4294967295
	s_addc_u32 s15, s15, (.LBB1_20917-.Lpost_getpc6874)>>32
	s_setpc_b64 s[14:15]
.LBB1_6581:
	s_or_saveexec_b64 s[6:7], s[6:7]
	v_mov_b32_e32 v12, s10
	s_xor_b64 exec, exec, s[6:7]
	s_cbranch_execz .LBB1_6582
; %bb.42423:
	s_getpc_b64 s[14:15]
.Lpost_getpc6875:
	s_add_u32 s14, s14, (.LBB1_20920-.Lpost_getpc6875)&4294967295
	s_addc_u32 s15, s15, (.LBB1_20920-.Lpost_getpc6875)>>32
	s_setpc_b64 s[14:15]
.LBB1_6582:
	s_or_b64 exec, exec, s[6:7]
	s_and_saveexec_b64 s[6:7], s[4:5]
	s_cbranch_execz .LBB1_6584
.LBB1_6583:
	v_bfe_u32 v6, v3, 16, 3
	v_ffbh_u32_e32 v14, v6
	v_min_u32_e32 v14, 32, v14
	v_lshrrev_b32_e32 v12, 19, v3
	v_subrev_u32_e32 v15, 28, v14
	v_and_b32_e32 v12, 15, v12
	v_lshlrev_b32_sdwa v15, v15, v3 dst_sel:DWORD dst_unused:UNUSED_PAD src0_sel:DWORD src1_sel:WORD_1
	v_bfe_u32 v13, v3, 19, 4
	v_sub_u32_e32 v14, 29, v14
	v_and_b32_e32 v15, 7, v15
	v_cmp_eq_u16_e32 vcc, 0, v12
	v_cndmask_b32_e32 v6, v6, v15, vcc
	v_cndmask_b32_e32 v12, v13, v14, vcc
	v_lshlrev_b32_e32 v13, 8, v3
	v_mov_b32_e32 v14, 0x3b800000
	v_lshlrev_b32_e32 v6, 20, v6
	v_and_b32_e32 v13, 0x80000000, v13
	v_lshl_add_u32 v12, v12, 23, v14
	v_or3_b32 v12, v13, v12, v6
.LBB1_6584:
	s_or_b64 exec, exec, s[6:7]
	s_nop 0
	v_mfma_f32_16x16x4f32 a[0:3], v2, v12, a[0:3]
	s_movk_i32 s4, 0x7f
	v_cmp_gt_i16_sdwa s[6:7], v7, s4 src0_sel:BYTE_3 src1_sel:DWORD
	s_mov_b64 s[4:5], 0
                                        ; implicit-def: $sgpr10
	s_and_saveexec_b64 s[8:9], s[6:7]
	s_xor_b64 s[6:7], exec, s[8:9]
	s_cbranch_execz .LBB1_6585
; %bb.42425:
	s_getpc_b64 s[14:15]
.Lpost_getpc6876:
	s_add_u32 s14, s14, (.LBB1_20921-.Lpost_getpc6876)&4294967295
	s_addc_u32 s15, s15, (.LBB1_20921-.Lpost_getpc6876)>>32
	s_setpc_b64 s[14:15]
.LBB1_6585:
	s_or_saveexec_b64 s[6:7], s[6:7]
	v_mov_b32_e32 v2, s10
	s_xor_b64 exec, exec, s[6:7]
	s_cbranch_execz .LBB1_6586
; %bb.42427:
	s_getpc_b64 s[14:15]
.Lpost_getpc6877:
	s_add_u32 s14, s14, (.LBB1_20924-.Lpost_getpc6877)&4294967295
	s_addc_u32 s15, s15, (.LBB1_20924-.Lpost_getpc6877)>>32
	s_setpc_b64 s[14:15]
.LBB1_6586:
	s_or_b64 exec, exec, s[6:7]
	s_and_saveexec_b64 s[6:7], s[4:5]
	s_cbranch_execz .LBB1_6588
.LBB1_6587:
	v_bfe_u32 v2, v7, 24, 3
	v_ffbh_u32_e32 v14, v2
	v_min_u32_e32 v14, 32, v14
	v_lshrrev_b32_e32 v12, 27, v7
	v_subrev_u32_e32 v15, 28, v14
	v_and_b32_e32 v6, 0x80000000, v7
	v_and_b32_e32 v12, 15, v12
	v_bfe_u32 v13, v7, 27, 4
	v_lshlrev_b32_sdwa v7, v15, v7 dst_sel:DWORD dst_unused:UNUSED_PAD src0_sel:DWORD src1_sel:BYTE_3
	v_sub_u32_e32 v14, 29, v14
	v_and_b32_e32 v7, 7, v7
	v_cmp_eq_u16_e32 vcc, 0, v12
	v_cndmask_b32_e32 v2, v2, v7, vcc
	v_cndmask_b32_e32 v7, v13, v14, vcc
	v_mov_b32_e32 v12, 0x3b800000
	v_lshlrev_b32_e32 v2, 20, v2
	v_lshl_add_u32 v7, v7, 23, v12
	v_or3_b32 v2, v6, v7, v2
.LBB1_6588:
	s_or_b64 exec, exec, s[6:7]
	s_movk_i32 s4, 0x7f
	v_cmp_gt_i16_sdwa s[6:7], v3, s4 src0_sel:BYTE_3 src1_sel:DWORD
	s_mov_b64 s[4:5], 0
                                        ; implicit-def: $sgpr10
	s_and_saveexec_b64 s[8:9], s[6:7]
	s_xor_b64 s[6:7], exec, s[8:9]
	s_cbranch_execz .LBB1_6589
; %bb.42429:
	s_getpc_b64 s[14:15]
.Lpost_getpc6878:
	s_add_u32 s14, s14, (.LBB1_20925-.Lpost_getpc6878)&4294967295
	s_addc_u32 s15, s15, (.LBB1_20925-.Lpost_getpc6878)>>32
	s_setpc_b64 s[14:15]
.LBB1_6589:
	s_or_saveexec_b64 s[6:7], s[6:7]
	v_mov_b32_e32 v6, s10
	s_xor_b64 exec, exec, s[6:7]
	s_cbranch_execz .LBB1_6590
; %bb.42431:
	s_getpc_b64 s[14:15]
.Lpost_getpc6879:
	s_add_u32 s14, s14, (.LBB1_20928-.Lpost_getpc6879)&4294967295
	s_addc_u32 s15, s15, (.LBB1_20928-.Lpost_getpc6879)>>32
	s_setpc_b64 s[14:15]
.LBB1_6590:
	s_or_b64 exec, exec, s[6:7]
	s_and_saveexec_b64 s[6:7], s[4:5]
	s_cbranch_execz .LBB1_6592
.LBB1_6591:
	v_bfe_u32 v6, v3, 24, 3
	v_ffbh_u32_e32 v14, v6
	v_min_u32_e32 v14, 32, v14
	v_lshrrev_b32_e32 v12, 27, v3
	v_subrev_u32_e32 v15, 28, v14
	v_and_b32_e32 v7, 0x80000000, v3
	v_and_b32_e32 v12, 15, v12
	v_bfe_u32 v13, v3, 27, 4
	v_lshlrev_b32_sdwa v3, v15, v3 dst_sel:DWORD dst_unused:UNUSED_PAD src0_sel:DWORD src1_sel:BYTE_3
	v_sub_u32_e32 v14, 29, v14
	v_and_b32_e32 v3, 7, v3
	v_cmp_eq_u16_e32 vcc, 0, v12
	v_cndmask_b32_e32 v3, v6, v3, vcc
	v_cndmask_b32_e32 v6, v13, v14, vcc
	v_mov_b32_e32 v12, 0x3b800000
	v_lshlrev_b32_e32 v3, 20, v3
	v_lshl_add_u32 v6, v6, 23, v12
	v_or3_b32 v6, v7, v6, v3
.LBB1_6592:
	s_or_b64 exec, exec, s[6:7]
	s_nop 0
	v_mfma_f32_16x16x4f32 a[0:3], v2, v6, a[0:3]
	s_movk_i32 s4, 0x7f
	v_cmp_gt_i16_sdwa s[6:7], v8, s4 src0_sel:BYTE_0 src1_sel:DWORD
	s_mov_b64 s[4:5], 0
                                        ; implicit-def: $sgpr10
	s_and_saveexec_b64 s[8:9], s[6:7]
	s_xor_b64 s[6:7], exec, s[8:9]
	s_cbranch_execz .LBB1_6593
; %bb.42433:
	s_getpc_b64 s[14:15]
.Lpost_getpc6880:
	s_add_u32 s14, s14, (.LBB1_20929-.Lpost_getpc6880)&4294967295
	s_addc_u32 s15, s15, (.LBB1_20929-.Lpost_getpc6880)>>32
	s_setpc_b64 s[14:15]
.LBB1_6593:
	s_or_saveexec_b64 s[6:7], s[6:7]
	v_mov_b32_e32 v2, s10
	s_xor_b64 exec, exec, s[6:7]
	s_cbranch_execz .LBB1_6594
; %bb.42435:
	s_getpc_b64 s[14:15]
.Lpost_getpc6881:
	s_add_u32 s14, s14, (.LBB1_20932-.Lpost_getpc6881)&4294967295
	s_addc_u32 s15, s15, (.LBB1_20932-.Lpost_getpc6881)>>32
	s_setpc_b64 s[14:15]
.LBB1_6594:
	s_or_b64 exec, exec, s[6:7]
	s_and_saveexec_b64 s[6:7], s[4:5]
	s_cbranch_execz .LBB1_6596
.LBB1_6595:
	v_and_b32_e32 v2, 7, v8
	v_ffbh_u32_e32 v6, v2
	v_min_u32_e32 v6, 32, v6
	v_lshrrev_b16_e32 v3, 3, v8
	v_subrev_u32_e32 v7, 28, v6
	v_and_b32_e32 v3, 15, v3
	v_lshlrev_b32_e32 v7, v7, v8
	v_sub_u32_e32 v6, 29, v6
	v_and_b32_e32 v7, 7, v7
	v_cmp_eq_u16_e32 vcc, 0, v3
	v_cndmask_b32_e32 v2, v2, v7, vcc
	v_cndmask_b32_e32 v3, v3, v6, vcc
	v_lshlrev_b32_e32 v6, 24, v8
	v_mov_b32_e32 v7, 0x3b800000
	v_lshlrev_b32_e32 v2, 20, v2
	v_and_b32_e32 v6, 0x80000000, v6
	v_lshl_add_u32 v3, v3, 23, v7
	v_or3_b32 v2, v6, v3, v2
.LBB1_6596:
	s_or_b64 exec, exec, s[6:7]
	s_movk_i32 s4, 0x7f
	v_cmp_gt_i16_sdwa s[6:7], v4, s4 src0_sel:BYTE_0 src1_sel:DWORD
	s_mov_b64 s[4:5], 0
                                        ; implicit-def: $sgpr10
	s_and_saveexec_b64 s[8:9], s[6:7]
	s_xor_b64 s[6:7], exec, s[8:9]
	s_cbranch_execz .LBB1_6597
; %bb.42437:
	s_getpc_b64 s[14:15]
.Lpost_getpc6882:
	s_add_u32 s14, s14, (.LBB1_20933-.Lpost_getpc6882)&4294967295
	s_addc_u32 s15, s15, (.LBB1_20933-.Lpost_getpc6882)>>32
	s_setpc_b64 s[14:15]
.LBB1_6597:
	s_or_saveexec_b64 s[6:7], s[6:7]
	v_mov_b32_e32 v3, s10
	s_xor_b64 exec, exec, s[6:7]
	s_cbranch_execz .LBB1_6598
; %bb.42439:
	s_getpc_b64 s[14:15]
.Lpost_getpc6883:
	s_add_u32 s14, s14, (.LBB1_20936-.Lpost_getpc6883)&4294967295
	s_addc_u32 s15, s15, (.LBB1_20936-.Lpost_getpc6883)>>32
	s_setpc_b64 s[14:15]
.LBB1_6598:
	s_or_b64 exec, exec, s[6:7]
	s_and_saveexec_b64 s[6:7], s[4:5]
	s_cbranch_execz .LBB1_6600
.LBB1_6599:
	v_and_b32_e32 v3, 7, v4
	v_ffbh_u32_e32 v7, v3
	v_min_u32_e32 v7, 32, v7
	v_lshrrev_b16_e32 v6, 3, v4
	v_subrev_u32_e32 v12, 28, v7
	v_and_b32_e32 v6, 15, v6
	v_lshlrev_b32_e32 v12, v12, v4
	v_sub_u32_e32 v7, 29, v7
	v_and_b32_e32 v12, 7, v12
	v_cmp_eq_u16_e32 vcc, 0, v6
	v_cndmask_b32_e32 v3, v3, v12, vcc
	v_cndmask_b32_e32 v6, v6, v7, vcc
	v_lshlrev_b32_e32 v7, 24, v4
	v_mov_b32_e32 v12, 0x3b800000
	v_lshlrev_b32_e32 v3, 20, v3
	v_and_b32_e32 v7, 0x80000000, v7
	v_lshl_add_u32 v6, v6, 23, v12
	v_or3_b32 v3, v7, v6, v3
.LBB1_6600:
	s_or_b64 exec, exec, s[6:7]
	s_nop 0
	v_mfma_f32_16x16x4f32 a[0:3], v2, v3, a[0:3]
	v_lshrrev_b32_e32 v3, 8, v8
	s_movk_i32 s4, 0x7f
	v_cmp_gt_i16_sdwa s[6:7], v3, s4 src0_sel:BYTE_0 src1_sel:DWORD
	s_mov_b64 s[4:5], 0
                                        ; implicit-def: $sgpr10
	s_and_saveexec_b64 s[8:9], s[6:7]
	s_xor_b64 s[6:7], exec, s[8:9]
	s_cbranch_execz .LBB1_6601
; %bb.42441:
	s_getpc_b64 s[14:15]
.Lpost_getpc6884:
	s_add_u32 s14, s14, (.LBB1_20937-.Lpost_getpc6884)&4294967295
	s_addc_u32 s15, s15, (.LBB1_20937-.Lpost_getpc6884)>>32
	s_setpc_b64 s[14:15]
.LBB1_6601:
	s_or_saveexec_b64 s[6:7], s[6:7]
	v_mov_b32_e32 v2, s10
	s_xor_b64 exec, exec, s[6:7]
	s_cbranch_execz .LBB1_6602
; %bb.42443:
	s_getpc_b64 s[14:15]
.Lpost_getpc6885:
	s_add_u32 s14, s14, (.LBB1_20940-.Lpost_getpc6885)&4294967295
	s_addc_u32 s15, s15, (.LBB1_20940-.Lpost_getpc6885)>>32
	s_setpc_b64 s[14:15]
.LBB1_6602:
	s_or_b64 exec, exec, s[6:7]
	s_and_saveexec_b64 s[6:7], s[4:5]
	s_cbranch_execz .LBB1_6604
.LBB1_6603:
	v_bfe_u32 v2, v8, 8, 3
	v_ffbh_u32_e32 v7, v2
	v_min_u32_e32 v7, 32, v7
	v_lshrrev_b16_e32 v6, 3, v3
	v_subrev_u32_e32 v12, 28, v7
	v_and_b32_e32 v6, 15, v6
	v_lshlrev_b32_e32 v3, v12, v3
	v_sub_u32_e32 v7, 29, v7
	v_and_b32_e32 v3, 7, v3
	v_cmp_eq_u16_e32 vcc, 0, v6
	v_cndmask_b32_e32 v2, v2, v3, vcc
	v_cndmask_b32_e32 v3, v6, v7, vcc
	v_lshlrev_b32_e32 v6, 16, v8
	v_mov_b32_e32 v7, 0x3b800000
	v_lshlrev_b32_e32 v2, 20, v2
	v_and_b32_e32 v6, 0x80000000, v6
	v_lshl_add_u32 v3, v3, 23, v7
	v_or3_b32 v2, v6, v3, v2
.LBB1_6604:
	s_or_b64 exec, exec, s[6:7]
	v_lshrrev_b32_e32 v3, 8, v4
	s_movk_i32 s4, 0x7f
	v_cmp_gt_i16_sdwa s[6:7], v3, s4 src0_sel:BYTE_0 src1_sel:DWORD
	s_mov_b64 s[4:5], 0
                                        ; implicit-def: $sgpr10
	s_and_saveexec_b64 s[8:9], s[6:7]
	s_xor_b64 s[6:7], exec, s[8:9]
	s_cbranch_execz .LBB1_6605
; %bb.42445:
	s_getpc_b64 s[14:15]
.Lpost_getpc6886:
	s_add_u32 s14, s14, (.LBB1_20941-.Lpost_getpc6886)&4294967295
	s_addc_u32 s15, s15, (.LBB1_20941-.Lpost_getpc6886)>>32
	s_setpc_b64 s[14:15]
.LBB1_6605:
	s_or_saveexec_b64 s[6:7], s[6:7]
	v_mov_b32_e32 v6, s10
	s_xor_b64 exec, exec, s[6:7]
	s_cbranch_execz .LBB1_6606
; %bb.42447:
	s_getpc_b64 s[14:15]
.Lpost_getpc6887:
	s_add_u32 s14, s14, (.LBB1_20944-.Lpost_getpc6887)&4294967295
	s_addc_u32 s15, s15, (.LBB1_20944-.Lpost_getpc6887)>>32
	s_setpc_b64 s[14:15]
.LBB1_6606:
	s_or_b64 exec, exec, s[6:7]
	s_and_saveexec_b64 s[6:7], s[4:5]
	s_cbranch_execz .LBB1_6608
.LBB1_6607:
	v_bfe_u32 v6, v4, 8, 3
	v_ffbh_u32_e32 v12, v6
	v_min_u32_e32 v12, 32, v12
	v_lshrrev_b16_e32 v7, 3, v3
	v_subrev_u32_e32 v13, 28, v12
	v_and_b32_e32 v7, 15, v7
	v_lshlrev_b32_e32 v3, v13, v3
	v_sub_u32_e32 v12, 29, v12
	v_and_b32_e32 v3, 7, v3
	v_cmp_eq_u16_e32 vcc, 0, v7
	v_cndmask_b32_e32 v3, v6, v3, vcc
	v_cndmask_b32_e32 v6, v7, v12, vcc
	v_lshlrev_b32_e32 v7, 16, v4
	v_mov_b32_e32 v12, 0x3b800000
	v_lshlrev_b32_e32 v3, 20, v3
	v_and_b32_e32 v7, 0x80000000, v7
	v_lshl_add_u32 v6, v6, 23, v12
	v_or3_b32 v6, v7, v6, v3
.LBB1_6608:
	s_or_b64 exec, exec, s[6:7]
	s_nop 0
	v_mfma_f32_16x16x4f32 a[0:3], v2, v6, a[0:3]
	s_movk_i32 s4, 0xff
	v_and_b32_sdwa v3, v8, s4 dst_sel:DWORD dst_unused:UNUSED_PAD src0_sel:WORD_1 src1_sel:DWORD
	s_movk_i32 s4, 0x7f
	v_cmp_lt_i16_e32 vcc, s4, v3
	s_mov_b64 s[4:5], 0
                                        ; implicit-def: $sgpr10
	s_and_saveexec_b64 s[6:7], vcc
	s_xor_b64 s[6:7], exec, s[6:7]
	s_cbranch_execz .LBB1_6609
; %bb.42449:
	s_getpc_b64 s[14:15]
.Lpost_getpc6888:
	s_add_u32 s14, s14, (.LBB1_20945-.Lpost_getpc6888)&4294967295
	s_addc_u32 s15, s15, (.LBB1_20945-.Lpost_getpc6888)>>32
	s_setpc_b64 s[14:15]
.LBB1_6609:
	s_or_saveexec_b64 s[6:7], s[6:7]
	v_mov_b32_e32 v2, s10
	s_xor_b64 exec, exec, s[6:7]
	s_cbranch_execz .LBB1_6610
; %bb.42451:
	s_getpc_b64 s[14:15]
.Lpost_getpc6889:
	s_add_u32 s14, s14, (.LBB1_20948-.Lpost_getpc6889)&4294967295
	s_addc_u32 s15, s15, (.LBB1_20948-.Lpost_getpc6889)>>32
	s_setpc_b64 s[14:15]
.LBB1_6610:
	s_or_b64 exec, exec, s[6:7]
	s_and_saveexec_b64 s[6:7], s[4:5]
	s_cbranch_execz .LBB1_6612
.LBB1_6611:
	v_bfe_u32 v2, v8, 16, 3
	v_ffbh_u32_e32 v7, v2
	v_min_u32_e32 v7, 32, v7
	v_lshrrev_b32_e32 v3, 19, v8
	v_subrev_u32_e32 v12, 28, v7
	v_and_b32_e32 v3, 15, v3
	v_lshlrev_b32_sdwa v12, v12, v8 dst_sel:DWORD dst_unused:UNUSED_PAD src0_sel:DWORD src1_sel:WORD_1
	v_bfe_u32 v6, v8, 19, 4
	v_sub_u32_e32 v7, 29, v7
	v_and_b32_e32 v12, 7, v12
	v_cmp_eq_u16_e32 vcc, 0, v3
	v_cndmask_b32_e32 v2, v2, v12, vcc
	v_cndmask_b32_e32 v3, v6, v7, vcc
	v_lshlrev_b32_e32 v6, 8, v8
	v_mov_b32_e32 v7, 0x3b800000
	v_lshlrev_b32_e32 v2, 20, v2
	v_and_b32_e32 v6, 0x80000000, v6
	v_lshl_add_u32 v3, v3, 23, v7
	v_or3_b32 v2, v6, v3, v2
.LBB1_6612:
	s_or_b64 exec, exec, s[6:7]
	s_movk_i32 s4, 0xff
	v_and_b32_sdwa v3, v4, s4 dst_sel:DWORD dst_unused:UNUSED_PAD src0_sel:WORD_1 src1_sel:DWORD
	s_movk_i32 s4, 0x7f
	v_cmp_lt_i16_e32 vcc, s4, v3
	s_mov_b64 s[4:5], 0
                                        ; implicit-def: $sgpr10
	s_and_saveexec_b64 s[6:7], vcc
	s_xor_b64 s[6:7], exec, s[6:7]
	s_cbranch_execz .LBB1_6613
; %bb.42453:
	s_getpc_b64 s[14:15]
.Lpost_getpc6890:
	s_add_u32 s14, s14, (.LBB1_20949-.Lpost_getpc6890)&4294967295
	s_addc_u32 s15, s15, (.LBB1_20949-.Lpost_getpc6890)>>32
	s_setpc_b64 s[14:15]
.LBB1_6613:
	s_or_saveexec_b64 s[6:7], s[6:7]
	v_mov_b32_e32 v6, s10
	s_xor_b64 exec, exec, s[6:7]
	s_cbranch_execz .LBB1_6614
; %bb.42455:
	s_getpc_b64 s[14:15]
.Lpost_getpc6891:
	s_add_u32 s14, s14, (.LBB1_20952-.Lpost_getpc6891)&4294967295
	s_addc_u32 s15, s15, (.LBB1_20952-.Lpost_getpc6891)>>32
	s_setpc_b64 s[14:15]
.LBB1_6614:
	s_or_b64 exec, exec, s[6:7]
	s_and_saveexec_b64 s[6:7], s[4:5]
	s_cbranch_execz .LBB1_6616
.LBB1_6615:
	v_bfe_u32 v3, v4, 16, 3
	v_ffbh_u32_e32 v12, v3
	v_min_u32_e32 v12, 32, v12
	v_lshrrev_b32_e32 v6, 19, v4
	v_subrev_u32_e32 v13, 28, v12
	v_and_b32_e32 v6, 15, v6
	v_lshlrev_b32_sdwa v13, v13, v4 dst_sel:DWORD dst_unused:UNUSED_PAD src0_sel:DWORD src1_sel:WORD_1
	v_bfe_u32 v7, v4, 19, 4
	v_sub_u32_e32 v12, 29, v12
	v_and_b32_e32 v13, 7, v13
	v_cmp_eq_u16_e32 vcc, 0, v6
	v_cndmask_b32_e32 v3, v3, v13, vcc
	v_cndmask_b32_e32 v6, v7, v12, vcc
	v_lshlrev_b32_e32 v7, 8, v4
	v_mov_b32_e32 v12, 0x3b800000
	v_lshlrev_b32_e32 v3, 20, v3
	v_and_b32_e32 v7, 0x80000000, v7
	v_lshl_add_u32 v6, v6, 23, v12
	v_or3_b32 v6, v7, v6, v3
.LBB1_6616:
	s_or_b64 exec, exec, s[6:7]
	s_nop 0
	v_mfma_f32_16x16x4f32 a[0:3], v2, v6, a[0:3]
	s_movk_i32 s4, 0x7f
	v_cmp_gt_i16_sdwa s[6:7], v8, s4 src0_sel:BYTE_3 src1_sel:DWORD
	s_mov_b64 s[4:5], 0
                                        ; implicit-def: $sgpr10
	s_and_saveexec_b64 s[8:9], s[6:7]
	s_xor_b64 s[6:7], exec, s[8:9]
	s_cbranch_execz .LBB1_6617
; %bb.42457:
	s_getpc_b64 s[14:15]
.Lpost_getpc6892:
	s_add_u32 s14, s14, (.LBB1_20953-.Lpost_getpc6892)&4294967295
	s_addc_u32 s15, s15, (.LBB1_20953-.Lpost_getpc6892)>>32
	s_setpc_b64 s[14:15]
.LBB1_6617:
	s_or_saveexec_b64 s[6:7], s[6:7]
	v_mov_b32_e32 v2, s10
	s_xor_b64 exec, exec, s[6:7]
	s_cbranch_execz .LBB1_6618
; %bb.42459:
	s_getpc_b64 s[14:15]
.Lpost_getpc6893:
	s_add_u32 s14, s14, (.LBB1_20956-.Lpost_getpc6893)&4294967295
	s_addc_u32 s15, s15, (.LBB1_20956-.Lpost_getpc6893)>>32
	s_setpc_b64 s[14:15]
.LBB1_6618:
	s_or_b64 exec, exec, s[6:7]
	s_and_saveexec_b64 s[6:7], s[4:5]
	s_cbranch_execz .LBB1_6620
.LBB1_6619:
	v_bfe_u32 v2, v8, 24, 3
	v_ffbh_u32_e32 v12, v2
	v_min_u32_e32 v12, 32, v12
	v_lshrrev_b32_e32 v6, 27, v8
	v_subrev_u32_e32 v13, 28, v12
	v_and_b32_e32 v3, 0x80000000, v8
	v_and_b32_e32 v6, 15, v6
	v_bfe_u32 v7, v8, 27, 4
	v_lshlrev_b32_sdwa v8, v13, v8 dst_sel:DWORD dst_unused:UNUSED_PAD src0_sel:DWORD src1_sel:BYTE_3
	v_sub_u32_e32 v12, 29, v12
	v_and_b32_e32 v8, 7, v8
	v_cmp_eq_u16_e32 vcc, 0, v6
	v_cndmask_b32_e32 v2, v2, v8, vcc
	v_cndmask_b32_e32 v6, v7, v12, vcc
	v_mov_b32_e32 v7, 0x3b800000
	v_lshlrev_b32_e32 v2, 20, v2
	v_lshl_add_u32 v6, v6, 23, v7
	v_or3_b32 v2, v3, v6, v2
.LBB1_6620:
	s_or_b64 exec, exec, s[6:7]
	s_movk_i32 s4, 0x7f
	v_cmp_gt_i16_sdwa s[6:7], v4, s4 src0_sel:BYTE_3 src1_sel:DWORD
	s_mov_b64 s[4:5], 0
                                        ; implicit-def: $sgpr10
	s_and_saveexec_b64 s[8:9], s[6:7]
	s_xor_b64 s[6:7], exec, s[8:9]
	s_cbranch_execz .LBB1_6621
; %bb.42461:
	s_getpc_b64 s[14:15]
.Lpost_getpc6894:
	s_add_u32 s14, s14, (.LBB1_20957-.Lpost_getpc6894)&4294967295
	s_addc_u32 s15, s15, (.LBB1_20957-.Lpost_getpc6894)>>32
	s_setpc_b64 s[14:15]
.LBB1_6621:
	s_or_saveexec_b64 s[6:7], s[6:7]
	v_mov_b32_e32 v3, s10
	s_xor_b64 exec, exec, s[6:7]
	s_cbranch_execz .LBB1_6622
; %bb.42463:
	s_getpc_b64 s[14:15]
.Lpost_getpc6895:
	s_add_u32 s14, s14, (.LBB1_20960-.Lpost_getpc6895)&4294967295
	s_addc_u32 s15, s15, (.LBB1_20960-.Lpost_getpc6895)>>32
	s_setpc_b64 s[14:15]
.LBB1_6622:
	s_or_b64 exec, exec, s[6:7]
	s_and_saveexec_b64 s[6:7], s[4:5]
	s_cbranch_execz .LBB1_6624
.LBB1_6623:
	v_bfe_u32 v3, v4, 24, 3
	v_ffbh_u32_e32 v12, v3
	v_min_u32_e32 v12, 32, v12
	v_lshrrev_b32_e32 v7, 27, v4
	v_subrev_u32_e32 v13, 28, v12
	v_and_b32_e32 v6, 0x80000000, v4
	v_and_b32_e32 v7, 15, v7
	v_bfe_u32 v8, v4, 27, 4
	v_lshlrev_b32_sdwa v4, v13, v4 dst_sel:DWORD dst_unused:UNUSED_PAD src0_sel:DWORD src1_sel:BYTE_3
	v_sub_u32_e32 v12, 29, v12
	v_and_b32_e32 v4, 7, v4
	v_cmp_eq_u16_e32 vcc, 0, v7
	v_cndmask_b32_e32 v3, v3, v4, vcc
	v_cndmask_b32_e32 v4, v8, v12, vcc
	v_mov_b32_e32 v7, 0x3b800000
	v_lshlrev_b32_e32 v3, 20, v3
	v_lshl_add_u32 v4, v4, 23, v7
	v_or3_b32 v3, v6, v4, v3
.LBB1_6624:
	s_or_b64 exec, exec, s[6:7]
	s_nop 0
	v_mfma_f32_16x16x4f32 a[0:3], v2, v3, a[0:3]
	s_movk_i32 s4, 0x7f
	v_cmp_gt_i16_sdwa s[6:7], v9, s4 src0_sel:BYTE_0 src1_sel:DWORD
	s_mov_b64 s[4:5], 0
                                        ; implicit-def: $sgpr10
	s_and_saveexec_b64 s[8:9], s[6:7]
	s_xor_b64 s[6:7], exec, s[8:9]
	s_cbranch_execz .LBB1_6625
; %bb.42465:
	s_getpc_b64 s[14:15]
.Lpost_getpc6896:
	s_add_u32 s14, s14, (.LBB1_20961-.Lpost_getpc6896)&4294967295
	s_addc_u32 s15, s15, (.LBB1_20961-.Lpost_getpc6896)>>32
	s_setpc_b64 s[14:15]
.LBB1_6625:
	s_or_saveexec_b64 s[6:7], s[6:7]
	v_mov_b32_e32 v2, s10
	s_xor_b64 exec, exec, s[6:7]
	s_cbranch_execz .LBB1_6626
; %bb.42467:
	s_getpc_b64 s[14:15]
.Lpost_getpc6897:
	s_add_u32 s14, s14, (.LBB1_20964-.Lpost_getpc6897)&4294967295
	s_addc_u32 s15, s15, (.LBB1_20964-.Lpost_getpc6897)>>32
	s_setpc_b64 s[14:15]
.LBB1_6626:
	s_or_b64 exec, exec, s[6:7]
	s_and_saveexec_b64 s[6:7], s[4:5]
	s_cbranch_execz .LBB1_6628
.LBB1_6627:
	v_mov_b32_e32 v2, 8
	v_and_b32_e32 v3, 7, v9
	v_lshrrev_b32_sdwa v2, v2, v9 dst_sel:BYTE_1 dst_unused:UNUSED_PAD src0_sel:DWORD src1_sel:DWORD
	v_ffbh_u32_e32 v4, v3
	v_or_b32_sdwa v2, v9, v2 dst_sel:DWORD dst_unused:UNUSED_PAD src0_sel:BYTE_0 src1_sel:DWORD
	v_min_u32_e32 v4, 32, v4
	v_lshrrev_b16_e32 v2, 3, v2
	v_subrev_u32_e32 v6, 28, v4
	v_and_b32_e32 v2, 15, v2
	v_lshlrev_b32_e32 v6, v6, v9
	v_sub_u32_e32 v4, 29, v4
	v_and_b32_e32 v6, 7, v6
	v_cmp_eq_u16_e32 vcc, 0, v2
	v_cndmask_b32_e32 v3, v3, v6, vcc
	v_cndmask_b32_e32 v2, v2, v4, vcc
	v_lshlrev_b32_e32 v4, 24, v9
	v_mov_b32_e32 v6, 0x3b800000
	v_lshlrev_b32_e32 v3, 20, v3
	v_and_b32_e32 v4, 0x80000000, v4
	v_lshl_add_u32 v2, v2, 23, v6
	v_or3_b32 v2, v4, v2, v3
.LBB1_6628:
	s_or_b64 exec, exec, s[6:7]
	s_movk_i32 s4, 0x7f
	v_cmp_gt_i16_sdwa s[6:7], v5, s4 src0_sel:BYTE_0 src1_sel:DWORD
	s_mov_b64 s[4:5], 0
                                        ; implicit-def: $sgpr10
	s_and_saveexec_b64 s[8:9], s[6:7]
	s_xor_b64 s[6:7], exec, s[8:9]
	s_cbranch_execz .LBB1_6629
; %bb.42469:
	s_getpc_b64 s[14:15]
.Lpost_getpc6898:
	s_add_u32 s14, s14, (.LBB1_20965-.Lpost_getpc6898)&4294967295
	s_addc_u32 s15, s15, (.LBB1_20965-.Lpost_getpc6898)>>32
	s_setpc_b64 s[14:15]
.LBB1_6629:
	s_or_saveexec_b64 s[6:7], s[6:7]
	v_mov_b32_e32 v3, s10
	s_xor_b64 exec, exec, s[6:7]
	s_cbranch_execz .LBB1_6630
; %bb.42471:
	s_getpc_b64 s[14:15]
.Lpost_getpc6899:
	s_add_u32 s14, s14, (.LBB1_20968-.Lpost_getpc6899)&4294967295
	s_addc_u32 s15, s15, (.LBB1_20968-.Lpost_getpc6899)>>32
	s_setpc_b64 s[14:15]
.LBB1_6630:
	s_or_b64 exec, exec, s[6:7]
	s_and_saveexec_b64 s[6:7], s[4:5]
	s_cbranch_execz .LBB1_6632
.LBB1_6631:
	v_mov_b32_e32 v3, 8
	v_and_b32_e32 v4, 7, v5
	v_lshrrev_b32_sdwa v3, v3, v5 dst_sel:BYTE_1 dst_unused:UNUSED_PAD src0_sel:DWORD src1_sel:DWORD
	v_ffbh_u32_e32 v6, v4
	v_or_b32_sdwa v3, v5, v3 dst_sel:DWORD dst_unused:UNUSED_PAD src0_sel:BYTE_0 src1_sel:DWORD
	v_min_u32_e32 v6, 32, v6
	v_lshrrev_b16_e32 v3, 3, v3
	v_subrev_u32_e32 v7, 28, v6
	v_and_b32_e32 v3, 15, v3
	v_lshlrev_b32_e32 v7, v7, v5
	v_sub_u32_e32 v6, 29, v6
	v_and_b32_e32 v7, 7, v7
	v_cmp_eq_u16_e32 vcc, 0, v3
	v_cndmask_b32_e32 v4, v4, v7, vcc
	v_cndmask_b32_e32 v3, v3, v6, vcc
	v_lshlrev_b32_e32 v6, 24, v5
	v_mov_b32_e32 v7, 0x3b800000
	v_lshlrev_b32_e32 v4, 20, v4
	v_and_b32_e32 v6, 0x80000000, v6
	v_lshl_add_u32 v3, v3, 23, v7
	v_or3_b32 v3, v6, v3, v4
.LBB1_6632:
	s_or_b64 exec, exec, s[6:7]
	s_nop 0
	v_mfma_f32_16x16x4f32 a[0:3], v2, v3, a[0:3]
	v_lshrrev_b32_e32 v3, 8, v9
	s_movk_i32 s4, 0x7f
	v_cmp_gt_i16_sdwa s[6:7], v3, s4 src0_sel:BYTE_0 src1_sel:DWORD
	s_mov_b64 s[4:5], 0
                                        ; implicit-def: $sgpr10
	s_and_saveexec_b64 s[8:9], s[6:7]
	s_xor_b64 s[6:7], exec, s[8:9]
	s_cbranch_execz .LBB1_6633
; %bb.42473:
	s_getpc_b64 s[14:15]
.Lpost_getpc6900:
	s_add_u32 s14, s14, (.LBB1_20969-.Lpost_getpc6900)&4294967295
	s_addc_u32 s15, s15, (.LBB1_20969-.Lpost_getpc6900)>>32
	s_setpc_b64 s[14:15]
.LBB1_6633:
	s_or_saveexec_b64 s[6:7], s[6:7]
	v_mov_b32_e32 v2, s10
	s_xor_b64 exec, exec, s[6:7]
	s_cbranch_execz .LBB1_6634
; %bb.42475:
	s_getpc_b64 s[14:15]
.Lpost_getpc6901:
	s_add_u32 s14, s14, (.LBB1_20972-.Lpost_getpc6901)&4294967295
	s_addc_u32 s15, s15, (.LBB1_20972-.Lpost_getpc6901)>>32
	s_setpc_b64 s[14:15]
.LBB1_6634:
	s_or_b64 exec, exec, s[6:7]
	s_and_saveexec_b64 s[6:7], s[4:5]
	s_cbranch_execz .LBB1_6636
.LBB1_6635:
	v_bfe_u32 v2, v9, 8, 3
	v_ffbh_u32_e32 v6, v2
	v_min_u32_e32 v6, 32, v6
	v_lshrrev_b16_e32 v4, 3, v3
	v_subrev_u32_e32 v7, 28, v6
	v_and_b32_e32 v4, 15, v4
	v_lshlrev_b32_e32 v3, v7, v3
	v_sub_u32_e32 v6, 29, v6
	v_and_b32_e32 v3, 7, v3
	v_cmp_eq_u16_e32 vcc, 0, v4
	v_cndmask_b32_e32 v2, v2, v3, vcc
	v_cndmask_b32_e32 v3, v4, v6, vcc
	v_lshlrev_b32_e32 v4, 16, v9
	v_mov_b32_e32 v6, 0x3b800000
	v_lshlrev_b32_e32 v2, 20, v2
	v_and_b32_e32 v4, 0x80000000, v4
	v_lshl_add_u32 v3, v3, 23, v6
	v_or3_b32 v2, v4, v3, v2
.LBB1_6636:
	s_or_b64 exec, exec, s[6:7]
	v_lshrrev_b32_e32 v3, 8, v5
	s_movk_i32 s4, 0x7f
	v_cmp_gt_i16_sdwa s[6:7], v3, s4 src0_sel:BYTE_0 src1_sel:DWORD
	s_mov_b64 s[4:5], 0
                                        ; implicit-def: $sgpr10
	s_and_saveexec_b64 s[8:9], s[6:7]
	s_xor_b64 s[6:7], exec, s[8:9]
	s_cbranch_execz .LBB1_6637
; %bb.42477:
	s_getpc_b64 s[14:15]
.Lpost_getpc6902:
	s_add_u32 s14, s14, (.LBB1_20973-.Lpost_getpc6902)&4294967295
	s_addc_u32 s15, s15, (.LBB1_20973-.Lpost_getpc6902)>>32
	s_setpc_b64 s[14:15]
.LBB1_6637:
	s_or_saveexec_b64 s[6:7], s[6:7]
	v_mov_b32_e32 v4, s10
	s_xor_b64 exec, exec, s[6:7]
	s_cbranch_execz .LBB1_6638
; %bb.42479:
	s_getpc_b64 s[14:15]
.Lpost_getpc6903:
	s_add_u32 s14, s14, (.LBB1_20976-.Lpost_getpc6903)&4294967295
	s_addc_u32 s15, s15, (.LBB1_20976-.Lpost_getpc6903)>>32
	s_setpc_b64 s[14:15]
.LBB1_6638:
	s_or_b64 exec, exec, s[6:7]
	s_and_saveexec_b64 s[6:7], s[4:5]
	s_cbranch_execz .LBB1_6640
.LBB1_6639:
	v_bfe_u32 v4, v5, 8, 3
	v_ffbh_u32_e32 v7, v4
	v_min_u32_e32 v7, 32, v7
	v_lshrrev_b16_e32 v6, 3, v3
	v_subrev_u32_e32 v8, 28, v7
	v_and_b32_e32 v6, 15, v6
	v_lshlrev_b32_e32 v3, v8, v3
	v_sub_u32_e32 v7, 29, v7
	v_and_b32_e32 v3, 7, v3
	v_cmp_eq_u16_e32 vcc, 0, v6
	v_cndmask_b32_e32 v3, v4, v3, vcc
	v_cndmask_b32_e32 v4, v6, v7, vcc
	v_lshlrev_b32_e32 v6, 16, v5
	v_mov_b32_e32 v7, 0x3b800000
	v_lshlrev_b32_e32 v3, 20, v3
	v_and_b32_e32 v6, 0x80000000, v6
	v_lshl_add_u32 v4, v4, 23, v7
	v_or3_b32 v4, v6, v4, v3
.LBB1_6640:
	s_or_b64 exec, exec, s[6:7]
	s_nop 0
	v_mfma_f32_16x16x4f32 a[0:3], v2, v4, a[0:3]
	s_movk_i32 s4, 0xff
	v_and_b32_sdwa v3, v9, s4 dst_sel:DWORD dst_unused:UNUSED_PAD src0_sel:WORD_1 src1_sel:DWORD
	s_movk_i32 s4, 0x7f
	v_cmp_lt_i16_e32 vcc, s4, v3
	s_mov_b64 s[4:5], 0
                                        ; implicit-def: $sgpr10
	s_and_saveexec_b64 s[6:7], vcc
	s_xor_b64 s[6:7], exec, s[6:7]
	s_cbranch_execz .LBB1_6641
; %bb.42481:
	s_getpc_b64 s[14:15]
.Lpost_getpc6904:
	s_add_u32 s14, s14, (.LBB1_20977-.Lpost_getpc6904)&4294967295
	s_addc_u32 s15, s15, (.LBB1_20977-.Lpost_getpc6904)>>32
	s_setpc_b64 s[14:15]
.LBB1_6641:
	s_or_saveexec_b64 s[6:7], s[6:7]
	v_mov_b32_e32 v2, s10
	s_xor_b64 exec, exec, s[6:7]
	s_cbranch_execz .LBB1_6642
; %bb.42483:
	s_getpc_b64 s[14:15]
.Lpost_getpc6905:
	s_add_u32 s14, s14, (.LBB1_20980-.Lpost_getpc6905)&4294967295
	s_addc_u32 s15, s15, (.LBB1_20980-.Lpost_getpc6905)>>32
	s_setpc_b64 s[14:15]
.LBB1_6642:
	s_or_b64 exec, exec, s[6:7]
	s_and_saveexec_b64 s[6:7], s[4:5]
	s_cbranch_execz .LBB1_6644
.LBB1_6643:
	v_bfe_u32 v2, v9, 16, 3
	v_ffbh_u32_e32 v6, v2
	v_min_u32_e32 v6, 32, v6
	v_lshrrev_b32_e32 v3, 19, v9
	v_subrev_u32_e32 v7, 28, v6
	v_and_b32_e32 v3, 15, v3
	v_lshlrev_b32_sdwa v7, v7, v9 dst_sel:DWORD dst_unused:UNUSED_PAD src0_sel:DWORD src1_sel:WORD_1
	v_bfe_u32 v4, v9, 19, 4
	v_sub_u32_e32 v6, 29, v6
	v_and_b32_e32 v7, 7, v7
	v_cmp_eq_u16_e32 vcc, 0, v3
	v_cndmask_b32_e32 v2, v2, v7, vcc
	v_cndmask_b32_e32 v3, v4, v6, vcc
	v_lshlrev_b32_e32 v4, 8, v9
	v_mov_b32_e32 v6, 0x3b800000
	v_lshlrev_b32_e32 v2, 20, v2
	v_and_b32_e32 v4, 0x80000000, v4
	v_lshl_add_u32 v3, v3, 23, v6
	v_or3_b32 v2, v4, v3, v2
.LBB1_6644:
	s_or_b64 exec, exec, s[6:7]
	s_movk_i32 s4, 0xff
	v_and_b32_sdwa v3, v5, s4 dst_sel:DWORD dst_unused:UNUSED_PAD src0_sel:WORD_1 src1_sel:DWORD
	s_movk_i32 s4, 0x7f
	v_cmp_lt_i16_e32 vcc, s4, v3
	s_mov_b64 s[4:5], 0
                                        ; implicit-def: $sgpr10
	s_and_saveexec_b64 s[6:7], vcc
	s_xor_b64 s[6:7], exec, s[6:7]
	s_cbranch_execz .LBB1_6645
; %bb.42485:
	s_getpc_b64 s[14:15]
.Lpost_getpc6906:
	s_add_u32 s14, s14, (.LBB1_20981-.Lpost_getpc6906)&4294967295
	s_addc_u32 s15, s15, (.LBB1_20981-.Lpost_getpc6906)>>32
	s_setpc_b64 s[14:15]
.LBB1_6645:
	s_or_saveexec_b64 s[6:7], s[6:7]
	v_mov_b32_e32 v4, s10
	s_xor_b64 exec, exec, s[6:7]
	s_cbranch_execz .LBB1_6646
; %bb.42487:
	s_getpc_b64 s[14:15]
.Lpost_getpc6907:
	s_add_u32 s14, s14, (.LBB1_20984-.Lpost_getpc6907)&4294967295
	s_addc_u32 s15, s15, (.LBB1_20984-.Lpost_getpc6907)>>32
	s_setpc_b64 s[14:15]
.LBB1_6646:
	s_or_b64 exec, exec, s[6:7]
	s_and_saveexec_b64 s[6:7], s[4:5]
	s_cbranch_execz .LBB1_6648
.LBB1_6647:
	v_bfe_u32 v3, v5, 16, 3
	v_ffbh_u32_e32 v7, v3
	v_min_u32_e32 v7, 32, v7
	v_lshrrev_b32_e32 v4, 19, v5
	v_subrev_u32_e32 v8, 28, v7
	v_and_b32_e32 v4, 15, v4
	v_lshlrev_b32_sdwa v8, v8, v5 dst_sel:DWORD dst_unused:UNUSED_PAD src0_sel:DWORD src1_sel:WORD_1
	v_bfe_u32 v6, v5, 19, 4
	v_sub_u32_e32 v7, 29, v7
	v_and_b32_e32 v8, 7, v8
	v_cmp_eq_u16_e32 vcc, 0, v4
	v_cndmask_b32_e32 v3, v3, v8, vcc
	v_cndmask_b32_e32 v4, v6, v7, vcc
	v_lshlrev_b32_e32 v6, 8, v5
	v_mov_b32_e32 v7, 0x3b800000
	v_lshlrev_b32_e32 v3, 20, v3
	v_and_b32_e32 v6, 0x80000000, v6
	v_lshl_add_u32 v4, v4, 23, v7
	v_or3_b32 v4, v6, v4, v3
.LBB1_6648:
	s_or_b64 exec, exec, s[6:7]
	s_nop 0
	v_mfma_f32_16x16x4f32 a[0:3], v2, v4, a[0:3]
	s_movk_i32 s4, 0x7f
	v_cmp_gt_i16_sdwa s[6:7], v9, s4 src0_sel:BYTE_3 src1_sel:DWORD
	s_mov_b64 s[4:5], 0
                                        ; implicit-def: $sgpr10
	s_and_saveexec_b64 s[8:9], s[6:7]
	s_xor_b64 s[6:7], exec, s[8:9]
	s_cbranch_execz .LBB1_6649
; %bb.42489:
	s_getpc_b64 s[14:15]
.Lpost_getpc6908:
	s_add_u32 s14, s14, (.LBB1_20985-.Lpost_getpc6908)&4294967295
	s_addc_u32 s15, s15, (.LBB1_20985-.Lpost_getpc6908)>>32
	s_setpc_b64 s[14:15]
.LBB1_6649:
	s_or_saveexec_b64 s[6:7], s[6:7]
	v_mov_b32_e32 v2, s10
	s_xor_b64 exec, exec, s[6:7]
	s_cbranch_execz .LBB1_6650
; %bb.42491:
	s_getpc_b64 s[14:15]
.Lpost_getpc6909:
	s_add_u32 s14, s14, (.LBB1_20988-.Lpost_getpc6909)&4294967295
	s_addc_u32 s15, s15, (.LBB1_20988-.Lpost_getpc6909)>>32
	s_setpc_b64 s[14:15]
.LBB1_6650:
	s_or_b64 exec, exec, s[6:7]
	s_and_saveexec_b64 s[6:7], s[4:5]
	s_cbranch_execz .LBB1_6652
.LBB1_6651:
	v_bfe_u32 v2, v9, 24, 3
	v_ffbh_u32_e32 v7, v2
	v_min_u32_e32 v7, 32, v7
	v_lshrrev_b32_e32 v4, 27, v9
	v_subrev_u32_e32 v8, 28, v7
	v_and_b32_e32 v4, 15, v4
	v_lshlrev_b32_sdwa v8, v8, v9 dst_sel:DWORD dst_unused:UNUSED_PAD src0_sel:DWORD src1_sel:BYTE_3
	v_bfe_u32 v6, v9, 27, 4
	v_sub_u32_e32 v7, 29, v7
	v_and_b32_e32 v8, 7, v8
	v_cmp_eq_u16_e32 vcc, 0, v4
	v_cndmask_b32_e32 v2, v2, v8, vcc
	v_cndmask_b32_e32 v4, v6, v7, vcc
	v_mov_b32_e32 v6, 0x3b800000
	v_and_b32_e32 v3, 0x80000000, v9
	v_lshlrev_b32_e32 v2, 20, v2
	v_lshl_add_u32 v4, v4, 23, v6
	v_or3_b32 v2, v3, v4, v2
.LBB1_6652:
	s_or_b64 exec, exec, s[6:7]
	s_movk_i32 s4, 0x7f
	v_cmp_gt_i16_sdwa s[6:7], v5, s4 src0_sel:BYTE_3 src1_sel:DWORD
	s_mov_b64 s[4:5], 0
                                        ; implicit-def: $sgpr10
	s_and_saveexec_b64 s[8:9], s[6:7]
	s_xor_b64 s[6:7], exec, s[8:9]
	s_cbranch_execz .LBB1_6653
; %bb.42493:
	s_getpc_b64 s[14:15]
.Lpost_getpc6910:
	s_add_u32 s14, s14, (.LBB1_20989-.Lpost_getpc6910)&4294967295
	s_addc_u32 s15, s15, (.LBB1_20989-.Lpost_getpc6910)>>32
	s_setpc_b64 s[14:15]
.LBB1_6653:
	s_or_saveexec_b64 s[6:7], s[6:7]
	v_mov_b32_e32 v3, s10
	s_xor_b64 exec, exec, s[6:7]
	s_cbranch_execz .LBB1_6654
; %bb.42495:
	s_getpc_b64 s[14:15]
.Lpost_getpc6911:
	s_add_u32 s14, s14, (.LBB1_20992-.Lpost_getpc6911)&4294967295
	s_addc_u32 s15, s15, (.LBB1_20992-.Lpost_getpc6911)>>32
	s_setpc_b64 s[14:15]
.LBB1_6654:
	s_or_b64 exec, exec, s[6:7]
	s_and_saveexec_b64 s[6:7], s[4:5]
	s_cbranch_execz .LBB1_6656
.LBB1_6655:
	v_bfe_u32 v3, v5, 24, 3
	v_ffbh_u32_e32 v8, v3
	v_min_u32_e32 v8, 32, v8
	v_lshrrev_b32_e32 v6, 27, v5
	v_subrev_u32_e32 v9, 28, v8
	v_and_b32_e32 v4, 0x80000000, v5
	v_and_b32_e32 v6, 15, v6
	v_bfe_u32 v7, v5, 27, 4
	v_lshlrev_b32_sdwa v5, v9, v5 dst_sel:DWORD dst_unused:UNUSED_PAD src0_sel:DWORD src1_sel:BYTE_3
	v_sub_u32_e32 v8, 29, v8
	v_and_b32_e32 v5, 7, v5
	v_cmp_eq_u16_e32 vcc, 0, v6
	v_cndmask_b32_e32 v3, v3, v5, vcc
	v_cndmask_b32_e32 v5, v7, v8, vcc
	v_mov_b32_e32 v6, 0x3b800000
	v_lshlrev_b32_e32 v3, 20, v3
	v_lshl_add_u32 v5, v5, 23, v6
	v_or3_b32 v3, v4, v5, v3
.LBB1_6656:
	s_or_b64 exec, exec, s[6:7]
	s_nop 0
	v_mfma_f32_16x16x4f32 a[0:3], v2, v3, a[0:3]
	s_movk_i32 s4, 0x7f
                                        ; implicit-def: $sgpr10
	s_nop 7
	s_nop 1
	flat_store_dwordx4 v[10:11], a[0:3] offset:816
	flat_load_dwordx4 v[12:15], v[0:1]
	s_nop 0
	flat_load_dwordx2 v[10:11], v[0:1] offset:16
	s_waitcnt vmcnt(0) lgkmcnt(0)
	flat_load_dwordx4 v[6:9], v[12:13] offset:96
	flat_load_dwordx4 v[2:5], v[14:15] offset:64
	s_waitcnt vmcnt(0) lgkmcnt(0)
	v_cmp_gt_i16_sdwa s[6:7], v6, s4 src0_sel:BYTE_0 src1_sel:DWORD
	s_mov_b64 s[4:5], 0
	s_and_saveexec_b64 s[8:9], s[6:7]
	s_xor_b64 s[6:7], exec, s[8:9]
	s_cbranch_execz .LBB1_6657
; %bb.42497:
	s_getpc_b64 s[14:15]
.Lpost_getpc6912:
	s_add_u32 s14, s14, (.LBB1_20993-.Lpost_getpc6912)&4294967295
	s_addc_u32 s15, s15, (.LBB1_20993-.Lpost_getpc6912)>>32
	s_setpc_b64 s[14:15]
.LBB1_6657:
	s_or_saveexec_b64 s[6:7], s[6:7]
	v_mov_b32_e32 v12, s10
	s_xor_b64 exec, exec, s[6:7]
	s_cbranch_execz .LBB1_6658
; %bb.42499:
	s_getpc_b64 s[14:15]
.Lpost_getpc6913:
	s_add_u32 s14, s14, (.LBB1_20996-.Lpost_getpc6913)&4294967295
	s_addc_u32 s15, s15, (.LBB1_20996-.Lpost_getpc6913)>>32
	s_setpc_b64 s[14:15]
.LBB1_6658:
	s_or_b64 exec, exec, s[6:7]
	s_and_saveexec_b64 s[6:7], s[4:5]
	s_cbranch_execz .LBB1_6660
.LBB1_6659:
	v_and_b32_e32 v12, 7, v6
	v_ffbh_u32_e32 v14, v12
	v_min_u32_e32 v14, 32, v14
	v_lshrrev_b16_e32 v13, 3, v6
	v_subrev_u32_e32 v15, 28, v14
	v_and_b32_e32 v13, 15, v13
	v_lshlrev_b32_e32 v15, v15, v6
	v_sub_u32_e32 v14, 29, v14
	v_and_b32_e32 v15, 7, v15
	v_cmp_eq_u16_e32 vcc, 0, v13
	v_cndmask_b32_e32 v12, v12, v15, vcc
	v_cndmask_b32_e32 v13, v13, v14, vcc
	v_lshlrev_b32_e32 v14, 24, v6
	v_mov_b32_e32 v15, 0x3b800000
	v_lshlrev_b32_e32 v12, 20, v12
	v_and_b32_e32 v14, 0x80000000, v14
	v_lshl_add_u32 v13, v13, 23, v15
	v_or3_b32 v12, v14, v13, v12
.LBB1_6660:
	s_or_b64 exec, exec, s[6:7]
	s_movk_i32 s4, 0x7f
	v_cmp_gt_i16_sdwa s[6:7], v2, s4 src0_sel:BYTE_0 src1_sel:DWORD
	s_mov_b64 s[4:5], 0
                                        ; implicit-def: $sgpr10
	s_and_saveexec_b64 s[8:9], s[6:7]
	s_xor_b64 s[6:7], exec, s[8:9]
	s_cbranch_execz .LBB1_6661
; %bb.42501:
	s_getpc_b64 s[14:15]
.Lpost_getpc6914:
	s_add_u32 s14, s14, (.LBB1_20997-.Lpost_getpc6914)&4294967295
	s_addc_u32 s15, s15, (.LBB1_20997-.Lpost_getpc6914)>>32
	s_setpc_b64 s[14:15]
.LBB1_6661:
	s_or_saveexec_b64 s[6:7], s[6:7]
	v_mov_b32_e32 v13, s10
	s_xor_b64 exec, exec, s[6:7]
	s_cbranch_execz .LBB1_6662
; %bb.42503:
	s_getpc_b64 s[14:15]
.Lpost_getpc6915:
	s_add_u32 s14, s14, (.LBB1_21000-.Lpost_getpc6915)&4294967295
	s_addc_u32 s15, s15, (.LBB1_21000-.Lpost_getpc6915)>>32
	s_setpc_b64 s[14:15]
.LBB1_6662:
	s_or_b64 exec, exec, s[6:7]
	s_and_saveexec_b64 s[6:7], s[4:5]
	s_cbranch_execz .LBB1_6664
.LBB1_6663:
	v_and_b32_e32 v13, 7, v2
	v_ffbh_u32_e32 v15, v13
	v_min_u32_e32 v15, 32, v15
	v_lshrrev_b16_e32 v14, 3, v2
	v_subrev_u32_e32 v16, 28, v15
	v_and_b32_e32 v14, 15, v14
	v_lshlrev_b32_e32 v16, v16, v2
	v_sub_u32_e32 v15, 29, v15
	v_and_b32_e32 v16, 7, v16
	v_cmp_eq_u16_e32 vcc, 0, v14
	v_cndmask_b32_e32 v13, v13, v16, vcc
	v_cndmask_b32_e32 v14, v14, v15, vcc
	v_lshlrev_b32_e32 v15, 24, v2
	v_mov_b32_e32 v16, 0x3b800000
	v_lshlrev_b32_e32 v13, 20, v13
	v_and_b32_e32 v15, 0x80000000, v15
	v_lshl_add_u32 v14, v14, 23, v16
	v_or3_b32 v13, v15, v14, v13
.LBB1_6664:
	s_or_b64 exec, exec, s[6:7]
	flat_load_dwordx4 a[0:3], v[10:11] offset:832
	s_movk_i32 s4, 0x7f
                                        ; implicit-def: $sgpr10
	s_waitcnt vmcnt(0) lgkmcnt(0)
	v_mfma_f32_16x16x4f32 a[0:3], v12, v13, a[0:3]
	v_lshrrev_b32_e32 v13, 8, v6
	v_cmp_gt_i16_sdwa s[6:7], v13, s4 src0_sel:BYTE_0 src1_sel:DWORD
	s_mov_b64 s[4:5], 0
	s_and_saveexec_b64 s[8:9], s[6:7]
	s_xor_b64 s[6:7], exec, s[8:9]
	s_cbranch_execz .LBB1_6665
; %bb.42505:
	s_getpc_b64 s[14:15]
.Lpost_getpc6916:
	s_add_u32 s14, s14, (.LBB1_21001-.Lpost_getpc6916)&4294967295
	s_addc_u32 s15, s15, (.LBB1_21001-.Lpost_getpc6916)>>32
	s_setpc_b64 s[14:15]
.LBB1_6665:
	s_or_saveexec_b64 s[6:7], s[6:7]
	v_mov_b32_e32 v12, s10
	s_xor_b64 exec, exec, s[6:7]
	s_cbranch_execz .LBB1_6666
; %bb.42507:
	s_getpc_b64 s[14:15]
.Lpost_getpc6917:
	s_add_u32 s14, s14, (.LBB1_21004-.Lpost_getpc6917)&4294967295
	s_addc_u32 s15, s15, (.LBB1_21004-.Lpost_getpc6917)>>32
	s_setpc_b64 s[14:15]
.LBB1_6666:
	s_or_b64 exec, exec, s[6:7]
	s_and_saveexec_b64 s[6:7], s[4:5]
	s_cbranch_execz .LBB1_6668
.LBB1_6667:
	v_bfe_u32 v12, v6, 8, 3
	v_ffbh_u32_e32 v15, v12
	v_min_u32_e32 v15, 32, v15
	v_lshrrev_b16_e32 v14, 3, v13
	v_subrev_u32_e32 v16, 28, v15
	v_and_b32_e32 v14, 15, v14
	v_lshlrev_b32_e32 v13, v16, v13
	v_sub_u32_e32 v15, 29, v15
	v_and_b32_e32 v13, 7, v13
	v_cmp_eq_u16_e32 vcc, 0, v14
	v_cndmask_b32_e32 v12, v12, v13, vcc
	v_cndmask_b32_e32 v13, v14, v15, vcc
	v_lshlrev_b32_e32 v14, 16, v6
	v_mov_b32_e32 v15, 0x3b800000
	v_lshlrev_b32_e32 v12, 20, v12
	v_and_b32_e32 v14, 0x80000000, v14
	v_lshl_add_u32 v13, v13, 23, v15
	v_or3_b32 v12, v14, v13, v12
.LBB1_6668:
	s_or_b64 exec, exec, s[6:7]
	v_lshrrev_b32_e32 v13, 8, v2
	s_movk_i32 s4, 0x7f
	v_cmp_gt_i16_sdwa s[6:7], v13, s4 src0_sel:BYTE_0 src1_sel:DWORD
	s_mov_b64 s[4:5], 0
                                        ; implicit-def: $sgpr10
	s_and_saveexec_b64 s[8:9], s[6:7]
	s_xor_b64 s[6:7], exec, s[8:9]
	s_cbranch_execz .LBB1_6669
; %bb.42509:
	s_getpc_b64 s[14:15]
.Lpost_getpc6918:
	s_add_u32 s14, s14, (.LBB1_21005-.Lpost_getpc6918)&4294967295
	s_addc_u32 s15, s15, (.LBB1_21005-.Lpost_getpc6918)>>32
	s_setpc_b64 s[14:15]
.LBB1_6669:
	s_or_saveexec_b64 s[6:7], s[6:7]
	v_mov_b32_e32 v14, s10
	s_xor_b64 exec, exec, s[6:7]
	s_cbranch_execz .LBB1_6670
; %bb.42511:
	s_getpc_b64 s[14:15]
.Lpost_getpc6919:
	s_add_u32 s14, s14, (.LBB1_21008-.Lpost_getpc6919)&4294967295
	s_addc_u32 s15, s15, (.LBB1_21008-.Lpost_getpc6919)>>32
	s_setpc_b64 s[14:15]
.LBB1_6670:
	s_or_b64 exec, exec, s[6:7]
	s_and_saveexec_b64 s[6:7], s[4:5]
	s_cbranch_execz .LBB1_6672
.LBB1_6671:
	v_bfe_u32 v14, v2, 8, 3
	v_ffbh_u32_e32 v16, v14
	v_min_u32_e32 v16, 32, v16
	v_lshrrev_b16_e32 v15, 3, v13
	v_subrev_u32_e32 v17, 28, v16
	v_and_b32_e32 v15, 15, v15
	v_lshlrev_b32_e32 v13, v17, v13
	v_sub_u32_e32 v16, 29, v16
	v_and_b32_e32 v13, 7, v13
	v_cmp_eq_u16_e32 vcc, 0, v15
	v_cndmask_b32_e32 v13, v14, v13, vcc
	v_cndmask_b32_e32 v14, v15, v16, vcc
	v_lshlrev_b32_e32 v15, 16, v2
	v_mov_b32_e32 v16, 0x3b800000
	v_lshlrev_b32_e32 v13, 20, v13
	v_and_b32_e32 v15, 0x80000000, v15
	v_lshl_add_u32 v14, v14, 23, v16
	v_or3_b32 v14, v15, v14, v13
.LBB1_6672:
	s_or_b64 exec, exec, s[6:7]
	s_nop 0
	v_mfma_f32_16x16x4f32 a[0:3], v12, v14, a[0:3]
	s_movk_i32 s4, 0xff
	v_and_b32_sdwa v13, v6, s4 dst_sel:DWORD dst_unused:UNUSED_PAD src0_sel:WORD_1 src1_sel:DWORD
	s_movk_i32 s4, 0x7f
	v_cmp_lt_i16_e32 vcc, s4, v13
	s_mov_b64 s[4:5], 0
                                        ; implicit-def: $sgpr10
	s_and_saveexec_b64 s[6:7], vcc
	s_xor_b64 s[6:7], exec, s[6:7]
	s_cbranch_execz .LBB1_6673
; %bb.42513:
	s_getpc_b64 s[14:15]
.Lpost_getpc6920:
	s_add_u32 s14, s14, (.LBB1_21009-.Lpost_getpc6920)&4294967295
	s_addc_u32 s15, s15, (.LBB1_21009-.Lpost_getpc6920)>>32
	s_setpc_b64 s[14:15]
.LBB1_6673:
	s_or_saveexec_b64 s[6:7], s[6:7]
	v_mov_b32_e32 v12, s10
	s_xor_b64 exec, exec, s[6:7]
	s_cbranch_execz .LBB1_6674
; %bb.42515:
	s_getpc_b64 s[14:15]
.Lpost_getpc6921:
	s_add_u32 s14, s14, (.LBB1_21012-.Lpost_getpc6921)&4294967295
	s_addc_u32 s15, s15, (.LBB1_21012-.Lpost_getpc6921)>>32
	s_setpc_b64 s[14:15]
.LBB1_6674:
	s_or_b64 exec, exec, s[6:7]
	s_and_saveexec_b64 s[6:7], s[4:5]
	s_cbranch_execz .LBB1_6676
.LBB1_6675:
	v_bfe_u32 v12, v6, 16, 3
	v_ffbh_u32_e32 v15, v12
	v_min_u32_e32 v15, 32, v15
	v_lshrrev_b32_e32 v13, 19, v6
	v_subrev_u32_e32 v16, 28, v15
	v_and_b32_e32 v13, 15, v13
	v_lshlrev_b32_sdwa v16, v16, v6 dst_sel:DWORD dst_unused:UNUSED_PAD src0_sel:DWORD src1_sel:WORD_1
	v_bfe_u32 v14, v6, 19, 4
	v_sub_u32_e32 v15, 29, v15
	v_and_b32_e32 v16, 7, v16
	v_cmp_eq_u16_e32 vcc, 0, v13
	v_cndmask_b32_e32 v12, v12, v16, vcc
	v_cndmask_b32_e32 v13, v14, v15, vcc
	v_lshlrev_b32_e32 v14, 8, v6
	v_mov_b32_e32 v15, 0x3b800000
	v_lshlrev_b32_e32 v12, 20, v12
	v_and_b32_e32 v14, 0x80000000, v14
	v_lshl_add_u32 v13, v13, 23, v15
	v_or3_b32 v12, v14, v13, v12
.LBB1_6676:
	s_or_b64 exec, exec, s[6:7]
	s_movk_i32 s4, 0xff
	v_and_b32_sdwa v13, v2, s4 dst_sel:DWORD dst_unused:UNUSED_PAD src0_sel:WORD_1 src1_sel:DWORD
	s_movk_i32 s4, 0x7f
	v_cmp_lt_i16_e32 vcc, s4, v13
	s_mov_b64 s[4:5], 0
                                        ; implicit-def: $sgpr10
	s_and_saveexec_b64 s[6:7], vcc
	s_xor_b64 s[6:7], exec, s[6:7]
	s_cbranch_execz .LBB1_6677
; %bb.42517:
	s_getpc_b64 s[14:15]
.Lpost_getpc6922:
	s_add_u32 s14, s14, (.LBB1_21013-.Lpost_getpc6922)&4294967295
	s_addc_u32 s15, s15, (.LBB1_21013-.Lpost_getpc6922)>>32
	s_setpc_b64 s[14:15]
.LBB1_6677:
	s_or_saveexec_b64 s[6:7], s[6:7]
	v_mov_b32_e32 v14, s10
	s_xor_b64 exec, exec, s[6:7]
	s_cbranch_execz .LBB1_6678
; %bb.42519:
	s_getpc_b64 s[14:15]
.Lpost_getpc6923:
	s_add_u32 s14, s14, (.LBB1_21016-.Lpost_getpc6923)&4294967295
	s_addc_u32 s15, s15, (.LBB1_21016-.Lpost_getpc6923)>>32
	s_setpc_b64 s[14:15]
.LBB1_6678:
	s_or_b64 exec, exec, s[6:7]
	s_and_saveexec_b64 s[6:7], s[4:5]
	s_cbranch_execz .LBB1_6680
.LBB1_6679:
	v_bfe_u32 v13, v2, 16, 3
	v_ffbh_u32_e32 v16, v13
	v_min_u32_e32 v16, 32, v16
	v_lshrrev_b32_e32 v14, 19, v2
	v_subrev_u32_e32 v17, 28, v16
	v_and_b32_e32 v14, 15, v14
	v_lshlrev_b32_sdwa v17, v17, v2 dst_sel:DWORD dst_unused:UNUSED_PAD src0_sel:DWORD src1_sel:WORD_1
	v_bfe_u32 v15, v2, 19, 4
	v_sub_u32_e32 v16, 29, v16
	v_and_b32_e32 v17, 7, v17
	v_cmp_eq_u16_e32 vcc, 0, v14
	v_cndmask_b32_e32 v13, v13, v17, vcc
	v_cndmask_b32_e32 v14, v15, v16, vcc
	v_lshlrev_b32_e32 v15, 8, v2
	v_mov_b32_e32 v16, 0x3b800000
	v_lshlrev_b32_e32 v13, 20, v13
	v_and_b32_e32 v15, 0x80000000, v15
	v_lshl_add_u32 v14, v14, 23, v16
	v_or3_b32 v14, v15, v14, v13
.LBB1_6680:
	s_or_b64 exec, exec, s[6:7]
	s_nop 0
	v_mfma_f32_16x16x4f32 a[0:3], v12, v14, a[0:3]
	s_movk_i32 s4, 0x7f
	v_cmp_gt_i16_sdwa s[6:7], v6, s4 src0_sel:BYTE_3 src1_sel:DWORD
	s_mov_b64 s[4:5], 0
                                        ; implicit-def: $sgpr10
	s_and_saveexec_b64 s[8:9], s[6:7]
	s_xor_b64 s[6:7], exec, s[8:9]
	s_cbranch_execz .LBB1_6681
; %bb.42521:
	s_getpc_b64 s[14:15]
.Lpost_getpc6924:
	s_add_u32 s14, s14, (.LBB1_21017-.Lpost_getpc6924)&4294967295
	s_addc_u32 s15, s15, (.LBB1_21017-.Lpost_getpc6924)>>32
	s_setpc_b64 s[14:15]
.LBB1_6681:
	s_or_saveexec_b64 s[6:7], s[6:7]
	v_mov_b32_e32 v12, s10
	s_xor_b64 exec, exec, s[6:7]
	s_cbranch_execz .LBB1_6682
; %bb.42523:
	s_getpc_b64 s[14:15]
.Lpost_getpc6925:
	s_add_u32 s14, s14, (.LBB1_21020-.Lpost_getpc6925)&4294967295
	s_addc_u32 s15, s15, (.LBB1_21020-.Lpost_getpc6925)>>32
	s_setpc_b64 s[14:15]
.LBB1_6682:
	s_or_b64 exec, exec, s[6:7]
	s_and_saveexec_b64 s[6:7], s[4:5]
	s_cbranch_execz .LBB1_6684
.LBB1_6683:
	v_bfe_u32 v12, v6, 24, 3
	v_ffbh_u32_e32 v16, v12
	v_min_u32_e32 v16, 32, v16
	v_lshrrev_b32_e32 v14, 27, v6
	v_subrev_u32_e32 v17, 28, v16
	v_and_b32_e32 v13, 0x80000000, v6
	v_and_b32_e32 v14, 15, v14
	v_bfe_u32 v15, v6, 27, 4
	v_lshlrev_b32_sdwa v6, v17, v6 dst_sel:DWORD dst_unused:UNUSED_PAD src0_sel:DWORD src1_sel:BYTE_3
	v_sub_u32_e32 v16, 29, v16
	v_and_b32_e32 v6, 7, v6
	v_cmp_eq_u16_e32 vcc, 0, v14
	v_cndmask_b32_e32 v6, v12, v6, vcc
	v_cndmask_b32_e32 v12, v15, v16, vcc
	v_mov_b32_e32 v14, 0x3b800000
	v_lshlrev_b32_e32 v6, 20, v6
	v_lshl_add_u32 v12, v12, 23, v14
	v_or3_b32 v12, v13, v12, v6
.LBB1_6684:
	s_or_b64 exec, exec, s[6:7]
	s_movk_i32 s4, 0x7f
	v_cmp_gt_i16_sdwa s[6:7], v2, s4 src0_sel:BYTE_3 src1_sel:DWORD
	s_mov_b64 s[4:5], 0
                                        ; implicit-def: $sgpr10
	s_and_saveexec_b64 s[8:9], s[6:7]
	s_xor_b64 s[6:7], exec, s[8:9]
	s_cbranch_execz .LBB1_6685
; %bb.42525:
	s_getpc_b64 s[14:15]
.Lpost_getpc6926:
	s_add_u32 s14, s14, (.LBB1_21021-.Lpost_getpc6926)&4294967295
	s_addc_u32 s15, s15, (.LBB1_21021-.Lpost_getpc6926)>>32
	s_setpc_b64 s[14:15]
.LBB1_6685:
	s_or_saveexec_b64 s[6:7], s[6:7]
	v_mov_b32_e32 v6, s10
	s_xor_b64 exec, exec, s[6:7]
	s_cbranch_execz .LBB1_6686
; %bb.42527:
	s_getpc_b64 s[14:15]
.Lpost_getpc6927:
	s_add_u32 s14, s14, (.LBB1_21024-.Lpost_getpc6927)&4294967295
	s_addc_u32 s15, s15, (.LBB1_21024-.Lpost_getpc6927)>>32
	s_setpc_b64 s[14:15]
.LBB1_6686:
	s_or_b64 exec, exec, s[6:7]
	s_and_saveexec_b64 s[6:7], s[4:5]
	s_cbranch_execz .LBB1_6688
.LBB1_6687:
	v_bfe_u32 v6, v2, 24, 3
	v_ffbh_u32_e32 v16, v6
	v_min_u32_e32 v16, 32, v16
	v_lshrrev_b32_e32 v14, 27, v2
	v_subrev_u32_e32 v17, 28, v16
	v_and_b32_e32 v13, 0x80000000, v2
	v_and_b32_e32 v14, 15, v14
	v_bfe_u32 v15, v2, 27, 4
	v_lshlrev_b32_sdwa v2, v17, v2 dst_sel:DWORD dst_unused:UNUSED_PAD src0_sel:DWORD src1_sel:BYTE_3
	v_sub_u32_e32 v16, 29, v16
	v_and_b32_e32 v2, 7, v2
	v_cmp_eq_u16_e32 vcc, 0, v14
	v_cndmask_b32_e32 v2, v6, v2, vcc
	v_cndmask_b32_e32 v6, v15, v16, vcc
	v_mov_b32_e32 v14, 0x3b800000
	v_lshlrev_b32_e32 v2, 20, v2
	v_lshl_add_u32 v6, v6, 23, v14
	v_or3_b32 v6, v13, v6, v2
.LBB1_6688:
	s_or_b64 exec, exec, s[6:7]
	s_nop 0
	v_mfma_f32_16x16x4f32 a[0:3], v12, v6, a[0:3]
	s_movk_i32 s4, 0x7f
	v_cmp_gt_i16_sdwa s[6:7], v7, s4 src0_sel:BYTE_0 src1_sel:DWORD
	s_mov_b64 s[4:5], 0
                                        ; implicit-def: $sgpr10
	s_and_saveexec_b64 s[8:9], s[6:7]
	s_xor_b64 s[6:7], exec, s[8:9]
	s_cbranch_execz .LBB1_6689
; %bb.42529:
	s_getpc_b64 s[14:15]
.Lpost_getpc6928:
	s_add_u32 s14, s14, (.LBB1_21025-.Lpost_getpc6928)&4294967295
	s_addc_u32 s15, s15, (.LBB1_21025-.Lpost_getpc6928)>>32
	s_setpc_b64 s[14:15]
.LBB1_6689:
	s_or_saveexec_b64 s[6:7], s[6:7]
	v_mov_b32_e32 v2, s10
	s_xor_b64 exec, exec, s[6:7]
	s_cbranch_execz .LBB1_6690
; %bb.42531:
	s_getpc_b64 s[14:15]
.Lpost_getpc6929:
	s_add_u32 s14, s14, (.LBB1_21028-.Lpost_getpc6929)&4294967295
	s_addc_u32 s15, s15, (.LBB1_21028-.Lpost_getpc6929)>>32
	s_setpc_b64 s[14:15]
.LBB1_6690:
	s_or_b64 exec, exec, s[6:7]
	s_and_saveexec_b64 s[6:7], s[4:5]
	s_cbranch_execz .LBB1_6692
.LBB1_6691:
	v_and_b32_e32 v2, 7, v7
	v_ffbh_u32_e32 v12, v2
	v_min_u32_e32 v12, 32, v12
	v_lshrrev_b16_e32 v6, 3, v7
	v_subrev_u32_e32 v13, 28, v12
	v_and_b32_e32 v6, 15, v6
	v_lshlrev_b32_e32 v13, v13, v7
	v_sub_u32_e32 v12, 29, v12
	v_and_b32_e32 v13, 7, v13
	v_cmp_eq_u16_e32 vcc, 0, v6
	v_cndmask_b32_e32 v2, v2, v13, vcc
	v_cndmask_b32_e32 v6, v6, v12, vcc
	v_lshlrev_b32_e32 v12, 24, v7
	v_mov_b32_e32 v13, 0x3b800000
	v_lshlrev_b32_e32 v2, 20, v2
	v_and_b32_e32 v12, 0x80000000, v12
	v_lshl_add_u32 v6, v6, 23, v13
	v_or3_b32 v2, v12, v6, v2
.LBB1_6692:
	s_or_b64 exec, exec, s[6:7]
	s_movk_i32 s4, 0x7f
	v_cmp_gt_i16_sdwa s[6:7], v3, s4 src0_sel:BYTE_0 src1_sel:DWORD
	s_mov_b64 s[4:5], 0
                                        ; implicit-def: $sgpr10
	s_and_saveexec_b64 s[8:9], s[6:7]
	s_xor_b64 s[6:7], exec, s[8:9]
	s_cbranch_execz .LBB1_6693
; %bb.42533:
	s_getpc_b64 s[14:15]
.Lpost_getpc6930:
	s_add_u32 s14, s14, (.LBB1_21029-.Lpost_getpc6930)&4294967295
	s_addc_u32 s15, s15, (.LBB1_21029-.Lpost_getpc6930)>>32
	s_setpc_b64 s[14:15]
.LBB1_6693:
	s_or_saveexec_b64 s[6:7], s[6:7]
	v_mov_b32_e32 v6, s10
	s_xor_b64 exec, exec, s[6:7]
	s_cbranch_execz .LBB1_6694
; %bb.42535:
	s_getpc_b64 s[14:15]
.Lpost_getpc6931:
	s_add_u32 s14, s14, (.LBB1_21032-.Lpost_getpc6931)&4294967295
	s_addc_u32 s15, s15, (.LBB1_21032-.Lpost_getpc6931)>>32
	s_setpc_b64 s[14:15]
.LBB1_6694:
	s_or_b64 exec, exec, s[6:7]
	s_and_saveexec_b64 s[6:7], s[4:5]
	s_cbranch_execz .LBB1_6696
.LBB1_6695:
	v_and_b32_e32 v6, 7, v3
	v_ffbh_u32_e32 v13, v6
	v_min_u32_e32 v13, 32, v13
	v_lshrrev_b16_e32 v12, 3, v3
	v_subrev_u32_e32 v14, 28, v13
	v_and_b32_e32 v12, 15, v12
	v_lshlrev_b32_e32 v14, v14, v3
	v_sub_u32_e32 v13, 29, v13
	v_and_b32_e32 v14, 7, v14
	v_cmp_eq_u16_e32 vcc, 0, v12
	v_cndmask_b32_e32 v6, v6, v14, vcc
	v_cndmask_b32_e32 v12, v12, v13, vcc
	v_lshlrev_b32_e32 v13, 24, v3
	v_mov_b32_e32 v14, 0x3b800000
	v_lshlrev_b32_e32 v6, 20, v6
	v_and_b32_e32 v13, 0x80000000, v13
	v_lshl_add_u32 v12, v12, 23, v14
	v_or3_b32 v6, v13, v12, v6
.LBB1_6696:
	s_or_b64 exec, exec, s[6:7]
	s_nop 0
	v_mfma_f32_16x16x4f32 a[0:3], v2, v6, a[0:3]
	v_lshrrev_b32_e32 v6, 8, v7
	s_movk_i32 s4, 0x7f
	v_cmp_gt_i16_sdwa s[6:7], v6, s4 src0_sel:BYTE_0 src1_sel:DWORD
	s_mov_b64 s[4:5], 0
                                        ; implicit-def: $sgpr10
	s_and_saveexec_b64 s[8:9], s[6:7]
	s_xor_b64 s[6:7], exec, s[8:9]
	s_cbranch_execz .LBB1_6697
; %bb.42537:
	s_getpc_b64 s[14:15]
.Lpost_getpc6932:
	s_add_u32 s14, s14, (.LBB1_21033-.Lpost_getpc6932)&4294967295
	s_addc_u32 s15, s15, (.LBB1_21033-.Lpost_getpc6932)>>32
	s_setpc_b64 s[14:15]
.LBB1_6697:
	s_or_saveexec_b64 s[6:7], s[6:7]
	v_mov_b32_e32 v2, s10
	s_xor_b64 exec, exec, s[6:7]
	s_cbranch_execz .LBB1_6698
; %bb.42539:
	s_getpc_b64 s[14:15]
.Lpost_getpc6933:
	s_add_u32 s14, s14, (.LBB1_21036-.Lpost_getpc6933)&4294967295
	s_addc_u32 s15, s15, (.LBB1_21036-.Lpost_getpc6933)>>32
	s_setpc_b64 s[14:15]
.LBB1_6698:
	s_or_b64 exec, exec, s[6:7]
	s_and_saveexec_b64 s[6:7], s[4:5]
	s_cbranch_execz .LBB1_6700
.LBB1_6699:
	v_bfe_u32 v2, v7, 8, 3
	v_ffbh_u32_e32 v13, v2
	v_min_u32_e32 v13, 32, v13
	v_lshrrev_b16_e32 v12, 3, v6
	v_subrev_u32_e32 v14, 28, v13
	v_and_b32_e32 v12, 15, v12
	v_lshlrev_b32_e32 v6, v14, v6
	v_sub_u32_e32 v13, 29, v13
	v_and_b32_e32 v6, 7, v6
	v_cmp_eq_u16_e32 vcc, 0, v12
	v_cndmask_b32_e32 v2, v2, v6, vcc
	v_cndmask_b32_e32 v6, v12, v13, vcc
	v_lshlrev_b32_e32 v12, 16, v7
	v_mov_b32_e32 v13, 0x3b800000
	v_lshlrev_b32_e32 v2, 20, v2
	v_and_b32_e32 v12, 0x80000000, v12
	v_lshl_add_u32 v6, v6, 23, v13
	v_or3_b32 v2, v12, v6, v2
.LBB1_6700:
	s_or_b64 exec, exec, s[6:7]
	v_lshrrev_b32_e32 v6, 8, v3
	s_movk_i32 s4, 0x7f
	v_cmp_gt_i16_sdwa s[6:7], v6, s4 src0_sel:BYTE_0 src1_sel:DWORD
	s_mov_b64 s[4:5], 0
                                        ; implicit-def: $sgpr10
	s_and_saveexec_b64 s[8:9], s[6:7]
	s_xor_b64 s[6:7], exec, s[8:9]
	s_cbranch_execz .LBB1_6701
; %bb.42541:
	s_getpc_b64 s[14:15]
.Lpost_getpc6934:
	s_add_u32 s14, s14, (.LBB1_21037-.Lpost_getpc6934)&4294967295
	s_addc_u32 s15, s15, (.LBB1_21037-.Lpost_getpc6934)>>32
	s_setpc_b64 s[14:15]
.LBB1_6701:
	s_or_saveexec_b64 s[6:7], s[6:7]
	v_mov_b32_e32 v12, s10
	s_xor_b64 exec, exec, s[6:7]
	s_cbranch_execz .LBB1_6702
; %bb.42543:
	s_getpc_b64 s[14:15]
.Lpost_getpc6935:
	s_add_u32 s14, s14, (.LBB1_21040-.Lpost_getpc6935)&4294967295
	s_addc_u32 s15, s15, (.LBB1_21040-.Lpost_getpc6935)>>32
	s_setpc_b64 s[14:15]
.LBB1_6702:
	s_or_b64 exec, exec, s[6:7]
	s_and_saveexec_b64 s[6:7], s[4:5]
	s_cbranch_execz .LBB1_6704
.LBB1_6703:
	v_bfe_u32 v12, v3, 8, 3
	v_ffbh_u32_e32 v14, v12
	v_min_u32_e32 v14, 32, v14
	v_lshrrev_b16_e32 v13, 3, v6
	v_subrev_u32_e32 v15, 28, v14
	v_and_b32_e32 v13, 15, v13
	v_lshlrev_b32_e32 v6, v15, v6
	v_sub_u32_e32 v14, 29, v14
	v_and_b32_e32 v6, 7, v6
	v_cmp_eq_u16_e32 vcc, 0, v13
	v_cndmask_b32_e32 v6, v12, v6, vcc
	v_cndmask_b32_e32 v12, v13, v14, vcc
	v_lshlrev_b32_e32 v13, 16, v3
	v_mov_b32_e32 v14, 0x3b800000
	v_lshlrev_b32_e32 v6, 20, v6
	v_and_b32_e32 v13, 0x80000000, v13
	v_lshl_add_u32 v12, v12, 23, v14
	v_or3_b32 v12, v13, v12, v6
.LBB1_6704:
	s_or_b64 exec, exec, s[6:7]
	s_nop 0
	v_mfma_f32_16x16x4f32 a[0:3], v2, v12, a[0:3]
	s_movk_i32 s4, 0xff
	v_and_b32_sdwa v6, v7, s4 dst_sel:DWORD dst_unused:UNUSED_PAD src0_sel:WORD_1 src1_sel:DWORD
	s_movk_i32 s4, 0x7f
	v_cmp_lt_i16_e32 vcc, s4, v6
	s_mov_b64 s[4:5], 0
                                        ; implicit-def: $sgpr10
	s_and_saveexec_b64 s[6:7], vcc
	s_xor_b64 s[6:7], exec, s[6:7]
	s_cbranch_execz .LBB1_6705
; %bb.42545:
	s_getpc_b64 s[14:15]
.Lpost_getpc6936:
	s_add_u32 s14, s14, (.LBB1_21041-.Lpost_getpc6936)&4294967295
	s_addc_u32 s15, s15, (.LBB1_21041-.Lpost_getpc6936)>>32
	s_setpc_b64 s[14:15]
.LBB1_6705:
	s_or_saveexec_b64 s[6:7], s[6:7]
	v_mov_b32_e32 v2, s10
	s_xor_b64 exec, exec, s[6:7]
	s_cbranch_execz .LBB1_6706
; %bb.42547:
	s_getpc_b64 s[14:15]
.Lpost_getpc6937:
	s_add_u32 s14, s14, (.LBB1_21044-.Lpost_getpc6937)&4294967295
	s_addc_u32 s15, s15, (.LBB1_21044-.Lpost_getpc6937)>>32
	s_setpc_b64 s[14:15]
.LBB1_6706:
	s_or_b64 exec, exec, s[6:7]
	s_and_saveexec_b64 s[6:7], s[4:5]
	s_cbranch_execz .LBB1_6708
.LBB1_6707:
	v_bfe_u32 v2, v7, 16, 3
	v_ffbh_u32_e32 v13, v2
	v_min_u32_e32 v13, 32, v13
	v_lshrrev_b32_e32 v6, 19, v7
	v_subrev_u32_e32 v14, 28, v13
	v_and_b32_e32 v6, 15, v6
	v_lshlrev_b32_sdwa v14, v14, v7 dst_sel:DWORD dst_unused:UNUSED_PAD src0_sel:DWORD src1_sel:WORD_1
	v_bfe_u32 v12, v7, 19, 4
	v_sub_u32_e32 v13, 29, v13
	v_and_b32_e32 v14, 7, v14
	v_cmp_eq_u16_e32 vcc, 0, v6
	v_cndmask_b32_e32 v2, v2, v14, vcc
	v_cndmask_b32_e32 v6, v12, v13, vcc
	v_lshlrev_b32_e32 v12, 8, v7
	v_mov_b32_e32 v13, 0x3b800000
	v_lshlrev_b32_e32 v2, 20, v2
	v_and_b32_e32 v12, 0x80000000, v12
	v_lshl_add_u32 v6, v6, 23, v13
	v_or3_b32 v2, v12, v6, v2
.LBB1_6708:
	s_or_b64 exec, exec, s[6:7]
	s_movk_i32 s4, 0xff
	v_and_b32_sdwa v6, v3, s4 dst_sel:DWORD dst_unused:UNUSED_PAD src0_sel:WORD_1 src1_sel:DWORD
	s_movk_i32 s4, 0x7f
	v_cmp_lt_i16_e32 vcc, s4, v6
	s_mov_b64 s[4:5], 0
                                        ; implicit-def: $sgpr10
	s_and_saveexec_b64 s[6:7], vcc
	s_xor_b64 s[6:7], exec, s[6:7]
	s_cbranch_execz .LBB1_6709
; %bb.42549:
	s_getpc_b64 s[14:15]
.Lpost_getpc6938:
	s_add_u32 s14, s14, (.LBB1_21045-.Lpost_getpc6938)&4294967295
	s_addc_u32 s15, s15, (.LBB1_21045-.Lpost_getpc6938)>>32
	s_setpc_b64 s[14:15]
.LBB1_6709:
	s_or_saveexec_b64 s[6:7], s[6:7]
	v_mov_b32_e32 v12, s10
	s_xor_b64 exec, exec, s[6:7]
	s_cbranch_execz .LBB1_6710
; %bb.42551:
	s_getpc_b64 s[14:15]
.Lpost_getpc6939:
	s_add_u32 s14, s14, (.LBB1_21048-.Lpost_getpc6939)&4294967295
	s_addc_u32 s15, s15, (.LBB1_21048-.Lpost_getpc6939)>>32
	s_setpc_b64 s[14:15]
.LBB1_6710:
	s_or_b64 exec, exec, s[6:7]
	s_and_saveexec_b64 s[6:7], s[4:5]
	s_cbranch_execz .LBB1_6712
.LBB1_6711:
	v_bfe_u32 v6, v3, 16, 3
	v_ffbh_u32_e32 v14, v6
	v_min_u32_e32 v14, 32, v14
	v_lshrrev_b32_e32 v12, 19, v3
	v_subrev_u32_e32 v15, 28, v14
	v_and_b32_e32 v12, 15, v12
	v_lshlrev_b32_sdwa v15, v15, v3 dst_sel:DWORD dst_unused:UNUSED_PAD src0_sel:DWORD src1_sel:WORD_1
	v_bfe_u32 v13, v3, 19, 4
	v_sub_u32_e32 v14, 29, v14
	v_and_b32_e32 v15, 7, v15
	v_cmp_eq_u16_e32 vcc, 0, v12
	v_cndmask_b32_e32 v6, v6, v15, vcc
	v_cndmask_b32_e32 v12, v13, v14, vcc
	v_lshlrev_b32_e32 v13, 8, v3
	v_mov_b32_e32 v14, 0x3b800000
	v_lshlrev_b32_e32 v6, 20, v6
	v_and_b32_e32 v13, 0x80000000, v13
	v_lshl_add_u32 v12, v12, 23, v14
	v_or3_b32 v12, v13, v12, v6
.LBB1_6712:
	s_or_b64 exec, exec, s[6:7]
	s_nop 0
	v_mfma_f32_16x16x4f32 a[0:3], v2, v12, a[0:3]
	s_movk_i32 s4, 0x7f
	v_cmp_gt_i16_sdwa s[6:7], v7, s4 src0_sel:BYTE_3 src1_sel:DWORD
	s_mov_b64 s[4:5], 0
                                        ; implicit-def: $sgpr10
	s_and_saveexec_b64 s[8:9], s[6:7]
	s_xor_b64 s[6:7], exec, s[8:9]
	s_cbranch_execz .LBB1_6713
; %bb.42553:
	s_getpc_b64 s[14:15]
.Lpost_getpc6940:
	s_add_u32 s14, s14, (.LBB1_21049-.Lpost_getpc6940)&4294967295
	s_addc_u32 s15, s15, (.LBB1_21049-.Lpost_getpc6940)>>32
	s_setpc_b64 s[14:15]
.LBB1_6713:
	s_or_saveexec_b64 s[6:7], s[6:7]
	v_mov_b32_e32 v2, s10
	s_xor_b64 exec, exec, s[6:7]
	s_cbranch_execz .LBB1_6714
; %bb.42555:
	s_getpc_b64 s[14:15]
.Lpost_getpc6941:
	s_add_u32 s14, s14, (.LBB1_21052-.Lpost_getpc6941)&4294967295
	s_addc_u32 s15, s15, (.LBB1_21052-.Lpost_getpc6941)>>32
	s_setpc_b64 s[14:15]
.LBB1_6714:
	s_or_b64 exec, exec, s[6:7]
	s_and_saveexec_b64 s[6:7], s[4:5]
	s_cbranch_execz .LBB1_6716
.LBB1_6715:
	v_bfe_u32 v2, v7, 24, 3
	v_ffbh_u32_e32 v14, v2
	v_min_u32_e32 v14, 32, v14
	v_lshrrev_b32_e32 v12, 27, v7
	v_subrev_u32_e32 v15, 28, v14
	v_and_b32_e32 v6, 0x80000000, v7
	v_and_b32_e32 v12, 15, v12
	v_bfe_u32 v13, v7, 27, 4
	v_lshlrev_b32_sdwa v7, v15, v7 dst_sel:DWORD dst_unused:UNUSED_PAD src0_sel:DWORD src1_sel:BYTE_3
	v_sub_u32_e32 v14, 29, v14
	v_and_b32_e32 v7, 7, v7
	v_cmp_eq_u16_e32 vcc, 0, v12
	v_cndmask_b32_e32 v2, v2, v7, vcc
	v_cndmask_b32_e32 v7, v13, v14, vcc
	v_mov_b32_e32 v12, 0x3b800000
	v_lshlrev_b32_e32 v2, 20, v2
	v_lshl_add_u32 v7, v7, 23, v12
	v_or3_b32 v2, v6, v7, v2
.LBB1_6716:
	s_or_b64 exec, exec, s[6:7]
	s_movk_i32 s4, 0x7f
	v_cmp_gt_i16_sdwa s[6:7], v3, s4 src0_sel:BYTE_3 src1_sel:DWORD
	s_mov_b64 s[4:5], 0
                                        ; implicit-def: $sgpr10
	s_and_saveexec_b64 s[8:9], s[6:7]
	s_xor_b64 s[6:7], exec, s[8:9]
	s_cbranch_execz .LBB1_6717
; %bb.42557:
	s_getpc_b64 s[14:15]
.Lpost_getpc6942:
	s_add_u32 s14, s14, (.LBB1_21053-.Lpost_getpc6942)&4294967295
	s_addc_u32 s15, s15, (.LBB1_21053-.Lpost_getpc6942)>>32
	s_setpc_b64 s[14:15]
.LBB1_6717:
	s_or_saveexec_b64 s[6:7], s[6:7]
	v_mov_b32_e32 v6, s10
	s_xor_b64 exec, exec, s[6:7]
	s_cbranch_execz .LBB1_6718
; %bb.42559:
	s_getpc_b64 s[14:15]
.Lpost_getpc6943:
	s_add_u32 s14, s14, (.LBB1_21056-.Lpost_getpc6943)&4294967295
	s_addc_u32 s15, s15, (.LBB1_21056-.Lpost_getpc6943)>>32
	s_setpc_b64 s[14:15]
.LBB1_6718:
	s_or_b64 exec, exec, s[6:7]
	s_and_saveexec_b64 s[6:7], s[4:5]
	s_cbranch_execz .LBB1_6720
.LBB1_6719:
	v_bfe_u32 v6, v3, 24, 3
	v_ffbh_u32_e32 v14, v6
	v_min_u32_e32 v14, 32, v14
	v_lshrrev_b32_e32 v12, 27, v3
	v_subrev_u32_e32 v15, 28, v14
	v_and_b32_e32 v7, 0x80000000, v3
	v_and_b32_e32 v12, 15, v12
	v_bfe_u32 v13, v3, 27, 4
	v_lshlrev_b32_sdwa v3, v15, v3 dst_sel:DWORD dst_unused:UNUSED_PAD src0_sel:DWORD src1_sel:BYTE_3
	v_sub_u32_e32 v14, 29, v14
	v_and_b32_e32 v3, 7, v3
	v_cmp_eq_u16_e32 vcc, 0, v12
	v_cndmask_b32_e32 v3, v6, v3, vcc
	v_cndmask_b32_e32 v6, v13, v14, vcc
	v_mov_b32_e32 v12, 0x3b800000
	v_lshlrev_b32_e32 v3, 20, v3
	v_lshl_add_u32 v6, v6, 23, v12
	v_or3_b32 v6, v7, v6, v3
.LBB1_6720:
	s_or_b64 exec, exec, s[6:7]
	s_nop 0
	v_mfma_f32_16x16x4f32 a[0:3], v2, v6, a[0:3]
	s_movk_i32 s4, 0x7f
	v_cmp_gt_i16_sdwa s[6:7], v8, s4 src0_sel:BYTE_0 src1_sel:DWORD
	s_mov_b64 s[4:5], 0
                                        ; implicit-def: $sgpr10
	s_and_saveexec_b64 s[8:9], s[6:7]
	s_xor_b64 s[6:7], exec, s[8:9]
	s_cbranch_execz .LBB1_6721
; %bb.42561:
	s_getpc_b64 s[14:15]
.Lpost_getpc6944:
	s_add_u32 s14, s14, (.LBB1_21057-.Lpost_getpc6944)&4294967295
	s_addc_u32 s15, s15, (.LBB1_21057-.Lpost_getpc6944)>>32
	s_setpc_b64 s[14:15]
.LBB1_6721:
	s_or_saveexec_b64 s[6:7], s[6:7]
	v_mov_b32_e32 v2, s10
	s_xor_b64 exec, exec, s[6:7]
	s_cbranch_execz .LBB1_6722
; %bb.42563:
	s_getpc_b64 s[14:15]
.Lpost_getpc6945:
	s_add_u32 s14, s14, (.LBB1_21060-.Lpost_getpc6945)&4294967295
	s_addc_u32 s15, s15, (.LBB1_21060-.Lpost_getpc6945)>>32
	s_setpc_b64 s[14:15]
.LBB1_6722:
	s_or_b64 exec, exec, s[6:7]
	s_and_saveexec_b64 s[6:7], s[4:5]
	s_cbranch_execz .LBB1_6724
.LBB1_6723:
	v_and_b32_e32 v2, 7, v8
	v_ffbh_u32_e32 v6, v2
	v_min_u32_e32 v6, 32, v6
	v_lshrrev_b16_e32 v3, 3, v8
	v_subrev_u32_e32 v7, 28, v6
	v_and_b32_e32 v3, 15, v3
	v_lshlrev_b32_e32 v7, v7, v8
	v_sub_u32_e32 v6, 29, v6
	v_and_b32_e32 v7, 7, v7
	v_cmp_eq_u16_e32 vcc, 0, v3
	v_cndmask_b32_e32 v2, v2, v7, vcc
	v_cndmask_b32_e32 v3, v3, v6, vcc
	v_lshlrev_b32_e32 v6, 24, v8
	v_mov_b32_e32 v7, 0x3b800000
	v_lshlrev_b32_e32 v2, 20, v2
	v_and_b32_e32 v6, 0x80000000, v6
	v_lshl_add_u32 v3, v3, 23, v7
	v_or3_b32 v2, v6, v3, v2
.LBB1_6724:
	s_or_b64 exec, exec, s[6:7]
	s_movk_i32 s4, 0x7f
	v_cmp_gt_i16_sdwa s[6:7], v4, s4 src0_sel:BYTE_0 src1_sel:DWORD
	s_mov_b64 s[4:5], 0
                                        ; implicit-def: $sgpr10
	s_and_saveexec_b64 s[8:9], s[6:7]
	s_xor_b64 s[6:7], exec, s[8:9]
	s_cbranch_execz .LBB1_6725
; %bb.42565:
	s_getpc_b64 s[14:15]
.Lpost_getpc6946:
	s_add_u32 s14, s14, (.LBB1_21061-.Lpost_getpc6946)&4294967295
	s_addc_u32 s15, s15, (.LBB1_21061-.Lpost_getpc6946)>>32
	s_setpc_b64 s[14:15]
.LBB1_6725:
	s_or_saveexec_b64 s[6:7], s[6:7]
	v_mov_b32_e32 v3, s10
	s_xor_b64 exec, exec, s[6:7]
	s_cbranch_execz .LBB1_6726
; %bb.42567:
	s_getpc_b64 s[14:15]
.Lpost_getpc6947:
	s_add_u32 s14, s14, (.LBB1_21064-.Lpost_getpc6947)&4294967295
	s_addc_u32 s15, s15, (.LBB1_21064-.Lpost_getpc6947)>>32
	s_setpc_b64 s[14:15]
.LBB1_6726:
	s_or_b64 exec, exec, s[6:7]
	s_and_saveexec_b64 s[6:7], s[4:5]
	s_cbranch_execz .LBB1_6728
.LBB1_6727:
	v_and_b32_e32 v3, 7, v4
	v_ffbh_u32_e32 v7, v3
	v_min_u32_e32 v7, 32, v7
	v_lshrrev_b16_e32 v6, 3, v4
	v_subrev_u32_e32 v12, 28, v7
	v_and_b32_e32 v6, 15, v6
	v_lshlrev_b32_e32 v12, v12, v4
	v_sub_u32_e32 v7, 29, v7
	v_and_b32_e32 v12, 7, v12
	v_cmp_eq_u16_e32 vcc, 0, v6
	v_cndmask_b32_e32 v3, v3, v12, vcc
	v_cndmask_b32_e32 v6, v6, v7, vcc
	v_lshlrev_b32_e32 v7, 24, v4
	v_mov_b32_e32 v12, 0x3b800000
	v_lshlrev_b32_e32 v3, 20, v3
	v_and_b32_e32 v7, 0x80000000, v7
	v_lshl_add_u32 v6, v6, 23, v12
	v_or3_b32 v3, v7, v6, v3
.LBB1_6728:
	s_or_b64 exec, exec, s[6:7]
	s_nop 0
	v_mfma_f32_16x16x4f32 a[0:3], v2, v3, a[0:3]
	v_lshrrev_b32_e32 v3, 8, v8
	s_movk_i32 s4, 0x7f
	v_cmp_gt_i16_sdwa s[6:7], v3, s4 src0_sel:BYTE_0 src1_sel:DWORD
	s_mov_b64 s[4:5], 0
                                        ; implicit-def: $sgpr10
	s_and_saveexec_b64 s[8:9], s[6:7]
	s_xor_b64 s[6:7], exec, s[8:9]
	s_cbranch_execz .LBB1_6729
; %bb.42569:
	s_getpc_b64 s[14:15]
.Lpost_getpc6948:
	s_add_u32 s14, s14, (.LBB1_21065-.Lpost_getpc6948)&4294967295
	s_addc_u32 s15, s15, (.LBB1_21065-.Lpost_getpc6948)>>32
	s_setpc_b64 s[14:15]
.LBB1_6729:
	s_or_saveexec_b64 s[6:7], s[6:7]
	v_mov_b32_e32 v2, s10
	s_xor_b64 exec, exec, s[6:7]
	s_cbranch_execz .LBB1_6730
; %bb.42571:
	s_getpc_b64 s[14:15]
.Lpost_getpc6949:
	s_add_u32 s14, s14, (.LBB1_21068-.Lpost_getpc6949)&4294967295
	s_addc_u32 s15, s15, (.LBB1_21068-.Lpost_getpc6949)>>32
	s_setpc_b64 s[14:15]
.LBB1_6730:
	s_or_b64 exec, exec, s[6:7]
	s_and_saveexec_b64 s[6:7], s[4:5]
	s_cbranch_execz .LBB1_6732
.LBB1_6731:
	v_bfe_u32 v2, v8, 8, 3
	v_ffbh_u32_e32 v7, v2
	v_min_u32_e32 v7, 32, v7
	v_lshrrev_b16_e32 v6, 3, v3
	v_subrev_u32_e32 v12, 28, v7
	v_and_b32_e32 v6, 15, v6
	v_lshlrev_b32_e32 v3, v12, v3
	v_sub_u32_e32 v7, 29, v7
	v_and_b32_e32 v3, 7, v3
	v_cmp_eq_u16_e32 vcc, 0, v6
	v_cndmask_b32_e32 v2, v2, v3, vcc
	v_cndmask_b32_e32 v3, v6, v7, vcc
	v_lshlrev_b32_e32 v6, 16, v8
	v_mov_b32_e32 v7, 0x3b800000
	v_lshlrev_b32_e32 v2, 20, v2
	v_and_b32_e32 v6, 0x80000000, v6
	v_lshl_add_u32 v3, v3, 23, v7
	v_or3_b32 v2, v6, v3, v2
.LBB1_6732:
	s_or_b64 exec, exec, s[6:7]
	v_lshrrev_b32_e32 v3, 8, v4
	s_movk_i32 s4, 0x7f
	v_cmp_gt_i16_sdwa s[6:7], v3, s4 src0_sel:BYTE_0 src1_sel:DWORD
	s_mov_b64 s[4:5], 0
                                        ; implicit-def: $sgpr10
	s_and_saveexec_b64 s[8:9], s[6:7]
	s_xor_b64 s[6:7], exec, s[8:9]
	s_cbranch_execz .LBB1_6733
; %bb.42573:
	s_getpc_b64 s[14:15]
.Lpost_getpc6950:
	s_add_u32 s14, s14, (.LBB1_21069-.Lpost_getpc6950)&4294967295
	s_addc_u32 s15, s15, (.LBB1_21069-.Lpost_getpc6950)>>32
	s_setpc_b64 s[14:15]
.LBB1_6733:
	s_or_saveexec_b64 s[6:7], s[6:7]
	v_mov_b32_e32 v6, s10
	s_xor_b64 exec, exec, s[6:7]
	s_cbranch_execz .LBB1_6734
; %bb.42575:
	s_getpc_b64 s[14:15]
.Lpost_getpc6951:
	s_add_u32 s14, s14, (.LBB1_21072-.Lpost_getpc6951)&4294967295
	s_addc_u32 s15, s15, (.LBB1_21072-.Lpost_getpc6951)>>32
	s_setpc_b64 s[14:15]
.LBB1_6734:
	s_or_b64 exec, exec, s[6:7]
	s_and_saveexec_b64 s[6:7], s[4:5]
	s_cbranch_execz .LBB1_6736
.LBB1_6735:
	v_bfe_u32 v6, v4, 8, 3
	v_ffbh_u32_e32 v12, v6
	v_min_u32_e32 v12, 32, v12
	v_lshrrev_b16_e32 v7, 3, v3
	v_subrev_u32_e32 v13, 28, v12
	v_and_b32_e32 v7, 15, v7
	v_lshlrev_b32_e32 v3, v13, v3
	v_sub_u32_e32 v12, 29, v12
	v_and_b32_e32 v3, 7, v3
	v_cmp_eq_u16_e32 vcc, 0, v7
	v_cndmask_b32_e32 v3, v6, v3, vcc
	v_cndmask_b32_e32 v6, v7, v12, vcc
	v_lshlrev_b32_e32 v7, 16, v4
	v_mov_b32_e32 v12, 0x3b800000
	v_lshlrev_b32_e32 v3, 20, v3
	v_and_b32_e32 v7, 0x80000000, v7
	v_lshl_add_u32 v6, v6, 23, v12
	v_or3_b32 v6, v7, v6, v3
.LBB1_6736:
	s_or_b64 exec, exec, s[6:7]
	s_nop 0
	v_mfma_f32_16x16x4f32 a[0:3], v2, v6, a[0:3]
	s_movk_i32 s4, 0xff
	v_and_b32_sdwa v3, v8, s4 dst_sel:DWORD dst_unused:UNUSED_PAD src0_sel:WORD_1 src1_sel:DWORD
	s_movk_i32 s4, 0x7f
	v_cmp_lt_i16_e32 vcc, s4, v3
	s_mov_b64 s[4:5], 0
                                        ; implicit-def: $sgpr10
	s_and_saveexec_b64 s[6:7], vcc
	s_xor_b64 s[6:7], exec, s[6:7]
	s_cbranch_execz .LBB1_6737
; %bb.42577:
	s_getpc_b64 s[14:15]
.Lpost_getpc6952:
	s_add_u32 s14, s14, (.LBB1_21073-.Lpost_getpc6952)&4294967295
	s_addc_u32 s15, s15, (.LBB1_21073-.Lpost_getpc6952)>>32
	s_setpc_b64 s[14:15]
.LBB1_6737:
	s_or_saveexec_b64 s[6:7], s[6:7]
	v_mov_b32_e32 v2, s10
	s_xor_b64 exec, exec, s[6:7]
	s_cbranch_execz .LBB1_6738
; %bb.42579:
	s_getpc_b64 s[14:15]
.Lpost_getpc6953:
	s_add_u32 s14, s14, (.LBB1_21076-.Lpost_getpc6953)&4294967295
	s_addc_u32 s15, s15, (.LBB1_21076-.Lpost_getpc6953)>>32
	s_setpc_b64 s[14:15]
.LBB1_6738:
	s_or_b64 exec, exec, s[6:7]
	s_and_saveexec_b64 s[6:7], s[4:5]
	s_cbranch_execz .LBB1_6740
.LBB1_6739:
	v_bfe_u32 v2, v8, 16, 3
	v_ffbh_u32_e32 v7, v2
	v_min_u32_e32 v7, 32, v7
	v_lshrrev_b32_e32 v3, 19, v8
	v_subrev_u32_e32 v12, 28, v7
	v_and_b32_e32 v3, 15, v3
	v_lshlrev_b32_sdwa v12, v12, v8 dst_sel:DWORD dst_unused:UNUSED_PAD src0_sel:DWORD src1_sel:WORD_1
	v_bfe_u32 v6, v8, 19, 4
	v_sub_u32_e32 v7, 29, v7
	v_and_b32_e32 v12, 7, v12
	v_cmp_eq_u16_e32 vcc, 0, v3
	v_cndmask_b32_e32 v2, v2, v12, vcc
	v_cndmask_b32_e32 v3, v6, v7, vcc
	v_lshlrev_b32_e32 v6, 8, v8
	v_mov_b32_e32 v7, 0x3b800000
	v_lshlrev_b32_e32 v2, 20, v2
	v_and_b32_e32 v6, 0x80000000, v6
	v_lshl_add_u32 v3, v3, 23, v7
	v_or3_b32 v2, v6, v3, v2
.LBB1_6740:
	s_or_b64 exec, exec, s[6:7]
	s_movk_i32 s4, 0xff
	v_and_b32_sdwa v3, v4, s4 dst_sel:DWORD dst_unused:UNUSED_PAD src0_sel:WORD_1 src1_sel:DWORD
	s_movk_i32 s4, 0x7f
	v_cmp_lt_i16_e32 vcc, s4, v3
	s_mov_b64 s[4:5], 0
                                        ; implicit-def: $sgpr10
	s_and_saveexec_b64 s[6:7], vcc
	s_xor_b64 s[6:7], exec, s[6:7]
	s_cbranch_execz .LBB1_6741
; %bb.42581:
	s_getpc_b64 s[14:15]
.Lpost_getpc6954:
	s_add_u32 s14, s14, (.LBB1_21077-.Lpost_getpc6954)&4294967295
	s_addc_u32 s15, s15, (.LBB1_21077-.Lpost_getpc6954)>>32
	s_setpc_b64 s[14:15]
.LBB1_6741:
	s_or_saveexec_b64 s[6:7], s[6:7]
	v_mov_b32_e32 v6, s10
	s_xor_b64 exec, exec, s[6:7]
	s_cbranch_execz .LBB1_6742
; %bb.42583:
	s_getpc_b64 s[14:15]
.Lpost_getpc6955:
	s_add_u32 s14, s14, (.LBB1_21080-.Lpost_getpc6955)&4294967295
	s_addc_u32 s15, s15, (.LBB1_21080-.Lpost_getpc6955)>>32
	s_setpc_b64 s[14:15]
.LBB1_6742:
	s_or_b64 exec, exec, s[6:7]
	s_and_saveexec_b64 s[6:7], s[4:5]
	s_cbranch_execz .LBB1_6744
.LBB1_6743:
	v_bfe_u32 v3, v4, 16, 3
	v_ffbh_u32_e32 v12, v3
	v_min_u32_e32 v12, 32, v12
	v_lshrrev_b32_e32 v6, 19, v4
	v_subrev_u32_e32 v13, 28, v12
	v_and_b32_e32 v6, 15, v6
	v_lshlrev_b32_sdwa v13, v13, v4 dst_sel:DWORD dst_unused:UNUSED_PAD src0_sel:DWORD src1_sel:WORD_1
	v_bfe_u32 v7, v4, 19, 4
	v_sub_u32_e32 v12, 29, v12
	v_and_b32_e32 v13, 7, v13
	v_cmp_eq_u16_e32 vcc, 0, v6
	v_cndmask_b32_e32 v3, v3, v13, vcc
	v_cndmask_b32_e32 v6, v7, v12, vcc
	v_lshlrev_b32_e32 v7, 8, v4
	v_mov_b32_e32 v12, 0x3b800000
	v_lshlrev_b32_e32 v3, 20, v3
	v_and_b32_e32 v7, 0x80000000, v7
	v_lshl_add_u32 v6, v6, 23, v12
	v_or3_b32 v6, v7, v6, v3
.LBB1_6744:
	s_or_b64 exec, exec, s[6:7]
	s_nop 0
	v_mfma_f32_16x16x4f32 a[0:3], v2, v6, a[0:3]
	s_movk_i32 s4, 0x7f
	v_cmp_gt_i16_sdwa s[6:7], v8, s4 src0_sel:BYTE_3 src1_sel:DWORD
	s_mov_b64 s[4:5], 0
                                        ; implicit-def: $sgpr10
	s_and_saveexec_b64 s[8:9], s[6:7]
	s_xor_b64 s[6:7], exec, s[8:9]
	s_cbranch_execz .LBB1_6745
; %bb.42585:
	s_getpc_b64 s[14:15]
.Lpost_getpc6956:
	s_add_u32 s14, s14, (.LBB1_21081-.Lpost_getpc6956)&4294967295
	s_addc_u32 s15, s15, (.LBB1_21081-.Lpost_getpc6956)>>32
	s_setpc_b64 s[14:15]
.LBB1_6745:
	s_or_saveexec_b64 s[6:7], s[6:7]
	v_mov_b32_e32 v2, s10
	s_xor_b64 exec, exec, s[6:7]
	s_cbranch_execz .LBB1_6746
; %bb.42587:
	s_getpc_b64 s[14:15]
.Lpost_getpc6957:
	s_add_u32 s14, s14, (.LBB1_21084-.Lpost_getpc6957)&4294967295
	s_addc_u32 s15, s15, (.LBB1_21084-.Lpost_getpc6957)>>32
	s_setpc_b64 s[14:15]
.LBB1_6746:
	s_or_b64 exec, exec, s[6:7]
	s_and_saveexec_b64 s[6:7], s[4:5]
	s_cbranch_execz .LBB1_6748
.LBB1_6747:
	v_bfe_u32 v2, v8, 24, 3
	v_ffbh_u32_e32 v12, v2
	v_min_u32_e32 v12, 32, v12
	v_lshrrev_b32_e32 v6, 27, v8
	v_subrev_u32_e32 v13, 28, v12
	v_and_b32_e32 v3, 0x80000000, v8
	v_and_b32_e32 v6, 15, v6
	v_bfe_u32 v7, v8, 27, 4
	v_lshlrev_b32_sdwa v8, v13, v8 dst_sel:DWORD dst_unused:UNUSED_PAD src0_sel:DWORD src1_sel:BYTE_3
	v_sub_u32_e32 v12, 29, v12
	v_and_b32_e32 v8, 7, v8
	v_cmp_eq_u16_e32 vcc, 0, v6
	v_cndmask_b32_e32 v2, v2, v8, vcc
	v_cndmask_b32_e32 v6, v7, v12, vcc
	v_mov_b32_e32 v7, 0x3b800000
	v_lshlrev_b32_e32 v2, 20, v2
	v_lshl_add_u32 v6, v6, 23, v7
	v_or3_b32 v2, v3, v6, v2
.LBB1_6748:
	s_or_b64 exec, exec, s[6:7]
	s_movk_i32 s4, 0x7f
	v_cmp_gt_i16_sdwa s[6:7], v4, s4 src0_sel:BYTE_3 src1_sel:DWORD
	s_mov_b64 s[4:5], 0
                                        ; implicit-def: $sgpr10
	s_and_saveexec_b64 s[8:9], s[6:7]
	s_xor_b64 s[6:7], exec, s[8:9]
	s_cbranch_execz .LBB1_6749
; %bb.42589:
	s_getpc_b64 s[14:15]
.Lpost_getpc6958:
	s_add_u32 s14, s14, (.LBB1_21085-.Lpost_getpc6958)&4294967295
	s_addc_u32 s15, s15, (.LBB1_21085-.Lpost_getpc6958)>>32
	s_setpc_b64 s[14:15]
.LBB1_6749:
	s_or_saveexec_b64 s[6:7], s[6:7]
	v_mov_b32_e32 v3, s10
	s_xor_b64 exec, exec, s[6:7]
	s_cbranch_execz .LBB1_6750
; %bb.42591:
	s_getpc_b64 s[14:15]
.Lpost_getpc6959:
	s_add_u32 s14, s14, (.LBB1_21088-.Lpost_getpc6959)&4294967295
	s_addc_u32 s15, s15, (.LBB1_21088-.Lpost_getpc6959)>>32
	s_setpc_b64 s[14:15]
.LBB1_6750:
	s_or_b64 exec, exec, s[6:7]
	s_and_saveexec_b64 s[6:7], s[4:5]
	s_cbranch_execz .LBB1_6752
.LBB1_6751:
	v_bfe_u32 v3, v4, 24, 3
	v_ffbh_u32_e32 v12, v3
	v_min_u32_e32 v12, 32, v12
	v_lshrrev_b32_e32 v7, 27, v4
	v_subrev_u32_e32 v13, 28, v12
	v_and_b32_e32 v6, 0x80000000, v4
	v_and_b32_e32 v7, 15, v7
	v_bfe_u32 v8, v4, 27, 4
	v_lshlrev_b32_sdwa v4, v13, v4 dst_sel:DWORD dst_unused:UNUSED_PAD src0_sel:DWORD src1_sel:BYTE_3
	v_sub_u32_e32 v12, 29, v12
	v_and_b32_e32 v4, 7, v4
	v_cmp_eq_u16_e32 vcc, 0, v7
	v_cndmask_b32_e32 v3, v3, v4, vcc
	v_cndmask_b32_e32 v4, v8, v12, vcc
	v_mov_b32_e32 v7, 0x3b800000
	v_lshlrev_b32_e32 v3, 20, v3
	v_lshl_add_u32 v4, v4, 23, v7
	v_or3_b32 v3, v6, v4, v3
.LBB1_6752:
	s_or_b64 exec, exec, s[6:7]
	s_nop 0
	v_mfma_f32_16x16x4f32 a[0:3], v2, v3, a[0:3]
	s_movk_i32 s4, 0x7f
	v_cmp_gt_i16_sdwa s[6:7], v9, s4 src0_sel:BYTE_0 src1_sel:DWORD
	s_mov_b64 s[4:5], 0
                                        ; implicit-def: $sgpr10
	s_and_saveexec_b64 s[8:9], s[6:7]
	s_xor_b64 s[6:7], exec, s[8:9]
	s_cbranch_execz .LBB1_6753
; %bb.42593:
	s_getpc_b64 s[14:15]
.Lpost_getpc6960:
	s_add_u32 s14, s14, (.LBB1_21089-.Lpost_getpc6960)&4294967295
	s_addc_u32 s15, s15, (.LBB1_21089-.Lpost_getpc6960)>>32
	s_setpc_b64 s[14:15]
.LBB1_6753:
	s_or_saveexec_b64 s[6:7], s[6:7]
	v_mov_b32_e32 v2, s10
	s_xor_b64 exec, exec, s[6:7]
	s_cbranch_execz .LBB1_6754
; %bb.42595:
	s_getpc_b64 s[14:15]
.Lpost_getpc6961:
	s_add_u32 s14, s14, (.LBB1_21092-.Lpost_getpc6961)&4294967295
	s_addc_u32 s15, s15, (.LBB1_21092-.Lpost_getpc6961)>>32
	s_setpc_b64 s[14:15]
.LBB1_6754:
	s_or_b64 exec, exec, s[6:7]
	s_and_saveexec_b64 s[6:7], s[4:5]
	s_cbranch_execz .LBB1_6756
.LBB1_6755:
	v_mov_b32_e32 v2, 8
	v_and_b32_e32 v3, 7, v9
	v_lshrrev_b32_sdwa v2, v2, v9 dst_sel:BYTE_1 dst_unused:UNUSED_PAD src0_sel:DWORD src1_sel:DWORD
	v_ffbh_u32_e32 v4, v3
	v_or_b32_sdwa v2, v9, v2 dst_sel:DWORD dst_unused:UNUSED_PAD src0_sel:BYTE_0 src1_sel:DWORD
	v_min_u32_e32 v4, 32, v4
	v_lshrrev_b16_e32 v2, 3, v2
	v_subrev_u32_e32 v6, 28, v4
	v_and_b32_e32 v2, 15, v2
	v_lshlrev_b32_e32 v6, v6, v9
	v_sub_u32_e32 v4, 29, v4
	v_and_b32_e32 v6, 7, v6
	v_cmp_eq_u16_e32 vcc, 0, v2
	v_cndmask_b32_e32 v3, v3, v6, vcc
	v_cndmask_b32_e32 v2, v2, v4, vcc
	v_lshlrev_b32_e32 v4, 24, v9
	v_mov_b32_e32 v6, 0x3b800000
	v_lshlrev_b32_e32 v3, 20, v3
	v_and_b32_e32 v4, 0x80000000, v4
	v_lshl_add_u32 v2, v2, 23, v6
	v_or3_b32 v2, v4, v2, v3
.LBB1_6756:
	s_or_b64 exec, exec, s[6:7]
	s_movk_i32 s4, 0x7f
	v_cmp_gt_i16_sdwa s[6:7], v5, s4 src0_sel:BYTE_0 src1_sel:DWORD
	s_mov_b64 s[4:5], 0
                                        ; implicit-def: $sgpr10
	s_and_saveexec_b64 s[8:9], s[6:7]
	s_xor_b64 s[6:7], exec, s[8:9]
	s_cbranch_execz .LBB1_6757
; %bb.42597:
	s_getpc_b64 s[14:15]
.Lpost_getpc6962:
	s_add_u32 s14, s14, (.LBB1_21093-.Lpost_getpc6962)&4294967295
	s_addc_u32 s15, s15, (.LBB1_21093-.Lpost_getpc6962)>>32
	s_setpc_b64 s[14:15]
.LBB1_6757:
	s_or_saveexec_b64 s[6:7], s[6:7]
	v_mov_b32_e32 v3, s10
	s_xor_b64 exec, exec, s[6:7]
	s_cbranch_execz .LBB1_6758
; %bb.42599:
	s_getpc_b64 s[14:15]
.Lpost_getpc6963:
	s_add_u32 s14, s14, (.LBB1_21096-.Lpost_getpc6963)&4294967295
	s_addc_u32 s15, s15, (.LBB1_21096-.Lpost_getpc6963)>>32
	s_setpc_b64 s[14:15]
.LBB1_6758:
	s_or_b64 exec, exec, s[6:7]
	s_and_saveexec_b64 s[6:7], s[4:5]
	s_cbranch_execz .LBB1_6760
.LBB1_6759:
	v_mov_b32_e32 v3, 8
	v_and_b32_e32 v4, 7, v5
	v_lshrrev_b32_sdwa v3, v3, v5 dst_sel:BYTE_1 dst_unused:UNUSED_PAD src0_sel:DWORD src1_sel:DWORD
	v_ffbh_u32_e32 v6, v4
	v_or_b32_sdwa v3, v5, v3 dst_sel:DWORD dst_unused:UNUSED_PAD src0_sel:BYTE_0 src1_sel:DWORD
	v_min_u32_e32 v6, 32, v6
	v_lshrrev_b16_e32 v3, 3, v3
	v_subrev_u32_e32 v7, 28, v6
	v_and_b32_e32 v3, 15, v3
	v_lshlrev_b32_e32 v7, v7, v5
	v_sub_u32_e32 v6, 29, v6
	v_and_b32_e32 v7, 7, v7
	v_cmp_eq_u16_e32 vcc, 0, v3
	v_cndmask_b32_e32 v4, v4, v7, vcc
	v_cndmask_b32_e32 v3, v3, v6, vcc
	v_lshlrev_b32_e32 v6, 24, v5
	v_mov_b32_e32 v7, 0x3b800000
	v_lshlrev_b32_e32 v4, 20, v4
	v_and_b32_e32 v6, 0x80000000, v6
	v_lshl_add_u32 v3, v3, 23, v7
	v_or3_b32 v3, v6, v3, v4
.LBB1_6760:
	s_or_b64 exec, exec, s[6:7]
	s_nop 0
	v_mfma_f32_16x16x4f32 a[0:3], v2, v3, a[0:3]
	v_lshrrev_b32_e32 v3, 8, v9
	s_movk_i32 s4, 0x7f
	v_cmp_gt_i16_sdwa s[6:7], v3, s4 src0_sel:BYTE_0 src1_sel:DWORD
	s_mov_b64 s[4:5], 0
                                        ; implicit-def: $sgpr10
	s_and_saveexec_b64 s[8:9], s[6:7]
	s_xor_b64 s[6:7], exec, s[8:9]
	s_cbranch_execz .LBB1_6761
; %bb.42601:
	s_getpc_b64 s[14:15]
.Lpost_getpc6964:
	s_add_u32 s14, s14, (.LBB1_21097-.Lpost_getpc6964)&4294967295
	s_addc_u32 s15, s15, (.LBB1_21097-.Lpost_getpc6964)>>32
	s_setpc_b64 s[14:15]
.LBB1_6761:
	s_or_saveexec_b64 s[6:7], s[6:7]
	v_mov_b32_e32 v2, s10
	s_xor_b64 exec, exec, s[6:7]
	s_cbranch_execz .LBB1_6762
; %bb.42603:
	s_getpc_b64 s[14:15]
.Lpost_getpc6965:
	s_add_u32 s14, s14, (.LBB1_21100-.Lpost_getpc6965)&4294967295
	s_addc_u32 s15, s15, (.LBB1_21100-.Lpost_getpc6965)>>32
	s_setpc_b64 s[14:15]
.LBB1_6762:
	s_or_b64 exec, exec, s[6:7]
	s_and_saveexec_b64 s[6:7], s[4:5]
	s_cbranch_execz .LBB1_6764
.LBB1_6763:
	v_bfe_u32 v2, v9, 8, 3
	v_ffbh_u32_e32 v6, v2
	v_min_u32_e32 v6, 32, v6
	v_lshrrev_b16_e32 v4, 3, v3
	v_subrev_u32_e32 v7, 28, v6
	v_and_b32_e32 v4, 15, v4
	v_lshlrev_b32_e32 v3, v7, v3
	v_sub_u32_e32 v6, 29, v6
	v_and_b32_e32 v3, 7, v3
	v_cmp_eq_u16_e32 vcc, 0, v4
	v_cndmask_b32_e32 v2, v2, v3, vcc
	v_cndmask_b32_e32 v3, v4, v6, vcc
	v_lshlrev_b32_e32 v4, 16, v9
	v_mov_b32_e32 v6, 0x3b800000
	v_lshlrev_b32_e32 v2, 20, v2
	v_and_b32_e32 v4, 0x80000000, v4
	v_lshl_add_u32 v3, v3, 23, v6
	v_or3_b32 v2, v4, v3, v2
.LBB1_6764:
	s_or_b64 exec, exec, s[6:7]
	v_lshrrev_b32_e32 v3, 8, v5
	s_movk_i32 s4, 0x7f
	v_cmp_gt_i16_sdwa s[6:7], v3, s4 src0_sel:BYTE_0 src1_sel:DWORD
	s_mov_b64 s[4:5], 0
                                        ; implicit-def: $sgpr10
	s_and_saveexec_b64 s[8:9], s[6:7]
	s_xor_b64 s[6:7], exec, s[8:9]
	s_cbranch_execz .LBB1_6765
; %bb.42605:
	s_getpc_b64 s[14:15]
.Lpost_getpc6966:
	s_add_u32 s14, s14, (.LBB1_21101-.Lpost_getpc6966)&4294967295
	s_addc_u32 s15, s15, (.LBB1_21101-.Lpost_getpc6966)>>32
	s_setpc_b64 s[14:15]
.LBB1_6765:
	s_or_saveexec_b64 s[6:7], s[6:7]
	v_mov_b32_e32 v4, s10
	s_xor_b64 exec, exec, s[6:7]
	s_cbranch_execz .LBB1_6766
; %bb.42607:
	s_getpc_b64 s[14:15]
.Lpost_getpc6967:
	s_add_u32 s14, s14, (.LBB1_21104-.Lpost_getpc6967)&4294967295
	s_addc_u32 s15, s15, (.LBB1_21104-.Lpost_getpc6967)>>32
	s_setpc_b64 s[14:15]
.LBB1_6766:
	s_or_b64 exec, exec, s[6:7]
	s_and_saveexec_b64 s[6:7], s[4:5]
	s_cbranch_execz .LBB1_6768
.LBB1_6767:
	v_bfe_u32 v4, v5, 8, 3
	v_ffbh_u32_e32 v7, v4
	v_min_u32_e32 v7, 32, v7
	v_lshrrev_b16_e32 v6, 3, v3
	v_subrev_u32_e32 v8, 28, v7
	v_and_b32_e32 v6, 15, v6
	v_lshlrev_b32_e32 v3, v8, v3
	v_sub_u32_e32 v7, 29, v7
	v_and_b32_e32 v3, 7, v3
	v_cmp_eq_u16_e32 vcc, 0, v6
	v_cndmask_b32_e32 v3, v4, v3, vcc
	v_cndmask_b32_e32 v4, v6, v7, vcc
	v_lshlrev_b32_e32 v6, 16, v5
	v_mov_b32_e32 v7, 0x3b800000
	v_lshlrev_b32_e32 v3, 20, v3
	v_and_b32_e32 v6, 0x80000000, v6
	v_lshl_add_u32 v4, v4, 23, v7
	v_or3_b32 v4, v6, v4, v3
.LBB1_6768:
	s_or_b64 exec, exec, s[6:7]
	s_nop 0
	v_mfma_f32_16x16x4f32 a[0:3], v2, v4, a[0:3]
	s_movk_i32 s4, 0xff
	v_and_b32_sdwa v3, v9, s4 dst_sel:DWORD dst_unused:UNUSED_PAD src0_sel:WORD_1 src1_sel:DWORD
	s_movk_i32 s4, 0x7f
	v_cmp_lt_i16_e32 vcc, s4, v3
	s_mov_b64 s[4:5], 0
                                        ; implicit-def: $sgpr10
	s_and_saveexec_b64 s[6:7], vcc
	s_xor_b64 s[6:7], exec, s[6:7]
	s_cbranch_execz .LBB1_6769
; %bb.42609:
	s_getpc_b64 s[14:15]
.Lpost_getpc6968:
	s_add_u32 s14, s14, (.LBB1_21105-.Lpost_getpc6968)&4294967295
	s_addc_u32 s15, s15, (.LBB1_21105-.Lpost_getpc6968)>>32
	s_setpc_b64 s[14:15]
.LBB1_6769:
	s_or_saveexec_b64 s[6:7], s[6:7]
	v_mov_b32_e32 v2, s10
	s_xor_b64 exec, exec, s[6:7]
	s_cbranch_execz .LBB1_6770
; %bb.42611:
	s_getpc_b64 s[14:15]
.Lpost_getpc6969:
	s_add_u32 s14, s14, (.LBB1_21108-.Lpost_getpc6969)&4294967295
	s_addc_u32 s15, s15, (.LBB1_21108-.Lpost_getpc6969)>>32
	s_setpc_b64 s[14:15]
.LBB1_6770:
	s_or_b64 exec, exec, s[6:7]
	s_and_saveexec_b64 s[6:7], s[4:5]
	s_cbranch_execz .LBB1_6772
.LBB1_6771:
	v_bfe_u32 v2, v9, 16, 3
	v_ffbh_u32_e32 v6, v2
	v_min_u32_e32 v6, 32, v6
	v_lshrrev_b32_e32 v3, 19, v9
	v_subrev_u32_e32 v7, 28, v6
	v_and_b32_e32 v3, 15, v3
	v_lshlrev_b32_sdwa v7, v7, v9 dst_sel:DWORD dst_unused:UNUSED_PAD src0_sel:DWORD src1_sel:WORD_1
	v_bfe_u32 v4, v9, 19, 4
	v_sub_u32_e32 v6, 29, v6
	v_and_b32_e32 v7, 7, v7
	v_cmp_eq_u16_e32 vcc, 0, v3
	v_cndmask_b32_e32 v2, v2, v7, vcc
	v_cndmask_b32_e32 v3, v4, v6, vcc
	v_lshlrev_b32_e32 v4, 8, v9
	v_mov_b32_e32 v6, 0x3b800000
	v_lshlrev_b32_e32 v2, 20, v2
	v_and_b32_e32 v4, 0x80000000, v4
	v_lshl_add_u32 v3, v3, 23, v6
	v_or3_b32 v2, v4, v3, v2
.LBB1_6772:
	s_or_b64 exec, exec, s[6:7]
	s_movk_i32 s4, 0xff
	v_and_b32_sdwa v3, v5, s4 dst_sel:DWORD dst_unused:UNUSED_PAD src0_sel:WORD_1 src1_sel:DWORD
	s_movk_i32 s4, 0x7f
	v_cmp_lt_i16_e32 vcc, s4, v3
	s_mov_b64 s[4:5], 0
                                        ; implicit-def: $sgpr10
	s_and_saveexec_b64 s[6:7], vcc
	s_xor_b64 s[6:7], exec, s[6:7]
	s_cbranch_execz .LBB1_6773
; %bb.42613:
	s_getpc_b64 s[14:15]
.Lpost_getpc6970:
	s_add_u32 s14, s14, (.LBB1_21109-.Lpost_getpc6970)&4294967295
	s_addc_u32 s15, s15, (.LBB1_21109-.Lpost_getpc6970)>>32
	s_setpc_b64 s[14:15]
.LBB1_6773:
	s_or_saveexec_b64 s[6:7], s[6:7]
	v_mov_b32_e32 v4, s10
	s_xor_b64 exec, exec, s[6:7]
	s_cbranch_execz .LBB1_6774
; %bb.42615:
	s_getpc_b64 s[14:15]
.Lpost_getpc6971:
	s_add_u32 s14, s14, (.LBB1_21112-.Lpost_getpc6971)&4294967295
	s_addc_u32 s15, s15, (.LBB1_21112-.Lpost_getpc6971)>>32
	s_setpc_b64 s[14:15]
.LBB1_6774:
	s_or_b64 exec, exec, s[6:7]
	s_and_saveexec_b64 s[6:7], s[4:5]
	s_cbranch_execz .LBB1_6776
.LBB1_6775:
	v_bfe_u32 v3, v5, 16, 3
	v_ffbh_u32_e32 v7, v3
	v_min_u32_e32 v7, 32, v7
	v_lshrrev_b32_e32 v4, 19, v5
	v_subrev_u32_e32 v8, 28, v7
	v_and_b32_e32 v4, 15, v4
	v_lshlrev_b32_sdwa v8, v8, v5 dst_sel:DWORD dst_unused:UNUSED_PAD src0_sel:DWORD src1_sel:WORD_1
	v_bfe_u32 v6, v5, 19, 4
	v_sub_u32_e32 v7, 29, v7
	v_and_b32_e32 v8, 7, v8
	v_cmp_eq_u16_e32 vcc, 0, v4
	v_cndmask_b32_e32 v3, v3, v8, vcc
	v_cndmask_b32_e32 v4, v6, v7, vcc
	v_lshlrev_b32_e32 v6, 8, v5
	v_mov_b32_e32 v7, 0x3b800000
	v_lshlrev_b32_e32 v3, 20, v3
	v_and_b32_e32 v6, 0x80000000, v6
	v_lshl_add_u32 v4, v4, 23, v7
	v_or3_b32 v4, v6, v4, v3
.LBB1_6776:
	s_or_b64 exec, exec, s[6:7]
	s_nop 0
	v_mfma_f32_16x16x4f32 a[0:3], v2, v4, a[0:3]
	s_movk_i32 s4, 0x7f
	v_cmp_gt_i16_sdwa s[6:7], v9, s4 src0_sel:BYTE_3 src1_sel:DWORD
	s_mov_b64 s[4:5], 0
                                        ; implicit-def: $sgpr10
	s_and_saveexec_b64 s[8:9], s[6:7]
	s_xor_b64 s[6:7], exec, s[8:9]
	s_cbranch_execz .LBB1_6777
; %bb.42617:
	s_getpc_b64 s[14:15]
.Lpost_getpc6972:
	s_add_u32 s14, s14, (.LBB1_21113-.Lpost_getpc6972)&4294967295
	s_addc_u32 s15, s15, (.LBB1_21113-.Lpost_getpc6972)>>32
	s_setpc_b64 s[14:15]
.LBB1_6777:
	s_or_saveexec_b64 s[6:7], s[6:7]
	v_mov_b32_e32 v2, s10
	s_xor_b64 exec, exec, s[6:7]
	s_cbranch_execz .LBB1_6778
; %bb.42619:
	s_getpc_b64 s[14:15]
.Lpost_getpc6973:
	s_add_u32 s14, s14, (.LBB1_21116-.Lpost_getpc6973)&4294967295
	s_addc_u32 s15, s15, (.LBB1_21116-.Lpost_getpc6973)>>32
	s_setpc_b64 s[14:15]
.LBB1_6778:
	s_or_b64 exec, exec, s[6:7]
	s_and_saveexec_b64 s[6:7], s[4:5]
	s_cbranch_execz .LBB1_6780
.LBB1_6779:
	v_bfe_u32 v2, v9, 24, 3
	v_ffbh_u32_e32 v7, v2
	v_min_u32_e32 v7, 32, v7
	v_lshrrev_b32_e32 v4, 27, v9
	v_subrev_u32_e32 v8, 28, v7
	v_and_b32_e32 v4, 15, v4
	v_lshlrev_b32_sdwa v8, v8, v9 dst_sel:DWORD dst_unused:UNUSED_PAD src0_sel:DWORD src1_sel:BYTE_3
	v_bfe_u32 v6, v9, 27, 4
	v_sub_u32_e32 v7, 29, v7
	v_and_b32_e32 v8, 7, v8
	v_cmp_eq_u16_e32 vcc, 0, v4
	v_cndmask_b32_e32 v2, v2, v8, vcc
	v_cndmask_b32_e32 v4, v6, v7, vcc
	v_mov_b32_e32 v6, 0x3b800000
	v_and_b32_e32 v3, 0x80000000, v9
	v_lshlrev_b32_e32 v2, 20, v2
	v_lshl_add_u32 v4, v4, 23, v6
	v_or3_b32 v2, v3, v4, v2
.LBB1_6780:
	s_or_b64 exec, exec, s[6:7]
	s_movk_i32 s4, 0x7f
	v_cmp_gt_i16_sdwa s[6:7], v5, s4 src0_sel:BYTE_3 src1_sel:DWORD
	s_mov_b64 s[4:5], 0
                                        ; implicit-def: $sgpr10
	s_and_saveexec_b64 s[8:9], s[6:7]
	s_xor_b64 s[6:7], exec, s[8:9]
	s_cbranch_execz .LBB1_6781
; %bb.42621:
	s_getpc_b64 s[14:15]
.Lpost_getpc6974:
	s_add_u32 s14, s14, (.LBB1_21117-.Lpost_getpc6974)&4294967295
	s_addc_u32 s15, s15, (.LBB1_21117-.Lpost_getpc6974)>>32
	s_setpc_b64 s[14:15]
.LBB1_6781:
	s_or_saveexec_b64 s[6:7], s[6:7]
	v_mov_b32_e32 v3, s10
	s_xor_b64 exec, exec, s[6:7]
	s_cbranch_execz .LBB1_6782
; %bb.42623:
	s_getpc_b64 s[14:15]
.Lpost_getpc6975:
	s_add_u32 s14, s14, (.LBB1_21120-.Lpost_getpc6975)&4294967295
	s_addc_u32 s15, s15, (.LBB1_21120-.Lpost_getpc6975)>>32
	s_setpc_b64 s[14:15]
.LBB1_6782:
	s_or_b64 exec, exec, s[6:7]
	s_and_saveexec_b64 s[6:7], s[4:5]
	s_cbranch_execz .LBB1_6784
.LBB1_6783:
	v_bfe_u32 v3, v5, 24, 3
	v_ffbh_u32_e32 v8, v3
	v_min_u32_e32 v8, 32, v8
	v_lshrrev_b32_e32 v6, 27, v5
	v_subrev_u32_e32 v9, 28, v8
	v_and_b32_e32 v4, 0x80000000, v5
	v_and_b32_e32 v6, 15, v6
	v_bfe_u32 v7, v5, 27, 4
	v_lshlrev_b32_sdwa v5, v9, v5 dst_sel:DWORD dst_unused:UNUSED_PAD src0_sel:DWORD src1_sel:BYTE_3
	v_sub_u32_e32 v8, 29, v8
	v_and_b32_e32 v5, 7, v5
	v_cmp_eq_u16_e32 vcc, 0, v6
	v_cndmask_b32_e32 v3, v3, v5, vcc
	v_cndmask_b32_e32 v5, v7, v8, vcc
	v_mov_b32_e32 v6, 0x3b800000
	v_lshlrev_b32_e32 v3, 20, v3
	v_lshl_add_u32 v5, v5, 23, v6
	v_or3_b32 v3, v4, v5, v3
.LBB1_6784:
	s_or_b64 exec, exec, s[6:7]
	s_nop 0
	v_mfma_f32_16x16x4f32 a[0:3], v2, v3, a[0:3]
	s_movk_i32 s4, 0x7f
                                        ; implicit-def: $sgpr10
	s_nop 7
	s_nop 1
	flat_store_dwordx4 v[10:11], a[0:3] offset:832
	flat_load_dwordx4 v[12:15], v[0:1]
	s_nop 0
	flat_load_dwordx2 v[10:11], v[0:1] offset:16
	s_waitcnt vmcnt(0) lgkmcnt(0)
	flat_load_dwordx4 v[6:9], v[12:13] offset:96
	flat_load_dwordx4 v[2:5], v[14:15] offset:80
	s_waitcnt vmcnt(0) lgkmcnt(0)
	v_cmp_gt_i16_sdwa s[6:7], v6, s4 src0_sel:BYTE_0 src1_sel:DWORD
	s_mov_b64 s[4:5], 0
	s_and_saveexec_b64 s[8:9], s[6:7]
	s_xor_b64 s[6:7], exec, s[8:9]
	s_cbranch_execz .LBB1_6785
; %bb.42625:
	s_getpc_b64 s[14:15]
.Lpost_getpc6976:
	s_add_u32 s14, s14, (.LBB1_21121-.Lpost_getpc6976)&4294967295
	s_addc_u32 s15, s15, (.LBB1_21121-.Lpost_getpc6976)>>32
	s_setpc_b64 s[14:15]
.LBB1_6785:
	s_or_saveexec_b64 s[6:7], s[6:7]
	v_mov_b32_e32 v12, s10
	s_xor_b64 exec, exec, s[6:7]
	s_cbranch_execz .LBB1_6786
; %bb.42627:
	s_getpc_b64 s[14:15]
.Lpost_getpc6977:
	s_add_u32 s14, s14, (.LBB1_21124-.Lpost_getpc6977)&4294967295
	s_addc_u32 s15, s15, (.LBB1_21124-.Lpost_getpc6977)>>32
	s_setpc_b64 s[14:15]
.LBB1_6786:
	s_or_b64 exec, exec, s[6:7]
	s_and_saveexec_b64 s[6:7], s[4:5]
	s_cbranch_execz .LBB1_6788
.LBB1_6787:
	v_and_b32_e32 v12, 7, v6
	v_ffbh_u32_e32 v14, v12
	v_min_u32_e32 v14, 32, v14
	v_lshrrev_b16_e32 v13, 3, v6
	v_subrev_u32_e32 v15, 28, v14
	v_and_b32_e32 v13, 15, v13
	v_lshlrev_b32_e32 v15, v15, v6
	v_sub_u32_e32 v14, 29, v14
	v_and_b32_e32 v15, 7, v15
	v_cmp_eq_u16_e32 vcc, 0, v13
	v_cndmask_b32_e32 v12, v12, v15, vcc
	v_cndmask_b32_e32 v13, v13, v14, vcc
	v_lshlrev_b32_e32 v14, 24, v6
	v_mov_b32_e32 v15, 0x3b800000
	v_lshlrev_b32_e32 v12, 20, v12
	v_and_b32_e32 v14, 0x80000000, v14
	v_lshl_add_u32 v13, v13, 23, v15
	v_or3_b32 v12, v14, v13, v12
.LBB1_6788:
	s_or_b64 exec, exec, s[6:7]
	s_movk_i32 s4, 0x7f
	v_cmp_gt_i16_sdwa s[6:7], v2, s4 src0_sel:BYTE_0 src1_sel:DWORD
	s_mov_b64 s[4:5], 0
                                        ; implicit-def: $sgpr10
	s_and_saveexec_b64 s[8:9], s[6:7]
	s_xor_b64 s[6:7], exec, s[8:9]
	s_cbranch_execz .LBB1_6789
; %bb.42629:
	s_getpc_b64 s[14:15]
.Lpost_getpc6978:
	s_add_u32 s14, s14, (.LBB1_21125-.Lpost_getpc6978)&4294967295
	s_addc_u32 s15, s15, (.LBB1_21125-.Lpost_getpc6978)>>32
	s_setpc_b64 s[14:15]
.LBB1_6789:
	s_or_saveexec_b64 s[6:7], s[6:7]
	v_mov_b32_e32 v13, s10
	s_xor_b64 exec, exec, s[6:7]
	s_cbranch_execz .LBB1_6790
; %bb.42631:
	s_getpc_b64 s[14:15]
.Lpost_getpc6979:
	s_add_u32 s14, s14, (.LBB1_21128-.Lpost_getpc6979)&4294967295
	s_addc_u32 s15, s15, (.LBB1_21128-.Lpost_getpc6979)>>32
	s_setpc_b64 s[14:15]
.LBB1_6790:
	s_or_b64 exec, exec, s[6:7]
	s_and_saveexec_b64 s[6:7], s[4:5]
	s_cbranch_execz .LBB1_6792
.LBB1_6791:
	v_and_b32_e32 v13, 7, v2
	v_ffbh_u32_e32 v15, v13
	v_min_u32_e32 v15, 32, v15
	v_lshrrev_b16_e32 v14, 3, v2
	v_subrev_u32_e32 v16, 28, v15
	v_and_b32_e32 v14, 15, v14
	v_lshlrev_b32_e32 v16, v16, v2
	v_sub_u32_e32 v15, 29, v15
	v_and_b32_e32 v16, 7, v16
	v_cmp_eq_u16_e32 vcc, 0, v14
	v_cndmask_b32_e32 v13, v13, v16, vcc
	v_cndmask_b32_e32 v14, v14, v15, vcc
	v_lshlrev_b32_e32 v15, 24, v2
	v_mov_b32_e32 v16, 0x3b800000
	v_lshlrev_b32_e32 v13, 20, v13
	v_and_b32_e32 v15, 0x80000000, v15
	v_lshl_add_u32 v14, v14, 23, v16
	v_or3_b32 v13, v15, v14, v13
.LBB1_6792:
	s_or_b64 exec, exec, s[6:7]
	flat_load_dwordx4 a[0:3], v[10:11] offset:848
	s_movk_i32 s4, 0x7f
                                        ; implicit-def: $sgpr10
	s_waitcnt vmcnt(0) lgkmcnt(0)
	v_mfma_f32_16x16x4f32 a[0:3], v12, v13, a[0:3]
	v_lshrrev_b32_e32 v13, 8, v6
	v_cmp_gt_i16_sdwa s[6:7], v13, s4 src0_sel:BYTE_0 src1_sel:DWORD
	s_mov_b64 s[4:5], 0
	s_and_saveexec_b64 s[8:9], s[6:7]
	s_xor_b64 s[6:7], exec, s[8:9]
	s_cbranch_execz .LBB1_6793
; %bb.42633:
	s_getpc_b64 s[14:15]
.Lpost_getpc6980:
	s_add_u32 s14, s14, (.LBB1_21129-.Lpost_getpc6980)&4294967295
	s_addc_u32 s15, s15, (.LBB1_21129-.Lpost_getpc6980)>>32
	s_setpc_b64 s[14:15]
.LBB1_6793:
	s_or_saveexec_b64 s[6:7], s[6:7]
	v_mov_b32_e32 v12, s10
	s_xor_b64 exec, exec, s[6:7]
	s_cbranch_execz .LBB1_6794
; %bb.42635:
	s_getpc_b64 s[14:15]
.Lpost_getpc6981:
	s_add_u32 s14, s14, (.LBB1_21132-.Lpost_getpc6981)&4294967295
	s_addc_u32 s15, s15, (.LBB1_21132-.Lpost_getpc6981)>>32
	s_setpc_b64 s[14:15]
.LBB1_6794:
	s_or_b64 exec, exec, s[6:7]
	s_and_saveexec_b64 s[6:7], s[4:5]
	s_cbranch_execz .LBB1_6796
.LBB1_6795:
	v_bfe_u32 v12, v6, 8, 3
	v_ffbh_u32_e32 v15, v12
	v_min_u32_e32 v15, 32, v15
	v_lshrrev_b16_e32 v14, 3, v13
	v_subrev_u32_e32 v16, 28, v15
	v_and_b32_e32 v14, 15, v14
	v_lshlrev_b32_e32 v13, v16, v13
	v_sub_u32_e32 v15, 29, v15
	v_and_b32_e32 v13, 7, v13
	v_cmp_eq_u16_e32 vcc, 0, v14
	v_cndmask_b32_e32 v12, v12, v13, vcc
	v_cndmask_b32_e32 v13, v14, v15, vcc
	v_lshlrev_b32_e32 v14, 16, v6
	v_mov_b32_e32 v15, 0x3b800000
	v_lshlrev_b32_e32 v12, 20, v12
	v_and_b32_e32 v14, 0x80000000, v14
	v_lshl_add_u32 v13, v13, 23, v15
	v_or3_b32 v12, v14, v13, v12
.LBB1_6796:
	s_or_b64 exec, exec, s[6:7]
	v_lshrrev_b32_e32 v13, 8, v2
	s_movk_i32 s4, 0x7f
	v_cmp_gt_i16_sdwa s[6:7], v13, s4 src0_sel:BYTE_0 src1_sel:DWORD
	s_mov_b64 s[4:5], 0
                                        ; implicit-def: $sgpr10
	s_and_saveexec_b64 s[8:9], s[6:7]
	s_xor_b64 s[6:7], exec, s[8:9]
	s_cbranch_execz .LBB1_6797
; %bb.42637:
	s_getpc_b64 s[14:15]
.Lpost_getpc6982:
	s_add_u32 s14, s14, (.LBB1_21133-.Lpost_getpc6982)&4294967295
	s_addc_u32 s15, s15, (.LBB1_21133-.Lpost_getpc6982)>>32
	s_setpc_b64 s[14:15]
.LBB1_6797:
	s_or_saveexec_b64 s[6:7], s[6:7]
	v_mov_b32_e32 v14, s10
	s_xor_b64 exec, exec, s[6:7]
	s_cbranch_execz .LBB1_6798
; %bb.42639:
	s_getpc_b64 s[14:15]
.Lpost_getpc6983:
	s_add_u32 s14, s14, (.LBB1_21136-.Lpost_getpc6983)&4294967295
	s_addc_u32 s15, s15, (.LBB1_21136-.Lpost_getpc6983)>>32
	s_setpc_b64 s[14:15]
.LBB1_6798:
	s_or_b64 exec, exec, s[6:7]
	s_and_saveexec_b64 s[6:7], s[4:5]
	s_cbranch_execz .LBB1_6800
.LBB1_6799:
	v_bfe_u32 v14, v2, 8, 3
	v_ffbh_u32_e32 v16, v14
	v_min_u32_e32 v16, 32, v16
	v_lshrrev_b16_e32 v15, 3, v13
	v_subrev_u32_e32 v17, 28, v16
	v_and_b32_e32 v15, 15, v15
	v_lshlrev_b32_e32 v13, v17, v13
	v_sub_u32_e32 v16, 29, v16
	v_and_b32_e32 v13, 7, v13
	v_cmp_eq_u16_e32 vcc, 0, v15
	v_cndmask_b32_e32 v13, v14, v13, vcc
	v_cndmask_b32_e32 v14, v15, v16, vcc
	v_lshlrev_b32_e32 v15, 16, v2
	v_mov_b32_e32 v16, 0x3b800000
	v_lshlrev_b32_e32 v13, 20, v13
	v_and_b32_e32 v15, 0x80000000, v15
	v_lshl_add_u32 v14, v14, 23, v16
	v_or3_b32 v14, v15, v14, v13
.LBB1_6800:
	s_or_b64 exec, exec, s[6:7]
	s_nop 0
	v_mfma_f32_16x16x4f32 a[0:3], v12, v14, a[0:3]
	s_movk_i32 s4, 0xff
	v_and_b32_sdwa v13, v6, s4 dst_sel:DWORD dst_unused:UNUSED_PAD src0_sel:WORD_1 src1_sel:DWORD
	s_movk_i32 s4, 0x7f
	v_cmp_lt_i16_e32 vcc, s4, v13
	s_mov_b64 s[4:5], 0
                                        ; implicit-def: $sgpr10
	s_and_saveexec_b64 s[6:7], vcc
	s_xor_b64 s[6:7], exec, s[6:7]
	s_cbranch_execz .LBB1_6801
; %bb.42641:
	s_getpc_b64 s[14:15]
.Lpost_getpc6984:
	s_add_u32 s14, s14, (.LBB1_21137-.Lpost_getpc6984)&4294967295
	s_addc_u32 s15, s15, (.LBB1_21137-.Lpost_getpc6984)>>32
	s_setpc_b64 s[14:15]
.LBB1_6801:
	s_or_saveexec_b64 s[6:7], s[6:7]
	v_mov_b32_e32 v12, s10
	s_xor_b64 exec, exec, s[6:7]
	s_cbranch_execz .LBB1_6802
; %bb.42643:
	s_getpc_b64 s[14:15]
.Lpost_getpc6985:
	s_add_u32 s14, s14, (.LBB1_21140-.Lpost_getpc6985)&4294967295
	s_addc_u32 s15, s15, (.LBB1_21140-.Lpost_getpc6985)>>32
	s_setpc_b64 s[14:15]
.LBB1_6802:
	s_or_b64 exec, exec, s[6:7]
	s_and_saveexec_b64 s[6:7], s[4:5]
	s_cbranch_execz .LBB1_6804
.LBB1_6803:
	v_bfe_u32 v12, v6, 16, 3
	v_ffbh_u32_e32 v15, v12
	v_min_u32_e32 v15, 32, v15
	v_lshrrev_b32_e32 v13, 19, v6
	v_subrev_u32_e32 v16, 28, v15
	v_and_b32_e32 v13, 15, v13
	v_lshlrev_b32_sdwa v16, v16, v6 dst_sel:DWORD dst_unused:UNUSED_PAD src0_sel:DWORD src1_sel:WORD_1
	v_bfe_u32 v14, v6, 19, 4
	v_sub_u32_e32 v15, 29, v15
	v_and_b32_e32 v16, 7, v16
	v_cmp_eq_u16_e32 vcc, 0, v13
	v_cndmask_b32_e32 v12, v12, v16, vcc
	v_cndmask_b32_e32 v13, v14, v15, vcc
	v_lshlrev_b32_e32 v14, 8, v6
	v_mov_b32_e32 v15, 0x3b800000
	v_lshlrev_b32_e32 v12, 20, v12
	v_and_b32_e32 v14, 0x80000000, v14
	v_lshl_add_u32 v13, v13, 23, v15
	v_or3_b32 v12, v14, v13, v12
.LBB1_6804:
	s_or_b64 exec, exec, s[6:7]
	s_movk_i32 s4, 0xff
	v_and_b32_sdwa v13, v2, s4 dst_sel:DWORD dst_unused:UNUSED_PAD src0_sel:WORD_1 src1_sel:DWORD
	s_movk_i32 s4, 0x7f
	v_cmp_lt_i16_e32 vcc, s4, v13
	s_mov_b64 s[4:5], 0
                                        ; implicit-def: $sgpr10
	s_and_saveexec_b64 s[6:7], vcc
	s_xor_b64 s[6:7], exec, s[6:7]
	s_cbranch_execz .LBB1_6805
; %bb.42645:
	s_getpc_b64 s[14:15]
.Lpost_getpc6986:
	s_add_u32 s14, s14, (.LBB1_21141-.Lpost_getpc6986)&4294967295
	s_addc_u32 s15, s15, (.LBB1_21141-.Lpost_getpc6986)>>32
	s_setpc_b64 s[14:15]
.LBB1_6805:
	s_or_saveexec_b64 s[6:7], s[6:7]
	v_mov_b32_e32 v14, s10
	s_xor_b64 exec, exec, s[6:7]
	s_cbranch_execz .LBB1_6806
; %bb.42647:
	s_getpc_b64 s[14:15]
.Lpost_getpc6987:
	s_add_u32 s14, s14, (.LBB1_21144-.Lpost_getpc6987)&4294967295
	s_addc_u32 s15, s15, (.LBB1_21144-.Lpost_getpc6987)>>32
	s_setpc_b64 s[14:15]
.LBB1_6806:
	s_or_b64 exec, exec, s[6:7]
	s_and_saveexec_b64 s[6:7], s[4:5]
	s_cbranch_execz .LBB1_6808
.LBB1_6807:
	v_bfe_u32 v13, v2, 16, 3
	v_ffbh_u32_e32 v16, v13
	v_min_u32_e32 v16, 32, v16
	v_lshrrev_b32_e32 v14, 19, v2
	v_subrev_u32_e32 v17, 28, v16
	v_and_b32_e32 v14, 15, v14
	v_lshlrev_b32_sdwa v17, v17, v2 dst_sel:DWORD dst_unused:UNUSED_PAD src0_sel:DWORD src1_sel:WORD_1
	v_bfe_u32 v15, v2, 19, 4
	v_sub_u32_e32 v16, 29, v16
	v_and_b32_e32 v17, 7, v17
	v_cmp_eq_u16_e32 vcc, 0, v14
	v_cndmask_b32_e32 v13, v13, v17, vcc
	v_cndmask_b32_e32 v14, v15, v16, vcc
	v_lshlrev_b32_e32 v15, 8, v2
	v_mov_b32_e32 v16, 0x3b800000
	v_lshlrev_b32_e32 v13, 20, v13
	v_and_b32_e32 v15, 0x80000000, v15
	v_lshl_add_u32 v14, v14, 23, v16
	v_or3_b32 v14, v15, v14, v13
.LBB1_6808:
	s_or_b64 exec, exec, s[6:7]
	s_nop 0
	v_mfma_f32_16x16x4f32 a[0:3], v12, v14, a[0:3]
	s_movk_i32 s4, 0x7f
	v_cmp_gt_i16_sdwa s[6:7], v6, s4 src0_sel:BYTE_3 src1_sel:DWORD
	s_mov_b64 s[4:5], 0
                                        ; implicit-def: $sgpr10
	s_and_saveexec_b64 s[8:9], s[6:7]
	s_xor_b64 s[6:7], exec, s[8:9]
	s_cbranch_execz .LBB1_6809
; %bb.42649:
	s_getpc_b64 s[14:15]
.Lpost_getpc6988:
	s_add_u32 s14, s14, (.LBB1_21145-.Lpost_getpc6988)&4294967295
	s_addc_u32 s15, s15, (.LBB1_21145-.Lpost_getpc6988)>>32
	s_setpc_b64 s[14:15]
.LBB1_6809:
	s_or_saveexec_b64 s[6:7], s[6:7]
	v_mov_b32_e32 v12, s10
	s_xor_b64 exec, exec, s[6:7]
	s_cbranch_execz .LBB1_6810
; %bb.42651:
	s_getpc_b64 s[14:15]
.Lpost_getpc6989:
	s_add_u32 s14, s14, (.LBB1_21148-.Lpost_getpc6989)&4294967295
	s_addc_u32 s15, s15, (.LBB1_21148-.Lpost_getpc6989)>>32
	s_setpc_b64 s[14:15]
.LBB1_6810:
	s_or_b64 exec, exec, s[6:7]
	s_and_saveexec_b64 s[6:7], s[4:5]
	s_cbranch_execz .LBB1_6812
.LBB1_6811:
	v_bfe_u32 v12, v6, 24, 3
	v_ffbh_u32_e32 v16, v12
	v_min_u32_e32 v16, 32, v16
	v_lshrrev_b32_e32 v14, 27, v6
	v_subrev_u32_e32 v17, 28, v16
	v_and_b32_e32 v13, 0x80000000, v6
	v_and_b32_e32 v14, 15, v14
	v_bfe_u32 v15, v6, 27, 4
	v_lshlrev_b32_sdwa v6, v17, v6 dst_sel:DWORD dst_unused:UNUSED_PAD src0_sel:DWORD src1_sel:BYTE_3
	v_sub_u32_e32 v16, 29, v16
	v_and_b32_e32 v6, 7, v6
	v_cmp_eq_u16_e32 vcc, 0, v14
	v_cndmask_b32_e32 v6, v12, v6, vcc
	v_cndmask_b32_e32 v12, v15, v16, vcc
	v_mov_b32_e32 v14, 0x3b800000
	v_lshlrev_b32_e32 v6, 20, v6
	v_lshl_add_u32 v12, v12, 23, v14
	v_or3_b32 v12, v13, v12, v6
.LBB1_6812:
	s_or_b64 exec, exec, s[6:7]
	s_movk_i32 s4, 0x7f
	v_cmp_gt_i16_sdwa s[6:7], v2, s4 src0_sel:BYTE_3 src1_sel:DWORD
	s_mov_b64 s[4:5], 0
                                        ; implicit-def: $sgpr10
	s_and_saveexec_b64 s[8:9], s[6:7]
	s_xor_b64 s[6:7], exec, s[8:9]
	s_cbranch_execz .LBB1_6813
; %bb.42653:
	s_getpc_b64 s[14:15]
.Lpost_getpc6990:
	s_add_u32 s14, s14, (.LBB1_21149-.Lpost_getpc6990)&4294967295
	s_addc_u32 s15, s15, (.LBB1_21149-.Lpost_getpc6990)>>32
	s_setpc_b64 s[14:15]
.LBB1_6813:
	s_or_saveexec_b64 s[6:7], s[6:7]
	v_mov_b32_e32 v6, s10
	s_xor_b64 exec, exec, s[6:7]
	s_cbranch_execz .LBB1_6814
; %bb.42655:
	s_getpc_b64 s[14:15]
.Lpost_getpc6991:
	s_add_u32 s14, s14, (.LBB1_21152-.Lpost_getpc6991)&4294967295
	s_addc_u32 s15, s15, (.LBB1_21152-.Lpost_getpc6991)>>32
	s_setpc_b64 s[14:15]
.LBB1_6814:
	s_or_b64 exec, exec, s[6:7]
	s_and_saveexec_b64 s[6:7], s[4:5]
	s_cbranch_execz .LBB1_6816
.LBB1_6815:
	v_bfe_u32 v6, v2, 24, 3
	v_ffbh_u32_e32 v16, v6
	v_min_u32_e32 v16, 32, v16
	v_lshrrev_b32_e32 v14, 27, v2
	v_subrev_u32_e32 v17, 28, v16
	v_and_b32_e32 v13, 0x80000000, v2
	v_and_b32_e32 v14, 15, v14
	v_bfe_u32 v15, v2, 27, 4
	v_lshlrev_b32_sdwa v2, v17, v2 dst_sel:DWORD dst_unused:UNUSED_PAD src0_sel:DWORD src1_sel:BYTE_3
	v_sub_u32_e32 v16, 29, v16
	v_and_b32_e32 v2, 7, v2
	v_cmp_eq_u16_e32 vcc, 0, v14
	v_cndmask_b32_e32 v2, v6, v2, vcc
	v_cndmask_b32_e32 v6, v15, v16, vcc
	v_mov_b32_e32 v14, 0x3b800000
	v_lshlrev_b32_e32 v2, 20, v2
	v_lshl_add_u32 v6, v6, 23, v14
	v_or3_b32 v6, v13, v6, v2
.LBB1_6816:
	s_or_b64 exec, exec, s[6:7]
	s_nop 0
	v_mfma_f32_16x16x4f32 a[0:3], v12, v6, a[0:3]
	s_movk_i32 s4, 0x7f
	v_cmp_gt_i16_sdwa s[6:7], v7, s4 src0_sel:BYTE_0 src1_sel:DWORD
	s_mov_b64 s[4:5], 0
                                        ; implicit-def: $sgpr10
	s_and_saveexec_b64 s[8:9], s[6:7]
	s_xor_b64 s[6:7], exec, s[8:9]
	s_cbranch_execz .LBB1_6817
; %bb.42657:
	s_getpc_b64 s[14:15]
.Lpost_getpc6992:
	s_add_u32 s14, s14, (.LBB1_21153-.Lpost_getpc6992)&4294967295
	s_addc_u32 s15, s15, (.LBB1_21153-.Lpost_getpc6992)>>32
	s_setpc_b64 s[14:15]
.LBB1_6817:
	s_or_saveexec_b64 s[6:7], s[6:7]
	v_mov_b32_e32 v2, s10
	s_xor_b64 exec, exec, s[6:7]
	s_cbranch_execz .LBB1_6818
; %bb.42659:
	s_getpc_b64 s[14:15]
.Lpost_getpc6993:
	s_add_u32 s14, s14, (.LBB1_21156-.Lpost_getpc6993)&4294967295
	s_addc_u32 s15, s15, (.LBB1_21156-.Lpost_getpc6993)>>32
	s_setpc_b64 s[14:15]
.LBB1_6818:
	s_or_b64 exec, exec, s[6:7]
	s_and_saveexec_b64 s[6:7], s[4:5]
	s_cbranch_execz .LBB1_6820
.LBB1_6819:
	v_and_b32_e32 v2, 7, v7
	v_ffbh_u32_e32 v12, v2
	v_min_u32_e32 v12, 32, v12
	v_lshrrev_b16_e32 v6, 3, v7
	v_subrev_u32_e32 v13, 28, v12
	v_and_b32_e32 v6, 15, v6
	v_lshlrev_b32_e32 v13, v13, v7
	v_sub_u32_e32 v12, 29, v12
	v_and_b32_e32 v13, 7, v13
	v_cmp_eq_u16_e32 vcc, 0, v6
	v_cndmask_b32_e32 v2, v2, v13, vcc
	v_cndmask_b32_e32 v6, v6, v12, vcc
	v_lshlrev_b32_e32 v12, 24, v7
	v_mov_b32_e32 v13, 0x3b800000
	v_lshlrev_b32_e32 v2, 20, v2
	v_and_b32_e32 v12, 0x80000000, v12
	v_lshl_add_u32 v6, v6, 23, v13
	v_or3_b32 v2, v12, v6, v2
.LBB1_6820:
	s_or_b64 exec, exec, s[6:7]
	s_movk_i32 s4, 0x7f
	v_cmp_gt_i16_sdwa s[6:7], v3, s4 src0_sel:BYTE_0 src1_sel:DWORD
	s_mov_b64 s[4:5], 0
                                        ; implicit-def: $sgpr10
	s_and_saveexec_b64 s[8:9], s[6:7]
	s_xor_b64 s[6:7], exec, s[8:9]
	s_cbranch_execz .LBB1_6821
; %bb.42661:
	s_getpc_b64 s[14:15]
.Lpost_getpc6994:
	s_add_u32 s14, s14, (.LBB1_21157-.Lpost_getpc6994)&4294967295
	s_addc_u32 s15, s15, (.LBB1_21157-.Lpost_getpc6994)>>32
	s_setpc_b64 s[14:15]
.LBB1_6821:
	s_or_saveexec_b64 s[6:7], s[6:7]
	v_mov_b32_e32 v6, s10
	s_xor_b64 exec, exec, s[6:7]
	s_cbranch_execz .LBB1_6822
; %bb.42663:
	s_getpc_b64 s[14:15]
.Lpost_getpc6995:
	s_add_u32 s14, s14, (.LBB1_21160-.Lpost_getpc6995)&4294967295
	s_addc_u32 s15, s15, (.LBB1_21160-.Lpost_getpc6995)>>32
	s_setpc_b64 s[14:15]
.LBB1_6822:
	s_or_b64 exec, exec, s[6:7]
	s_and_saveexec_b64 s[6:7], s[4:5]
	s_cbranch_execz .LBB1_6824
.LBB1_6823:
	v_and_b32_e32 v6, 7, v3
	v_ffbh_u32_e32 v13, v6
	v_min_u32_e32 v13, 32, v13
	v_lshrrev_b16_e32 v12, 3, v3
	v_subrev_u32_e32 v14, 28, v13
	v_and_b32_e32 v12, 15, v12
	v_lshlrev_b32_e32 v14, v14, v3
	v_sub_u32_e32 v13, 29, v13
	v_and_b32_e32 v14, 7, v14
	v_cmp_eq_u16_e32 vcc, 0, v12
	v_cndmask_b32_e32 v6, v6, v14, vcc
	v_cndmask_b32_e32 v12, v12, v13, vcc
	v_lshlrev_b32_e32 v13, 24, v3
	v_mov_b32_e32 v14, 0x3b800000
	v_lshlrev_b32_e32 v6, 20, v6
	v_and_b32_e32 v13, 0x80000000, v13
	v_lshl_add_u32 v12, v12, 23, v14
	v_or3_b32 v6, v13, v12, v6
.LBB1_6824:
	s_or_b64 exec, exec, s[6:7]
	s_nop 0
	v_mfma_f32_16x16x4f32 a[0:3], v2, v6, a[0:3]
	v_lshrrev_b32_e32 v6, 8, v7
	s_movk_i32 s4, 0x7f
	v_cmp_gt_i16_sdwa s[6:7], v6, s4 src0_sel:BYTE_0 src1_sel:DWORD
	s_mov_b64 s[4:5], 0
                                        ; implicit-def: $sgpr10
	s_and_saveexec_b64 s[8:9], s[6:7]
	s_xor_b64 s[6:7], exec, s[8:9]
	s_cbranch_execz .LBB1_6825
; %bb.42665:
	s_getpc_b64 s[14:15]
.Lpost_getpc6996:
	s_add_u32 s14, s14, (.LBB1_21161-.Lpost_getpc6996)&4294967295
	s_addc_u32 s15, s15, (.LBB1_21161-.Lpost_getpc6996)>>32
	s_setpc_b64 s[14:15]
.LBB1_6825:
	s_or_saveexec_b64 s[6:7], s[6:7]
	v_mov_b32_e32 v2, s10
	s_xor_b64 exec, exec, s[6:7]
	s_cbranch_execz .LBB1_6826
; %bb.42667:
	s_getpc_b64 s[14:15]
.Lpost_getpc6997:
	s_add_u32 s14, s14, (.LBB1_21164-.Lpost_getpc6997)&4294967295
	s_addc_u32 s15, s15, (.LBB1_21164-.Lpost_getpc6997)>>32
	s_setpc_b64 s[14:15]
.LBB1_6826:
	s_or_b64 exec, exec, s[6:7]
	s_and_saveexec_b64 s[6:7], s[4:5]
	s_cbranch_execz .LBB1_6828
.LBB1_6827:
	v_bfe_u32 v2, v7, 8, 3
	v_ffbh_u32_e32 v13, v2
	v_min_u32_e32 v13, 32, v13
	v_lshrrev_b16_e32 v12, 3, v6
	v_subrev_u32_e32 v14, 28, v13
	v_and_b32_e32 v12, 15, v12
	v_lshlrev_b32_e32 v6, v14, v6
	v_sub_u32_e32 v13, 29, v13
	v_and_b32_e32 v6, 7, v6
	v_cmp_eq_u16_e32 vcc, 0, v12
	v_cndmask_b32_e32 v2, v2, v6, vcc
	v_cndmask_b32_e32 v6, v12, v13, vcc
	v_lshlrev_b32_e32 v12, 16, v7
	v_mov_b32_e32 v13, 0x3b800000
	v_lshlrev_b32_e32 v2, 20, v2
	v_and_b32_e32 v12, 0x80000000, v12
	v_lshl_add_u32 v6, v6, 23, v13
	v_or3_b32 v2, v12, v6, v2
.LBB1_6828:
	s_or_b64 exec, exec, s[6:7]
	v_lshrrev_b32_e32 v6, 8, v3
	s_movk_i32 s4, 0x7f
	v_cmp_gt_i16_sdwa s[6:7], v6, s4 src0_sel:BYTE_0 src1_sel:DWORD
	s_mov_b64 s[4:5], 0
                                        ; implicit-def: $sgpr10
	s_and_saveexec_b64 s[8:9], s[6:7]
	s_xor_b64 s[6:7], exec, s[8:9]
	s_cbranch_execz .LBB1_6829
; %bb.42669:
	s_getpc_b64 s[14:15]
.Lpost_getpc6998:
	s_add_u32 s14, s14, (.LBB1_21165-.Lpost_getpc6998)&4294967295
	s_addc_u32 s15, s15, (.LBB1_21165-.Lpost_getpc6998)>>32
	s_setpc_b64 s[14:15]
.LBB1_6829:
	s_or_saveexec_b64 s[6:7], s[6:7]
	v_mov_b32_e32 v12, s10
	s_xor_b64 exec, exec, s[6:7]
	s_cbranch_execz .LBB1_6830
; %bb.42671:
	s_getpc_b64 s[14:15]
.Lpost_getpc6999:
	s_add_u32 s14, s14, (.LBB1_21168-.Lpost_getpc6999)&4294967295
	s_addc_u32 s15, s15, (.LBB1_21168-.Lpost_getpc6999)>>32
	s_setpc_b64 s[14:15]
.LBB1_6830:
	s_or_b64 exec, exec, s[6:7]
	s_and_saveexec_b64 s[6:7], s[4:5]
	s_cbranch_execz .LBB1_6832
.LBB1_6831:
	v_bfe_u32 v12, v3, 8, 3
	v_ffbh_u32_e32 v14, v12
	v_min_u32_e32 v14, 32, v14
	v_lshrrev_b16_e32 v13, 3, v6
	v_subrev_u32_e32 v15, 28, v14
	v_and_b32_e32 v13, 15, v13
	v_lshlrev_b32_e32 v6, v15, v6
	v_sub_u32_e32 v14, 29, v14
	v_and_b32_e32 v6, 7, v6
	v_cmp_eq_u16_e32 vcc, 0, v13
	v_cndmask_b32_e32 v6, v12, v6, vcc
	v_cndmask_b32_e32 v12, v13, v14, vcc
	v_lshlrev_b32_e32 v13, 16, v3
	v_mov_b32_e32 v14, 0x3b800000
	v_lshlrev_b32_e32 v6, 20, v6
	v_and_b32_e32 v13, 0x80000000, v13
	v_lshl_add_u32 v12, v12, 23, v14
	v_or3_b32 v12, v13, v12, v6
.LBB1_6832:
	s_or_b64 exec, exec, s[6:7]
	s_nop 0
	v_mfma_f32_16x16x4f32 a[0:3], v2, v12, a[0:3]
	s_movk_i32 s4, 0xff
	v_and_b32_sdwa v6, v7, s4 dst_sel:DWORD dst_unused:UNUSED_PAD src0_sel:WORD_1 src1_sel:DWORD
	s_movk_i32 s4, 0x7f
	v_cmp_lt_i16_e32 vcc, s4, v6
	s_mov_b64 s[4:5], 0
                                        ; implicit-def: $sgpr10
	s_and_saveexec_b64 s[6:7], vcc
	s_xor_b64 s[6:7], exec, s[6:7]
	s_cbranch_execz .LBB1_6833
; %bb.42673:
	s_getpc_b64 s[14:15]
.Lpost_getpc7000:
	s_add_u32 s14, s14, (.LBB1_21169-.Lpost_getpc7000)&4294967295
	s_addc_u32 s15, s15, (.LBB1_21169-.Lpost_getpc7000)>>32
	s_setpc_b64 s[14:15]
.LBB1_6833:
	s_or_saveexec_b64 s[6:7], s[6:7]
	v_mov_b32_e32 v2, s10
	s_xor_b64 exec, exec, s[6:7]
	s_cbranch_execz .LBB1_6834
; %bb.42675:
	s_getpc_b64 s[14:15]
.Lpost_getpc7001:
	s_add_u32 s14, s14, (.LBB1_21172-.Lpost_getpc7001)&4294967295
	s_addc_u32 s15, s15, (.LBB1_21172-.Lpost_getpc7001)>>32
	s_setpc_b64 s[14:15]
.LBB1_6834:
	s_or_b64 exec, exec, s[6:7]
	s_and_saveexec_b64 s[6:7], s[4:5]
	s_cbranch_execz .LBB1_6836
.LBB1_6835:
	v_bfe_u32 v2, v7, 16, 3
	v_ffbh_u32_e32 v13, v2
	v_min_u32_e32 v13, 32, v13
	v_lshrrev_b32_e32 v6, 19, v7
	v_subrev_u32_e32 v14, 28, v13
	v_and_b32_e32 v6, 15, v6
	v_lshlrev_b32_sdwa v14, v14, v7 dst_sel:DWORD dst_unused:UNUSED_PAD src0_sel:DWORD src1_sel:WORD_1
	v_bfe_u32 v12, v7, 19, 4
	v_sub_u32_e32 v13, 29, v13
	v_and_b32_e32 v14, 7, v14
	v_cmp_eq_u16_e32 vcc, 0, v6
	v_cndmask_b32_e32 v2, v2, v14, vcc
	v_cndmask_b32_e32 v6, v12, v13, vcc
	v_lshlrev_b32_e32 v12, 8, v7
	v_mov_b32_e32 v13, 0x3b800000
	v_lshlrev_b32_e32 v2, 20, v2
	v_and_b32_e32 v12, 0x80000000, v12
	v_lshl_add_u32 v6, v6, 23, v13
	v_or3_b32 v2, v12, v6, v2
.LBB1_6836:
	s_or_b64 exec, exec, s[6:7]
	s_movk_i32 s4, 0xff
	v_and_b32_sdwa v6, v3, s4 dst_sel:DWORD dst_unused:UNUSED_PAD src0_sel:WORD_1 src1_sel:DWORD
	s_movk_i32 s4, 0x7f
	v_cmp_lt_i16_e32 vcc, s4, v6
	s_mov_b64 s[4:5], 0
                                        ; implicit-def: $sgpr10
	s_and_saveexec_b64 s[6:7], vcc
	s_xor_b64 s[6:7], exec, s[6:7]
	s_cbranch_execz .LBB1_6837
; %bb.42677:
	s_getpc_b64 s[14:15]
.Lpost_getpc7002:
	s_add_u32 s14, s14, (.LBB1_21173-.Lpost_getpc7002)&4294967295
	s_addc_u32 s15, s15, (.LBB1_21173-.Lpost_getpc7002)>>32
	s_setpc_b64 s[14:15]
.LBB1_6837:
	s_or_saveexec_b64 s[6:7], s[6:7]
	v_mov_b32_e32 v12, s10
	s_xor_b64 exec, exec, s[6:7]
	s_cbranch_execz .LBB1_6838
; %bb.42679:
	s_getpc_b64 s[14:15]
.Lpost_getpc7003:
	s_add_u32 s14, s14, (.LBB1_21176-.Lpost_getpc7003)&4294967295
	s_addc_u32 s15, s15, (.LBB1_21176-.Lpost_getpc7003)>>32
	s_setpc_b64 s[14:15]
.LBB1_6838:
	s_or_b64 exec, exec, s[6:7]
	s_and_saveexec_b64 s[6:7], s[4:5]
	s_cbranch_execz .LBB1_6840
.LBB1_6839:
	v_bfe_u32 v6, v3, 16, 3
	v_ffbh_u32_e32 v14, v6
	v_min_u32_e32 v14, 32, v14
	v_lshrrev_b32_e32 v12, 19, v3
	v_subrev_u32_e32 v15, 28, v14
	v_and_b32_e32 v12, 15, v12
	v_lshlrev_b32_sdwa v15, v15, v3 dst_sel:DWORD dst_unused:UNUSED_PAD src0_sel:DWORD src1_sel:WORD_1
	v_bfe_u32 v13, v3, 19, 4
	v_sub_u32_e32 v14, 29, v14
	v_and_b32_e32 v15, 7, v15
	v_cmp_eq_u16_e32 vcc, 0, v12
	v_cndmask_b32_e32 v6, v6, v15, vcc
	v_cndmask_b32_e32 v12, v13, v14, vcc
	v_lshlrev_b32_e32 v13, 8, v3
	v_mov_b32_e32 v14, 0x3b800000
	v_lshlrev_b32_e32 v6, 20, v6
	v_and_b32_e32 v13, 0x80000000, v13
	v_lshl_add_u32 v12, v12, 23, v14
	v_or3_b32 v12, v13, v12, v6
.LBB1_6840:
	s_or_b64 exec, exec, s[6:7]
	s_nop 0
	v_mfma_f32_16x16x4f32 a[0:3], v2, v12, a[0:3]
	s_movk_i32 s4, 0x7f
	v_cmp_gt_i16_sdwa s[6:7], v7, s4 src0_sel:BYTE_3 src1_sel:DWORD
	s_mov_b64 s[4:5], 0
                                        ; implicit-def: $sgpr10
	s_and_saveexec_b64 s[8:9], s[6:7]
	s_xor_b64 s[6:7], exec, s[8:9]
	s_cbranch_execz .LBB1_6841
; %bb.42681:
	s_getpc_b64 s[14:15]
.Lpost_getpc7004:
	s_add_u32 s14, s14, (.LBB1_21177-.Lpost_getpc7004)&4294967295
	s_addc_u32 s15, s15, (.LBB1_21177-.Lpost_getpc7004)>>32
	s_setpc_b64 s[14:15]
.LBB1_6841:
	s_or_saveexec_b64 s[6:7], s[6:7]
	v_mov_b32_e32 v2, s10
	s_xor_b64 exec, exec, s[6:7]
	s_cbranch_execz .LBB1_6842
; %bb.42683:
	s_getpc_b64 s[14:15]
.Lpost_getpc7005:
	s_add_u32 s14, s14, (.LBB1_21180-.Lpost_getpc7005)&4294967295
	s_addc_u32 s15, s15, (.LBB1_21180-.Lpost_getpc7005)>>32
	s_setpc_b64 s[14:15]
.LBB1_6842:
	s_or_b64 exec, exec, s[6:7]
	s_and_saveexec_b64 s[6:7], s[4:5]
	s_cbranch_execz .LBB1_6844
.LBB1_6843:
	v_bfe_u32 v2, v7, 24, 3
	v_ffbh_u32_e32 v14, v2
	v_min_u32_e32 v14, 32, v14
	v_lshrrev_b32_e32 v12, 27, v7
	v_subrev_u32_e32 v15, 28, v14
	v_and_b32_e32 v6, 0x80000000, v7
	v_and_b32_e32 v12, 15, v12
	v_bfe_u32 v13, v7, 27, 4
	v_lshlrev_b32_sdwa v7, v15, v7 dst_sel:DWORD dst_unused:UNUSED_PAD src0_sel:DWORD src1_sel:BYTE_3
	v_sub_u32_e32 v14, 29, v14
	v_and_b32_e32 v7, 7, v7
	v_cmp_eq_u16_e32 vcc, 0, v12
	v_cndmask_b32_e32 v2, v2, v7, vcc
	v_cndmask_b32_e32 v7, v13, v14, vcc
	v_mov_b32_e32 v12, 0x3b800000
	v_lshlrev_b32_e32 v2, 20, v2
	v_lshl_add_u32 v7, v7, 23, v12
	v_or3_b32 v2, v6, v7, v2
.LBB1_6844:
	s_or_b64 exec, exec, s[6:7]
	s_movk_i32 s4, 0x7f
	v_cmp_gt_i16_sdwa s[6:7], v3, s4 src0_sel:BYTE_3 src1_sel:DWORD
	s_mov_b64 s[4:5], 0
                                        ; implicit-def: $sgpr10
	s_and_saveexec_b64 s[8:9], s[6:7]
	s_xor_b64 s[6:7], exec, s[8:9]
	s_cbranch_execz .LBB1_6845
; %bb.42685:
	s_getpc_b64 s[14:15]
.Lpost_getpc7006:
	s_add_u32 s14, s14, (.LBB1_21181-.Lpost_getpc7006)&4294967295
	s_addc_u32 s15, s15, (.LBB1_21181-.Lpost_getpc7006)>>32
	s_setpc_b64 s[14:15]
.LBB1_6845:
	s_or_saveexec_b64 s[6:7], s[6:7]
	v_mov_b32_e32 v6, s10
	s_xor_b64 exec, exec, s[6:7]
	s_cbranch_execz .LBB1_6846
; %bb.42687:
	s_getpc_b64 s[14:15]
.Lpost_getpc7007:
	s_add_u32 s14, s14, (.LBB1_21184-.Lpost_getpc7007)&4294967295
	s_addc_u32 s15, s15, (.LBB1_21184-.Lpost_getpc7007)>>32
	s_setpc_b64 s[14:15]
.LBB1_6846:
	s_or_b64 exec, exec, s[6:7]
	s_and_saveexec_b64 s[6:7], s[4:5]
	s_cbranch_execz .LBB1_6848
.LBB1_6847:
	v_bfe_u32 v6, v3, 24, 3
	v_ffbh_u32_e32 v14, v6
	v_min_u32_e32 v14, 32, v14
	v_lshrrev_b32_e32 v12, 27, v3
	v_subrev_u32_e32 v15, 28, v14
	v_and_b32_e32 v7, 0x80000000, v3
	v_and_b32_e32 v12, 15, v12
	v_bfe_u32 v13, v3, 27, 4
	v_lshlrev_b32_sdwa v3, v15, v3 dst_sel:DWORD dst_unused:UNUSED_PAD src0_sel:DWORD src1_sel:BYTE_3
	v_sub_u32_e32 v14, 29, v14
	v_and_b32_e32 v3, 7, v3
	v_cmp_eq_u16_e32 vcc, 0, v12
	v_cndmask_b32_e32 v3, v6, v3, vcc
	v_cndmask_b32_e32 v6, v13, v14, vcc
	v_mov_b32_e32 v12, 0x3b800000
	v_lshlrev_b32_e32 v3, 20, v3
	v_lshl_add_u32 v6, v6, 23, v12
	v_or3_b32 v6, v7, v6, v3
.LBB1_6848:
	s_or_b64 exec, exec, s[6:7]
	s_nop 0
	v_mfma_f32_16x16x4f32 a[0:3], v2, v6, a[0:3]
	s_movk_i32 s4, 0x7f
	v_cmp_gt_i16_sdwa s[6:7], v8, s4 src0_sel:BYTE_0 src1_sel:DWORD
	s_mov_b64 s[4:5], 0
                                        ; implicit-def: $sgpr10
	s_and_saveexec_b64 s[8:9], s[6:7]
	s_xor_b64 s[6:7], exec, s[8:9]
	s_cbranch_execz .LBB1_6849
; %bb.42689:
	s_getpc_b64 s[14:15]
.Lpost_getpc7008:
	s_add_u32 s14, s14, (.LBB1_21185-.Lpost_getpc7008)&4294967295
	s_addc_u32 s15, s15, (.LBB1_21185-.Lpost_getpc7008)>>32
	s_setpc_b64 s[14:15]
.LBB1_6849:
	s_or_saveexec_b64 s[6:7], s[6:7]
	v_mov_b32_e32 v2, s10
	s_xor_b64 exec, exec, s[6:7]
	s_cbranch_execz .LBB1_6850
; %bb.42691:
	s_getpc_b64 s[14:15]
.Lpost_getpc7009:
	s_add_u32 s14, s14, (.LBB1_21188-.Lpost_getpc7009)&4294967295
	s_addc_u32 s15, s15, (.LBB1_21188-.Lpost_getpc7009)>>32
	s_setpc_b64 s[14:15]
.LBB1_6850:
	s_or_b64 exec, exec, s[6:7]
	s_and_saveexec_b64 s[6:7], s[4:5]
	s_cbranch_execz .LBB1_6852
.LBB1_6851:
	v_and_b32_e32 v2, 7, v8
	v_ffbh_u32_e32 v6, v2
	v_min_u32_e32 v6, 32, v6
	v_lshrrev_b16_e32 v3, 3, v8
	v_subrev_u32_e32 v7, 28, v6
	v_and_b32_e32 v3, 15, v3
	v_lshlrev_b32_e32 v7, v7, v8
	v_sub_u32_e32 v6, 29, v6
	v_and_b32_e32 v7, 7, v7
	v_cmp_eq_u16_e32 vcc, 0, v3
	v_cndmask_b32_e32 v2, v2, v7, vcc
	v_cndmask_b32_e32 v3, v3, v6, vcc
	v_lshlrev_b32_e32 v6, 24, v8
	v_mov_b32_e32 v7, 0x3b800000
	v_lshlrev_b32_e32 v2, 20, v2
	v_and_b32_e32 v6, 0x80000000, v6
	v_lshl_add_u32 v3, v3, 23, v7
	v_or3_b32 v2, v6, v3, v2
.LBB1_6852:
	s_or_b64 exec, exec, s[6:7]
	s_movk_i32 s4, 0x7f
	v_cmp_gt_i16_sdwa s[6:7], v4, s4 src0_sel:BYTE_0 src1_sel:DWORD
	s_mov_b64 s[4:5], 0
                                        ; implicit-def: $sgpr10
	s_and_saveexec_b64 s[8:9], s[6:7]
	s_xor_b64 s[6:7], exec, s[8:9]
	s_cbranch_execz .LBB1_6853
; %bb.42693:
	s_getpc_b64 s[14:15]
.Lpost_getpc7010:
	s_add_u32 s14, s14, (.LBB1_21189-.Lpost_getpc7010)&4294967295
	s_addc_u32 s15, s15, (.LBB1_21189-.Lpost_getpc7010)>>32
	s_setpc_b64 s[14:15]
.LBB1_6853:
	s_or_saveexec_b64 s[6:7], s[6:7]
	v_mov_b32_e32 v3, s10
	s_xor_b64 exec, exec, s[6:7]
	s_cbranch_execz .LBB1_6854
; %bb.42695:
	s_getpc_b64 s[14:15]
.Lpost_getpc7011:
	s_add_u32 s14, s14, (.LBB1_21192-.Lpost_getpc7011)&4294967295
	s_addc_u32 s15, s15, (.LBB1_21192-.Lpost_getpc7011)>>32
	s_setpc_b64 s[14:15]
.LBB1_6854:
	s_or_b64 exec, exec, s[6:7]
	s_and_saveexec_b64 s[6:7], s[4:5]
	s_cbranch_execz .LBB1_6856
.LBB1_6855:
	v_and_b32_e32 v3, 7, v4
	v_ffbh_u32_e32 v7, v3
	v_min_u32_e32 v7, 32, v7
	v_lshrrev_b16_e32 v6, 3, v4
	v_subrev_u32_e32 v12, 28, v7
	v_and_b32_e32 v6, 15, v6
	v_lshlrev_b32_e32 v12, v12, v4
	v_sub_u32_e32 v7, 29, v7
	v_and_b32_e32 v12, 7, v12
	v_cmp_eq_u16_e32 vcc, 0, v6
	v_cndmask_b32_e32 v3, v3, v12, vcc
	v_cndmask_b32_e32 v6, v6, v7, vcc
	v_lshlrev_b32_e32 v7, 24, v4
	v_mov_b32_e32 v12, 0x3b800000
	v_lshlrev_b32_e32 v3, 20, v3
	v_and_b32_e32 v7, 0x80000000, v7
	v_lshl_add_u32 v6, v6, 23, v12
	v_or3_b32 v3, v7, v6, v3
.LBB1_6856:
	s_or_b64 exec, exec, s[6:7]
	s_nop 0
	v_mfma_f32_16x16x4f32 a[0:3], v2, v3, a[0:3]
	v_lshrrev_b32_e32 v3, 8, v8
	s_movk_i32 s4, 0x7f
	v_cmp_gt_i16_sdwa s[6:7], v3, s4 src0_sel:BYTE_0 src1_sel:DWORD
	s_mov_b64 s[4:5], 0
                                        ; implicit-def: $sgpr10
	s_and_saveexec_b64 s[8:9], s[6:7]
	s_xor_b64 s[6:7], exec, s[8:9]
	s_cbranch_execz .LBB1_6857
; %bb.42697:
	s_getpc_b64 s[14:15]
.Lpost_getpc7012:
	s_add_u32 s14, s14, (.LBB1_21193-.Lpost_getpc7012)&4294967295
	s_addc_u32 s15, s15, (.LBB1_21193-.Lpost_getpc7012)>>32
	s_setpc_b64 s[14:15]
.LBB1_6857:
	s_or_saveexec_b64 s[6:7], s[6:7]
	v_mov_b32_e32 v2, s10
	s_xor_b64 exec, exec, s[6:7]
	s_cbranch_execz .LBB1_6858
; %bb.42699:
	s_getpc_b64 s[14:15]
.Lpost_getpc7013:
	s_add_u32 s14, s14, (.LBB1_21196-.Lpost_getpc7013)&4294967295
	s_addc_u32 s15, s15, (.LBB1_21196-.Lpost_getpc7013)>>32
	s_setpc_b64 s[14:15]
.LBB1_6858:
	s_or_b64 exec, exec, s[6:7]
	s_and_saveexec_b64 s[6:7], s[4:5]
	s_cbranch_execz .LBB1_6860
.LBB1_6859:
	v_bfe_u32 v2, v8, 8, 3
	v_ffbh_u32_e32 v7, v2
	v_min_u32_e32 v7, 32, v7
	v_lshrrev_b16_e32 v6, 3, v3
	v_subrev_u32_e32 v12, 28, v7
	v_and_b32_e32 v6, 15, v6
	v_lshlrev_b32_e32 v3, v12, v3
	v_sub_u32_e32 v7, 29, v7
	v_and_b32_e32 v3, 7, v3
	v_cmp_eq_u16_e32 vcc, 0, v6
	v_cndmask_b32_e32 v2, v2, v3, vcc
	v_cndmask_b32_e32 v3, v6, v7, vcc
	v_lshlrev_b32_e32 v6, 16, v8
	v_mov_b32_e32 v7, 0x3b800000
	v_lshlrev_b32_e32 v2, 20, v2
	v_and_b32_e32 v6, 0x80000000, v6
	v_lshl_add_u32 v3, v3, 23, v7
	v_or3_b32 v2, v6, v3, v2
.LBB1_6860:
	s_or_b64 exec, exec, s[6:7]
	v_lshrrev_b32_e32 v3, 8, v4
	s_movk_i32 s4, 0x7f
	v_cmp_gt_i16_sdwa s[6:7], v3, s4 src0_sel:BYTE_0 src1_sel:DWORD
	s_mov_b64 s[4:5], 0
                                        ; implicit-def: $sgpr10
	s_and_saveexec_b64 s[8:9], s[6:7]
	s_xor_b64 s[6:7], exec, s[8:9]
	s_cbranch_execz .LBB1_6861
; %bb.42701:
	s_getpc_b64 s[14:15]
.Lpost_getpc7014:
	s_add_u32 s14, s14, (.LBB1_21197-.Lpost_getpc7014)&4294967295
	s_addc_u32 s15, s15, (.LBB1_21197-.Lpost_getpc7014)>>32
	s_setpc_b64 s[14:15]
.LBB1_6861:
	s_or_saveexec_b64 s[6:7], s[6:7]
	v_mov_b32_e32 v6, s10
	s_xor_b64 exec, exec, s[6:7]
	s_cbranch_execz .LBB1_6862
; %bb.42703:
	s_getpc_b64 s[14:15]
.Lpost_getpc7015:
	s_add_u32 s14, s14, (.LBB1_21200-.Lpost_getpc7015)&4294967295
	s_addc_u32 s15, s15, (.LBB1_21200-.Lpost_getpc7015)>>32
	s_setpc_b64 s[14:15]
.LBB1_6862:
	s_or_b64 exec, exec, s[6:7]
	s_and_saveexec_b64 s[6:7], s[4:5]
	s_cbranch_execz .LBB1_6864
.LBB1_6863:
	v_bfe_u32 v6, v4, 8, 3
	v_ffbh_u32_e32 v12, v6
	v_min_u32_e32 v12, 32, v12
	v_lshrrev_b16_e32 v7, 3, v3
	v_subrev_u32_e32 v13, 28, v12
	v_and_b32_e32 v7, 15, v7
	v_lshlrev_b32_e32 v3, v13, v3
	v_sub_u32_e32 v12, 29, v12
	v_and_b32_e32 v3, 7, v3
	v_cmp_eq_u16_e32 vcc, 0, v7
	v_cndmask_b32_e32 v3, v6, v3, vcc
	v_cndmask_b32_e32 v6, v7, v12, vcc
	v_lshlrev_b32_e32 v7, 16, v4
	v_mov_b32_e32 v12, 0x3b800000
	v_lshlrev_b32_e32 v3, 20, v3
	v_and_b32_e32 v7, 0x80000000, v7
	v_lshl_add_u32 v6, v6, 23, v12
	v_or3_b32 v6, v7, v6, v3
.LBB1_6864:
	s_or_b64 exec, exec, s[6:7]
	s_nop 0
	v_mfma_f32_16x16x4f32 a[0:3], v2, v6, a[0:3]
	s_movk_i32 s4, 0xff
	v_and_b32_sdwa v3, v8, s4 dst_sel:DWORD dst_unused:UNUSED_PAD src0_sel:WORD_1 src1_sel:DWORD
	s_movk_i32 s4, 0x7f
	v_cmp_lt_i16_e32 vcc, s4, v3
	s_mov_b64 s[4:5], 0
                                        ; implicit-def: $sgpr10
	s_and_saveexec_b64 s[6:7], vcc
	s_xor_b64 s[6:7], exec, s[6:7]
	s_cbranch_execz .LBB1_6865
; %bb.42705:
	s_getpc_b64 s[14:15]
.Lpost_getpc7016:
	s_add_u32 s14, s14, (.LBB1_21201-.Lpost_getpc7016)&4294967295
	s_addc_u32 s15, s15, (.LBB1_21201-.Lpost_getpc7016)>>32
	s_setpc_b64 s[14:15]
.LBB1_6865:
	s_or_saveexec_b64 s[6:7], s[6:7]
	v_mov_b32_e32 v2, s10
	s_xor_b64 exec, exec, s[6:7]
	s_cbranch_execz .LBB1_6866
; %bb.42707:
	s_getpc_b64 s[14:15]
.Lpost_getpc7017:
	s_add_u32 s14, s14, (.LBB1_21204-.Lpost_getpc7017)&4294967295
	s_addc_u32 s15, s15, (.LBB1_21204-.Lpost_getpc7017)>>32
	s_setpc_b64 s[14:15]
.LBB1_6866:
	s_or_b64 exec, exec, s[6:7]
	s_and_saveexec_b64 s[6:7], s[4:5]
	s_cbranch_execz .LBB1_6868
.LBB1_6867:
	v_bfe_u32 v2, v8, 16, 3
	v_ffbh_u32_e32 v7, v2
	v_min_u32_e32 v7, 32, v7
	v_lshrrev_b32_e32 v3, 19, v8
	v_subrev_u32_e32 v12, 28, v7
	v_and_b32_e32 v3, 15, v3
	v_lshlrev_b32_sdwa v12, v12, v8 dst_sel:DWORD dst_unused:UNUSED_PAD src0_sel:DWORD src1_sel:WORD_1
	v_bfe_u32 v6, v8, 19, 4
	v_sub_u32_e32 v7, 29, v7
	v_and_b32_e32 v12, 7, v12
	v_cmp_eq_u16_e32 vcc, 0, v3
	v_cndmask_b32_e32 v2, v2, v12, vcc
	v_cndmask_b32_e32 v3, v6, v7, vcc
	v_lshlrev_b32_e32 v6, 8, v8
	v_mov_b32_e32 v7, 0x3b800000
	v_lshlrev_b32_e32 v2, 20, v2
	v_and_b32_e32 v6, 0x80000000, v6
	v_lshl_add_u32 v3, v3, 23, v7
	v_or3_b32 v2, v6, v3, v2
.LBB1_6868:
	s_or_b64 exec, exec, s[6:7]
	s_movk_i32 s4, 0xff
	v_and_b32_sdwa v3, v4, s4 dst_sel:DWORD dst_unused:UNUSED_PAD src0_sel:WORD_1 src1_sel:DWORD
	s_movk_i32 s4, 0x7f
	v_cmp_lt_i16_e32 vcc, s4, v3
	s_mov_b64 s[4:5], 0
                                        ; implicit-def: $sgpr10
	s_and_saveexec_b64 s[6:7], vcc
	s_xor_b64 s[6:7], exec, s[6:7]
	s_cbranch_execz .LBB1_6869
; %bb.42709:
	s_getpc_b64 s[14:15]
.Lpost_getpc7018:
	s_add_u32 s14, s14, (.LBB1_21205-.Lpost_getpc7018)&4294967295
	s_addc_u32 s15, s15, (.LBB1_21205-.Lpost_getpc7018)>>32
	s_setpc_b64 s[14:15]
.LBB1_6869:
	s_or_saveexec_b64 s[6:7], s[6:7]
	v_mov_b32_e32 v6, s10
	s_xor_b64 exec, exec, s[6:7]
	s_cbranch_execz .LBB1_6870
; %bb.42711:
	s_getpc_b64 s[14:15]
.Lpost_getpc7019:
	s_add_u32 s14, s14, (.LBB1_21208-.Lpost_getpc7019)&4294967295
	s_addc_u32 s15, s15, (.LBB1_21208-.Lpost_getpc7019)>>32
	s_setpc_b64 s[14:15]
.LBB1_6870:
	s_or_b64 exec, exec, s[6:7]
	s_and_saveexec_b64 s[6:7], s[4:5]
	s_cbranch_execz .LBB1_6872
.LBB1_6871:
	v_bfe_u32 v3, v4, 16, 3
	v_ffbh_u32_e32 v12, v3
	v_min_u32_e32 v12, 32, v12
	v_lshrrev_b32_e32 v6, 19, v4
	v_subrev_u32_e32 v13, 28, v12
	v_and_b32_e32 v6, 15, v6
	v_lshlrev_b32_sdwa v13, v13, v4 dst_sel:DWORD dst_unused:UNUSED_PAD src0_sel:DWORD src1_sel:WORD_1
	v_bfe_u32 v7, v4, 19, 4
	v_sub_u32_e32 v12, 29, v12
	v_and_b32_e32 v13, 7, v13
	v_cmp_eq_u16_e32 vcc, 0, v6
	v_cndmask_b32_e32 v3, v3, v13, vcc
	v_cndmask_b32_e32 v6, v7, v12, vcc
	v_lshlrev_b32_e32 v7, 8, v4
	v_mov_b32_e32 v12, 0x3b800000
	v_lshlrev_b32_e32 v3, 20, v3
	v_and_b32_e32 v7, 0x80000000, v7
	v_lshl_add_u32 v6, v6, 23, v12
	v_or3_b32 v6, v7, v6, v3
.LBB1_6872:
	s_or_b64 exec, exec, s[6:7]
	s_nop 0
	v_mfma_f32_16x16x4f32 a[0:3], v2, v6, a[0:3]
	s_movk_i32 s4, 0x7f
	v_cmp_gt_i16_sdwa s[6:7], v8, s4 src0_sel:BYTE_3 src1_sel:DWORD
	s_mov_b64 s[4:5], 0
                                        ; implicit-def: $sgpr10
	s_and_saveexec_b64 s[8:9], s[6:7]
	s_xor_b64 s[6:7], exec, s[8:9]
	s_cbranch_execz .LBB1_6873
; %bb.42713:
	s_getpc_b64 s[14:15]
.Lpost_getpc7020:
	s_add_u32 s14, s14, (.LBB1_21209-.Lpost_getpc7020)&4294967295
	s_addc_u32 s15, s15, (.LBB1_21209-.Lpost_getpc7020)>>32
	s_setpc_b64 s[14:15]
.LBB1_6873:
	s_or_saveexec_b64 s[6:7], s[6:7]
	v_mov_b32_e32 v2, s10
	s_xor_b64 exec, exec, s[6:7]
	s_cbranch_execz .LBB1_6874
; %bb.42715:
	s_getpc_b64 s[14:15]
.Lpost_getpc7021:
	s_add_u32 s14, s14, (.LBB1_21212-.Lpost_getpc7021)&4294967295
	s_addc_u32 s15, s15, (.LBB1_21212-.Lpost_getpc7021)>>32
	s_setpc_b64 s[14:15]
.LBB1_6874:
	s_or_b64 exec, exec, s[6:7]
	s_and_saveexec_b64 s[6:7], s[4:5]
	s_cbranch_execz .LBB1_6876
.LBB1_6875:
	v_bfe_u32 v2, v8, 24, 3
	v_ffbh_u32_e32 v12, v2
	v_min_u32_e32 v12, 32, v12
	v_lshrrev_b32_e32 v6, 27, v8
	v_subrev_u32_e32 v13, 28, v12
	v_and_b32_e32 v3, 0x80000000, v8
	v_and_b32_e32 v6, 15, v6
	v_bfe_u32 v7, v8, 27, 4
	v_lshlrev_b32_sdwa v8, v13, v8 dst_sel:DWORD dst_unused:UNUSED_PAD src0_sel:DWORD src1_sel:BYTE_3
	v_sub_u32_e32 v12, 29, v12
	v_and_b32_e32 v8, 7, v8
	v_cmp_eq_u16_e32 vcc, 0, v6
	v_cndmask_b32_e32 v2, v2, v8, vcc
	v_cndmask_b32_e32 v6, v7, v12, vcc
	v_mov_b32_e32 v7, 0x3b800000
	v_lshlrev_b32_e32 v2, 20, v2
	v_lshl_add_u32 v6, v6, 23, v7
	v_or3_b32 v2, v3, v6, v2
.LBB1_6876:
	s_or_b64 exec, exec, s[6:7]
	s_movk_i32 s4, 0x7f
	v_cmp_gt_i16_sdwa s[6:7], v4, s4 src0_sel:BYTE_3 src1_sel:DWORD
	s_mov_b64 s[4:5], 0
                                        ; implicit-def: $sgpr10
	s_and_saveexec_b64 s[8:9], s[6:7]
	s_xor_b64 s[6:7], exec, s[8:9]
	s_cbranch_execz .LBB1_6877
; %bb.42717:
	s_getpc_b64 s[14:15]
.Lpost_getpc7022:
	s_add_u32 s14, s14, (.LBB1_21213-.Lpost_getpc7022)&4294967295
	s_addc_u32 s15, s15, (.LBB1_21213-.Lpost_getpc7022)>>32
	s_setpc_b64 s[14:15]
.LBB1_6877:
	s_or_saveexec_b64 s[6:7], s[6:7]
	v_mov_b32_e32 v3, s10
	s_xor_b64 exec, exec, s[6:7]
	s_cbranch_execz .LBB1_6878
; %bb.42719:
	s_getpc_b64 s[14:15]
.Lpost_getpc7023:
	s_add_u32 s14, s14, (.LBB1_21216-.Lpost_getpc7023)&4294967295
	s_addc_u32 s15, s15, (.LBB1_21216-.Lpost_getpc7023)>>32
	s_setpc_b64 s[14:15]
.LBB1_6878:
	s_or_b64 exec, exec, s[6:7]
	s_and_saveexec_b64 s[6:7], s[4:5]
	s_cbranch_execz .LBB1_6880
.LBB1_6879:
	v_bfe_u32 v3, v4, 24, 3
	v_ffbh_u32_e32 v12, v3
	v_min_u32_e32 v12, 32, v12
	v_lshrrev_b32_e32 v7, 27, v4
	v_subrev_u32_e32 v13, 28, v12
	v_and_b32_e32 v6, 0x80000000, v4
	v_and_b32_e32 v7, 15, v7
	v_bfe_u32 v8, v4, 27, 4
	v_lshlrev_b32_sdwa v4, v13, v4 dst_sel:DWORD dst_unused:UNUSED_PAD src0_sel:DWORD src1_sel:BYTE_3
	v_sub_u32_e32 v12, 29, v12
	v_and_b32_e32 v4, 7, v4
	v_cmp_eq_u16_e32 vcc, 0, v7
	v_cndmask_b32_e32 v3, v3, v4, vcc
	v_cndmask_b32_e32 v4, v8, v12, vcc
	v_mov_b32_e32 v7, 0x3b800000
	v_lshlrev_b32_e32 v3, 20, v3
	v_lshl_add_u32 v4, v4, 23, v7
	v_or3_b32 v3, v6, v4, v3
.LBB1_6880:
	s_or_b64 exec, exec, s[6:7]
	s_nop 0
	v_mfma_f32_16x16x4f32 a[0:3], v2, v3, a[0:3]
	s_movk_i32 s4, 0x7f
	v_cmp_gt_i16_sdwa s[6:7], v9, s4 src0_sel:BYTE_0 src1_sel:DWORD
	s_mov_b64 s[4:5], 0
                                        ; implicit-def: $sgpr10
	s_and_saveexec_b64 s[8:9], s[6:7]
	s_xor_b64 s[6:7], exec, s[8:9]
	s_cbranch_execz .LBB1_6881
; %bb.42721:
	s_getpc_b64 s[14:15]
.Lpost_getpc7024:
	s_add_u32 s14, s14, (.LBB1_21217-.Lpost_getpc7024)&4294967295
	s_addc_u32 s15, s15, (.LBB1_21217-.Lpost_getpc7024)>>32
	s_setpc_b64 s[14:15]
.LBB1_6881:
	s_or_saveexec_b64 s[6:7], s[6:7]
	v_mov_b32_e32 v2, s10
	s_xor_b64 exec, exec, s[6:7]
	s_cbranch_execz .LBB1_6882
; %bb.42723:
	s_getpc_b64 s[14:15]
.Lpost_getpc7025:
	s_add_u32 s14, s14, (.LBB1_21220-.Lpost_getpc7025)&4294967295
	s_addc_u32 s15, s15, (.LBB1_21220-.Lpost_getpc7025)>>32
	s_setpc_b64 s[14:15]
.LBB1_6882:
	s_or_b64 exec, exec, s[6:7]
	s_and_saveexec_b64 s[6:7], s[4:5]
	s_cbranch_execz .LBB1_6884
.LBB1_6883:
	v_mov_b32_e32 v2, 8
	v_and_b32_e32 v3, 7, v9
	v_lshrrev_b32_sdwa v2, v2, v9 dst_sel:BYTE_1 dst_unused:UNUSED_PAD src0_sel:DWORD src1_sel:DWORD
	v_ffbh_u32_e32 v4, v3
	v_or_b32_sdwa v2, v9, v2 dst_sel:DWORD dst_unused:UNUSED_PAD src0_sel:BYTE_0 src1_sel:DWORD
	v_min_u32_e32 v4, 32, v4
	v_lshrrev_b16_e32 v2, 3, v2
	v_subrev_u32_e32 v6, 28, v4
	v_and_b32_e32 v2, 15, v2
	v_lshlrev_b32_e32 v6, v6, v9
	v_sub_u32_e32 v4, 29, v4
	v_and_b32_e32 v6, 7, v6
	v_cmp_eq_u16_e32 vcc, 0, v2
	v_cndmask_b32_e32 v3, v3, v6, vcc
	v_cndmask_b32_e32 v2, v2, v4, vcc
	v_lshlrev_b32_e32 v4, 24, v9
	v_mov_b32_e32 v6, 0x3b800000
	v_lshlrev_b32_e32 v3, 20, v3
	v_and_b32_e32 v4, 0x80000000, v4
	v_lshl_add_u32 v2, v2, 23, v6
	v_or3_b32 v2, v4, v2, v3
.LBB1_6884:
	s_or_b64 exec, exec, s[6:7]
	s_movk_i32 s4, 0x7f
	v_cmp_gt_i16_sdwa s[6:7], v5, s4 src0_sel:BYTE_0 src1_sel:DWORD
	s_mov_b64 s[4:5], 0
                                        ; implicit-def: $sgpr10
	s_and_saveexec_b64 s[8:9], s[6:7]
	s_xor_b64 s[6:7], exec, s[8:9]
	s_cbranch_execz .LBB1_6885
; %bb.42725:
	s_getpc_b64 s[14:15]
.Lpost_getpc7026:
	s_add_u32 s14, s14, (.LBB1_21221-.Lpost_getpc7026)&4294967295
	s_addc_u32 s15, s15, (.LBB1_21221-.Lpost_getpc7026)>>32
	s_setpc_b64 s[14:15]
.LBB1_6885:
	s_or_saveexec_b64 s[6:7], s[6:7]
	v_mov_b32_e32 v3, s10
	s_xor_b64 exec, exec, s[6:7]
	s_cbranch_execz .LBB1_6886
; %bb.42727:
	s_getpc_b64 s[14:15]
.Lpost_getpc7027:
	s_add_u32 s14, s14, (.LBB1_21224-.Lpost_getpc7027)&4294967295
	s_addc_u32 s15, s15, (.LBB1_21224-.Lpost_getpc7027)>>32
	s_setpc_b64 s[14:15]
.LBB1_6886:
	s_or_b64 exec, exec, s[6:7]
	s_and_saveexec_b64 s[6:7], s[4:5]
	s_cbranch_execz .LBB1_6888
.LBB1_6887:
	v_mov_b32_e32 v3, 8
	v_and_b32_e32 v4, 7, v5
	v_lshrrev_b32_sdwa v3, v3, v5 dst_sel:BYTE_1 dst_unused:UNUSED_PAD src0_sel:DWORD src1_sel:DWORD
	v_ffbh_u32_e32 v6, v4
	v_or_b32_sdwa v3, v5, v3 dst_sel:DWORD dst_unused:UNUSED_PAD src0_sel:BYTE_0 src1_sel:DWORD
	v_min_u32_e32 v6, 32, v6
	v_lshrrev_b16_e32 v3, 3, v3
	v_subrev_u32_e32 v7, 28, v6
	v_and_b32_e32 v3, 15, v3
	v_lshlrev_b32_e32 v7, v7, v5
	v_sub_u32_e32 v6, 29, v6
	v_and_b32_e32 v7, 7, v7
	v_cmp_eq_u16_e32 vcc, 0, v3
	v_cndmask_b32_e32 v4, v4, v7, vcc
	v_cndmask_b32_e32 v3, v3, v6, vcc
	v_lshlrev_b32_e32 v6, 24, v5
	v_mov_b32_e32 v7, 0x3b800000
	v_lshlrev_b32_e32 v4, 20, v4
	v_and_b32_e32 v6, 0x80000000, v6
	v_lshl_add_u32 v3, v3, 23, v7
	v_or3_b32 v3, v6, v3, v4
.LBB1_6888:
	s_or_b64 exec, exec, s[6:7]
	s_nop 0
	v_mfma_f32_16x16x4f32 a[0:3], v2, v3, a[0:3]
	v_lshrrev_b32_e32 v3, 8, v9
	s_movk_i32 s4, 0x7f
	v_cmp_gt_i16_sdwa s[6:7], v3, s4 src0_sel:BYTE_0 src1_sel:DWORD
	s_mov_b64 s[4:5], 0
                                        ; implicit-def: $sgpr10
	s_and_saveexec_b64 s[8:9], s[6:7]
	s_xor_b64 s[6:7], exec, s[8:9]
	s_cbranch_execz .LBB1_6889
; %bb.42729:
	s_getpc_b64 s[14:15]
.Lpost_getpc7028:
	s_add_u32 s14, s14, (.LBB1_21225-.Lpost_getpc7028)&4294967295
	s_addc_u32 s15, s15, (.LBB1_21225-.Lpost_getpc7028)>>32
	s_setpc_b64 s[14:15]
.LBB1_6889:
	s_or_saveexec_b64 s[6:7], s[6:7]
	v_mov_b32_e32 v2, s10
	s_xor_b64 exec, exec, s[6:7]
	s_cbranch_execz .LBB1_6890
; %bb.42731:
	s_getpc_b64 s[14:15]
.Lpost_getpc7029:
	s_add_u32 s14, s14, (.LBB1_21228-.Lpost_getpc7029)&4294967295
	s_addc_u32 s15, s15, (.LBB1_21228-.Lpost_getpc7029)>>32
	s_setpc_b64 s[14:15]
.LBB1_6890:
	s_or_b64 exec, exec, s[6:7]
	s_and_saveexec_b64 s[6:7], s[4:5]
	s_cbranch_execz .LBB1_6892
.LBB1_6891:
	v_bfe_u32 v2, v9, 8, 3
	v_ffbh_u32_e32 v6, v2
	v_min_u32_e32 v6, 32, v6
	v_lshrrev_b16_e32 v4, 3, v3
	v_subrev_u32_e32 v7, 28, v6
	v_and_b32_e32 v4, 15, v4
	v_lshlrev_b32_e32 v3, v7, v3
	v_sub_u32_e32 v6, 29, v6
	v_and_b32_e32 v3, 7, v3
	v_cmp_eq_u16_e32 vcc, 0, v4
	v_cndmask_b32_e32 v2, v2, v3, vcc
	v_cndmask_b32_e32 v3, v4, v6, vcc
	v_lshlrev_b32_e32 v4, 16, v9
	v_mov_b32_e32 v6, 0x3b800000
	v_lshlrev_b32_e32 v2, 20, v2
	v_and_b32_e32 v4, 0x80000000, v4
	v_lshl_add_u32 v3, v3, 23, v6
	v_or3_b32 v2, v4, v3, v2
.LBB1_6892:
	s_or_b64 exec, exec, s[6:7]
	v_lshrrev_b32_e32 v3, 8, v5
	s_movk_i32 s4, 0x7f
	v_cmp_gt_i16_sdwa s[6:7], v3, s4 src0_sel:BYTE_0 src1_sel:DWORD
	s_mov_b64 s[4:5], 0
                                        ; implicit-def: $sgpr10
	s_and_saveexec_b64 s[8:9], s[6:7]
	s_xor_b64 s[6:7], exec, s[8:9]
	s_cbranch_execz .LBB1_6893
; %bb.42733:
	s_getpc_b64 s[14:15]
.Lpost_getpc7030:
	s_add_u32 s14, s14, (.LBB1_21229-.Lpost_getpc7030)&4294967295
	s_addc_u32 s15, s15, (.LBB1_21229-.Lpost_getpc7030)>>32
	s_setpc_b64 s[14:15]
.LBB1_6893:
	s_or_saveexec_b64 s[6:7], s[6:7]
	v_mov_b32_e32 v4, s10
	s_xor_b64 exec, exec, s[6:7]
	s_cbranch_execz .LBB1_6894
; %bb.42735:
	s_getpc_b64 s[14:15]
.Lpost_getpc7031:
	s_add_u32 s14, s14, (.LBB1_21232-.Lpost_getpc7031)&4294967295
	s_addc_u32 s15, s15, (.LBB1_21232-.Lpost_getpc7031)>>32
	s_setpc_b64 s[14:15]
.LBB1_6894:
	s_or_b64 exec, exec, s[6:7]
	s_and_saveexec_b64 s[6:7], s[4:5]
	s_cbranch_execz .LBB1_6896
.LBB1_6895:
	v_bfe_u32 v4, v5, 8, 3
	v_ffbh_u32_e32 v7, v4
	v_min_u32_e32 v7, 32, v7
	v_lshrrev_b16_e32 v6, 3, v3
	v_subrev_u32_e32 v8, 28, v7
	v_and_b32_e32 v6, 15, v6
	v_lshlrev_b32_e32 v3, v8, v3
	v_sub_u32_e32 v7, 29, v7
	v_and_b32_e32 v3, 7, v3
	v_cmp_eq_u16_e32 vcc, 0, v6
	v_cndmask_b32_e32 v3, v4, v3, vcc
	v_cndmask_b32_e32 v4, v6, v7, vcc
	v_lshlrev_b32_e32 v6, 16, v5
	v_mov_b32_e32 v7, 0x3b800000
	v_lshlrev_b32_e32 v3, 20, v3
	v_and_b32_e32 v6, 0x80000000, v6
	v_lshl_add_u32 v4, v4, 23, v7
	v_or3_b32 v4, v6, v4, v3
.LBB1_6896:
	s_or_b64 exec, exec, s[6:7]
	s_nop 0
	v_mfma_f32_16x16x4f32 a[0:3], v2, v4, a[0:3]
	s_movk_i32 s4, 0xff
	v_and_b32_sdwa v3, v9, s4 dst_sel:DWORD dst_unused:UNUSED_PAD src0_sel:WORD_1 src1_sel:DWORD
	s_movk_i32 s4, 0x7f
	v_cmp_lt_i16_e32 vcc, s4, v3
	s_mov_b64 s[4:5], 0
                                        ; implicit-def: $sgpr10
	s_and_saveexec_b64 s[6:7], vcc
	s_xor_b64 s[6:7], exec, s[6:7]
	s_cbranch_execz .LBB1_6897
; %bb.42737:
	s_getpc_b64 s[14:15]
.Lpost_getpc7032:
	s_add_u32 s14, s14, (.LBB1_21233-.Lpost_getpc7032)&4294967295
	s_addc_u32 s15, s15, (.LBB1_21233-.Lpost_getpc7032)>>32
	s_setpc_b64 s[14:15]
.LBB1_6897:
	s_or_saveexec_b64 s[6:7], s[6:7]
	v_mov_b32_e32 v2, s10
	s_xor_b64 exec, exec, s[6:7]
	s_cbranch_execz .LBB1_6898
; %bb.42739:
	s_getpc_b64 s[14:15]
.Lpost_getpc7033:
	s_add_u32 s14, s14, (.LBB1_21236-.Lpost_getpc7033)&4294967295
	s_addc_u32 s15, s15, (.LBB1_21236-.Lpost_getpc7033)>>32
	s_setpc_b64 s[14:15]
.LBB1_6898:
	s_or_b64 exec, exec, s[6:7]
	s_and_saveexec_b64 s[6:7], s[4:5]
	s_cbranch_execz .LBB1_6900
.LBB1_6899:
	v_bfe_u32 v2, v9, 16, 3
	v_ffbh_u32_e32 v6, v2
	v_min_u32_e32 v6, 32, v6
	v_lshrrev_b32_e32 v3, 19, v9
	v_subrev_u32_e32 v7, 28, v6
	v_and_b32_e32 v3, 15, v3
	v_lshlrev_b32_sdwa v7, v7, v9 dst_sel:DWORD dst_unused:UNUSED_PAD src0_sel:DWORD src1_sel:WORD_1
	v_bfe_u32 v4, v9, 19, 4
	v_sub_u32_e32 v6, 29, v6
	v_and_b32_e32 v7, 7, v7
	v_cmp_eq_u16_e32 vcc, 0, v3
	v_cndmask_b32_e32 v2, v2, v7, vcc
	v_cndmask_b32_e32 v3, v4, v6, vcc
	v_lshlrev_b32_e32 v4, 8, v9
	v_mov_b32_e32 v6, 0x3b800000
	v_lshlrev_b32_e32 v2, 20, v2
	v_and_b32_e32 v4, 0x80000000, v4
	v_lshl_add_u32 v3, v3, 23, v6
	v_or3_b32 v2, v4, v3, v2
.LBB1_6900:
	s_or_b64 exec, exec, s[6:7]
	s_movk_i32 s4, 0xff
	v_and_b32_sdwa v3, v5, s4 dst_sel:DWORD dst_unused:UNUSED_PAD src0_sel:WORD_1 src1_sel:DWORD
	s_movk_i32 s4, 0x7f
	v_cmp_lt_i16_e32 vcc, s4, v3
	s_mov_b64 s[4:5], 0
                                        ; implicit-def: $sgpr10
	s_and_saveexec_b64 s[6:7], vcc
	s_xor_b64 s[6:7], exec, s[6:7]
	s_cbranch_execz .LBB1_6901
; %bb.42741:
	s_getpc_b64 s[14:15]
.Lpost_getpc7034:
	s_add_u32 s14, s14, (.LBB1_21237-.Lpost_getpc7034)&4294967295
	s_addc_u32 s15, s15, (.LBB1_21237-.Lpost_getpc7034)>>32
	s_setpc_b64 s[14:15]
.LBB1_6901:
	s_or_saveexec_b64 s[6:7], s[6:7]
	v_mov_b32_e32 v4, s10
	s_xor_b64 exec, exec, s[6:7]
	s_cbranch_execz .LBB1_6902
; %bb.42743:
	s_getpc_b64 s[14:15]
.Lpost_getpc7035:
	s_add_u32 s14, s14, (.LBB1_21240-.Lpost_getpc7035)&4294967295
	s_addc_u32 s15, s15, (.LBB1_21240-.Lpost_getpc7035)>>32
	s_setpc_b64 s[14:15]
.LBB1_6902:
	s_or_b64 exec, exec, s[6:7]
	s_and_saveexec_b64 s[6:7], s[4:5]
	s_cbranch_execz .LBB1_6904
.LBB1_6903:
	v_bfe_u32 v3, v5, 16, 3
	v_ffbh_u32_e32 v7, v3
	v_min_u32_e32 v7, 32, v7
	v_lshrrev_b32_e32 v4, 19, v5
	v_subrev_u32_e32 v8, 28, v7
	v_and_b32_e32 v4, 15, v4
	v_lshlrev_b32_sdwa v8, v8, v5 dst_sel:DWORD dst_unused:UNUSED_PAD src0_sel:DWORD src1_sel:WORD_1
	v_bfe_u32 v6, v5, 19, 4
	v_sub_u32_e32 v7, 29, v7
	v_and_b32_e32 v8, 7, v8
	v_cmp_eq_u16_e32 vcc, 0, v4
	v_cndmask_b32_e32 v3, v3, v8, vcc
	v_cndmask_b32_e32 v4, v6, v7, vcc
	v_lshlrev_b32_e32 v6, 8, v5
	v_mov_b32_e32 v7, 0x3b800000
	v_lshlrev_b32_e32 v3, 20, v3
	v_and_b32_e32 v6, 0x80000000, v6
	v_lshl_add_u32 v4, v4, 23, v7
	v_or3_b32 v4, v6, v4, v3
.LBB1_6904:
	s_or_b64 exec, exec, s[6:7]
	s_nop 0
	v_mfma_f32_16x16x4f32 a[0:3], v2, v4, a[0:3]
	s_movk_i32 s4, 0x7f
	v_cmp_gt_i16_sdwa s[6:7], v9, s4 src0_sel:BYTE_3 src1_sel:DWORD
	s_mov_b64 s[4:5], 0
                                        ; implicit-def: $sgpr10
	s_and_saveexec_b64 s[8:9], s[6:7]
	s_xor_b64 s[6:7], exec, s[8:9]
	s_cbranch_execz .LBB1_6905
; %bb.42745:
	s_getpc_b64 s[14:15]
.Lpost_getpc7036:
	s_add_u32 s14, s14, (.LBB1_21241-.Lpost_getpc7036)&4294967295
	s_addc_u32 s15, s15, (.LBB1_21241-.Lpost_getpc7036)>>32
	s_setpc_b64 s[14:15]
.LBB1_6905:
	s_or_saveexec_b64 s[6:7], s[6:7]
	v_mov_b32_e32 v2, s10
	s_xor_b64 exec, exec, s[6:7]
	s_cbranch_execz .LBB1_6906
; %bb.42747:
	s_getpc_b64 s[14:15]
.Lpost_getpc7037:
	s_add_u32 s14, s14, (.LBB1_21244-.Lpost_getpc7037)&4294967295
	s_addc_u32 s15, s15, (.LBB1_21244-.Lpost_getpc7037)>>32
	s_setpc_b64 s[14:15]
.LBB1_6906:
	s_or_b64 exec, exec, s[6:7]
	s_and_saveexec_b64 s[6:7], s[4:5]
	s_cbranch_execz .LBB1_6908
.LBB1_6907:
	v_bfe_u32 v2, v9, 24, 3
	v_ffbh_u32_e32 v7, v2
	v_min_u32_e32 v7, 32, v7
	v_lshrrev_b32_e32 v4, 27, v9
	v_subrev_u32_e32 v8, 28, v7
	v_and_b32_e32 v4, 15, v4
	v_lshlrev_b32_sdwa v8, v8, v9 dst_sel:DWORD dst_unused:UNUSED_PAD src0_sel:DWORD src1_sel:BYTE_3
	v_bfe_u32 v6, v9, 27, 4
	v_sub_u32_e32 v7, 29, v7
	v_and_b32_e32 v8, 7, v8
	v_cmp_eq_u16_e32 vcc, 0, v4
	v_cndmask_b32_e32 v2, v2, v8, vcc
	v_cndmask_b32_e32 v4, v6, v7, vcc
	v_mov_b32_e32 v6, 0x3b800000
	v_and_b32_e32 v3, 0x80000000, v9
	v_lshlrev_b32_e32 v2, 20, v2
	v_lshl_add_u32 v4, v4, 23, v6
	v_or3_b32 v2, v3, v4, v2
.LBB1_6908:
	s_or_b64 exec, exec, s[6:7]
	s_movk_i32 s4, 0x7f
	v_cmp_gt_i16_sdwa s[6:7], v5, s4 src0_sel:BYTE_3 src1_sel:DWORD
	s_mov_b64 s[4:5], 0
                                        ; implicit-def: $sgpr10
	s_and_saveexec_b64 s[8:9], s[6:7]
	s_xor_b64 s[6:7], exec, s[8:9]
	s_cbranch_execz .LBB1_6909
; %bb.42749:
	s_getpc_b64 s[14:15]
.Lpost_getpc7038:
	s_add_u32 s14, s14, (.LBB1_21245-.Lpost_getpc7038)&4294967295
	s_addc_u32 s15, s15, (.LBB1_21245-.Lpost_getpc7038)>>32
	s_setpc_b64 s[14:15]
.LBB1_6909:
	s_or_saveexec_b64 s[6:7], s[6:7]
	v_mov_b32_e32 v3, s10
	s_xor_b64 exec, exec, s[6:7]
	s_cbranch_execz .LBB1_6910
; %bb.42751:
	s_getpc_b64 s[14:15]
.Lpost_getpc7039:
	s_add_u32 s14, s14, (.LBB1_21248-.Lpost_getpc7039)&4294967295
	s_addc_u32 s15, s15, (.LBB1_21248-.Lpost_getpc7039)>>32
	s_setpc_b64 s[14:15]
.LBB1_6910:
	s_or_b64 exec, exec, s[6:7]
	s_and_saveexec_b64 s[6:7], s[4:5]
	s_cbranch_execz .LBB1_6912
.LBB1_6911:
	v_bfe_u32 v3, v5, 24, 3
	v_ffbh_u32_e32 v8, v3
	v_min_u32_e32 v8, 32, v8
	v_lshrrev_b32_e32 v6, 27, v5
	v_subrev_u32_e32 v9, 28, v8
	v_and_b32_e32 v4, 0x80000000, v5
	v_and_b32_e32 v6, 15, v6
	v_bfe_u32 v7, v5, 27, 4
	v_lshlrev_b32_sdwa v5, v9, v5 dst_sel:DWORD dst_unused:UNUSED_PAD src0_sel:DWORD src1_sel:BYTE_3
	v_sub_u32_e32 v8, 29, v8
	v_and_b32_e32 v5, 7, v5
	v_cmp_eq_u16_e32 vcc, 0, v6
	v_cndmask_b32_e32 v3, v3, v5, vcc
	v_cndmask_b32_e32 v5, v7, v8, vcc
	v_mov_b32_e32 v6, 0x3b800000
	v_lshlrev_b32_e32 v3, 20, v3
	v_lshl_add_u32 v5, v5, 23, v6
	v_or3_b32 v3, v4, v5, v3
.LBB1_6912:
	s_or_b64 exec, exec, s[6:7]
	s_nop 0
	v_mfma_f32_16x16x4f32 a[0:3], v2, v3, a[0:3]
	s_movk_i32 s4, 0x7f
                                        ; implicit-def: $sgpr10
	s_nop 7
	s_nop 1
	flat_store_dwordx4 v[10:11], a[0:3] offset:848
	flat_load_dwordx4 v[12:15], v[0:1]
	s_nop 0
	flat_load_dwordx2 v[10:11], v[0:1] offset:16
	s_waitcnt vmcnt(0) lgkmcnt(0)
	flat_load_dwordx4 v[6:9], v[12:13] offset:96
	flat_load_dwordx4 v[2:5], v[14:15] offset:96
	s_waitcnt vmcnt(0) lgkmcnt(0)
	v_cmp_gt_i16_sdwa s[6:7], v6, s4 src0_sel:BYTE_0 src1_sel:DWORD
	s_mov_b64 s[4:5], 0
	s_and_saveexec_b64 s[8:9], s[6:7]
	s_xor_b64 s[6:7], exec, s[8:9]
	s_cbranch_execz .LBB1_6913
; %bb.42753:
	s_getpc_b64 s[14:15]
.Lpost_getpc7040:
	s_add_u32 s14, s14, (.LBB1_21249-.Lpost_getpc7040)&4294967295
	s_addc_u32 s15, s15, (.LBB1_21249-.Lpost_getpc7040)>>32
	s_setpc_b64 s[14:15]
.LBB1_6913:
	s_or_saveexec_b64 s[6:7], s[6:7]
	v_mov_b32_e32 v12, s10
	s_xor_b64 exec, exec, s[6:7]
	s_cbranch_execz .LBB1_6914
; %bb.42755:
	s_getpc_b64 s[14:15]
.Lpost_getpc7041:
	s_add_u32 s14, s14, (.LBB1_21252-.Lpost_getpc7041)&4294967295
	s_addc_u32 s15, s15, (.LBB1_21252-.Lpost_getpc7041)>>32
	s_setpc_b64 s[14:15]
.LBB1_6914:
	s_or_b64 exec, exec, s[6:7]
	s_and_saveexec_b64 s[6:7], s[4:5]
	s_cbranch_execz .LBB1_6916
.LBB1_6915:
	v_and_b32_e32 v12, 7, v6
	v_ffbh_u32_e32 v14, v12
	v_min_u32_e32 v14, 32, v14
	v_lshrrev_b16_e32 v13, 3, v6
	v_subrev_u32_e32 v15, 28, v14
	v_and_b32_e32 v13, 15, v13
	v_lshlrev_b32_e32 v15, v15, v6
	v_sub_u32_e32 v14, 29, v14
	v_and_b32_e32 v15, 7, v15
	v_cmp_eq_u16_e32 vcc, 0, v13
	v_cndmask_b32_e32 v12, v12, v15, vcc
	v_cndmask_b32_e32 v13, v13, v14, vcc
	v_lshlrev_b32_e32 v14, 24, v6
	v_mov_b32_e32 v15, 0x3b800000
	v_lshlrev_b32_e32 v12, 20, v12
	v_and_b32_e32 v14, 0x80000000, v14
	v_lshl_add_u32 v13, v13, 23, v15
	v_or3_b32 v12, v14, v13, v12
.LBB1_6916:
	s_or_b64 exec, exec, s[6:7]
	s_movk_i32 s4, 0x7f
	v_cmp_gt_i16_sdwa s[6:7], v2, s4 src0_sel:BYTE_0 src1_sel:DWORD
	s_mov_b64 s[4:5], 0
                                        ; implicit-def: $sgpr10
	s_and_saveexec_b64 s[8:9], s[6:7]
	s_xor_b64 s[6:7], exec, s[8:9]
	s_cbranch_execz .LBB1_6917
; %bb.42757:
	s_getpc_b64 s[14:15]
.Lpost_getpc7042:
	s_add_u32 s14, s14, (.LBB1_21253-.Lpost_getpc7042)&4294967295
	s_addc_u32 s15, s15, (.LBB1_21253-.Lpost_getpc7042)>>32
	s_setpc_b64 s[14:15]
.LBB1_6917:
	s_or_saveexec_b64 s[6:7], s[6:7]
	v_mov_b32_e32 v13, s10
	s_xor_b64 exec, exec, s[6:7]
	s_cbranch_execz .LBB1_6918
; %bb.42759:
	s_getpc_b64 s[14:15]
.Lpost_getpc7043:
	s_add_u32 s14, s14, (.LBB1_21256-.Lpost_getpc7043)&4294967295
	s_addc_u32 s15, s15, (.LBB1_21256-.Lpost_getpc7043)>>32
	s_setpc_b64 s[14:15]
.LBB1_6918:
	s_or_b64 exec, exec, s[6:7]
	s_and_saveexec_b64 s[6:7], s[4:5]
	s_cbranch_execz .LBB1_6920
.LBB1_6919:
	v_and_b32_e32 v13, 7, v2
	v_ffbh_u32_e32 v15, v13
	v_min_u32_e32 v15, 32, v15
	v_lshrrev_b16_e32 v14, 3, v2
	v_subrev_u32_e32 v16, 28, v15
	v_and_b32_e32 v14, 15, v14
	v_lshlrev_b32_e32 v16, v16, v2
	v_sub_u32_e32 v15, 29, v15
	v_and_b32_e32 v16, 7, v16
	v_cmp_eq_u16_e32 vcc, 0, v14
	v_cndmask_b32_e32 v13, v13, v16, vcc
	v_cndmask_b32_e32 v14, v14, v15, vcc
	v_lshlrev_b32_e32 v15, 24, v2
	v_mov_b32_e32 v16, 0x3b800000
	v_lshlrev_b32_e32 v13, 20, v13
	v_and_b32_e32 v15, 0x80000000, v15
	v_lshl_add_u32 v14, v14, 23, v16
	v_or3_b32 v13, v15, v14, v13
.LBB1_6920:
	s_or_b64 exec, exec, s[6:7]
	flat_load_dwordx4 a[0:3], v[10:11] offset:864
	s_movk_i32 s4, 0x7f
                                        ; implicit-def: $sgpr10
	s_waitcnt vmcnt(0) lgkmcnt(0)
	v_mfma_f32_16x16x4f32 a[0:3], v12, v13, a[0:3]
	v_lshrrev_b32_e32 v13, 8, v6
	v_cmp_gt_i16_sdwa s[6:7], v13, s4 src0_sel:BYTE_0 src1_sel:DWORD
	s_mov_b64 s[4:5], 0
	s_and_saveexec_b64 s[8:9], s[6:7]
	s_xor_b64 s[6:7], exec, s[8:9]
	s_cbranch_execz .LBB1_6921
; %bb.42761:
	s_getpc_b64 s[14:15]
.Lpost_getpc7044:
	s_add_u32 s14, s14, (.LBB1_21257-.Lpost_getpc7044)&4294967295
	s_addc_u32 s15, s15, (.LBB1_21257-.Lpost_getpc7044)>>32
	s_setpc_b64 s[14:15]
.LBB1_6921:
	s_or_saveexec_b64 s[6:7], s[6:7]
	v_mov_b32_e32 v12, s10
	s_xor_b64 exec, exec, s[6:7]
	s_cbranch_execz .LBB1_6922
; %bb.42763:
	s_getpc_b64 s[14:15]
.Lpost_getpc7045:
	s_add_u32 s14, s14, (.LBB1_21260-.Lpost_getpc7045)&4294967295
	s_addc_u32 s15, s15, (.LBB1_21260-.Lpost_getpc7045)>>32
	s_setpc_b64 s[14:15]
.LBB1_6922:
	s_or_b64 exec, exec, s[6:7]
	s_and_saveexec_b64 s[6:7], s[4:5]
	s_cbranch_execz .LBB1_6924
.LBB1_6923:
	v_bfe_u32 v12, v6, 8, 3
	v_ffbh_u32_e32 v15, v12
	v_min_u32_e32 v15, 32, v15
	v_lshrrev_b16_e32 v14, 3, v13
	v_subrev_u32_e32 v16, 28, v15
	v_and_b32_e32 v14, 15, v14
	v_lshlrev_b32_e32 v13, v16, v13
	v_sub_u32_e32 v15, 29, v15
	v_and_b32_e32 v13, 7, v13
	v_cmp_eq_u16_e32 vcc, 0, v14
	v_cndmask_b32_e32 v12, v12, v13, vcc
	v_cndmask_b32_e32 v13, v14, v15, vcc
	v_lshlrev_b32_e32 v14, 16, v6
	v_mov_b32_e32 v15, 0x3b800000
	v_lshlrev_b32_e32 v12, 20, v12
	v_and_b32_e32 v14, 0x80000000, v14
	v_lshl_add_u32 v13, v13, 23, v15
	v_or3_b32 v12, v14, v13, v12
.LBB1_6924:
	s_or_b64 exec, exec, s[6:7]
	v_lshrrev_b32_e32 v13, 8, v2
	s_movk_i32 s4, 0x7f
	v_cmp_gt_i16_sdwa s[6:7], v13, s4 src0_sel:BYTE_0 src1_sel:DWORD
	s_mov_b64 s[4:5], 0
                                        ; implicit-def: $sgpr10
	s_and_saveexec_b64 s[8:9], s[6:7]
	s_xor_b64 s[6:7], exec, s[8:9]
	s_cbranch_execz .LBB1_6925
; %bb.42765:
	s_getpc_b64 s[14:15]
.Lpost_getpc7046:
	s_add_u32 s14, s14, (.LBB1_21261-.Lpost_getpc7046)&4294967295
	s_addc_u32 s15, s15, (.LBB1_21261-.Lpost_getpc7046)>>32
	s_setpc_b64 s[14:15]
.LBB1_6925:
	s_or_saveexec_b64 s[6:7], s[6:7]
	v_mov_b32_e32 v14, s10
	s_xor_b64 exec, exec, s[6:7]
	s_cbranch_execz .LBB1_6926
; %bb.42767:
	s_getpc_b64 s[14:15]
.Lpost_getpc7047:
	s_add_u32 s14, s14, (.LBB1_21264-.Lpost_getpc7047)&4294967295
	s_addc_u32 s15, s15, (.LBB1_21264-.Lpost_getpc7047)>>32
	s_setpc_b64 s[14:15]
.LBB1_6926:
	s_or_b64 exec, exec, s[6:7]
	s_and_saveexec_b64 s[6:7], s[4:5]
	s_cbranch_execz .LBB1_6928
.LBB1_6927:
	v_bfe_u32 v14, v2, 8, 3
	v_ffbh_u32_e32 v16, v14
	v_min_u32_e32 v16, 32, v16
	v_lshrrev_b16_e32 v15, 3, v13
	v_subrev_u32_e32 v17, 28, v16
	v_and_b32_e32 v15, 15, v15
	v_lshlrev_b32_e32 v13, v17, v13
	v_sub_u32_e32 v16, 29, v16
	v_and_b32_e32 v13, 7, v13
	v_cmp_eq_u16_e32 vcc, 0, v15
	v_cndmask_b32_e32 v13, v14, v13, vcc
	v_cndmask_b32_e32 v14, v15, v16, vcc
	v_lshlrev_b32_e32 v15, 16, v2
	v_mov_b32_e32 v16, 0x3b800000
	v_lshlrev_b32_e32 v13, 20, v13
	v_and_b32_e32 v15, 0x80000000, v15
	v_lshl_add_u32 v14, v14, 23, v16
	v_or3_b32 v14, v15, v14, v13
.LBB1_6928:
	s_or_b64 exec, exec, s[6:7]
	s_nop 0
	v_mfma_f32_16x16x4f32 a[0:3], v12, v14, a[0:3]
	s_movk_i32 s4, 0xff
	v_and_b32_sdwa v13, v6, s4 dst_sel:DWORD dst_unused:UNUSED_PAD src0_sel:WORD_1 src1_sel:DWORD
	s_movk_i32 s4, 0x7f
	v_cmp_lt_i16_e32 vcc, s4, v13
	s_mov_b64 s[4:5], 0
                                        ; implicit-def: $sgpr10
	s_and_saveexec_b64 s[6:7], vcc
	s_xor_b64 s[6:7], exec, s[6:7]
	s_cbranch_execz .LBB1_6929
; %bb.42769:
	s_getpc_b64 s[14:15]
.Lpost_getpc7048:
	s_add_u32 s14, s14, (.LBB1_21265-.Lpost_getpc7048)&4294967295
	s_addc_u32 s15, s15, (.LBB1_21265-.Lpost_getpc7048)>>32
	s_setpc_b64 s[14:15]
.LBB1_6929:
	s_or_saveexec_b64 s[6:7], s[6:7]
	v_mov_b32_e32 v12, s10
	s_xor_b64 exec, exec, s[6:7]
	s_cbranch_execz .LBB1_6930
; %bb.42771:
	s_getpc_b64 s[14:15]
.Lpost_getpc7049:
	s_add_u32 s14, s14, (.LBB1_21268-.Lpost_getpc7049)&4294967295
	s_addc_u32 s15, s15, (.LBB1_21268-.Lpost_getpc7049)>>32
	s_setpc_b64 s[14:15]
.LBB1_6930:
	s_or_b64 exec, exec, s[6:7]
	s_and_saveexec_b64 s[6:7], s[4:5]
	s_cbranch_execz .LBB1_6932
.LBB1_6931:
	v_bfe_u32 v12, v6, 16, 3
	v_ffbh_u32_e32 v15, v12
	v_min_u32_e32 v15, 32, v15
	v_lshrrev_b32_e32 v13, 19, v6
	v_subrev_u32_e32 v16, 28, v15
	v_and_b32_e32 v13, 15, v13
	v_lshlrev_b32_sdwa v16, v16, v6 dst_sel:DWORD dst_unused:UNUSED_PAD src0_sel:DWORD src1_sel:WORD_1
	v_bfe_u32 v14, v6, 19, 4
	v_sub_u32_e32 v15, 29, v15
	v_and_b32_e32 v16, 7, v16
	v_cmp_eq_u16_e32 vcc, 0, v13
	v_cndmask_b32_e32 v12, v12, v16, vcc
	v_cndmask_b32_e32 v13, v14, v15, vcc
	v_lshlrev_b32_e32 v14, 8, v6
	v_mov_b32_e32 v15, 0x3b800000
	v_lshlrev_b32_e32 v12, 20, v12
	v_and_b32_e32 v14, 0x80000000, v14
	v_lshl_add_u32 v13, v13, 23, v15
	v_or3_b32 v12, v14, v13, v12
.LBB1_6932:
	s_or_b64 exec, exec, s[6:7]
	s_movk_i32 s4, 0xff
	v_and_b32_sdwa v13, v2, s4 dst_sel:DWORD dst_unused:UNUSED_PAD src0_sel:WORD_1 src1_sel:DWORD
	s_movk_i32 s4, 0x7f
	v_cmp_lt_i16_e32 vcc, s4, v13
	s_mov_b64 s[4:5], 0
                                        ; implicit-def: $sgpr10
	s_and_saveexec_b64 s[6:7], vcc
	s_xor_b64 s[6:7], exec, s[6:7]
	s_cbranch_execz .LBB1_6933
; %bb.42773:
	s_getpc_b64 s[14:15]
.Lpost_getpc7050:
	s_add_u32 s14, s14, (.LBB1_21269-.Lpost_getpc7050)&4294967295
	s_addc_u32 s15, s15, (.LBB1_21269-.Lpost_getpc7050)>>32
	s_setpc_b64 s[14:15]
.LBB1_6933:
	s_or_saveexec_b64 s[6:7], s[6:7]
	v_mov_b32_e32 v14, s10
	s_xor_b64 exec, exec, s[6:7]
	s_cbranch_execz .LBB1_6934
; %bb.42775:
	s_getpc_b64 s[14:15]
.Lpost_getpc7051:
	s_add_u32 s14, s14, (.LBB1_21272-.Lpost_getpc7051)&4294967295
	s_addc_u32 s15, s15, (.LBB1_21272-.Lpost_getpc7051)>>32
	s_setpc_b64 s[14:15]
.LBB1_6934:
	s_or_b64 exec, exec, s[6:7]
	s_and_saveexec_b64 s[6:7], s[4:5]
	s_cbranch_execz .LBB1_6936
.LBB1_6935:
	v_bfe_u32 v13, v2, 16, 3
	v_ffbh_u32_e32 v16, v13
	v_min_u32_e32 v16, 32, v16
	v_lshrrev_b32_e32 v14, 19, v2
	v_subrev_u32_e32 v17, 28, v16
	v_and_b32_e32 v14, 15, v14
	v_lshlrev_b32_sdwa v17, v17, v2 dst_sel:DWORD dst_unused:UNUSED_PAD src0_sel:DWORD src1_sel:WORD_1
	v_bfe_u32 v15, v2, 19, 4
	v_sub_u32_e32 v16, 29, v16
	v_and_b32_e32 v17, 7, v17
	v_cmp_eq_u16_e32 vcc, 0, v14
	v_cndmask_b32_e32 v13, v13, v17, vcc
	v_cndmask_b32_e32 v14, v15, v16, vcc
	v_lshlrev_b32_e32 v15, 8, v2
	v_mov_b32_e32 v16, 0x3b800000
	v_lshlrev_b32_e32 v13, 20, v13
	v_and_b32_e32 v15, 0x80000000, v15
	v_lshl_add_u32 v14, v14, 23, v16
	v_or3_b32 v14, v15, v14, v13
.LBB1_6936:
	s_or_b64 exec, exec, s[6:7]
	s_nop 0
	v_mfma_f32_16x16x4f32 a[0:3], v12, v14, a[0:3]
	s_movk_i32 s4, 0x7f
	v_cmp_gt_i16_sdwa s[6:7], v6, s4 src0_sel:BYTE_3 src1_sel:DWORD
	s_mov_b64 s[4:5], 0
                                        ; implicit-def: $sgpr10
	s_and_saveexec_b64 s[8:9], s[6:7]
	s_xor_b64 s[6:7], exec, s[8:9]
	s_cbranch_execz .LBB1_6937
; %bb.42777:
	s_getpc_b64 s[14:15]
.Lpost_getpc7052:
	s_add_u32 s14, s14, (.LBB1_21273-.Lpost_getpc7052)&4294967295
	s_addc_u32 s15, s15, (.LBB1_21273-.Lpost_getpc7052)>>32
	s_setpc_b64 s[14:15]
.LBB1_6937:
	s_or_saveexec_b64 s[6:7], s[6:7]
	v_mov_b32_e32 v12, s10
	s_xor_b64 exec, exec, s[6:7]
	s_cbranch_execz .LBB1_6938
; %bb.42779:
	s_getpc_b64 s[14:15]
.Lpost_getpc7053:
	s_add_u32 s14, s14, (.LBB1_21276-.Lpost_getpc7053)&4294967295
	s_addc_u32 s15, s15, (.LBB1_21276-.Lpost_getpc7053)>>32
	s_setpc_b64 s[14:15]
.LBB1_6938:
	s_or_b64 exec, exec, s[6:7]
	s_and_saveexec_b64 s[6:7], s[4:5]
	s_cbranch_execz .LBB1_6940
.LBB1_6939:
	v_bfe_u32 v12, v6, 24, 3
	v_ffbh_u32_e32 v16, v12
	v_min_u32_e32 v16, 32, v16
	v_lshrrev_b32_e32 v14, 27, v6
	v_subrev_u32_e32 v17, 28, v16
	v_and_b32_e32 v13, 0x80000000, v6
	v_and_b32_e32 v14, 15, v14
	v_bfe_u32 v15, v6, 27, 4
	v_lshlrev_b32_sdwa v6, v17, v6 dst_sel:DWORD dst_unused:UNUSED_PAD src0_sel:DWORD src1_sel:BYTE_3
	v_sub_u32_e32 v16, 29, v16
	v_and_b32_e32 v6, 7, v6
	v_cmp_eq_u16_e32 vcc, 0, v14
	v_cndmask_b32_e32 v6, v12, v6, vcc
	v_cndmask_b32_e32 v12, v15, v16, vcc
	v_mov_b32_e32 v14, 0x3b800000
	v_lshlrev_b32_e32 v6, 20, v6
	v_lshl_add_u32 v12, v12, 23, v14
	v_or3_b32 v12, v13, v12, v6
.LBB1_6940:
	s_or_b64 exec, exec, s[6:7]
	s_movk_i32 s4, 0x7f
	v_cmp_gt_i16_sdwa s[6:7], v2, s4 src0_sel:BYTE_3 src1_sel:DWORD
	s_mov_b64 s[4:5], 0
                                        ; implicit-def: $sgpr10
	s_and_saveexec_b64 s[8:9], s[6:7]
	s_xor_b64 s[6:7], exec, s[8:9]
	s_cbranch_execz .LBB1_6941
; %bb.42781:
	s_getpc_b64 s[14:15]
.Lpost_getpc7054:
	s_add_u32 s14, s14, (.LBB1_21277-.Lpost_getpc7054)&4294967295
	s_addc_u32 s15, s15, (.LBB1_21277-.Lpost_getpc7054)>>32
	s_setpc_b64 s[14:15]
.LBB1_6941:
	s_or_saveexec_b64 s[6:7], s[6:7]
	v_mov_b32_e32 v6, s10
	s_xor_b64 exec, exec, s[6:7]
	s_cbranch_execz .LBB1_6942
; %bb.42783:
	s_getpc_b64 s[14:15]
.Lpost_getpc7055:
	s_add_u32 s14, s14, (.LBB1_21280-.Lpost_getpc7055)&4294967295
	s_addc_u32 s15, s15, (.LBB1_21280-.Lpost_getpc7055)>>32
	s_setpc_b64 s[14:15]
.LBB1_6942:
	s_or_b64 exec, exec, s[6:7]
	s_and_saveexec_b64 s[6:7], s[4:5]
	s_cbranch_execz .LBB1_6944
.LBB1_6943:
	v_bfe_u32 v6, v2, 24, 3
	v_ffbh_u32_e32 v16, v6
	v_min_u32_e32 v16, 32, v16
	v_lshrrev_b32_e32 v14, 27, v2
	v_subrev_u32_e32 v17, 28, v16
	v_and_b32_e32 v13, 0x80000000, v2
	v_and_b32_e32 v14, 15, v14
	v_bfe_u32 v15, v2, 27, 4
	v_lshlrev_b32_sdwa v2, v17, v2 dst_sel:DWORD dst_unused:UNUSED_PAD src0_sel:DWORD src1_sel:BYTE_3
	v_sub_u32_e32 v16, 29, v16
	v_and_b32_e32 v2, 7, v2
	v_cmp_eq_u16_e32 vcc, 0, v14
	v_cndmask_b32_e32 v2, v6, v2, vcc
	v_cndmask_b32_e32 v6, v15, v16, vcc
	v_mov_b32_e32 v14, 0x3b800000
	v_lshlrev_b32_e32 v2, 20, v2
	v_lshl_add_u32 v6, v6, 23, v14
	v_or3_b32 v6, v13, v6, v2
.LBB1_6944:
	s_or_b64 exec, exec, s[6:7]
	s_nop 0
	v_mfma_f32_16x16x4f32 a[0:3], v12, v6, a[0:3]
	s_movk_i32 s4, 0x7f
	v_cmp_gt_i16_sdwa s[6:7], v7, s4 src0_sel:BYTE_0 src1_sel:DWORD
	s_mov_b64 s[4:5], 0
                                        ; implicit-def: $sgpr10
	s_and_saveexec_b64 s[8:9], s[6:7]
	s_xor_b64 s[6:7], exec, s[8:9]
	s_cbranch_execz .LBB1_6945
; %bb.42785:
	s_getpc_b64 s[14:15]
.Lpost_getpc7056:
	s_add_u32 s14, s14, (.LBB1_21281-.Lpost_getpc7056)&4294967295
	s_addc_u32 s15, s15, (.LBB1_21281-.Lpost_getpc7056)>>32
	s_setpc_b64 s[14:15]
.LBB1_6945:
	s_or_saveexec_b64 s[6:7], s[6:7]
	v_mov_b32_e32 v2, s10
	s_xor_b64 exec, exec, s[6:7]
	s_cbranch_execz .LBB1_6946
; %bb.42787:
	s_getpc_b64 s[14:15]
.Lpost_getpc7057:
	s_add_u32 s14, s14, (.LBB1_21284-.Lpost_getpc7057)&4294967295
	s_addc_u32 s15, s15, (.LBB1_21284-.Lpost_getpc7057)>>32
	s_setpc_b64 s[14:15]
.LBB1_6946:
	s_or_b64 exec, exec, s[6:7]
	s_and_saveexec_b64 s[6:7], s[4:5]
	s_cbranch_execz .LBB1_6948
.LBB1_6947:
	v_and_b32_e32 v2, 7, v7
	v_ffbh_u32_e32 v12, v2
	v_min_u32_e32 v12, 32, v12
	v_lshrrev_b16_e32 v6, 3, v7
	v_subrev_u32_e32 v13, 28, v12
	v_and_b32_e32 v6, 15, v6
	v_lshlrev_b32_e32 v13, v13, v7
	v_sub_u32_e32 v12, 29, v12
	v_and_b32_e32 v13, 7, v13
	v_cmp_eq_u16_e32 vcc, 0, v6
	v_cndmask_b32_e32 v2, v2, v13, vcc
	v_cndmask_b32_e32 v6, v6, v12, vcc
	v_lshlrev_b32_e32 v12, 24, v7
	v_mov_b32_e32 v13, 0x3b800000
	v_lshlrev_b32_e32 v2, 20, v2
	v_and_b32_e32 v12, 0x80000000, v12
	v_lshl_add_u32 v6, v6, 23, v13
	v_or3_b32 v2, v12, v6, v2
.LBB1_6948:
	s_or_b64 exec, exec, s[6:7]
	s_movk_i32 s4, 0x7f
	v_cmp_gt_i16_sdwa s[6:7], v3, s4 src0_sel:BYTE_0 src1_sel:DWORD
	s_mov_b64 s[4:5], 0
                                        ; implicit-def: $sgpr10
	s_and_saveexec_b64 s[8:9], s[6:7]
	s_xor_b64 s[6:7], exec, s[8:9]
	s_cbranch_execz .LBB1_6949
; %bb.42789:
	s_getpc_b64 s[14:15]
.Lpost_getpc7058:
	s_add_u32 s14, s14, (.LBB1_21285-.Lpost_getpc7058)&4294967295
	s_addc_u32 s15, s15, (.LBB1_21285-.Lpost_getpc7058)>>32
	s_setpc_b64 s[14:15]
.LBB1_6949:
	s_or_saveexec_b64 s[6:7], s[6:7]
	v_mov_b32_e32 v6, s10
	s_xor_b64 exec, exec, s[6:7]
	s_cbranch_execz .LBB1_6950
; %bb.42791:
	s_getpc_b64 s[14:15]
.Lpost_getpc7059:
	s_add_u32 s14, s14, (.LBB1_21288-.Lpost_getpc7059)&4294967295
	s_addc_u32 s15, s15, (.LBB1_21288-.Lpost_getpc7059)>>32
	s_setpc_b64 s[14:15]
.LBB1_6950:
	s_or_b64 exec, exec, s[6:7]
	s_and_saveexec_b64 s[6:7], s[4:5]
	s_cbranch_execz .LBB1_6952
.LBB1_6951:
	v_and_b32_e32 v6, 7, v3
	v_ffbh_u32_e32 v13, v6
	v_min_u32_e32 v13, 32, v13
	v_lshrrev_b16_e32 v12, 3, v3
	v_subrev_u32_e32 v14, 28, v13
	v_and_b32_e32 v12, 15, v12
	v_lshlrev_b32_e32 v14, v14, v3
	v_sub_u32_e32 v13, 29, v13
	v_and_b32_e32 v14, 7, v14
	v_cmp_eq_u16_e32 vcc, 0, v12
	v_cndmask_b32_e32 v6, v6, v14, vcc
	v_cndmask_b32_e32 v12, v12, v13, vcc
	v_lshlrev_b32_e32 v13, 24, v3
	v_mov_b32_e32 v14, 0x3b800000
	v_lshlrev_b32_e32 v6, 20, v6
	v_and_b32_e32 v13, 0x80000000, v13
	v_lshl_add_u32 v12, v12, 23, v14
	v_or3_b32 v6, v13, v12, v6
.LBB1_6952:
	s_or_b64 exec, exec, s[6:7]
	s_nop 0
	v_mfma_f32_16x16x4f32 a[0:3], v2, v6, a[0:3]
	v_lshrrev_b32_e32 v6, 8, v7
	s_movk_i32 s4, 0x7f
	v_cmp_gt_i16_sdwa s[6:7], v6, s4 src0_sel:BYTE_0 src1_sel:DWORD
	s_mov_b64 s[4:5], 0
                                        ; implicit-def: $sgpr10
	s_and_saveexec_b64 s[8:9], s[6:7]
	s_xor_b64 s[6:7], exec, s[8:9]
	s_cbranch_execz .LBB1_6953
; %bb.42793:
	s_getpc_b64 s[14:15]
.Lpost_getpc7060:
	s_add_u32 s14, s14, (.LBB1_21289-.Lpost_getpc7060)&4294967295
	s_addc_u32 s15, s15, (.LBB1_21289-.Lpost_getpc7060)>>32
	s_setpc_b64 s[14:15]
.LBB1_6953:
	s_or_saveexec_b64 s[6:7], s[6:7]
	v_mov_b32_e32 v2, s10
	s_xor_b64 exec, exec, s[6:7]
	s_cbranch_execz .LBB1_6954
; %bb.42795:
	s_getpc_b64 s[14:15]
.Lpost_getpc7061:
	s_add_u32 s14, s14, (.LBB1_21292-.Lpost_getpc7061)&4294967295
	s_addc_u32 s15, s15, (.LBB1_21292-.Lpost_getpc7061)>>32
	s_setpc_b64 s[14:15]
.LBB1_6954:
	s_or_b64 exec, exec, s[6:7]
	s_and_saveexec_b64 s[6:7], s[4:5]
	s_cbranch_execz .LBB1_6956
.LBB1_6955:
	v_bfe_u32 v2, v7, 8, 3
	v_ffbh_u32_e32 v13, v2
	v_min_u32_e32 v13, 32, v13
	v_lshrrev_b16_e32 v12, 3, v6
	v_subrev_u32_e32 v14, 28, v13
	v_and_b32_e32 v12, 15, v12
	v_lshlrev_b32_e32 v6, v14, v6
	v_sub_u32_e32 v13, 29, v13
	v_and_b32_e32 v6, 7, v6
	v_cmp_eq_u16_e32 vcc, 0, v12
	v_cndmask_b32_e32 v2, v2, v6, vcc
	v_cndmask_b32_e32 v6, v12, v13, vcc
	v_lshlrev_b32_e32 v12, 16, v7
	v_mov_b32_e32 v13, 0x3b800000
	v_lshlrev_b32_e32 v2, 20, v2
	v_and_b32_e32 v12, 0x80000000, v12
	v_lshl_add_u32 v6, v6, 23, v13
	v_or3_b32 v2, v12, v6, v2
.LBB1_6956:
	s_or_b64 exec, exec, s[6:7]
	v_lshrrev_b32_e32 v6, 8, v3
	s_movk_i32 s4, 0x7f
	v_cmp_gt_i16_sdwa s[6:7], v6, s4 src0_sel:BYTE_0 src1_sel:DWORD
	s_mov_b64 s[4:5], 0
                                        ; implicit-def: $sgpr10
	s_and_saveexec_b64 s[8:9], s[6:7]
	s_xor_b64 s[6:7], exec, s[8:9]
	s_cbranch_execz .LBB1_6957
; %bb.42797:
	s_getpc_b64 s[14:15]
.Lpost_getpc7062:
	s_add_u32 s14, s14, (.LBB1_21293-.Lpost_getpc7062)&4294967295
	s_addc_u32 s15, s15, (.LBB1_21293-.Lpost_getpc7062)>>32
	s_setpc_b64 s[14:15]
.LBB1_6957:
	s_or_saveexec_b64 s[6:7], s[6:7]
	v_mov_b32_e32 v12, s10
	s_xor_b64 exec, exec, s[6:7]
	s_cbranch_execz .LBB1_6958
; %bb.42799:
	s_getpc_b64 s[14:15]
.Lpost_getpc7063:
	s_add_u32 s14, s14, (.LBB1_21296-.Lpost_getpc7063)&4294967295
	s_addc_u32 s15, s15, (.LBB1_21296-.Lpost_getpc7063)>>32
	s_setpc_b64 s[14:15]
.LBB1_6958:
	s_or_b64 exec, exec, s[6:7]
	s_and_saveexec_b64 s[6:7], s[4:5]
	s_cbranch_execz .LBB1_6960
.LBB1_6959:
	v_bfe_u32 v12, v3, 8, 3
	v_ffbh_u32_e32 v14, v12
	v_min_u32_e32 v14, 32, v14
	v_lshrrev_b16_e32 v13, 3, v6
	v_subrev_u32_e32 v15, 28, v14
	v_and_b32_e32 v13, 15, v13
	v_lshlrev_b32_e32 v6, v15, v6
	v_sub_u32_e32 v14, 29, v14
	v_and_b32_e32 v6, 7, v6
	v_cmp_eq_u16_e32 vcc, 0, v13
	v_cndmask_b32_e32 v6, v12, v6, vcc
	v_cndmask_b32_e32 v12, v13, v14, vcc
	v_lshlrev_b32_e32 v13, 16, v3
	v_mov_b32_e32 v14, 0x3b800000
	v_lshlrev_b32_e32 v6, 20, v6
	v_and_b32_e32 v13, 0x80000000, v13
	v_lshl_add_u32 v12, v12, 23, v14
	v_or3_b32 v12, v13, v12, v6
.LBB1_6960:
	s_or_b64 exec, exec, s[6:7]
	s_nop 0
	v_mfma_f32_16x16x4f32 a[0:3], v2, v12, a[0:3]
	s_movk_i32 s4, 0xff
	v_and_b32_sdwa v6, v7, s4 dst_sel:DWORD dst_unused:UNUSED_PAD src0_sel:WORD_1 src1_sel:DWORD
	s_movk_i32 s4, 0x7f
	v_cmp_lt_i16_e32 vcc, s4, v6
	s_mov_b64 s[4:5], 0
                                        ; implicit-def: $sgpr10
	s_and_saveexec_b64 s[6:7], vcc
	s_xor_b64 s[6:7], exec, s[6:7]
	s_cbranch_execz .LBB1_6961
; %bb.42801:
	s_getpc_b64 s[14:15]
.Lpost_getpc7064:
	s_add_u32 s14, s14, (.LBB1_21297-.Lpost_getpc7064)&4294967295
	s_addc_u32 s15, s15, (.LBB1_21297-.Lpost_getpc7064)>>32
	s_setpc_b64 s[14:15]
.LBB1_6961:
	s_or_saveexec_b64 s[6:7], s[6:7]
	v_mov_b32_e32 v2, s10
	s_xor_b64 exec, exec, s[6:7]
	s_cbranch_execz .LBB1_6962
; %bb.42803:
	s_getpc_b64 s[14:15]
.Lpost_getpc7065:
	s_add_u32 s14, s14, (.LBB1_21300-.Lpost_getpc7065)&4294967295
	s_addc_u32 s15, s15, (.LBB1_21300-.Lpost_getpc7065)>>32
	s_setpc_b64 s[14:15]
.LBB1_6962:
	s_or_b64 exec, exec, s[6:7]
	s_and_saveexec_b64 s[6:7], s[4:5]
	s_cbranch_execz .LBB1_6964
.LBB1_6963:
	v_bfe_u32 v2, v7, 16, 3
	v_ffbh_u32_e32 v13, v2
	v_min_u32_e32 v13, 32, v13
	v_lshrrev_b32_e32 v6, 19, v7
	v_subrev_u32_e32 v14, 28, v13
	v_and_b32_e32 v6, 15, v6
	v_lshlrev_b32_sdwa v14, v14, v7 dst_sel:DWORD dst_unused:UNUSED_PAD src0_sel:DWORD src1_sel:WORD_1
	v_bfe_u32 v12, v7, 19, 4
	v_sub_u32_e32 v13, 29, v13
	v_and_b32_e32 v14, 7, v14
	v_cmp_eq_u16_e32 vcc, 0, v6
	v_cndmask_b32_e32 v2, v2, v14, vcc
	v_cndmask_b32_e32 v6, v12, v13, vcc
	v_lshlrev_b32_e32 v12, 8, v7
	v_mov_b32_e32 v13, 0x3b800000
	v_lshlrev_b32_e32 v2, 20, v2
	v_and_b32_e32 v12, 0x80000000, v12
	v_lshl_add_u32 v6, v6, 23, v13
	v_or3_b32 v2, v12, v6, v2
.LBB1_6964:
	s_or_b64 exec, exec, s[6:7]
	s_movk_i32 s4, 0xff
	v_and_b32_sdwa v6, v3, s4 dst_sel:DWORD dst_unused:UNUSED_PAD src0_sel:WORD_1 src1_sel:DWORD
	s_movk_i32 s4, 0x7f
	v_cmp_lt_i16_e32 vcc, s4, v6
	s_mov_b64 s[4:5], 0
                                        ; implicit-def: $sgpr10
	s_and_saveexec_b64 s[6:7], vcc
	s_xor_b64 s[6:7], exec, s[6:7]
	s_cbranch_execz .LBB1_6965
; %bb.42805:
	s_getpc_b64 s[14:15]
.Lpost_getpc7066:
	s_add_u32 s14, s14, (.LBB1_21301-.Lpost_getpc7066)&4294967295
	s_addc_u32 s15, s15, (.LBB1_21301-.Lpost_getpc7066)>>32
	s_setpc_b64 s[14:15]
.LBB1_6965:
	s_or_saveexec_b64 s[6:7], s[6:7]
	v_mov_b32_e32 v12, s10
	s_xor_b64 exec, exec, s[6:7]
	s_cbranch_execz .LBB1_6966
; %bb.42807:
	s_getpc_b64 s[14:15]
.Lpost_getpc7067:
	s_add_u32 s14, s14, (.LBB1_21304-.Lpost_getpc7067)&4294967295
	s_addc_u32 s15, s15, (.LBB1_21304-.Lpost_getpc7067)>>32
	s_setpc_b64 s[14:15]
.LBB1_6966:
	s_or_b64 exec, exec, s[6:7]
	s_and_saveexec_b64 s[6:7], s[4:5]
	s_cbranch_execz .LBB1_6968
.LBB1_6967:
	v_bfe_u32 v6, v3, 16, 3
	v_ffbh_u32_e32 v14, v6
	v_min_u32_e32 v14, 32, v14
	v_lshrrev_b32_e32 v12, 19, v3
	v_subrev_u32_e32 v15, 28, v14
	v_and_b32_e32 v12, 15, v12
	v_lshlrev_b32_sdwa v15, v15, v3 dst_sel:DWORD dst_unused:UNUSED_PAD src0_sel:DWORD src1_sel:WORD_1
	v_bfe_u32 v13, v3, 19, 4
	v_sub_u32_e32 v14, 29, v14
	v_and_b32_e32 v15, 7, v15
	v_cmp_eq_u16_e32 vcc, 0, v12
	v_cndmask_b32_e32 v6, v6, v15, vcc
	v_cndmask_b32_e32 v12, v13, v14, vcc
	v_lshlrev_b32_e32 v13, 8, v3
	v_mov_b32_e32 v14, 0x3b800000
	v_lshlrev_b32_e32 v6, 20, v6
	v_and_b32_e32 v13, 0x80000000, v13
	v_lshl_add_u32 v12, v12, 23, v14
	v_or3_b32 v12, v13, v12, v6
.LBB1_6968:
	s_or_b64 exec, exec, s[6:7]
	s_nop 0
	v_mfma_f32_16x16x4f32 a[0:3], v2, v12, a[0:3]
	s_movk_i32 s4, 0x7f
	v_cmp_gt_i16_sdwa s[6:7], v7, s4 src0_sel:BYTE_3 src1_sel:DWORD
	s_mov_b64 s[4:5], 0
                                        ; implicit-def: $sgpr10
	s_and_saveexec_b64 s[8:9], s[6:7]
	s_xor_b64 s[6:7], exec, s[8:9]
	s_cbranch_execz .LBB1_6969
; %bb.42809:
	s_getpc_b64 s[14:15]
.Lpost_getpc7068:
	s_add_u32 s14, s14, (.LBB1_21305-.Lpost_getpc7068)&4294967295
	s_addc_u32 s15, s15, (.LBB1_21305-.Lpost_getpc7068)>>32
	s_setpc_b64 s[14:15]
.LBB1_6969:
	s_or_saveexec_b64 s[6:7], s[6:7]
	v_mov_b32_e32 v2, s10
	s_xor_b64 exec, exec, s[6:7]
	s_cbranch_execz .LBB1_6970
; %bb.42811:
	s_getpc_b64 s[14:15]
.Lpost_getpc7069:
	s_add_u32 s14, s14, (.LBB1_21308-.Lpost_getpc7069)&4294967295
	s_addc_u32 s15, s15, (.LBB1_21308-.Lpost_getpc7069)>>32
	s_setpc_b64 s[14:15]
.LBB1_6970:
	s_or_b64 exec, exec, s[6:7]
	s_and_saveexec_b64 s[6:7], s[4:5]
	s_cbranch_execz .LBB1_6972
.LBB1_6971:
	v_bfe_u32 v2, v7, 24, 3
	v_ffbh_u32_e32 v14, v2
	v_min_u32_e32 v14, 32, v14
	v_lshrrev_b32_e32 v12, 27, v7
	v_subrev_u32_e32 v15, 28, v14
	v_and_b32_e32 v6, 0x80000000, v7
	v_and_b32_e32 v12, 15, v12
	v_bfe_u32 v13, v7, 27, 4
	v_lshlrev_b32_sdwa v7, v15, v7 dst_sel:DWORD dst_unused:UNUSED_PAD src0_sel:DWORD src1_sel:BYTE_3
	v_sub_u32_e32 v14, 29, v14
	v_and_b32_e32 v7, 7, v7
	v_cmp_eq_u16_e32 vcc, 0, v12
	v_cndmask_b32_e32 v2, v2, v7, vcc
	v_cndmask_b32_e32 v7, v13, v14, vcc
	v_mov_b32_e32 v12, 0x3b800000
	v_lshlrev_b32_e32 v2, 20, v2
	v_lshl_add_u32 v7, v7, 23, v12
	v_or3_b32 v2, v6, v7, v2
.LBB1_6972:
	s_or_b64 exec, exec, s[6:7]
	s_movk_i32 s4, 0x7f
	v_cmp_gt_i16_sdwa s[6:7], v3, s4 src0_sel:BYTE_3 src1_sel:DWORD
	s_mov_b64 s[4:5], 0
                                        ; implicit-def: $sgpr10
	s_and_saveexec_b64 s[8:9], s[6:7]
	s_xor_b64 s[6:7], exec, s[8:9]
	s_cbranch_execz .LBB1_6973
; %bb.42813:
	s_getpc_b64 s[14:15]
.Lpost_getpc7070:
	s_add_u32 s14, s14, (.LBB1_21309-.Lpost_getpc7070)&4294967295
	s_addc_u32 s15, s15, (.LBB1_21309-.Lpost_getpc7070)>>32
	s_setpc_b64 s[14:15]
.LBB1_6973:
	s_or_saveexec_b64 s[6:7], s[6:7]
	v_mov_b32_e32 v6, s10
	s_xor_b64 exec, exec, s[6:7]
	s_cbranch_execz .LBB1_6974
; %bb.42815:
	s_getpc_b64 s[14:15]
.Lpost_getpc7071:
	s_add_u32 s14, s14, (.LBB1_21312-.Lpost_getpc7071)&4294967295
	s_addc_u32 s15, s15, (.LBB1_21312-.Lpost_getpc7071)>>32
	s_setpc_b64 s[14:15]
.LBB1_6974:
	s_or_b64 exec, exec, s[6:7]
	s_and_saveexec_b64 s[6:7], s[4:5]
	s_cbranch_execz .LBB1_6976
.LBB1_6975:
	v_bfe_u32 v6, v3, 24, 3
	v_ffbh_u32_e32 v14, v6
	v_min_u32_e32 v14, 32, v14
	v_lshrrev_b32_e32 v12, 27, v3
	v_subrev_u32_e32 v15, 28, v14
	v_and_b32_e32 v7, 0x80000000, v3
	v_and_b32_e32 v12, 15, v12
	v_bfe_u32 v13, v3, 27, 4
	v_lshlrev_b32_sdwa v3, v15, v3 dst_sel:DWORD dst_unused:UNUSED_PAD src0_sel:DWORD src1_sel:BYTE_3
	v_sub_u32_e32 v14, 29, v14
	v_and_b32_e32 v3, 7, v3
	v_cmp_eq_u16_e32 vcc, 0, v12
	v_cndmask_b32_e32 v3, v6, v3, vcc
	v_cndmask_b32_e32 v6, v13, v14, vcc
	v_mov_b32_e32 v12, 0x3b800000
	v_lshlrev_b32_e32 v3, 20, v3
	v_lshl_add_u32 v6, v6, 23, v12
	v_or3_b32 v6, v7, v6, v3
.LBB1_6976:
	s_or_b64 exec, exec, s[6:7]
	s_nop 0
	v_mfma_f32_16x16x4f32 a[0:3], v2, v6, a[0:3]
	s_movk_i32 s4, 0x7f
	v_cmp_gt_i16_sdwa s[6:7], v8, s4 src0_sel:BYTE_0 src1_sel:DWORD
	s_mov_b64 s[4:5], 0
                                        ; implicit-def: $sgpr10
	s_and_saveexec_b64 s[8:9], s[6:7]
	s_xor_b64 s[6:7], exec, s[8:9]
	s_cbranch_execz .LBB1_6977
; %bb.42817:
	s_getpc_b64 s[14:15]
.Lpost_getpc7072:
	s_add_u32 s14, s14, (.LBB1_21313-.Lpost_getpc7072)&4294967295
	s_addc_u32 s15, s15, (.LBB1_21313-.Lpost_getpc7072)>>32
	s_setpc_b64 s[14:15]
.LBB1_6977:
	s_or_saveexec_b64 s[6:7], s[6:7]
	v_mov_b32_e32 v2, s10
	s_xor_b64 exec, exec, s[6:7]
	s_cbranch_execz .LBB1_6978
; %bb.42819:
	s_getpc_b64 s[14:15]
.Lpost_getpc7073:
	s_add_u32 s14, s14, (.LBB1_21316-.Lpost_getpc7073)&4294967295
	s_addc_u32 s15, s15, (.LBB1_21316-.Lpost_getpc7073)>>32
	s_setpc_b64 s[14:15]
.LBB1_6978:
	s_or_b64 exec, exec, s[6:7]
	s_and_saveexec_b64 s[6:7], s[4:5]
	s_cbranch_execz .LBB1_6980
.LBB1_6979:
	v_and_b32_e32 v2, 7, v8
	v_ffbh_u32_e32 v6, v2
	v_min_u32_e32 v6, 32, v6
	v_lshrrev_b16_e32 v3, 3, v8
	v_subrev_u32_e32 v7, 28, v6
	v_and_b32_e32 v3, 15, v3
	v_lshlrev_b32_e32 v7, v7, v8
	v_sub_u32_e32 v6, 29, v6
	v_and_b32_e32 v7, 7, v7
	v_cmp_eq_u16_e32 vcc, 0, v3
	v_cndmask_b32_e32 v2, v2, v7, vcc
	v_cndmask_b32_e32 v3, v3, v6, vcc
	v_lshlrev_b32_e32 v6, 24, v8
	v_mov_b32_e32 v7, 0x3b800000
	v_lshlrev_b32_e32 v2, 20, v2
	v_and_b32_e32 v6, 0x80000000, v6
	v_lshl_add_u32 v3, v3, 23, v7
	v_or3_b32 v2, v6, v3, v2
.LBB1_6980:
	s_or_b64 exec, exec, s[6:7]
	s_movk_i32 s4, 0x7f
	v_cmp_gt_i16_sdwa s[6:7], v4, s4 src0_sel:BYTE_0 src1_sel:DWORD
	s_mov_b64 s[4:5], 0
                                        ; implicit-def: $sgpr10
	s_and_saveexec_b64 s[8:9], s[6:7]
	s_xor_b64 s[6:7], exec, s[8:9]
	s_cbranch_execz .LBB1_6981
; %bb.42821:
	s_getpc_b64 s[14:15]
.Lpost_getpc7074:
	s_add_u32 s14, s14, (.LBB1_21317-.Lpost_getpc7074)&4294967295
	s_addc_u32 s15, s15, (.LBB1_21317-.Lpost_getpc7074)>>32
	s_setpc_b64 s[14:15]
.LBB1_6981:
	s_or_saveexec_b64 s[6:7], s[6:7]
	v_mov_b32_e32 v3, s10
	s_xor_b64 exec, exec, s[6:7]
	s_cbranch_execz .LBB1_6982
; %bb.42823:
	s_getpc_b64 s[14:15]
.Lpost_getpc7075:
	s_add_u32 s14, s14, (.LBB1_21320-.Lpost_getpc7075)&4294967295
	s_addc_u32 s15, s15, (.LBB1_21320-.Lpost_getpc7075)>>32
	s_setpc_b64 s[14:15]
.LBB1_6982:
	s_or_b64 exec, exec, s[6:7]
	s_and_saveexec_b64 s[6:7], s[4:5]
	s_cbranch_execz .LBB1_6984
.LBB1_6983:
	v_and_b32_e32 v3, 7, v4
	v_ffbh_u32_e32 v7, v3
	v_min_u32_e32 v7, 32, v7
	v_lshrrev_b16_e32 v6, 3, v4
	v_subrev_u32_e32 v12, 28, v7
	v_and_b32_e32 v6, 15, v6
	v_lshlrev_b32_e32 v12, v12, v4
	v_sub_u32_e32 v7, 29, v7
	v_and_b32_e32 v12, 7, v12
	v_cmp_eq_u16_e32 vcc, 0, v6
	v_cndmask_b32_e32 v3, v3, v12, vcc
	v_cndmask_b32_e32 v6, v6, v7, vcc
	v_lshlrev_b32_e32 v7, 24, v4
	v_mov_b32_e32 v12, 0x3b800000
	v_lshlrev_b32_e32 v3, 20, v3
	v_and_b32_e32 v7, 0x80000000, v7
	v_lshl_add_u32 v6, v6, 23, v12
	v_or3_b32 v3, v7, v6, v3
.LBB1_6984:
	s_or_b64 exec, exec, s[6:7]
	s_nop 0
	v_mfma_f32_16x16x4f32 a[0:3], v2, v3, a[0:3]
	v_lshrrev_b32_e32 v3, 8, v8
	s_movk_i32 s4, 0x7f
	v_cmp_gt_i16_sdwa s[6:7], v3, s4 src0_sel:BYTE_0 src1_sel:DWORD
	s_mov_b64 s[4:5], 0
                                        ; implicit-def: $sgpr10
	s_and_saveexec_b64 s[8:9], s[6:7]
	s_xor_b64 s[6:7], exec, s[8:9]
	s_cbranch_execz .LBB1_6985
; %bb.42825:
	s_getpc_b64 s[14:15]
.Lpost_getpc7076:
	s_add_u32 s14, s14, (.LBB1_21321-.Lpost_getpc7076)&4294967295
	s_addc_u32 s15, s15, (.LBB1_21321-.Lpost_getpc7076)>>32
	s_setpc_b64 s[14:15]
.LBB1_6985:
	s_or_saveexec_b64 s[6:7], s[6:7]
	v_mov_b32_e32 v2, s10
	s_xor_b64 exec, exec, s[6:7]
	s_cbranch_execz .LBB1_6986
; %bb.42827:
	s_getpc_b64 s[14:15]
.Lpost_getpc7077:
	s_add_u32 s14, s14, (.LBB1_21324-.Lpost_getpc7077)&4294967295
	s_addc_u32 s15, s15, (.LBB1_21324-.Lpost_getpc7077)>>32
	s_setpc_b64 s[14:15]
.LBB1_6986:
	s_or_b64 exec, exec, s[6:7]
	s_and_saveexec_b64 s[6:7], s[4:5]
	s_cbranch_execz .LBB1_6988
.LBB1_6987:
	v_bfe_u32 v2, v8, 8, 3
	v_ffbh_u32_e32 v7, v2
	v_min_u32_e32 v7, 32, v7
	v_lshrrev_b16_e32 v6, 3, v3
	v_subrev_u32_e32 v12, 28, v7
	v_and_b32_e32 v6, 15, v6
	v_lshlrev_b32_e32 v3, v12, v3
	v_sub_u32_e32 v7, 29, v7
	v_and_b32_e32 v3, 7, v3
	v_cmp_eq_u16_e32 vcc, 0, v6
	v_cndmask_b32_e32 v2, v2, v3, vcc
	v_cndmask_b32_e32 v3, v6, v7, vcc
	v_lshlrev_b32_e32 v6, 16, v8
	v_mov_b32_e32 v7, 0x3b800000
	v_lshlrev_b32_e32 v2, 20, v2
	v_and_b32_e32 v6, 0x80000000, v6
	v_lshl_add_u32 v3, v3, 23, v7
	v_or3_b32 v2, v6, v3, v2
.LBB1_6988:
	s_or_b64 exec, exec, s[6:7]
	v_lshrrev_b32_e32 v3, 8, v4
	s_movk_i32 s4, 0x7f
	v_cmp_gt_i16_sdwa s[6:7], v3, s4 src0_sel:BYTE_0 src1_sel:DWORD
	s_mov_b64 s[4:5], 0
                                        ; implicit-def: $sgpr10
	s_and_saveexec_b64 s[8:9], s[6:7]
	s_xor_b64 s[6:7], exec, s[8:9]
	s_cbranch_execz .LBB1_6989
; %bb.42829:
	s_getpc_b64 s[14:15]
.Lpost_getpc7078:
	s_add_u32 s14, s14, (.LBB1_21325-.Lpost_getpc7078)&4294967295
	s_addc_u32 s15, s15, (.LBB1_21325-.Lpost_getpc7078)>>32
	s_setpc_b64 s[14:15]
.LBB1_6989:
	s_or_saveexec_b64 s[6:7], s[6:7]
	v_mov_b32_e32 v6, s10
	s_xor_b64 exec, exec, s[6:7]
	s_cbranch_execz .LBB1_6990
; %bb.42831:
	s_getpc_b64 s[14:15]
.Lpost_getpc7079:
	s_add_u32 s14, s14, (.LBB1_21328-.Lpost_getpc7079)&4294967295
	s_addc_u32 s15, s15, (.LBB1_21328-.Lpost_getpc7079)>>32
	s_setpc_b64 s[14:15]
.LBB1_6990:
	s_or_b64 exec, exec, s[6:7]
	s_and_saveexec_b64 s[6:7], s[4:5]
	s_cbranch_execz .LBB1_6992
.LBB1_6991:
	v_bfe_u32 v6, v4, 8, 3
	v_ffbh_u32_e32 v12, v6
	v_min_u32_e32 v12, 32, v12
	v_lshrrev_b16_e32 v7, 3, v3
	v_subrev_u32_e32 v13, 28, v12
	v_and_b32_e32 v7, 15, v7
	v_lshlrev_b32_e32 v3, v13, v3
	v_sub_u32_e32 v12, 29, v12
	v_and_b32_e32 v3, 7, v3
	v_cmp_eq_u16_e32 vcc, 0, v7
	v_cndmask_b32_e32 v3, v6, v3, vcc
	v_cndmask_b32_e32 v6, v7, v12, vcc
	v_lshlrev_b32_e32 v7, 16, v4
	v_mov_b32_e32 v12, 0x3b800000
	v_lshlrev_b32_e32 v3, 20, v3
	v_and_b32_e32 v7, 0x80000000, v7
	v_lshl_add_u32 v6, v6, 23, v12
	v_or3_b32 v6, v7, v6, v3
.LBB1_6992:
	s_or_b64 exec, exec, s[6:7]
	s_nop 0
	v_mfma_f32_16x16x4f32 a[0:3], v2, v6, a[0:3]
	s_movk_i32 s4, 0xff
	v_and_b32_sdwa v3, v8, s4 dst_sel:DWORD dst_unused:UNUSED_PAD src0_sel:WORD_1 src1_sel:DWORD
	s_movk_i32 s4, 0x7f
	v_cmp_lt_i16_e32 vcc, s4, v3
	s_mov_b64 s[4:5], 0
                                        ; implicit-def: $sgpr10
	s_and_saveexec_b64 s[6:7], vcc
	s_xor_b64 s[6:7], exec, s[6:7]
	s_cbranch_execz .LBB1_6993
; %bb.42833:
	s_getpc_b64 s[14:15]
.Lpost_getpc7080:
	s_add_u32 s14, s14, (.LBB1_21329-.Lpost_getpc7080)&4294967295
	s_addc_u32 s15, s15, (.LBB1_21329-.Lpost_getpc7080)>>32
	s_setpc_b64 s[14:15]
.LBB1_6993:
	s_or_saveexec_b64 s[6:7], s[6:7]
	v_mov_b32_e32 v2, s10
	s_xor_b64 exec, exec, s[6:7]
	s_cbranch_execz .LBB1_6994
; %bb.42835:
	s_getpc_b64 s[14:15]
.Lpost_getpc7081:
	s_add_u32 s14, s14, (.LBB1_21332-.Lpost_getpc7081)&4294967295
	s_addc_u32 s15, s15, (.LBB1_21332-.Lpost_getpc7081)>>32
	s_setpc_b64 s[14:15]
.LBB1_6994:
	s_or_b64 exec, exec, s[6:7]
	s_and_saveexec_b64 s[6:7], s[4:5]
	s_cbranch_execz .LBB1_6996
.LBB1_6995:
	v_bfe_u32 v2, v8, 16, 3
	v_ffbh_u32_e32 v7, v2
	v_min_u32_e32 v7, 32, v7
	v_lshrrev_b32_e32 v3, 19, v8
	v_subrev_u32_e32 v12, 28, v7
	v_and_b32_e32 v3, 15, v3
	v_lshlrev_b32_sdwa v12, v12, v8 dst_sel:DWORD dst_unused:UNUSED_PAD src0_sel:DWORD src1_sel:WORD_1
	v_bfe_u32 v6, v8, 19, 4
	v_sub_u32_e32 v7, 29, v7
	v_and_b32_e32 v12, 7, v12
	v_cmp_eq_u16_e32 vcc, 0, v3
	v_cndmask_b32_e32 v2, v2, v12, vcc
	v_cndmask_b32_e32 v3, v6, v7, vcc
	v_lshlrev_b32_e32 v6, 8, v8
	v_mov_b32_e32 v7, 0x3b800000
	v_lshlrev_b32_e32 v2, 20, v2
	v_and_b32_e32 v6, 0x80000000, v6
	v_lshl_add_u32 v3, v3, 23, v7
	v_or3_b32 v2, v6, v3, v2
.LBB1_6996:
	s_or_b64 exec, exec, s[6:7]
	s_movk_i32 s4, 0xff
	v_and_b32_sdwa v3, v4, s4 dst_sel:DWORD dst_unused:UNUSED_PAD src0_sel:WORD_1 src1_sel:DWORD
	s_movk_i32 s4, 0x7f
	v_cmp_lt_i16_e32 vcc, s4, v3
	s_mov_b64 s[4:5], 0
                                        ; implicit-def: $sgpr10
	s_and_saveexec_b64 s[6:7], vcc
	s_xor_b64 s[6:7], exec, s[6:7]
	s_cbranch_execz .LBB1_6997
; %bb.42837:
	s_getpc_b64 s[14:15]
.Lpost_getpc7082:
	s_add_u32 s14, s14, (.LBB1_21333-.Lpost_getpc7082)&4294967295
	s_addc_u32 s15, s15, (.LBB1_21333-.Lpost_getpc7082)>>32
	s_setpc_b64 s[14:15]
.LBB1_6997:
	s_or_saveexec_b64 s[6:7], s[6:7]
	v_mov_b32_e32 v6, s10
	s_xor_b64 exec, exec, s[6:7]
	s_cbranch_execz .LBB1_6998
; %bb.42839:
	s_getpc_b64 s[14:15]
.Lpost_getpc7083:
	s_add_u32 s14, s14, (.LBB1_21336-.Lpost_getpc7083)&4294967295
	s_addc_u32 s15, s15, (.LBB1_21336-.Lpost_getpc7083)>>32
	s_setpc_b64 s[14:15]
.LBB1_6998:
	s_or_b64 exec, exec, s[6:7]
	s_and_saveexec_b64 s[6:7], s[4:5]
	s_cbranch_execz .LBB1_7000
.LBB1_6999:
	v_bfe_u32 v3, v4, 16, 3
	v_ffbh_u32_e32 v12, v3
	v_min_u32_e32 v12, 32, v12
	v_lshrrev_b32_e32 v6, 19, v4
	v_subrev_u32_e32 v13, 28, v12
	v_and_b32_e32 v6, 15, v6
	v_lshlrev_b32_sdwa v13, v13, v4 dst_sel:DWORD dst_unused:UNUSED_PAD src0_sel:DWORD src1_sel:WORD_1
	v_bfe_u32 v7, v4, 19, 4
	v_sub_u32_e32 v12, 29, v12
	v_and_b32_e32 v13, 7, v13
	v_cmp_eq_u16_e32 vcc, 0, v6
	v_cndmask_b32_e32 v3, v3, v13, vcc
	v_cndmask_b32_e32 v6, v7, v12, vcc
	v_lshlrev_b32_e32 v7, 8, v4
	v_mov_b32_e32 v12, 0x3b800000
	v_lshlrev_b32_e32 v3, 20, v3
	v_and_b32_e32 v7, 0x80000000, v7
	v_lshl_add_u32 v6, v6, 23, v12
	v_or3_b32 v6, v7, v6, v3
.LBB1_7000:
	s_or_b64 exec, exec, s[6:7]
	s_nop 0
	v_mfma_f32_16x16x4f32 a[0:3], v2, v6, a[0:3]
	s_movk_i32 s4, 0x7f
	v_cmp_gt_i16_sdwa s[6:7], v8, s4 src0_sel:BYTE_3 src1_sel:DWORD
	s_mov_b64 s[4:5], 0
                                        ; implicit-def: $sgpr10
	s_and_saveexec_b64 s[8:9], s[6:7]
	s_xor_b64 s[6:7], exec, s[8:9]
	s_cbranch_execz .LBB1_7001
; %bb.42841:
	s_getpc_b64 s[14:15]
.Lpost_getpc7084:
	s_add_u32 s14, s14, (.LBB1_21337-.Lpost_getpc7084)&4294967295
	s_addc_u32 s15, s15, (.LBB1_21337-.Lpost_getpc7084)>>32
	s_setpc_b64 s[14:15]
.LBB1_7001:
	s_or_saveexec_b64 s[6:7], s[6:7]
	v_mov_b32_e32 v2, s10
	s_xor_b64 exec, exec, s[6:7]
	s_cbranch_execz .LBB1_7002
; %bb.42843:
	s_getpc_b64 s[14:15]
.Lpost_getpc7085:
	s_add_u32 s14, s14, (.LBB1_21340-.Lpost_getpc7085)&4294967295
	s_addc_u32 s15, s15, (.LBB1_21340-.Lpost_getpc7085)>>32
	s_setpc_b64 s[14:15]
.LBB1_7002:
	s_or_b64 exec, exec, s[6:7]
	s_and_saveexec_b64 s[6:7], s[4:5]
	s_cbranch_execz .LBB1_7004
.LBB1_7003:
	v_bfe_u32 v2, v8, 24, 3
	v_ffbh_u32_e32 v12, v2
	v_min_u32_e32 v12, 32, v12
	v_lshrrev_b32_e32 v6, 27, v8
	v_subrev_u32_e32 v13, 28, v12
	v_and_b32_e32 v3, 0x80000000, v8
	v_and_b32_e32 v6, 15, v6
	v_bfe_u32 v7, v8, 27, 4
	v_lshlrev_b32_sdwa v8, v13, v8 dst_sel:DWORD dst_unused:UNUSED_PAD src0_sel:DWORD src1_sel:BYTE_3
	v_sub_u32_e32 v12, 29, v12
	v_and_b32_e32 v8, 7, v8
	v_cmp_eq_u16_e32 vcc, 0, v6
	v_cndmask_b32_e32 v2, v2, v8, vcc
	v_cndmask_b32_e32 v6, v7, v12, vcc
	v_mov_b32_e32 v7, 0x3b800000
	v_lshlrev_b32_e32 v2, 20, v2
	v_lshl_add_u32 v6, v6, 23, v7
	v_or3_b32 v2, v3, v6, v2
.LBB1_7004:
	s_or_b64 exec, exec, s[6:7]
	s_movk_i32 s4, 0x7f
	v_cmp_gt_i16_sdwa s[6:7], v4, s4 src0_sel:BYTE_3 src1_sel:DWORD
	s_mov_b64 s[4:5], 0
                                        ; implicit-def: $sgpr10
	s_and_saveexec_b64 s[8:9], s[6:7]
	s_xor_b64 s[6:7], exec, s[8:9]
	s_cbranch_execz .LBB1_7005
; %bb.42845:
	s_getpc_b64 s[14:15]
.Lpost_getpc7086:
	s_add_u32 s14, s14, (.LBB1_21341-.Lpost_getpc7086)&4294967295
	s_addc_u32 s15, s15, (.LBB1_21341-.Lpost_getpc7086)>>32
	s_setpc_b64 s[14:15]
.LBB1_7005:
	s_or_saveexec_b64 s[6:7], s[6:7]
	v_mov_b32_e32 v3, s10
	s_xor_b64 exec, exec, s[6:7]
	s_cbranch_execz .LBB1_7006
; %bb.42847:
	s_getpc_b64 s[14:15]
.Lpost_getpc7087:
	s_add_u32 s14, s14, (.LBB1_21344-.Lpost_getpc7087)&4294967295
	s_addc_u32 s15, s15, (.LBB1_21344-.Lpost_getpc7087)>>32
	s_setpc_b64 s[14:15]
.LBB1_7006:
	s_or_b64 exec, exec, s[6:7]
	s_and_saveexec_b64 s[6:7], s[4:5]
	s_cbranch_execz .LBB1_7008
.LBB1_7007:
	v_bfe_u32 v3, v4, 24, 3
	v_ffbh_u32_e32 v12, v3
	v_min_u32_e32 v12, 32, v12
	v_lshrrev_b32_e32 v7, 27, v4
	v_subrev_u32_e32 v13, 28, v12
	v_and_b32_e32 v6, 0x80000000, v4
	v_and_b32_e32 v7, 15, v7
	v_bfe_u32 v8, v4, 27, 4
	v_lshlrev_b32_sdwa v4, v13, v4 dst_sel:DWORD dst_unused:UNUSED_PAD src0_sel:DWORD src1_sel:BYTE_3
	v_sub_u32_e32 v12, 29, v12
	v_and_b32_e32 v4, 7, v4
	v_cmp_eq_u16_e32 vcc, 0, v7
	v_cndmask_b32_e32 v3, v3, v4, vcc
	v_cndmask_b32_e32 v4, v8, v12, vcc
	v_mov_b32_e32 v7, 0x3b800000
	v_lshlrev_b32_e32 v3, 20, v3
	v_lshl_add_u32 v4, v4, 23, v7
	v_or3_b32 v3, v6, v4, v3
.LBB1_7008:
	s_or_b64 exec, exec, s[6:7]
	s_nop 0
	v_mfma_f32_16x16x4f32 a[0:3], v2, v3, a[0:3]
	s_movk_i32 s4, 0x7f
	v_cmp_gt_i16_sdwa s[6:7], v9, s4 src0_sel:BYTE_0 src1_sel:DWORD
	s_mov_b64 s[4:5], 0
                                        ; implicit-def: $sgpr10
	s_and_saveexec_b64 s[8:9], s[6:7]
	s_xor_b64 s[6:7], exec, s[8:9]
	s_cbranch_execz .LBB1_7009
; %bb.42849:
	s_getpc_b64 s[14:15]
.Lpost_getpc7088:
	s_add_u32 s14, s14, (.LBB1_21345-.Lpost_getpc7088)&4294967295
	s_addc_u32 s15, s15, (.LBB1_21345-.Lpost_getpc7088)>>32
	s_setpc_b64 s[14:15]
.LBB1_7009:
	s_or_saveexec_b64 s[6:7], s[6:7]
	v_mov_b32_e32 v2, s10
	s_xor_b64 exec, exec, s[6:7]
	s_cbranch_execz .LBB1_7010
; %bb.42851:
	s_getpc_b64 s[14:15]
.Lpost_getpc7089:
	s_add_u32 s14, s14, (.LBB1_21348-.Lpost_getpc7089)&4294967295
	s_addc_u32 s15, s15, (.LBB1_21348-.Lpost_getpc7089)>>32
	s_setpc_b64 s[14:15]
.LBB1_7010:
	s_or_b64 exec, exec, s[6:7]
	s_and_saveexec_b64 s[6:7], s[4:5]
	s_cbranch_execz .LBB1_7012
.LBB1_7011:
	v_mov_b32_e32 v2, 8
	v_and_b32_e32 v3, 7, v9
	v_lshrrev_b32_sdwa v2, v2, v9 dst_sel:BYTE_1 dst_unused:UNUSED_PAD src0_sel:DWORD src1_sel:DWORD
	v_ffbh_u32_e32 v4, v3
	v_or_b32_sdwa v2, v9, v2 dst_sel:DWORD dst_unused:UNUSED_PAD src0_sel:BYTE_0 src1_sel:DWORD
	v_min_u32_e32 v4, 32, v4
	v_lshrrev_b16_e32 v2, 3, v2
	v_subrev_u32_e32 v6, 28, v4
	v_and_b32_e32 v2, 15, v2
	v_lshlrev_b32_e32 v6, v6, v9
	v_sub_u32_e32 v4, 29, v4
	v_and_b32_e32 v6, 7, v6
	v_cmp_eq_u16_e32 vcc, 0, v2
	v_cndmask_b32_e32 v3, v3, v6, vcc
	v_cndmask_b32_e32 v2, v2, v4, vcc
	v_lshlrev_b32_e32 v4, 24, v9
	v_mov_b32_e32 v6, 0x3b800000
	v_lshlrev_b32_e32 v3, 20, v3
	v_and_b32_e32 v4, 0x80000000, v4
	v_lshl_add_u32 v2, v2, 23, v6
	v_or3_b32 v2, v4, v2, v3
.LBB1_7012:
	s_or_b64 exec, exec, s[6:7]
	s_movk_i32 s4, 0x7f
	v_cmp_gt_i16_sdwa s[6:7], v5, s4 src0_sel:BYTE_0 src1_sel:DWORD
	s_mov_b64 s[4:5], 0
                                        ; implicit-def: $sgpr10
	s_and_saveexec_b64 s[8:9], s[6:7]
	s_xor_b64 s[6:7], exec, s[8:9]
	s_cbranch_execz .LBB1_7013
; %bb.42853:
	s_getpc_b64 s[14:15]
.Lpost_getpc7090:
	s_add_u32 s14, s14, (.LBB1_21349-.Lpost_getpc7090)&4294967295
	s_addc_u32 s15, s15, (.LBB1_21349-.Lpost_getpc7090)>>32
	s_setpc_b64 s[14:15]
.LBB1_7013:
	s_or_saveexec_b64 s[6:7], s[6:7]
	v_mov_b32_e32 v3, s10
	s_xor_b64 exec, exec, s[6:7]
	s_cbranch_execz .LBB1_7014
; %bb.42855:
	s_getpc_b64 s[14:15]
.Lpost_getpc7091:
	s_add_u32 s14, s14, (.LBB1_21352-.Lpost_getpc7091)&4294967295
	s_addc_u32 s15, s15, (.LBB1_21352-.Lpost_getpc7091)>>32
	s_setpc_b64 s[14:15]
.LBB1_7014:
	s_or_b64 exec, exec, s[6:7]
	s_and_saveexec_b64 s[6:7], s[4:5]
	s_cbranch_execz .LBB1_7016
.LBB1_7015:
	v_mov_b32_e32 v3, 8
	v_and_b32_e32 v4, 7, v5
	v_lshrrev_b32_sdwa v3, v3, v5 dst_sel:BYTE_1 dst_unused:UNUSED_PAD src0_sel:DWORD src1_sel:DWORD
	v_ffbh_u32_e32 v6, v4
	v_or_b32_sdwa v3, v5, v3 dst_sel:DWORD dst_unused:UNUSED_PAD src0_sel:BYTE_0 src1_sel:DWORD
	v_min_u32_e32 v6, 32, v6
	v_lshrrev_b16_e32 v3, 3, v3
	v_subrev_u32_e32 v7, 28, v6
	v_and_b32_e32 v3, 15, v3
	v_lshlrev_b32_e32 v7, v7, v5
	v_sub_u32_e32 v6, 29, v6
	v_and_b32_e32 v7, 7, v7
	v_cmp_eq_u16_e32 vcc, 0, v3
	v_cndmask_b32_e32 v4, v4, v7, vcc
	v_cndmask_b32_e32 v3, v3, v6, vcc
	v_lshlrev_b32_e32 v6, 24, v5
	v_mov_b32_e32 v7, 0x3b800000
	v_lshlrev_b32_e32 v4, 20, v4
	v_and_b32_e32 v6, 0x80000000, v6
	v_lshl_add_u32 v3, v3, 23, v7
	v_or3_b32 v3, v6, v3, v4
.LBB1_7016:
	s_or_b64 exec, exec, s[6:7]
	s_nop 0
	v_mfma_f32_16x16x4f32 a[0:3], v2, v3, a[0:3]
	v_lshrrev_b32_e32 v3, 8, v9
	s_movk_i32 s4, 0x7f
	v_cmp_gt_i16_sdwa s[6:7], v3, s4 src0_sel:BYTE_0 src1_sel:DWORD
	s_mov_b64 s[4:5], 0
                                        ; implicit-def: $sgpr10
	s_and_saveexec_b64 s[8:9], s[6:7]
	s_xor_b64 s[6:7], exec, s[8:9]
	s_cbranch_execz .LBB1_7017
; %bb.42857:
	s_getpc_b64 s[14:15]
.Lpost_getpc7092:
	s_add_u32 s14, s14, (.LBB1_21353-.Lpost_getpc7092)&4294967295
	s_addc_u32 s15, s15, (.LBB1_21353-.Lpost_getpc7092)>>32
	s_setpc_b64 s[14:15]
.LBB1_7017:
	s_or_saveexec_b64 s[6:7], s[6:7]
	v_mov_b32_e32 v2, s10
	s_xor_b64 exec, exec, s[6:7]
	s_cbranch_execz .LBB1_7018
; %bb.42859:
	s_getpc_b64 s[14:15]
.Lpost_getpc7093:
	s_add_u32 s14, s14, (.LBB1_21356-.Lpost_getpc7093)&4294967295
	s_addc_u32 s15, s15, (.LBB1_21356-.Lpost_getpc7093)>>32
	s_setpc_b64 s[14:15]
.LBB1_7018:
	s_or_b64 exec, exec, s[6:7]
	s_and_saveexec_b64 s[6:7], s[4:5]
	s_cbranch_execz .LBB1_7020
.LBB1_7019:
	v_bfe_u32 v2, v9, 8, 3
	v_ffbh_u32_e32 v6, v2
	v_min_u32_e32 v6, 32, v6
	v_lshrrev_b16_e32 v4, 3, v3
	v_subrev_u32_e32 v7, 28, v6
	v_and_b32_e32 v4, 15, v4
	v_lshlrev_b32_e32 v3, v7, v3
	v_sub_u32_e32 v6, 29, v6
	v_and_b32_e32 v3, 7, v3
	v_cmp_eq_u16_e32 vcc, 0, v4
	v_cndmask_b32_e32 v2, v2, v3, vcc
	v_cndmask_b32_e32 v3, v4, v6, vcc
	v_lshlrev_b32_e32 v4, 16, v9
	v_mov_b32_e32 v6, 0x3b800000
	v_lshlrev_b32_e32 v2, 20, v2
	v_and_b32_e32 v4, 0x80000000, v4
	v_lshl_add_u32 v3, v3, 23, v6
	v_or3_b32 v2, v4, v3, v2
.LBB1_7020:
	s_or_b64 exec, exec, s[6:7]
	v_lshrrev_b32_e32 v3, 8, v5
	s_movk_i32 s4, 0x7f
	v_cmp_gt_i16_sdwa s[6:7], v3, s4 src0_sel:BYTE_0 src1_sel:DWORD
	s_mov_b64 s[4:5], 0
                                        ; implicit-def: $sgpr10
	s_and_saveexec_b64 s[8:9], s[6:7]
	s_xor_b64 s[6:7], exec, s[8:9]
	s_cbranch_execz .LBB1_7021
; %bb.42861:
	s_getpc_b64 s[14:15]
.Lpost_getpc7094:
	s_add_u32 s14, s14, (.LBB1_21357-.Lpost_getpc7094)&4294967295
	s_addc_u32 s15, s15, (.LBB1_21357-.Lpost_getpc7094)>>32
	s_setpc_b64 s[14:15]
.LBB1_7021:
	s_or_saveexec_b64 s[6:7], s[6:7]
	v_mov_b32_e32 v4, s10
	s_xor_b64 exec, exec, s[6:7]
	s_cbranch_execz .LBB1_7022
; %bb.42863:
	s_getpc_b64 s[14:15]
.Lpost_getpc7095:
	s_add_u32 s14, s14, (.LBB1_21360-.Lpost_getpc7095)&4294967295
	s_addc_u32 s15, s15, (.LBB1_21360-.Lpost_getpc7095)>>32
	s_setpc_b64 s[14:15]
.LBB1_7022:
	s_or_b64 exec, exec, s[6:7]
	s_and_saveexec_b64 s[6:7], s[4:5]
	s_cbranch_execz .LBB1_7024
.LBB1_7023:
	v_bfe_u32 v4, v5, 8, 3
	v_ffbh_u32_e32 v7, v4
	v_min_u32_e32 v7, 32, v7
	v_lshrrev_b16_e32 v6, 3, v3
	v_subrev_u32_e32 v8, 28, v7
	v_and_b32_e32 v6, 15, v6
	v_lshlrev_b32_e32 v3, v8, v3
	v_sub_u32_e32 v7, 29, v7
	v_and_b32_e32 v3, 7, v3
	v_cmp_eq_u16_e32 vcc, 0, v6
	v_cndmask_b32_e32 v3, v4, v3, vcc
	v_cndmask_b32_e32 v4, v6, v7, vcc
	v_lshlrev_b32_e32 v6, 16, v5
	v_mov_b32_e32 v7, 0x3b800000
	v_lshlrev_b32_e32 v3, 20, v3
	v_and_b32_e32 v6, 0x80000000, v6
	v_lshl_add_u32 v4, v4, 23, v7
	v_or3_b32 v4, v6, v4, v3
.LBB1_7024:
	s_or_b64 exec, exec, s[6:7]
	s_nop 0
	v_mfma_f32_16x16x4f32 a[0:3], v2, v4, a[0:3]
	s_movk_i32 s4, 0xff
	v_and_b32_sdwa v3, v9, s4 dst_sel:DWORD dst_unused:UNUSED_PAD src0_sel:WORD_1 src1_sel:DWORD
	s_movk_i32 s4, 0x7f
	v_cmp_lt_i16_e32 vcc, s4, v3
	s_mov_b64 s[4:5], 0
                                        ; implicit-def: $sgpr10
	s_and_saveexec_b64 s[6:7], vcc
	s_xor_b64 s[6:7], exec, s[6:7]
	s_cbranch_execz .LBB1_7025
; %bb.42865:
	s_getpc_b64 s[14:15]
.Lpost_getpc7096:
	s_add_u32 s14, s14, (.LBB1_21361-.Lpost_getpc7096)&4294967295
	s_addc_u32 s15, s15, (.LBB1_21361-.Lpost_getpc7096)>>32
	s_setpc_b64 s[14:15]
.LBB1_7025:
	s_or_saveexec_b64 s[6:7], s[6:7]
	v_mov_b32_e32 v2, s10
	s_xor_b64 exec, exec, s[6:7]
	s_cbranch_execz .LBB1_7026
; %bb.42867:
	s_getpc_b64 s[14:15]
.Lpost_getpc7097:
	s_add_u32 s14, s14, (.LBB1_21364-.Lpost_getpc7097)&4294967295
	s_addc_u32 s15, s15, (.LBB1_21364-.Lpost_getpc7097)>>32
	s_setpc_b64 s[14:15]
.LBB1_7026:
	s_or_b64 exec, exec, s[6:7]
	s_and_saveexec_b64 s[6:7], s[4:5]
	s_cbranch_execz .LBB1_7028
.LBB1_7027:
	v_bfe_u32 v2, v9, 16, 3
	v_ffbh_u32_e32 v6, v2
	v_min_u32_e32 v6, 32, v6
	v_lshrrev_b32_e32 v3, 19, v9
	v_subrev_u32_e32 v7, 28, v6
	v_and_b32_e32 v3, 15, v3
	v_lshlrev_b32_sdwa v7, v7, v9 dst_sel:DWORD dst_unused:UNUSED_PAD src0_sel:DWORD src1_sel:WORD_1
	v_bfe_u32 v4, v9, 19, 4
	v_sub_u32_e32 v6, 29, v6
	v_and_b32_e32 v7, 7, v7
	v_cmp_eq_u16_e32 vcc, 0, v3
	v_cndmask_b32_e32 v2, v2, v7, vcc
	v_cndmask_b32_e32 v3, v4, v6, vcc
	v_lshlrev_b32_e32 v4, 8, v9
	v_mov_b32_e32 v6, 0x3b800000
	v_lshlrev_b32_e32 v2, 20, v2
	v_and_b32_e32 v4, 0x80000000, v4
	v_lshl_add_u32 v3, v3, 23, v6
	v_or3_b32 v2, v4, v3, v2
.LBB1_7028:
	s_or_b64 exec, exec, s[6:7]
	s_movk_i32 s4, 0xff
	v_and_b32_sdwa v3, v5, s4 dst_sel:DWORD dst_unused:UNUSED_PAD src0_sel:WORD_1 src1_sel:DWORD
	s_movk_i32 s4, 0x7f
	v_cmp_lt_i16_e32 vcc, s4, v3
	s_mov_b64 s[4:5], 0
                                        ; implicit-def: $sgpr10
	s_and_saveexec_b64 s[6:7], vcc
	s_xor_b64 s[6:7], exec, s[6:7]
	s_cbranch_execz .LBB1_7029
; %bb.42869:
	s_getpc_b64 s[14:15]
.Lpost_getpc7098:
	s_add_u32 s14, s14, (.LBB1_21365-.Lpost_getpc7098)&4294967295
	s_addc_u32 s15, s15, (.LBB1_21365-.Lpost_getpc7098)>>32
	s_setpc_b64 s[14:15]
.LBB1_7029:
	s_or_saveexec_b64 s[6:7], s[6:7]
	v_mov_b32_e32 v4, s10
	s_xor_b64 exec, exec, s[6:7]
	s_cbranch_execz .LBB1_7030
; %bb.42871:
	s_getpc_b64 s[14:15]
.Lpost_getpc7099:
	s_add_u32 s14, s14, (.LBB1_21368-.Lpost_getpc7099)&4294967295
	s_addc_u32 s15, s15, (.LBB1_21368-.Lpost_getpc7099)>>32
	s_setpc_b64 s[14:15]
.LBB1_7030:
	s_or_b64 exec, exec, s[6:7]
	s_and_saveexec_b64 s[6:7], s[4:5]
	s_cbranch_execz .LBB1_7032
.LBB1_7031:
	v_bfe_u32 v3, v5, 16, 3
	v_ffbh_u32_e32 v7, v3
	v_min_u32_e32 v7, 32, v7
	v_lshrrev_b32_e32 v4, 19, v5
	v_subrev_u32_e32 v8, 28, v7
	v_and_b32_e32 v4, 15, v4
	v_lshlrev_b32_sdwa v8, v8, v5 dst_sel:DWORD dst_unused:UNUSED_PAD src0_sel:DWORD src1_sel:WORD_1
	v_bfe_u32 v6, v5, 19, 4
	v_sub_u32_e32 v7, 29, v7
	v_and_b32_e32 v8, 7, v8
	v_cmp_eq_u16_e32 vcc, 0, v4
	v_cndmask_b32_e32 v3, v3, v8, vcc
	v_cndmask_b32_e32 v4, v6, v7, vcc
	v_lshlrev_b32_e32 v6, 8, v5
	v_mov_b32_e32 v7, 0x3b800000
	v_lshlrev_b32_e32 v3, 20, v3
	v_and_b32_e32 v6, 0x80000000, v6
	v_lshl_add_u32 v4, v4, 23, v7
	v_or3_b32 v4, v6, v4, v3
.LBB1_7032:
	s_or_b64 exec, exec, s[6:7]
	s_nop 0
	v_mfma_f32_16x16x4f32 a[0:3], v2, v4, a[0:3]
	s_movk_i32 s4, 0x7f
	v_cmp_gt_i16_sdwa s[6:7], v9, s4 src0_sel:BYTE_3 src1_sel:DWORD
	s_mov_b64 s[4:5], 0
                                        ; implicit-def: $sgpr10
	s_and_saveexec_b64 s[8:9], s[6:7]
	s_xor_b64 s[6:7], exec, s[8:9]
	s_cbranch_execz .LBB1_7033
; %bb.42873:
	s_getpc_b64 s[14:15]
.Lpost_getpc7100:
	s_add_u32 s14, s14, (.LBB1_21369-.Lpost_getpc7100)&4294967295
	s_addc_u32 s15, s15, (.LBB1_21369-.Lpost_getpc7100)>>32
	s_setpc_b64 s[14:15]
.LBB1_7033:
	s_or_saveexec_b64 s[6:7], s[6:7]
	v_mov_b32_e32 v2, s10
	s_xor_b64 exec, exec, s[6:7]
	s_cbranch_execz .LBB1_7034
; %bb.42875:
	s_getpc_b64 s[14:15]
.Lpost_getpc7101:
	s_add_u32 s14, s14, (.LBB1_21372-.Lpost_getpc7101)&4294967295
	s_addc_u32 s15, s15, (.LBB1_21372-.Lpost_getpc7101)>>32
	s_setpc_b64 s[14:15]
.LBB1_7034:
	s_or_b64 exec, exec, s[6:7]
	s_and_saveexec_b64 s[6:7], s[4:5]
	s_cbranch_execz .LBB1_7036
.LBB1_7035:
	v_bfe_u32 v2, v9, 24, 3
	v_ffbh_u32_e32 v7, v2
	v_min_u32_e32 v7, 32, v7
	v_lshrrev_b32_e32 v4, 27, v9
	v_subrev_u32_e32 v8, 28, v7
	v_and_b32_e32 v4, 15, v4
	v_lshlrev_b32_sdwa v8, v8, v9 dst_sel:DWORD dst_unused:UNUSED_PAD src0_sel:DWORD src1_sel:BYTE_3
	v_bfe_u32 v6, v9, 27, 4
	v_sub_u32_e32 v7, 29, v7
	v_and_b32_e32 v8, 7, v8
	v_cmp_eq_u16_e32 vcc, 0, v4
	v_cndmask_b32_e32 v2, v2, v8, vcc
	v_cndmask_b32_e32 v4, v6, v7, vcc
	v_mov_b32_e32 v6, 0x3b800000
	v_and_b32_e32 v3, 0x80000000, v9
	v_lshlrev_b32_e32 v2, 20, v2
	v_lshl_add_u32 v4, v4, 23, v6
	v_or3_b32 v2, v3, v4, v2
.LBB1_7036:
	s_or_b64 exec, exec, s[6:7]
	s_movk_i32 s4, 0x7f
	v_cmp_gt_i16_sdwa s[6:7], v5, s4 src0_sel:BYTE_3 src1_sel:DWORD
	s_mov_b64 s[4:5], 0
                                        ; implicit-def: $sgpr10
	s_and_saveexec_b64 s[8:9], s[6:7]
	s_xor_b64 s[6:7], exec, s[8:9]
	s_cbranch_execz .LBB1_7037
; %bb.42877:
	s_getpc_b64 s[14:15]
.Lpost_getpc7102:
	s_add_u32 s14, s14, (.LBB1_21373-.Lpost_getpc7102)&4294967295
	s_addc_u32 s15, s15, (.LBB1_21373-.Lpost_getpc7102)>>32
	s_setpc_b64 s[14:15]
.LBB1_7037:
	s_or_saveexec_b64 s[6:7], s[6:7]
	v_mov_b32_e32 v3, s10
	s_xor_b64 exec, exec, s[6:7]
	s_cbranch_execz .LBB1_7038
; %bb.42879:
	s_getpc_b64 s[14:15]
.Lpost_getpc7103:
	s_add_u32 s14, s14, (.LBB1_21376-.Lpost_getpc7103)&4294967295
	s_addc_u32 s15, s15, (.LBB1_21376-.Lpost_getpc7103)>>32
	s_setpc_b64 s[14:15]
.LBB1_7038:
	s_or_b64 exec, exec, s[6:7]
	s_and_saveexec_b64 s[6:7], s[4:5]
	s_cbranch_execz .LBB1_7040
.LBB1_7039:
	v_bfe_u32 v3, v5, 24, 3
	v_ffbh_u32_e32 v8, v3
	v_min_u32_e32 v8, 32, v8
	v_lshrrev_b32_e32 v6, 27, v5
	v_subrev_u32_e32 v9, 28, v8
	v_and_b32_e32 v4, 0x80000000, v5
	v_and_b32_e32 v6, 15, v6
	v_bfe_u32 v7, v5, 27, 4
	v_lshlrev_b32_sdwa v5, v9, v5 dst_sel:DWORD dst_unused:UNUSED_PAD src0_sel:DWORD src1_sel:BYTE_3
	v_sub_u32_e32 v8, 29, v8
	v_and_b32_e32 v5, 7, v5
	v_cmp_eq_u16_e32 vcc, 0, v6
	v_cndmask_b32_e32 v3, v3, v5, vcc
	v_cndmask_b32_e32 v5, v7, v8, vcc
	v_mov_b32_e32 v6, 0x3b800000
	v_lshlrev_b32_e32 v3, 20, v3
	v_lshl_add_u32 v5, v5, 23, v6
	v_or3_b32 v3, v4, v5, v3
.LBB1_7040:
	s_or_b64 exec, exec, s[6:7]
	s_nop 0
	v_mfma_f32_16x16x4f32 a[0:3], v2, v3, a[0:3]
	s_movk_i32 s4, 0x7f
                                        ; implicit-def: $sgpr10
	s_nop 7
	s_nop 1
	flat_store_dwordx4 v[10:11], a[0:3] offset:864
	flat_load_dwordx4 v[12:15], v[0:1]
	s_nop 0
	flat_load_dwordx2 v[10:11], v[0:1] offset:16
	s_waitcnt vmcnt(0) lgkmcnt(0)
	flat_load_dwordx4 v[6:9], v[12:13] offset:96
	flat_load_dwordx4 v[2:5], v[14:15] offset:112
	s_waitcnt vmcnt(0) lgkmcnt(0)
	v_cmp_gt_i16_sdwa s[6:7], v6, s4 src0_sel:BYTE_0 src1_sel:DWORD
	s_mov_b64 s[4:5], 0
	s_and_saveexec_b64 s[8:9], s[6:7]
	s_xor_b64 s[6:7], exec, s[8:9]
	s_cbranch_execz .LBB1_7041
; %bb.42881:
	s_getpc_b64 s[14:15]
.Lpost_getpc7104:
	s_add_u32 s14, s14, (.LBB1_21377-.Lpost_getpc7104)&4294967295
	s_addc_u32 s15, s15, (.LBB1_21377-.Lpost_getpc7104)>>32
	s_setpc_b64 s[14:15]
.LBB1_7041:
	s_or_saveexec_b64 s[6:7], s[6:7]
	v_mov_b32_e32 v12, s10
	s_xor_b64 exec, exec, s[6:7]
	s_cbranch_execz .LBB1_7042
; %bb.42883:
	s_getpc_b64 s[14:15]
.Lpost_getpc7105:
	s_add_u32 s14, s14, (.LBB1_21380-.Lpost_getpc7105)&4294967295
	s_addc_u32 s15, s15, (.LBB1_21380-.Lpost_getpc7105)>>32
	s_setpc_b64 s[14:15]
.LBB1_7042:
	s_or_b64 exec, exec, s[6:7]
	s_and_saveexec_b64 s[6:7], s[4:5]
	s_cbranch_execz .LBB1_7044
.LBB1_7043:
	v_and_b32_e32 v12, 7, v6
	v_ffbh_u32_e32 v14, v12
	v_min_u32_e32 v14, 32, v14
	v_lshrrev_b16_e32 v13, 3, v6
	v_subrev_u32_e32 v15, 28, v14
	v_and_b32_e32 v13, 15, v13
	v_lshlrev_b32_e32 v15, v15, v6
	v_sub_u32_e32 v14, 29, v14
	v_and_b32_e32 v15, 7, v15
	v_cmp_eq_u16_e32 vcc, 0, v13
	v_cndmask_b32_e32 v12, v12, v15, vcc
	v_cndmask_b32_e32 v13, v13, v14, vcc
	v_lshlrev_b32_e32 v14, 24, v6
	v_mov_b32_e32 v15, 0x3b800000
	v_lshlrev_b32_e32 v12, 20, v12
	v_and_b32_e32 v14, 0x80000000, v14
	v_lshl_add_u32 v13, v13, 23, v15
	v_or3_b32 v12, v14, v13, v12
.LBB1_7044:
	s_or_b64 exec, exec, s[6:7]
	s_movk_i32 s4, 0x7f
	v_cmp_gt_i16_sdwa s[6:7], v2, s4 src0_sel:BYTE_0 src1_sel:DWORD
	s_mov_b64 s[4:5], 0
                                        ; implicit-def: $sgpr10
	s_and_saveexec_b64 s[8:9], s[6:7]
	s_xor_b64 s[6:7], exec, s[8:9]
	s_cbranch_execz .LBB1_7045
; %bb.42885:
	s_getpc_b64 s[14:15]
.Lpost_getpc7106:
	s_add_u32 s14, s14, (.LBB1_21381-.Lpost_getpc7106)&4294967295
	s_addc_u32 s15, s15, (.LBB1_21381-.Lpost_getpc7106)>>32
	s_setpc_b64 s[14:15]
.LBB1_7045:
	s_or_saveexec_b64 s[6:7], s[6:7]
	v_mov_b32_e32 v13, s10
	s_xor_b64 exec, exec, s[6:7]
	s_cbranch_execz .LBB1_7046
; %bb.42887:
	s_getpc_b64 s[14:15]
.Lpost_getpc7107:
	s_add_u32 s14, s14, (.LBB1_21384-.Lpost_getpc7107)&4294967295
	s_addc_u32 s15, s15, (.LBB1_21384-.Lpost_getpc7107)>>32
	s_setpc_b64 s[14:15]
.LBB1_7046:
	s_or_b64 exec, exec, s[6:7]
	s_and_saveexec_b64 s[6:7], s[4:5]
	s_cbranch_execz .LBB1_7048
.LBB1_7047:
	v_and_b32_e32 v13, 7, v2
	v_ffbh_u32_e32 v15, v13
	v_min_u32_e32 v15, 32, v15
	v_lshrrev_b16_e32 v14, 3, v2
	v_subrev_u32_e32 v16, 28, v15
	v_and_b32_e32 v14, 15, v14
	v_lshlrev_b32_e32 v16, v16, v2
	v_sub_u32_e32 v15, 29, v15
	v_and_b32_e32 v16, 7, v16
	v_cmp_eq_u16_e32 vcc, 0, v14
	v_cndmask_b32_e32 v13, v13, v16, vcc
	v_cndmask_b32_e32 v14, v14, v15, vcc
	v_lshlrev_b32_e32 v15, 24, v2
	v_mov_b32_e32 v16, 0x3b800000
	v_lshlrev_b32_e32 v13, 20, v13
	v_and_b32_e32 v15, 0x80000000, v15
	v_lshl_add_u32 v14, v14, 23, v16
	v_or3_b32 v13, v15, v14, v13
.LBB1_7048:
	s_or_b64 exec, exec, s[6:7]
	flat_load_dwordx4 a[0:3], v[10:11] offset:880
	s_movk_i32 s4, 0x7f
                                        ; implicit-def: $sgpr10
	s_waitcnt vmcnt(0) lgkmcnt(0)
	v_mfma_f32_16x16x4f32 a[0:3], v12, v13, a[0:3]
	v_lshrrev_b32_e32 v13, 8, v6
	v_cmp_gt_i16_sdwa s[6:7], v13, s4 src0_sel:BYTE_0 src1_sel:DWORD
	s_mov_b64 s[4:5], 0
	s_and_saveexec_b64 s[8:9], s[6:7]
	s_xor_b64 s[6:7], exec, s[8:9]
	s_cbranch_execz .LBB1_7049
; %bb.42889:
	s_getpc_b64 s[14:15]
.Lpost_getpc7108:
	s_add_u32 s14, s14, (.LBB1_21385-.Lpost_getpc7108)&4294967295
	s_addc_u32 s15, s15, (.LBB1_21385-.Lpost_getpc7108)>>32
	s_setpc_b64 s[14:15]
.LBB1_7049:
	s_or_saveexec_b64 s[6:7], s[6:7]
	v_mov_b32_e32 v12, s10
	s_xor_b64 exec, exec, s[6:7]
	s_cbranch_execz .LBB1_7050
; %bb.42891:
	s_getpc_b64 s[14:15]
.Lpost_getpc7109:
	s_add_u32 s14, s14, (.LBB1_21388-.Lpost_getpc7109)&4294967295
	s_addc_u32 s15, s15, (.LBB1_21388-.Lpost_getpc7109)>>32
	s_setpc_b64 s[14:15]
.LBB1_7050:
	s_or_b64 exec, exec, s[6:7]
	s_and_saveexec_b64 s[6:7], s[4:5]
	s_cbranch_execz .LBB1_7052
.LBB1_7051:
	v_bfe_u32 v12, v6, 8, 3
	v_ffbh_u32_e32 v15, v12
	v_min_u32_e32 v15, 32, v15
	v_lshrrev_b16_e32 v14, 3, v13
	v_subrev_u32_e32 v16, 28, v15
	v_and_b32_e32 v14, 15, v14
	v_lshlrev_b32_e32 v13, v16, v13
	v_sub_u32_e32 v15, 29, v15
	v_and_b32_e32 v13, 7, v13
	v_cmp_eq_u16_e32 vcc, 0, v14
	v_cndmask_b32_e32 v12, v12, v13, vcc
	v_cndmask_b32_e32 v13, v14, v15, vcc
	v_lshlrev_b32_e32 v14, 16, v6
	v_mov_b32_e32 v15, 0x3b800000
	v_lshlrev_b32_e32 v12, 20, v12
	v_and_b32_e32 v14, 0x80000000, v14
	v_lshl_add_u32 v13, v13, 23, v15
	v_or3_b32 v12, v14, v13, v12
.LBB1_7052:
	s_or_b64 exec, exec, s[6:7]
	v_lshrrev_b32_e32 v13, 8, v2
	s_movk_i32 s4, 0x7f
	v_cmp_gt_i16_sdwa s[6:7], v13, s4 src0_sel:BYTE_0 src1_sel:DWORD
	s_mov_b64 s[4:5], 0
                                        ; implicit-def: $sgpr10
	s_and_saveexec_b64 s[8:9], s[6:7]
	s_xor_b64 s[6:7], exec, s[8:9]
	s_cbranch_execz .LBB1_7053
; %bb.42893:
	s_getpc_b64 s[14:15]
.Lpost_getpc7110:
	s_add_u32 s14, s14, (.LBB1_21389-.Lpost_getpc7110)&4294967295
	s_addc_u32 s15, s15, (.LBB1_21389-.Lpost_getpc7110)>>32
	s_setpc_b64 s[14:15]
.LBB1_7053:
	s_or_saveexec_b64 s[6:7], s[6:7]
	v_mov_b32_e32 v14, s10
	s_xor_b64 exec, exec, s[6:7]
	s_cbranch_execz .LBB1_7054
; %bb.42895:
	s_getpc_b64 s[14:15]
.Lpost_getpc7111:
	s_add_u32 s14, s14, (.LBB1_21392-.Lpost_getpc7111)&4294967295
	s_addc_u32 s15, s15, (.LBB1_21392-.Lpost_getpc7111)>>32
	s_setpc_b64 s[14:15]
.LBB1_7054:
	s_or_b64 exec, exec, s[6:7]
	s_and_saveexec_b64 s[6:7], s[4:5]
	s_cbranch_execz .LBB1_7056
.LBB1_7055:
	v_bfe_u32 v14, v2, 8, 3
	v_ffbh_u32_e32 v16, v14
	v_min_u32_e32 v16, 32, v16
	v_lshrrev_b16_e32 v15, 3, v13
	v_subrev_u32_e32 v17, 28, v16
	v_and_b32_e32 v15, 15, v15
	v_lshlrev_b32_e32 v13, v17, v13
	v_sub_u32_e32 v16, 29, v16
	v_and_b32_e32 v13, 7, v13
	v_cmp_eq_u16_e32 vcc, 0, v15
	v_cndmask_b32_e32 v13, v14, v13, vcc
	v_cndmask_b32_e32 v14, v15, v16, vcc
	v_lshlrev_b32_e32 v15, 16, v2
	v_mov_b32_e32 v16, 0x3b800000
	v_lshlrev_b32_e32 v13, 20, v13
	v_and_b32_e32 v15, 0x80000000, v15
	v_lshl_add_u32 v14, v14, 23, v16
	v_or3_b32 v14, v15, v14, v13
.LBB1_7056:
	s_or_b64 exec, exec, s[6:7]
	s_nop 0
	v_mfma_f32_16x16x4f32 a[0:3], v12, v14, a[0:3]
	s_movk_i32 s4, 0xff
	v_and_b32_sdwa v13, v6, s4 dst_sel:DWORD dst_unused:UNUSED_PAD src0_sel:WORD_1 src1_sel:DWORD
	s_movk_i32 s4, 0x7f
	v_cmp_lt_i16_e32 vcc, s4, v13
	s_mov_b64 s[4:5], 0
                                        ; implicit-def: $sgpr10
	s_and_saveexec_b64 s[6:7], vcc
	s_xor_b64 s[6:7], exec, s[6:7]
	s_cbranch_execz .LBB1_7057
; %bb.42897:
	s_getpc_b64 s[14:15]
.Lpost_getpc7112:
	s_add_u32 s14, s14, (.LBB1_21393-.Lpost_getpc7112)&4294967295
	s_addc_u32 s15, s15, (.LBB1_21393-.Lpost_getpc7112)>>32
	s_setpc_b64 s[14:15]
.LBB1_7057:
	s_or_saveexec_b64 s[6:7], s[6:7]
	v_mov_b32_e32 v12, s10
	s_xor_b64 exec, exec, s[6:7]
	s_cbranch_execz .LBB1_7058
; %bb.42899:
	s_getpc_b64 s[14:15]
.Lpost_getpc7113:
	s_add_u32 s14, s14, (.LBB1_21396-.Lpost_getpc7113)&4294967295
	s_addc_u32 s15, s15, (.LBB1_21396-.Lpost_getpc7113)>>32
	s_setpc_b64 s[14:15]
.LBB1_7058:
	s_or_b64 exec, exec, s[6:7]
	s_and_saveexec_b64 s[6:7], s[4:5]
	s_cbranch_execz .LBB1_7060
.LBB1_7059:
	v_bfe_u32 v12, v6, 16, 3
	v_ffbh_u32_e32 v15, v12
	v_min_u32_e32 v15, 32, v15
	v_lshrrev_b32_e32 v13, 19, v6
	v_subrev_u32_e32 v16, 28, v15
	v_and_b32_e32 v13, 15, v13
	v_lshlrev_b32_sdwa v16, v16, v6 dst_sel:DWORD dst_unused:UNUSED_PAD src0_sel:DWORD src1_sel:WORD_1
	v_bfe_u32 v14, v6, 19, 4
	v_sub_u32_e32 v15, 29, v15
	v_and_b32_e32 v16, 7, v16
	v_cmp_eq_u16_e32 vcc, 0, v13
	v_cndmask_b32_e32 v12, v12, v16, vcc
	v_cndmask_b32_e32 v13, v14, v15, vcc
	v_lshlrev_b32_e32 v14, 8, v6
	v_mov_b32_e32 v15, 0x3b800000
	v_lshlrev_b32_e32 v12, 20, v12
	v_and_b32_e32 v14, 0x80000000, v14
	v_lshl_add_u32 v13, v13, 23, v15
	v_or3_b32 v12, v14, v13, v12
.LBB1_7060:
	s_or_b64 exec, exec, s[6:7]
	s_movk_i32 s4, 0xff
	v_and_b32_sdwa v13, v2, s4 dst_sel:DWORD dst_unused:UNUSED_PAD src0_sel:WORD_1 src1_sel:DWORD
	s_movk_i32 s4, 0x7f
	v_cmp_lt_i16_e32 vcc, s4, v13
	s_mov_b64 s[4:5], 0
                                        ; implicit-def: $sgpr10
	s_and_saveexec_b64 s[6:7], vcc
	s_xor_b64 s[6:7], exec, s[6:7]
	s_cbranch_execz .LBB1_7061
; %bb.42901:
	s_getpc_b64 s[14:15]
.Lpost_getpc7114:
	s_add_u32 s14, s14, (.LBB1_21397-.Lpost_getpc7114)&4294967295
	s_addc_u32 s15, s15, (.LBB1_21397-.Lpost_getpc7114)>>32
	s_setpc_b64 s[14:15]
.LBB1_7061:
	s_or_saveexec_b64 s[6:7], s[6:7]
	v_mov_b32_e32 v14, s10
	s_xor_b64 exec, exec, s[6:7]
	s_cbranch_execz .LBB1_7062
; %bb.42903:
	s_getpc_b64 s[14:15]
.Lpost_getpc7115:
	s_add_u32 s14, s14, (.LBB1_21400-.Lpost_getpc7115)&4294967295
	s_addc_u32 s15, s15, (.LBB1_21400-.Lpost_getpc7115)>>32
	s_setpc_b64 s[14:15]
.LBB1_7062:
	s_or_b64 exec, exec, s[6:7]
	s_and_saveexec_b64 s[6:7], s[4:5]
	s_cbranch_execz .LBB1_7064
.LBB1_7063:
	v_bfe_u32 v13, v2, 16, 3
	v_ffbh_u32_e32 v16, v13
	v_min_u32_e32 v16, 32, v16
	v_lshrrev_b32_e32 v14, 19, v2
	v_subrev_u32_e32 v17, 28, v16
	v_and_b32_e32 v14, 15, v14
	v_lshlrev_b32_sdwa v17, v17, v2 dst_sel:DWORD dst_unused:UNUSED_PAD src0_sel:DWORD src1_sel:WORD_1
	v_bfe_u32 v15, v2, 19, 4
	v_sub_u32_e32 v16, 29, v16
	v_and_b32_e32 v17, 7, v17
	v_cmp_eq_u16_e32 vcc, 0, v14
	v_cndmask_b32_e32 v13, v13, v17, vcc
	v_cndmask_b32_e32 v14, v15, v16, vcc
	v_lshlrev_b32_e32 v15, 8, v2
	v_mov_b32_e32 v16, 0x3b800000
	v_lshlrev_b32_e32 v13, 20, v13
	v_and_b32_e32 v15, 0x80000000, v15
	v_lshl_add_u32 v14, v14, 23, v16
	v_or3_b32 v14, v15, v14, v13
.LBB1_7064:
	s_or_b64 exec, exec, s[6:7]
	s_nop 0
	v_mfma_f32_16x16x4f32 a[0:3], v12, v14, a[0:3]
	s_movk_i32 s4, 0x7f
	v_cmp_gt_i16_sdwa s[6:7], v6, s4 src0_sel:BYTE_3 src1_sel:DWORD
	s_mov_b64 s[4:5], 0
                                        ; implicit-def: $sgpr10
	s_and_saveexec_b64 s[8:9], s[6:7]
	s_xor_b64 s[6:7], exec, s[8:9]
	s_cbranch_execz .LBB1_7065
; %bb.42905:
	s_getpc_b64 s[14:15]
.Lpost_getpc7116:
	s_add_u32 s14, s14, (.LBB1_21401-.Lpost_getpc7116)&4294967295
	s_addc_u32 s15, s15, (.LBB1_21401-.Lpost_getpc7116)>>32
	s_setpc_b64 s[14:15]
.LBB1_7065:
	s_or_saveexec_b64 s[6:7], s[6:7]
	v_mov_b32_e32 v12, s10
	s_xor_b64 exec, exec, s[6:7]
	s_cbranch_execz .LBB1_7066
; %bb.42907:
	s_getpc_b64 s[14:15]
.Lpost_getpc7117:
	s_add_u32 s14, s14, (.LBB1_21404-.Lpost_getpc7117)&4294967295
	s_addc_u32 s15, s15, (.LBB1_21404-.Lpost_getpc7117)>>32
	s_setpc_b64 s[14:15]
.LBB1_7066:
	s_or_b64 exec, exec, s[6:7]
	s_and_saveexec_b64 s[6:7], s[4:5]
	s_cbranch_execz .LBB1_7068
.LBB1_7067:
	v_bfe_u32 v12, v6, 24, 3
	v_ffbh_u32_e32 v16, v12
	v_min_u32_e32 v16, 32, v16
	v_lshrrev_b32_e32 v14, 27, v6
	v_subrev_u32_e32 v17, 28, v16
	v_and_b32_e32 v13, 0x80000000, v6
	v_and_b32_e32 v14, 15, v14
	v_bfe_u32 v15, v6, 27, 4
	v_lshlrev_b32_sdwa v6, v17, v6 dst_sel:DWORD dst_unused:UNUSED_PAD src0_sel:DWORD src1_sel:BYTE_3
	v_sub_u32_e32 v16, 29, v16
	v_and_b32_e32 v6, 7, v6
	v_cmp_eq_u16_e32 vcc, 0, v14
	v_cndmask_b32_e32 v6, v12, v6, vcc
	v_cndmask_b32_e32 v12, v15, v16, vcc
	v_mov_b32_e32 v14, 0x3b800000
	v_lshlrev_b32_e32 v6, 20, v6
	v_lshl_add_u32 v12, v12, 23, v14
	v_or3_b32 v12, v13, v12, v6
.LBB1_7068:
	s_or_b64 exec, exec, s[6:7]
	s_movk_i32 s4, 0x7f
	v_cmp_gt_i16_sdwa s[6:7], v2, s4 src0_sel:BYTE_3 src1_sel:DWORD
	s_mov_b64 s[4:5], 0
                                        ; implicit-def: $sgpr10
	s_and_saveexec_b64 s[8:9], s[6:7]
	s_xor_b64 s[6:7], exec, s[8:9]
	s_cbranch_execz .LBB1_7069
; %bb.42909:
	s_getpc_b64 s[14:15]
.Lpost_getpc7118:
	s_add_u32 s14, s14, (.LBB1_21405-.Lpost_getpc7118)&4294967295
	s_addc_u32 s15, s15, (.LBB1_21405-.Lpost_getpc7118)>>32
	s_setpc_b64 s[14:15]
.LBB1_7069:
	s_or_saveexec_b64 s[6:7], s[6:7]
	v_mov_b32_e32 v6, s10
	s_xor_b64 exec, exec, s[6:7]
	s_cbranch_execz .LBB1_7070
; %bb.42911:
	s_getpc_b64 s[14:15]
.Lpost_getpc7119:
	s_add_u32 s14, s14, (.LBB1_21408-.Lpost_getpc7119)&4294967295
	s_addc_u32 s15, s15, (.LBB1_21408-.Lpost_getpc7119)>>32
	s_setpc_b64 s[14:15]
.LBB1_7070:
	s_or_b64 exec, exec, s[6:7]
	s_and_saveexec_b64 s[6:7], s[4:5]
	s_cbranch_execz .LBB1_7072
.LBB1_7071:
	v_bfe_u32 v6, v2, 24, 3
	v_ffbh_u32_e32 v16, v6
	v_min_u32_e32 v16, 32, v16
	v_lshrrev_b32_e32 v14, 27, v2
	v_subrev_u32_e32 v17, 28, v16
	v_and_b32_e32 v13, 0x80000000, v2
	v_and_b32_e32 v14, 15, v14
	v_bfe_u32 v15, v2, 27, 4
	v_lshlrev_b32_sdwa v2, v17, v2 dst_sel:DWORD dst_unused:UNUSED_PAD src0_sel:DWORD src1_sel:BYTE_3
	v_sub_u32_e32 v16, 29, v16
	v_and_b32_e32 v2, 7, v2
	v_cmp_eq_u16_e32 vcc, 0, v14
	v_cndmask_b32_e32 v2, v6, v2, vcc
	v_cndmask_b32_e32 v6, v15, v16, vcc
	v_mov_b32_e32 v14, 0x3b800000
	v_lshlrev_b32_e32 v2, 20, v2
	v_lshl_add_u32 v6, v6, 23, v14
	v_or3_b32 v6, v13, v6, v2
.LBB1_7072:
	s_or_b64 exec, exec, s[6:7]
	s_nop 0
	v_mfma_f32_16x16x4f32 a[0:3], v12, v6, a[0:3]
	s_movk_i32 s4, 0x7f
	v_cmp_gt_i16_sdwa s[6:7], v7, s4 src0_sel:BYTE_0 src1_sel:DWORD
	s_mov_b64 s[4:5], 0
                                        ; implicit-def: $sgpr10
	s_and_saveexec_b64 s[8:9], s[6:7]
	s_xor_b64 s[6:7], exec, s[8:9]
	s_cbranch_execz .LBB1_7073
; %bb.42913:
	s_getpc_b64 s[14:15]
.Lpost_getpc7120:
	s_add_u32 s14, s14, (.LBB1_21409-.Lpost_getpc7120)&4294967295
	s_addc_u32 s15, s15, (.LBB1_21409-.Lpost_getpc7120)>>32
	s_setpc_b64 s[14:15]
.LBB1_7073:
	s_or_saveexec_b64 s[6:7], s[6:7]
	v_mov_b32_e32 v2, s10
	s_xor_b64 exec, exec, s[6:7]
	s_cbranch_execz .LBB1_7074
; %bb.42915:
	s_getpc_b64 s[14:15]
.Lpost_getpc7121:
	s_add_u32 s14, s14, (.LBB1_21412-.Lpost_getpc7121)&4294967295
	s_addc_u32 s15, s15, (.LBB1_21412-.Lpost_getpc7121)>>32
	s_setpc_b64 s[14:15]
.LBB1_7074:
	s_or_b64 exec, exec, s[6:7]
	s_and_saveexec_b64 s[6:7], s[4:5]
	s_cbranch_execz .LBB1_7076
.LBB1_7075:
	v_and_b32_e32 v2, 7, v7
	v_ffbh_u32_e32 v12, v2
	v_min_u32_e32 v12, 32, v12
	v_lshrrev_b16_e32 v6, 3, v7
	v_subrev_u32_e32 v13, 28, v12
	v_and_b32_e32 v6, 15, v6
	v_lshlrev_b32_e32 v13, v13, v7
	v_sub_u32_e32 v12, 29, v12
	v_and_b32_e32 v13, 7, v13
	v_cmp_eq_u16_e32 vcc, 0, v6
	v_cndmask_b32_e32 v2, v2, v13, vcc
	v_cndmask_b32_e32 v6, v6, v12, vcc
	v_lshlrev_b32_e32 v12, 24, v7
	v_mov_b32_e32 v13, 0x3b800000
	v_lshlrev_b32_e32 v2, 20, v2
	v_and_b32_e32 v12, 0x80000000, v12
	v_lshl_add_u32 v6, v6, 23, v13
	v_or3_b32 v2, v12, v6, v2
.LBB1_7076:
	s_or_b64 exec, exec, s[6:7]
	s_movk_i32 s4, 0x7f
	v_cmp_gt_i16_sdwa s[6:7], v3, s4 src0_sel:BYTE_0 src1_sel:DWORD
	s_mov_b64 s[4:5], 0
                                        ; implicit-def: $sgpr10
	s_and_saveexec_b64 s[8:9], s[6:7]
	s_xor_b64 s[6:7], exec, s[8:9]
	s_cbranch_execz .LBB1_7077
; %bb.42917:
	s_getpc_b64 s[14:15]
.Lpost_getpc7122:
	s_add_u32 s14, s14, (.LBB1_21413-.Lpost_getpc7122)&4294967295
	s_addc_u32 s15, s15, (.LBB1_21413-.Lpost_getpc7122)>>32
	s_setpc_b64 s[14:15]
.LBB1_7077:
	s_or_saveexec_b64 s[6:7], s[6:7]
	v_mov_b32_e32 v6, s10
	s_xor_b64 exec, exec, s[6:7]
	s_cbranch_execz .LBB1_7078
; %bb.42919:
	s_getpc_b64 s[14:15]
.Lpost_getpc7123:
	s_add_u32 s14, s14, (.LBB1_21416-.Lpost_getpc7123)&4294967295
	s_addc_u32 s15, s15, (.LBB1_21416-.Lpost_getpc7123)>>32
	s_setpc_b64 s[14:15]
.LBB1_7078:
	s_or_b64 exec, exec, s[6:7]
	s_and_saveexec_b64 s[6:7], s[4:5]
	s_cbranch_execz .LBB1_7080
.LBB1_7079:
	v_and_b32_e32 v6, 7, v3
	v_ffbh_u32_e32 v13, v6
	v_min_u32_e32 v13, 32, v13
	v_lshrrev_b16_e32 v12, 3, v3
	v_subrev_u32_e32 v14, 28, v13
	v_and_b32_e32 v12, 15, v12
	v_lshlrev_b32_e32 v14, v14, v3
	v_sub_u32_e32 v13, 29, v13
	v_and_b32_e32 v14, 7, v14
	v_cmp_eq_u16_e32 vcc, 0, v12
	v_cndmask_b32_e32 v6, v6, v14, vcc
	v_cndmask_b32_e32 v12, v12, v13, vcc
	v_lshlrev_b32_e32 v13, 24, v3
	v_mov_b32_e32 v14, 0x3b800000
	v_lshlrev_b32_e32 v6, 20, v6
	v_and_b32_e32 v13, 0x80000000, v13
	v_lshl_add_u32 v12, v12, 23, v14
	v_or3_b32 v6, v13, v12, v6
.LBB1_7080:
	s_or_b64 exec, exec, s[6:7]
	s_nop 0
	v_mfma_f32_16x16x4f32 a[0:3], v2, v6, a[0:3]
	v_lshrrev_b32_e32 v6, 8, v7
	s_movk_i32 s4, 0x7f
	v_cmp_gt_i16_sdwa s[6:7], v6, s4 src0_sel:BYTE_0 src1_sel:DWORD
	s_mov_b64 s[4:5], 0
                                        ; implicit-def: $sgpr10
	s_and_saveexec_b64 s[8:9], s[6:7]
	s_xor_b64 s[6:7], exec, s[8:9]
	s_cbranch_execz .LBB1_7081
; %bb.42921:
	s_getpc_b64 s[14:15]
.Lpost_getpc7124:
	s_add_u32 s14, s14, (.LBB1_21417-.Lpost_getpc7124)&4294967295
	s_addc_u32 s15, s15, (.LBB1_21417-.Lpost_getpc7124)>>32
	s_setpc_b64 s[14:15]
.LBB1_7081:
	s_or_saveexec_b64 s[6:7], s[6:7]
	v_mov_b32_e32 v2, s10
	s_xor_b64 exec, exec, s[6:7]
	s_cbranch_execz .LBB1_7082
; %bb.42923:
	s_getpc_b64 s[14:15]
.Lpost_getpc7125:
	s_add_u32 s14, s14, (.LBB1_21420-.Lpost_getpc7125)&4294967295
	s_addc_u32 s15, s15, (.LBB1_21420-.Lpost_getpc7125)>>32
	s_setpc_b64 s[14:15]
.LBB1_7082:
	s_or_b64 exec, exec, s[6:7]
	s_and_saveexec_b64 s[6:7], s[4:5]
	s_cbranch_execz .LBB1_7084
.LBB1_7083:
	v_bfe_u32 v2, v7, 8, 3
	v_ffbh_u32_e32 v13, v2
	v_min_u32_e32 v13, 32, v13
	v_lshrrev_b16_e32 v12, 3, v6
	v_subrev_u32_e32 v14, 28, v13
	v_and_b32_e32 v12, 15, v12
	v_lshlrev_b32_e32 v6, v14, v6
	v_sub_u32_e32 v13, 29, v13
	v_and_b32_e32 v6, 7, v6
	v_cmp_eq_u16_e32 vcc, 0, v12
	v_cndmask_b32_e32 v2, v2, v6, vcc
	v_cndmask_b32_e32 v6, v12, v13, vcc
	v_lshlrev_b32_e32 v12, 16, v7
	v_mov_b32_e32 v13, 0x3b800000
	v_lshlrev_b32_e32 v2, 20, v2
	v_and_b32_e32 v12, 0x80000000, v12
	v_lshl_add_u32 v6, v6, 23, v13
	v_or3_b32 v2, v12, v6, v2
.LBB1_7084:
	s_or_b64 exec, exec, s[6:7]
	v_lshrrev_b32_e32 v6, 8, v3
	s_movk_i32 s4, 0x7f
	v_cmp_gt_i16_sdwa s[6:7], v6, s4 src0_sel:BYTE_0 src1_sel:DWORD
	s_mov_b64 s[4:5], 0
                                        ; implicit-def: $sgpr10
	s_and_saveexec_b64 s[8:9], s[6:7]
	s_xor_b64 s[6:7], exec, s[8:9]
	s_cbranch_execz .LBB1_7085
; %bb.42925:
	s_getpc_b64 s[14:15]
.Lpost_getpc7126:
	s_add_u32 s14, s14, (.LBB1_21421-.Lpost_getpc7126)&4294967295
	s_addc_u32 s15, s15, (.LBB1_21421-.Lpost_getpc7126)>>32
	s_setpc_b64 s[14:15]
.LBB1_7085:
	s_or_saveexec_b64 s[6:7], s[6:7]
	v_mov_b32_e32 v12, s10
	s_xor_b64 exec, exec, s[6:7]
	s_cbranch_execz .LBB1_7086
; %bb.42927:
	s_getpc_b64 s[14:15]
.Lpost_getpc7127:
	s_add_u32 s14, s14, (.LBB1_21424-.Lpost_getpc7127)&4294967295
	s_addc_u32 s15, s15, (.LBB1_21424-.Lpost_getpc7127)>>32
	s_setpc_b64 s[14:15]
.LBB1_7086:
	s_or_b64 exec, exec, s[6:7]
	s_and_saveexec_b64 s[6:7], s[4:5]
	s_cbranch_execz .LBB1_7088
.LBB1_7087:
	v_bfe_u32 v12, v3, 8, 3
	v_ffbh_u32_e32 v14, v12
	v_min_u32_e32 v14, 32, v14
	v_lshrrev_b16_e32 v13, 3, v6
	v_subrev_u32_e32 v15, 28, v14
	v_and_b32_e32 v13, 15, v13
	v_lshlrev_b32_e32 v6, v15, v6
	v_sub_u32_e32 v14, 29, v14
	v_and_b32_e32 v6, 7, v6
	v_cmp_eq_u16_e32 vcc, 0, v13
	v_cndmask_b32_e32 v6, v12, v6, vcc
	v_cndmask_b32_e32 v12, v13, v14, vcc
	v_lshlrev_b32_e32 v13, 16, v3
	v_mov_b32_e32 v14, 0x3b800000
	v_lshlrev_b32_e32 v6, 20, v6
	v_and_b32_e32 v13, 0x80000000, v13
	v_lshl_add_u32 v12, v12, 23, v14
	v_or3_b32 v12, v13, v12, v6
.LBB1_7088:
	s_or_b64 exec, exec, s[6:7]
	s_nop 0
	v_mfma_f32_16x16x4f32 a[0:3], v2, v12, a[0:3]
	s_movk_i32 s4, 0xff
	v_and_b32_sdwa v6, v7, s4 dst_sel:DWORD dst_unused:UNUSED_PAD src0_sel:WORD_1 src1_sel:DWORD
	s_movk_i32 s4, 0x7f
	v_cmp_lt_i16_e32 vcc, s4, v6
	s_mov_b64 s[4:5], 0
                                        ; implicit-def: $sgpr10
	s_and_saveexec_b64 s[6:7], vcc
	s_xor_b64 s[6:7], exec, s[6:7]
	s_cbranch_execz .LBB1_7089
; %bb.42929:
	s_getpc_b64 s[14:15]
.Lpost_getpc7128:
	s_add_u32 s14, s14, (.LBB1_21425-.Lpost_getpc7128)&4294967295
	s_addc_u32 s15, s15, (.LBB1_21425-.Lpost_getpc7128)>>32
	s_setpc_b64 s[14:15]
.LBB1_7089:
	s_or_saveexec_b64 s[6:7], s[6:7]
	v_mov_b32_e32 v2, s10
	s_xor_b64 exec, exec, s[6:7]
	s_cbranch_execz .LBB1_7090
; %bb.42931:
	s_getpc_b64 s[14:15]
.Lpost_getpc7129:
	s_add_u32 s14, s14, (.LBB1_21428-.Lpost_getpc7129)&4294967295
	s_addc_u32 s15, s15, (.LBB1_21428-.Lpost_getpc7129)>>32
	s_setpc_b64 s[14:15]
.LBB1_7090:
	s_or_b64 exec, exec, s[6:7]
	s_and_saveexec_b64 s[6:7], s[4:5]
	s_cbranch_execz .LBB1_7092
.LBB1_7091:
	v_bfe_u32 v2, v7, 16, 3
	v_ffbh_u32_e32 v13, v2
	v_min_u32_e32 v13, 32, v13
	v_lshrrev_b32_e32 v6, 19, v7
	v_subrev_u32_e32 v14, 28, v13
	v_and_b32_e32 v6, 15, v6
	v_lshlrev_b32_sdwa v14, v14, v7 dst_sel:DWORD dst_unused:UNUSED_PAD src0_sel:DWORD src1_sel:WORD_1
	v_bfe_u32 v12, v7, 19, 4
	v_sub_u32_e32 v13, 29, v13
	v_and_b32_e32 v14, 7, v14
	v_cmp_eq_u16_e32 vcc, 0, v6
	v_cndmask_b32_e32 v2, v2, v14, vcc
	v_cndmask_b32_e32 v6, v12, v13, vcc
	v_lshlrev_b32_e32 v12, 8, v7
	v_mov_b32_e32 v13, 0x3b800000
	v_lshlrev_b32_e32 v2, 20, v2
	v_and_b32_e32 v12, 0x80000000, v12
	v_lshl_add_u32 v6, v6, 23, v13
	v_or3_b32 v2, v12, v6, v2
.LBB1_7092:
	s_or_b64 exec, exec, s[6:7]
	s_movk_i32 s4, 0xff
	v_and_b32_sdwa v6, v3, s4 dst_sel:DWORD dst_unused:UNUSED_PAD src0_sel:WORD_1 src1_sel:DWORD
	s_movk_i32 s4, 0x7f
	v_cmp_lt_i16_e32 vcc, s4, v6
	s_mov_b64 s[4:5], 0
                                        ; implicit-def: $sgpr10
	s_and_saveexec_b64 s[6:7], vcc
	s_xor_b64 s[6:7], exec, s[6:7]
	s_cbranch_execz .LBB1_7093
; %bb.42933:
	s_getpc_b64 s[14:15]
.Lpost_getpc7130:
	s_add_u32 s14, s14, (.LBB1_21429-.Lpost_getpc7130)&4294967295
	s_addc_u32 s15, s15, (.LBB1_21429-.Lpost_getpc7130)>>32
	s_setpc_b64 s[14:15]
.LBB1_7093:
	s_or_saveexec_b64 s[6:7], s[6:7]
	v_mov_b32_e32 v12, s10
	s_xor_b64 exec, exec, s[6:7]
	s_cbranch_execz .LBB1_7094
; %bb.42935:
	s_getpc_b64 s[14:15]
.Lpost_getpc7131:
	s_add_u32 s14, s14, (.LBB1_21432-.Lpost_getpc7131)&4294967295
	s_addc_u32 s15, s15, (.LBB1_21432-.Lpost_getpc7131)>>32
	s_setpc_b64 s[14:15]
.LBB1_7094:
	s_or_b64 exec, exec, s[6:7]
	s_and_saveexec_b64 s[6:7], s[4:5]
	s_cbranch_execz .LBB1_7096
.LBB1_7095:
	v_bfe_u32 v6, v3, 16, 3
	v_ffbh_u32_e32 v14, v6
	v_min_u32_e32 v14, 32, v14
	v_lshrrev_b32_e32 v12, 19, v3
	v_subrev_u32_e32 v15, 28, v14
	v_and_b32_e32 v12, 15, v12
	v_lshlrev_b32_sdwa v15, v15, v3 dst_sel:DWORD dst_unused:UNUSED_PAD src0_sel:DWORD src1_sel:WORD_1
	v_bfe_u32 v13, v3, 19, 4
	v_sub_u32_e32 v14, 29, v14
	v_and_b32_e32 v15, 7, v15
	v_cmp_eq_u16_e32 vcc, 0, v12
	v_cndmask_b32_e32 v6, v6, v15, vcc
	v_cndmask_b32_e32 v12, v13, v14, vcc
	v_lshlrev_b32_e32 v13, 8, v3
	v_mov_b32_e32 v14, 0x3b800000
	v_lshlrev_b32_e32 v6, 20, v6
	v_and_b32_e32 v13, 0x80000000, v13
	v_lshl_add_u32 v12, v12, 23, v14
	v_or3_b32 v12, v13, v12, v6
.LBB1_7096:
	s_or_b64 exec, exec, s[6:7]
	s_nop 0
	v_mfma_f32_16x16x4f32 a[0:3], v2, v12, a[0:3]
	s_movk_i32 s4, 0x7f
	v_cmp_gt_i16_sdwa s[6:7], v7, s4 src0_sel:BYTE_3 src1_sel:DWORD
	s_mov_b64 s[4:5], 0
                                        ; implicit-def: $sgpr10
	s_and_saveexec_b64 s[8:9], s[6:7]
	s_xor_b64 s[6:7], exec, s[8:9]
	s_cbranch_execz .LBB1_7097
; %bb.42937:
	s_getpc_b64 s[14:15]
.Lpost_getpc7132:
	s_add_u32 s14, s14, (.LBB1_21433-.Lpost_getpc7132)&4294967295
	s_addc_u32 s15, s15, (.LBB1_21433-.Lpost_getpc7132)>>32
	s_setpc_b64 s[14:15]
.LBB1_7097:
	s_or_saveexec_b64 s[6:7], s[6:7]
	v_mov_b32_e32 v2, s10
	s_xor_b64 exec, exec, s[6:7]
	s_cbranch_execz .LBB1_7098
; %bb.42939:
	s_getpc_b64 s[14:15]
.Lpost_getpc7133:
	s_add_u32 s14, s14, (.LBB1_21436-.Lpost_getpc7133)&4294967295
	s_addc_u32 s15, s15, (.LBB1_21436-.Lpost_getpc7133)>>32
	s_setpc_b64 s[14:15]
.LBB1_7098:
	s_or_b64 exec, exec, s[6:7]
	s_and_saveexec_b64 s[6:7], s[4:5]
	s_cbranch_execz .LBB1_7100
.LBB1_7099:
	v_bfe_u32 v2, v7, 24, 3
	v_ffbh_u32_e32 v14, v2
	v_min_u32_e32 v14, 32, v14
	v_lshrrev_b32_e32 v12, 27, v7
	v_subrev_u32_e32 v15, 28, v14
	v_and_b32_e32 v6, 0x80000000, v7
	v_and_b32_e32 v12, 15, v12
	v_bfe_u32 v13, v7, 27, 4
	v_lshlrev_b32_sdwa v7, v15, v7 dst_sel:DWORD dst_unused:UNUSED_PAD src0_sel:DWORD src1_sel:BYTE_3
	v_sub_u32_e32 v14, 29, v14
	v_and_b32_e32 v7, 7, v7
	v_cmp_eq_u16_e32 vcc, 0, v12
	v_cndmask_b32_e32 v2, v2, v7, vcc
	v_cndmask_b32_e32 v7, v13, v14, vcc
	v_mov_b32_e32 v12, 0x3b800000
	v_lshlrev_b32_e32 v2, 20, v2
	v_lshl_add_u32 v7, v7, 23, v12
	v_or3_b32 v2, v6, v7, v2
.LBB1_7100:
	s_or_b64 exec, exec, s[6:7]
	s_movk_i32 s4, 0x7f
	v_cmp_gt_i16_sdwa s[6:7], v3, s4 src0_sel:BYTE_3 src1_sel:DWORD
	s_mov_b64 s[4:5], 0
                                        ; implicit-def: $sgpr10
	s_and_saveexec_b64 s[8:9], s[6:7]
	s_xor_b64 s[6:7], exec, s[8:9]
	s_cbranch_execz .LBB1_7101
; %bb.42941:
	s_getpc_b64 s[14:15]
.Lpost_getpc7134:
	s_add_u32 s14, s14, (.LBB1_21437-.Lpost_getpc7134)&4294967295
	s_addc_u32 s15, s15, (.LBB1_21437-.Lpost_getpc7134)>>32
	s_setpc_b64 s[14:15]
.LBB1_7101:
	s_or_saveexec_b64 s[6:7], s[6:7]
	v_mov_b32_e32 v6, s10
	s_xor_b64 exec, exec, s[6:7]
	s_cbranch_execz .LBB1_7102
; %bb.42943:
	s_getpc_b64 s[14:15]
.Lpost_getpc7135:
	s_add_u32 s14, s14, (.LBB1_21440-.Lpost_getpc7135)&4294967295
	s_addc_u32 s15, s15, (.LBB1_21440-.Lpost_getpc7135)>>32
	s_setpc_b64 s[14:15]
.LBB1_7102:
	s_or_b64 exec, exec, s[6:7]
	s_and_saveexec_b64 s[6:7], s[4:5]
	s_cbranch_execz .LBB1_7104
.LBB1_7103:
	v_bfe_u32 v6, v3, 24, 3
	v_ffbh_u32_e32 v14, v6
	v_min_u32_e32 v14, 32, v14
	v_lshrrev_b32_e32 v12, 27, v3
	v_subrev_u32_e32 v15, 28, v14
	v_and_b32_e32 v7, 0x80000000, v3
	v_and_b32_e32 v12, 15, v12
	v_bfe_u32 v13, v3, 27, 4
	v_lshlrev_b32_sdwa v3, v15, v3 dst_sel:DWORD dst_unused:UNUSED_PAD src0_sel:DWORD src1_sel:BYTE_3
	v_sub_u32_e32 v14, 29, v14
	v_and_b32_e32 v3, 7, v3
	v_cmp_eq_u16_e32 vcc, 0, v12
	v_cndmask_b32_e32 v3, v6, v3, vcc
	v_cndmask_b32_e32 v6, v13, v14, vcc
	v_mov_b32_e32 v12, 0x3b800000
	v_lshlrev_b32_e32 v3, 20, v3
	v_lshl_add_u32 v6, v6, 23, v12
	v_or3_b32 v6, v7, v6, v3
.LBB1_7104:
	s_or_b64 exec, exec, s[6:7]
	s_nop 0
	v_mfma_f32_16x16x4f32 a[0:3], v2, v6, a[0:3]
	s_movk_i32 s4, 0x7f
	v_cmp_gt_i16_sdwa s[6:7], v8, s4 src0_sel:BYTE_0 src1_sel:DWORD
	s_mov_b64 s[4:5], 0
                                        ; implicit-def: $sgpr10
	s_and_saveexec_b64 s[8:9], s[6:7]
	s_xor_b64 s[6:7], exec, s[8:9]
	s_cbranch_execz .LBB1_7105
; %bb.42945:
	s_getpc_b64 s[14:15]
.Lpost_getpc7136:
	s_add_u32 s14, s14, (.LBB1_21441-.Lpost_getpc7136)&4294967295
	s_addc_u32 s15, s15, (.LBB1_21441-.Lpost_getpc7136)>>32
	s_setpc_b64 s[14:15]
.LBB1_7105:
	s_or_saveexec_b64 s[6:7], s[6:7]
	v_mov_b32_e32 v2, s10
	s_xor_b64 exec, exec, s[6:7]
	s_cbranch_execz .LBB1_7106
; %bb.42947:
	s_getpc_b64 s[14:15]
.Lpost_getpc7137:
	s_add_u32 s14, s14, (.LBB1_21444-.Lpost_getpc7137)&4294967295
	s_addc_u32 s15, s15, (.LBB1_21444-.Lpost_getpc7137)>>32
	s_setpc_b64 s[14:15]
.LBB1_7106:
	s_or_b64 exec, exec, s[6:7]
	s_and_saveexec_b64 s[6:7], s[4:5]
	s_cbranch_execz .LBB1_7108
.LBB1_7107:
	v_and_b32_e32 v2, 7, v8
	v_ffbh_u32_e32 v6, v2
	v_min_u32_e32 v6, 32, v6
	v_lshrrev_b16_e32 v3, 3, v8
	v_subrev_u32_e32 v7, 28, v6
	v_and_b32_e32 v3, 15, v3
	v_lshlrev_b32_e32 v7, v7, v8
	v_sub_u32_e32 v6, 29, v6
	v_and_b32_e32 v7, 7, v7
	v_cmp_eq_u16_e32 vcc, 0, v3
	v_cndmask_b32_e32 v2, v2, v7, vcc
	v_cndmask_b32_e32 v3, v3, v6, vcc
	v_lshlrev_b32_e32 v6, 24, v8
	v_mov_b32_e32 v7, 0x3b800000
	v_lshlrev_b32_e32 v2, 20, v2
	v_and_b32_e32 v6, 0x80000000, v6
	v_lshl_add_u32 v3, v3, 23, v7
	v_or3_b32 v2, v6, v3, v2
.LBB1_7108:
	s_or_b64 exec, exec, s[6:7]
	s_movk_i32 s4, 0x7f
	v_cmp_gt_i16_sdwa s[6:7], v4, s4 src0_sel:BYTE_0 src1_sel:DWORD
	s_mov_b64 s[4:5], 0
                                        ; implicit-def: $sgpr10
	s_and_saveexec_b64 s[8:9], s[6:7]
	s_xor_b64 s[6:7], exec, s[8:9]
	s_cbranch_execz .LBB1_7109
; %bb.42949:
	s_getpc_b64 s[14:15]
.Lpost_getpc7138:
	s_add_u32 s14, s14, (.LBB1_21445-.Lpost_getpc7138)&4294967295
	s_addc_u32 s15, s15, (.LBB1_21445-.Lpost_getpc7138)>>32
	s_setpc_b64 s[14:15]
.LBB1_7109:
	s_or_saveexec_b64 s[6:7], s[6:7]
	v_mov_b32_e32 v3, s10
	s_xor_b64 exec, exec, s[6:7]
	s_cbranch_execz .LBB1_7110
; %bb.42951:
	s_getpc_b64 s[14:15]
.Lpost_getpc7139:
	s_add_u32 s14, s14, (.LBB1_21448-.Lpost_getpc7139)&4294967295
	s_addc_u32 s15, s15, (.LBB1_21448-.Lpost_getpc7139)>>32
	s_setpc_b64 s[14:15]
.LBB1_7110:
	s_or_b64 exec, exec, s[6:7]
	s_and_saveexec_b64 s[6:7], s[4:5]
	s_cbranch_execz .LBB1_7112
.LBB1_7111:
	v_and_b32_e32 v3, 7, v4
	v_ffbh_u32_e32 v7, v3
	v_min_u32_e32 v7, 32, v7
	v_lshrrev_b16_e32 v6, 3, v4
	v_subrev_u32_e32 v12, 28, v7
	v_and_b32_e32 v6, 15, v6
	v_lshlrev_b32_e32 v12, v12, v4
	v_sub_u32_e32 v7, 29, v7
	v_and_b32_e32 v12, 7, v12
	v_cmp_eq_u16_e32 vcc, 0, v6
	v_cndmask_b32_e32 v3, v3, v12, vcc
	v_cndmask_b32_e32 v6, v6, v7, vcc
	v_lshlrev_b32_e32 v7, 24, v4
	v_mov_b32_e32 v12, 0x3b800000
	v_lshlrev_b32_e32 v3, 20, v3
	v_and_b32_e32 v7, 0x80000000, v7
	v_lshl_add_u32 v6, v6, 23, v12
	v_or3_b32 v3, v7, v6, v3
.LBB1_7112:
	s_or_b64 exec, exec, s[6:7]
	s_nop 0
	v_mfma_f32_16x16x4f32 a[0:3], v2, v3, a[0:3]
	v_lshrrev_b32_e32 v3, 8, v8
	s_movk_i32 s4, 0x7f
	v_cmp_gt_i16_sdwa s[6:7], v3, s4 src0_sel:BYTE_0 src1_sel:DWORD
	s_mov_b64 s[4:5], 0
                                        ; implicit-def: $sgpr10
	s_and_saveexec_b64 s[8:9], s[6:7]
	s_xor_b64 s[6:7], exec, s[8:9]
	s_cbranch_execz .LBB1_7113
; %bb.42953:
	s_getpc_b64 s[14:15]
.Lpost_getpc7140:
	s_add_u32 s14, s14, (.LBB1_21449-.Lpost_getpc7140)&4294967295
	s_addc_u32 s15, s15, (.LBB1_21449-.Lpost_getpc7140)>>32
	s_setpc_b64 s[14:15]
.LBB1_7113:
	s_or_saveexec_b64 s[6:7], s[6:7]
	v_mov_b32_e32 v2, s10
	s_xor_b64 exec, exec, s[6:7]
	s_cbranch_execz .LBB1_7114
; %bb.42955:
	s_getpc_b64 s[14:15]
.Lpost_getpc7141:
	s_add_u32 s14, s14, (.LBB1_21452-.Lpost_getpc7141)&4294967295
	s_addc_u32 s15, s15, (.LBB1_21452-.Lpost_getpc7141)>>32
	s_setpc_b64 s[14:15]
.LBB1_7114:
	s_or_b64 exec, exec, s[6:7]
	s_and_saveexec_b64 s[6:7], s[4:5]
	s_cbranch_execz .LBB1_7116
.LBB1_7115:
	v_bfe_u32 v2, v8, 8, 3
	v_ffbh_u32_e32 v7, v2
	v_min_u32_e32 v7, 32, v7
	v_lshrrev_b16_e32 v6, 3, v3
	v_subrev_u32_e32 v12, 28, v7
	v_and_b32_e32 v6, 15, v6
	v_lshlrev_b32_e32 v3, v12, v3
	v_sub_u32_e32 v7, 29, v7
	v_and_b32_e32 v3, 7, v3
	v_cmp_eq_u16_e32 vcc, 0, v6
	v_cndmask_b32_e32 v2, v2, v3, vcc
	v_cndmask_b32_e32 v3, v6, v7, vcc
	v_lshlrev_b32_e32 v6, 16, v8
	v_mov_b32_e32 v7, 0x3b800000
	v_lshlrev_b32_e32 v2, 20, v2
	v_and_b32_e32 v6, 0x80000000, v6
	v_lshl_add_u32 v3, v3, 23, v7
	v_or3_b32 v2, v6, v3, v2
.LBB1_7116:
	s_or_b64 exec, exec, s[6:7]
	v_lshrrev_b32_e32 v3, 8, v4
	s_movk_i32 s4, 0x7f
	v_cmp_gt_i16_sdwa s[6:7], v3, s4 src0_sel:BYTE_0 src1_sel:DWORD
	s_mov_b64 s[4:5], 0
                                        ; implicit-def: $sgpr10
	s_and_saveexec_b64 s[8:9], s[6:7]
	s_xor_b64 s[6:7], exec, s[8:9]
	s_cbranch_execz .LBB1_7117
; %bb.42957:
	s_getpc_b64 s[14:15]
.Lpost_getpc7142:
	s_add_u32 s14, s14, (.LBB1_21453-.Lpost_getpc7142)&4294967295
	s_addc_u32 s15, s15, (.LBB1_21453-.Lpost_getpc7142)>>32
	s_setpc_b64 s[14:15]
.LBB1_7117:
	s_or_saveexec_b64 s[6:7], s[6:7]
	v_mov_b32_e32 v6, s10
	s_xor_b64 exec, exec, s[6:7]
	s_cbranch_execz .LBB1_7118
; %bb.42959:
	s_getpc_b64 s[14:15]
.Lpost_getpc7143:
	s_add_u32 s14, s14, (.LBB1_21456-.Lpost_getpc7143)&4294967295
	s_addc_u32 s15, s15, (.LBB1_21456-.Lpost_getpc7143)>>32
	s_setpc_b64 s[14:15]
.LBB1_7118:
	s_or_b64 exec, exec, s[6:7]
	s_and_saveexec_b64 s[6:7], s[4:5]
	s_cbranch_execz .LBB1_7120
.LBB1_7119:
	v_bfe_u32 v6, v4, 8, 3
	v_ffbh_u32_e32 v12, v6
	v_min_u32_e32 v12, 32, v12
	v_lshrrev_b16_e32 v7, 3, v3
	v_subrev_u32_e32 v13, 28, v12
	v_and_b32_e32 v7, 15, v7
	v_lshlrev_b32_e32 v3, v13, v3
	v_sub_u32_e32 v12, 29, v12
	v_and_b32_e32 v3, 7, v3
	v_cmp_eq_u16_e32 vcc, 0, v7
	v_cndmask_b32_e32 v3, v6, v3, vcc
	v_cndmask_b32_e32 v6, v7, v12, vcc
	v_lshlrev_b32_e32 v7, 16, v4
	v_mov_b32_e32 v12, 0x3b800000
	v_lshlrev_b32_e32 v3, 20, v3
	v_and_b32_e32 v7, 0x80000000, v7
	v_lshl_add_u32 v6, v6, 23, v12
	v_or3_b32 v6, v7, v6, v3
.LBB1_7120:
	s_or_b64 exec, exec, s[6:7]
	s_nop 0
	v_mfma_f32_16x16x4f32 a[0:3], v2, v6, a[0:3]
	s_movk_i32 s4, 0xff
	v_and_b32_sdwa v3, v8, s4 dst_sel:DWORD dst_unused:UNUSED_PAD src0_sel:WORD_1 src1_sel:DWORD
	s_movk_i32 s4, 0x7f
	v_cmp_lt_i16_e32 vcc, s4, v3
	s_mov_b64 s[4:5], 0
                                        ; implicit-def: $sgpr10
	s_and_saveexec_b64 s[6:7], vcc
	s_xor_b64 s[6:7], exec, s[6:7]
	s_cbranch_execz .LBB1_7121
; %bb.42961:
	s_getpc_b64 s[14:15]
.Lpost_getpc7144:
	s_add_u32 s14, s14, (.LBB1_21457-.Lpost_getpc7144)&4294967295
	s_addc_u32 s15, s15, (.LBB1_21457-.Lpost_getpc7144)>>32
	s_setpc_b64 s[14:15]
.LBB1_7121:
	s_or_saveexec_b64 s[6:7], s[6:7]
	v_mov_b32_e32 v2, s10
	s_xor_b64 exec, exec, s[6:7]
	s_cbranch_execz .LBB1_7122
; %bb.42963:
	s_getpc_b64 s[14:15]
.Lpost_getpc7145:
	s_add_u32 s14, s14, (.LBB1_21460-.Lpost_getpc7145)&4294967295
	s_addc_u32 s15, s15, (.LBB1_21460-.Lpost_getpc7145)>>32
	s_setpc_b64 s[14:15]
.LBB1_7122:
	s_or_b64 exec, exec, s[6:7]
	s_and_saveexec_b64 s[6:7], s[4:5]
	s_cbranch_execz .LBB1_7124
.LBB1_7123:
	v_bfe_u32 v2, v8, 16, 3
	v_ffbh_u32_e32 v7, v2
	v_min_u32_e32 v7, 32, v7
	v_lshrrev_b32_e32 v3, 19, v8
	v_subrev_u32_e32 v12, 28, v7
	v_and_b32_e32 v3, 15, v3
	v_lshlrev_b32_sdwa v12, v12, v8 dst_sel:DWORD dst_unused:UNUSED_PAD src0_sel:DWORD src1_sel:WORD_1
	v_bfe_u32 v6, v8, 19, 4
	v_sub_u32_e32 v7, 29, v7
	v_and_b32_e32 v12, 7, v12
	v_cmp_eq_u16_e32 vcc, 0, v3
	v_cndmask_b32_e32 v2, v2, v12, vcc
	v_cndmask_b32_e32 v3, v6, v7, vcc
	v_lshlrev_b32_e32 v6, 8, v8
	v_mov_b32_e32 v7, 0x3b800000
	v_lshlrev_b32_e32 v2, 20, v2
	v_and_b32_e32 v6, 0x80000000, v6
	v_lshl_add_u32 v3, v3, 23, v7
	v_or3_b32 v2, v6, v3, v2
.LBB1_7124:
	s_or_b64 exec, exec, s[6:7]
	s_movk_i32 s4, 0xff
	v_and_b32_sdwa v3, v4, s4 dst_sel:DWORD dst_unused:UNUSED_PAD src0_sel:WORD_1 src1_sel:DWORD
	s_movk_i32 s4, 0x7f
	v_cmp_lt_i16_e32 vcc, s4, v3
	s_mov_b64 s[4:5], 0
                                        ; implicit-def: $sgpr10
	s_and_saveexec_b64 s[6:7], vcc
	s_xor_b64 s[6:7], exec, s[6:7]
	s_cbranch_execz .LBB1_7125
; %bb.42965:
	s_getpc_b64 s[14:15]
.Lpost_getpc7146:
	s_add_u32 s14, s14, (.LBB1_21461-.Lpost_getpc7146)&4294967295
	s_addc_u32 s15, s15, (.LBB1_21461-.Lpost_getpc7146)>>32
	s_setpc_b64 s[14:15]
.LBB1_7125:
	s_or_saveexec_b64 s[6:7], s[6:7]
	v_mov_b32_e32 v6, s10
	s_xor_b64 exec, exec, s[6:7]
	s_cbranch_execz .LBB1_7126
; %bb.42967:
	s_getpc_b64 s[14:15]
.Lpost_getpc7147:
	s_add_u32 s14, s14, (.LBB1_21464-.Lpost_getpc7147)&4294967295
	s_addc_u32 s15, s15, (.LBB1_21464-.Lpost_getpc7147)>>32
	s_setpc_b64 s[14:15]
.LBB1_7126:
	s_or_b64 exec, exec, s[6:7]
	s_and_saveexec_b64 s[6:7], s[4:5]
	s_cbranch_execz .LBB1_7128
.LBB1_7127:
	v_bfe_u32 v3, v4, 16, 3
	v_ffbh_u32_e32 v12, v3
	v_min_u32_e32 v12, 32, v12
	v_lshrrev_b32_e32 v6, 19, v4
	v_subrev_u32_e32 v13, 28, v12
	v_and_b32_e32 v6, 15, v6
	v_lshlrev_b32_sdwa v13, v13, v4 dst_sel:DWORD dst_unused:UNUSED_PAD src0_sel:DWORD src1_sel:WORD_1
	v_bfe_u32 v7, v4, 19, 4
	v_sub_u32_e32 v12, 29, v12
	v_and_b32_e32 v13, 7, v13
	v_cmp_eq_u16_e32 vcc, 0, v6
	v_cndmask_b32_e32 v3, v3, v13, vcc
	v_cndmask_b32_e32 v6, v7, v12, vcc
	v_lshlrev_b32_e32 v7, 8, v4
	v_mov_b32_e32 v12, 0x3b800000
	v_lshlrev_b32_e32 v3, 20, v3
	v_and_b32_e32 v7, 0x80000000, v7
	v_lshl_add_u32 v6, v6, 23, v12
	v_or3_b32 v6, v7, v6, v3
.LBB1_7128:
	s_or_b64 exec, exec, s[6:7]
	s_nop 0
	v_mfma_f32_16x16x4f32 a[0:3], v2, v6, a[0:3]
	s_movk_i32 s4, 0x7f
	v_cmp_gt_i16_sdwa s[6:7], v8, s4 src0_sel:BYTE_3 src1_sel:DWORD
	s_mov_b64 s[4:5], 0
                                        ; implicit-def: $sgpr10
	s_and_saveexec_b64 s[8:9], s[6:7]
	s_xor_b64 s[6:7], exec, s[8:9]
	s_cbranch_execz .LBB1_7129
; %bb.42969:
	s_getpc_b64 s[14:15]
.Lpost_getpc7148:
	s_add_u32 s14, s14, (.LBB1_21465-.Lpost_getpc7148)&4294967295
	s_addc_u32 s15, s15, (.LBB1_21465-.Lpost_getpc7148)>>32
	s_setpc_b64 s[14:15]
.LBB1_7129:
	s_or_saveexec_b64 s[6:7], s[6:7]
	v_mov_b32_e32 v2, s10
	s_xor_b64 exec, exec, s[6:7]
	s_cbranch_execz .LBB1_7130
; %bb.42971:
	s_getpc_b64 s[14:15]
.Lpost_getpc7149:
	s_add_u32 s14, s14, (.LBB1_21468-.Lpost_getpc7149)&4294967295
	s_addc_u32 s15, s15, (.LBB1_21468-.Lpost_getpc7149)>>32
	s_setpc_b64 s[14:15]
.LBB1_7130:
	s_or_b64 exec, exec, s[6:7]
	s_and_saveexec_b64 s[6:7], s[4:5]
	s_cbranch_execz .LBB1_7132
.LBB1_7131:
	v_bfe_u32 v2, v8, 24, 3
	v_ffbh_u32_e32 v12, v2
	v_min_u32_e32 v12, 32, v12
	v_lshrrev_b32_e32 v6, 27, v8
	v_subrev_u32_e32 v13, 28, v12
	v_and_b32_e32 v3, 0x80000000, v8
	v_and_b32_e32 v6, 15, v6
	v_bfe_u32 v7, v8, 27, 4
	v_lshlrev_b32_sdwa v8, v13, v8 dst_sel:DWORD dst_unused:UNUSED_PAD src0_sel:DWORD src1_sel:BYTE_3
	v_sub_u32_e32 v12, 29, v12
	v_and_b32_e32 v8, 7, v8
	v_cmp_eq_u16_e32 vcc, 0, v6
	v_cndmask_b32_e32 v2, v2, v8, vcc
	v_cndmask_b32_e32 v6, v7, v12, vcc
	v_mov_b32_e32 v7, 0x3b800000
	v_lshlrev_b32_e32 v2, 20, v2
	v_lshl_add_u32 v6, v6, 23, v7
	v_or3_b32 v2, v3, v6, v2
.LBB1_7132:
	s_or_b64 exec, exec, s[6:7]
	s_movk_i32 s4, 0x7f
	v_cmp_gt_i16_sdwa s[6:7], v4, s4 src0_sel:BYTE_3 src1_sel:DWORD
	s_mov_b64 s[4:5], 0
                                        ; implicit-def: $sgpr10
	s_and_saveexec_b64 s[8:9], s[6:7]
	s_xor_b64 s[6:7], exec, s[8:9]
	s_cbranch_execz .LBB1_7133
; %bb.42973:
	s_getpc_b64 s[14:15]
.Lpost_getpc7150:
	s_add_u32 s14, s14, (.LBB1_21469-.Lpost_getpc7150)&4294967295
	s_addc_u32 s15, s15, (.LBB1_21469-.Lpost_getpc7150)>>32
	s_setpc_b64 s[14:15]
.LBB1_7133:
	s_or_saveexec_b64 s[6:7], s[6:7]
	v_mov_b32_e32 v3, s10
	s_xor_b64 exec, exec, s[6:7]
	s_cbranch_execz .LBB1_7134
; %bb.42975:
	s_getpc_b64 s[14:15]
.Lpost_getpc7151:
	s_add_u32 s14, s14, (.LBB1_21472-.Lpost_getpc7151)&4294967295
	s_addc_u32 s15, s15, (.LBB1_21472-.Lpost_getpc7151)>>32
	s_setpc_b64 s[14:15]
.LBB1_7134:
	s_or_b64 exec, exec, s[6:7]
	s_and_saveexec_b64 s[6:7], s[4:5]
	s_cbranch_execz .LBB1_7136
.LBB1_7135:
	v_bfe_u32 v3, v4, 24, 3
	v_ffbh_u32_e32 v12, v3
	v_min_u32_e32 v12, 32, v12
	v_lshrrev_b32_e32 v7, 27, v4
	v_subrev_u32_e32 v13, 28, v12
	v_and_b32_e32 v6, 0x80000000, v4
	v_and_b32_e32 v7, 15, v7
	v_bfe_u32 v8, v4, 27, 4
	v_lshlrev_b32_sdwa v4, v13, v4 dst_sel:DWORD dst_unused:UNUSED_PAD src0_sel:DWORD src1_sel:BYTE_3
	v_sub_u32_e32 v12, 29, v12
	v_and_b32_e32 v4, 7, v4
	v_cmp_eq_u16_e32 vcc, 0, v7
	v_cndmask_b32_e32 v3, v3, v4, vcc
	v_cndmask_b32_e32 v4, v8, v12, vcc
	v_mov_b32_e32 v7, 0x3b800000
	v_lshlrev_b32_e32 v3, 20, v3
	v_lshl_add_u32 v4, v4, 23, v7
	v_or3_b32 v3, v6, v4, v3
.LBB1_7136:
	s_or_b64 exec, exec, s[6:7]
	s_nop 0
	v_mfma_f32_16x16x4f32 a[0:3], v2, v3, a[0:3]
	s_movk_i32 s4, 0x7f
	v_cmp_gt_i16_sdwa s[6:7], v9, s4 src0_sel:BYTE_0 src1_sel:DWORD
	s_mov_b64 s[4:5], 0
                                        ; implicit-def: $sgpr10
	s_and_saveexec_b64 s[8:9], s[6:7]
	s_xor_b64 s[6:7], exec, s[8:9]
	s_cbranch_execz .LBB1_7137
; %bb.42977:
	s_getpc_b64 s[14:15]
.Lpost_getpc7152:
	s_add_u32 s14, s14, (.LBB1_21473-.Lpost_getpc7152)&4294967295
	s_addc_u32 s15, s15, (.LBB1_21473-.Lpost_getpc7152)>>32
	s_setpc_b64 s[14:15]
.LBB1_7137:
	s_or_saveexec_b64 s[6:7], s[6:7]
	v_mov_b32_e32 v2, s10
	s_xor_b64 exec, exec, s[6:7]
	s_cbranch_execz .LBB1_7138
; %bb.42979:
	s_getpc_b64 s[14:15]
.Lpost_getpc7153:
	s_add_u32 s14, s14, (.LBB1_21476-.Lpost_getpc7153)&4294967295
	s_addc_u32 s15, s15, (.LBB1_21476-.Lpost_getpc7153)>>32
	s_setpc_b64 s[14:15]
.LBB1_7138:
	s_or_b64 exec, exec, s[6:7]
	s_and_saveexec_b64 s[6:7], s[4:5]
	s_cbranch_execz .LBB1_7140
.LBB1_7139:
	v_mov_b32_e32 v2, 8
	v_and_b32_e32 v3, 7, v9
	v_lshrrev_b32_sdwa v2, v2, v9 dst_sel:BYTE_1 dst_unused:UNUSED_PAD src0_sel:DWORD src1_sel:DWORD
	v_ffbh_u32_e32 v4, v3
	v_or_b32_sdwa v2, v9, v2 dst_sel:DWORD dst_unused:UNUSED_PAD src0_sel:BYTE_0 src1_sel:DWORD
	v_min_u32_e32 v4, 32, v4
	v_lshrrev_b16_e32 v2, 3, v2
	v_subrev_u32_e32 v6, 28, v4
	v_and_b32_e32 v2, 15, v2
	v_lshlrev_b32_e32 v6, v6, v9
	v_sub_u32_e32 v4, 29, v4
	v_and_b32_e32 v6, 7, v6
	v_cmp_eq_u16_e32 vcc, 0, v2
	v_cndmask_b32_e32 v3, v3, v6, vcc
	v_cndmask_b32_e32 v2, v2, v4, vcc
	v_lshlrev_b32_e32 v4, 24, v9
	v_mov_b32_e32 v6, 0x3b800000
	v_lshlrev_b32_e32 v3, 20, v3
	v_and_b32_e32 v4, 0x80000000, v4
	v_lshl_add_u32 v2, v2, 23, v6
	v_or3_b32 v2, v4, v2, v3
.LBB1_7140:
	s_or_b64 exec, exec, s[6:7]
	s_movk_i32 s4, 0x7f
	v_cmp_gt_i16_sdwa s[6:7], v5, s4 src0_sel:BYTE_0 src1_sel:DWORD
	s_mov_b64 s[4:5], 0
                                        ; implicit-def: $sgpr10
	s_and_saveexec_b64 s[8:9], s[6:7]
	s_xor_b64 s[6:7], exec, s[8:9]
	s_cbranch_execz .LBB1_7141
; %bb.42981:
	s_getpc_b64 s[14:15]
.Lpost_getpc7154:
	s_add_u32 s14, s14, (.LBB1_21477-.Lpost_getpc7154)&4294967295
	s_addc_u32 s15, s15, (.LBB1_21477-.Lpost_getpc7154)>>32
	s_setpc_b64 s[14:15]
.LBB1_7141:
	s_or_saveexec_b64 s[6:7], s[6:7]
	v_mov_b32_e32 v3, s10
	s_xor_b64 exec, exec, s[6:7]
	s_cbranch_execz .LBB1_7142
; %bb.42983:
	s_getpc_b64 s[14:15]
.Lpost_getpc7155:
	s_add_u32 s14, s14, (.LBB1_21480-.Lpost_getpc7155)&4294967295
	s_addc_u32 s15, s15, (.LBB1_21480-.Lpost_getpc7155)>>32
	s_setpc_b64 s[14:15]
.LBB1_7142:
	s_or_b64 exec, exec, s[6:7]
	s_and_saveexec_b64 s[6:7], s[4:5]
	s_cbranch_execz .LBB1_7144
.LBB1_7143:
	v_mov_b32_e32 v3, 8
	v_and_b32_e32 v4, 7, v5
	v_lshrrev_b32_sdwa v3, v3, v5 dst_sel:BYTE_1 dst_unused:UNUSED_PAD src0_sel:DWORD src1_sel:DWORD
	v_ffbh_u32_e32 v6, v4
	v_or_b32_sdwa v3, v5, v3 dst_sel:DWORD dst_unused:UNUSED_PAD src0_sel:BYTE_0 src1_sel:DWORD
	v_min_u32_e32 v6, 32, v6
	v_lshrrev_b16_e32 v3, 3, v3
	v_subrev_u32_e32 v7, 28, v6
	v_and_b32_e32 v3, 15, v3
	v_lshlrev_b32_e32 v7, v7, v5
	v_sub_u32_e32 v6, 29, v6
	v_and_b32_e32 v7, 7, v7
	v_cmp_eq_u16_e32 vcc, 0, v3
	v_cndmask_b32_e32 v4, v4, v7, vcc
	v_cndmask_b32_e32 v3, v3, v6, vcc
	v_lshlrev_b32_e32 v6, 24, v5
	v_mov_b32_e32 v7, 0x3b800000
	v_lshlrev_b32_e32 v4, 20, v4
	v_and_b32_e32 v6, 0x80000000, v6
	v_lshl_add_u32 v3, v3, 23, v7
	v_or3_b32 v3, v6, v3, v4
.LBB1_7144:
	s_or_b64 exec, exec, s[6:7]
	s_nop 0
	v_mfma_f32_16x16x4f32 a[0:3], v2, v3, a[0:3]
	v_lshrrev_b32_e32 v3, 8, v9
	s_movk_i32 s4, 0x7f
	v_cmp_gt_i16_sdwa s[6:7], v3, s4 src0_sel:BYTE_0 src1_sel:DWORD
	s_mov_b64 s[4:5], 0
                                        ; implicit-def: $sgpr10
	s_and_saveexec_b64 s[8:9], s[6:7]
	s_xor_b64 s[6:7], exec, s[8:9]
	s_cbranch_execz .LBB1_7145
; %bb.42985:
	s_getpc_b64 s[14:15]
.Lpost_getpc7156:
	s_add_u32 s14, s14, (.LBB1_21481-.Lpost_getpc7156)&4294967295
	s_addc_u32 s15, s15, (.LBB1_21481-.Lpost_getpc7156)>>32
	s_setpc_b64 s[14:15]
.LBB1_7145:
	s_or_saveexec_b64 s[6:7], s[6:7]
	v_mov_b32_e32 v2, s10
	s_xor_b64 exec, exec, s[6:7]
	s_cbranch_execz .LBB1_7146
; %bb.42987:
	s_getpc_b64 s[14:15]
.Lpost_getpc7157:
	s_add_u32 s14, s14, (.LBB1_21484-.Lpost_getpc7157)&4294967295
	s_addc_u32 s15, s15, (.LBB1_21484-.Lpost_getpc7157)>>32
	s_setpc_b64 s[14:15]
.LBB1_7146:
	s_or_b64 exec, exec, s[6:7]
	s_and_saveexec_b64 s[6:7], s[4:5]
	s_cbranch_execz .LBB1_7148
.LBB1_7147:
	v_bfe_u32 v2, v9, 8, 3
	v_ffbh_u32_e32 v6, v2
	v_min_u32_e32 v6, 32, v6
	v_lshrrev_b16_e32 v4, 3, v3
	v_subrev_u32_e32 v7, 28, v6
	v_and_b32_e32 v4, 15, v4
	v_lshlrev_b32_e32 v3, v7, v3
	v_sub_u32_e32 v6, 29, v6
	v_and_b32_e32 v3, 7, v3
	v_cmp_eq_u16_e32 vcc, 0, v4
	v_cndmask_b32_e32 v2, v2, v3, vcc
	v_cndmask_b32_e32 v3, v4, v6, vcc
	v_lshlrev_b32_e32 v4, 16, v9
	v_mov_b32_e32 v6, 0x3b800000
	v_lshlrev_b32_e32 v2, 20, v2
	v_and_b32_e32 v4, 0x80000000, v4
	v_lshl_add_u32 v3, v3, 23, v6
	v_or3_b32 v2, v4, v3, v2
.LBB1_7148:
	s_or_b64 exec, exec, s[6:7]
	v_lshrrev_b32_e32 v3, 8, v5
	s_movk_i32 s4, 0x7f
	v_cmp_gt_i16_sdwa s[6:7], v3, s4 src0_sel:BYTE_0 src1_sel:DWORD
	s_mov_b64 s[4:5], 0
                                        ; implicit-def: $sgpr10
	s_and_saveexec_b64 s[8:9], s[6:7]
	s_xor_b64 s[6:7], exec, s[8:9]
	s_cbranch_execz .LBB1_7149
; %bb.42989:
	s_getpc_b64 s[14:15]
.Lpost_getpc7158:
	s_add_u32 s14, s14, (.LBB1_21485-.Lpost_getpc7158)&4294967295
	s_addc_u32 s15, s15, (.LBB1_21485-.Lpost_getpc7158)>>32
	s_setpc_b64 s[14:15]
.LBB1_7149:
	s_or_saveexec_b64 s[6:7], s[6:7]
	v_mov_b32_e32 v4, s10
	s_xor_b64 exec, exec, s[6:7]
	s_cbranch_execz .LBB1_7150
; %bb.42991:
	s_getpc_b64 s[14:15]
.Lpost_getpc7159:
	s_add_u32 s14, s14, (.LBB1_21488-.Lpost_getpc7159)&4294967295
	s_addc_u32 s15, s15, (.LBB1_21488-.Lpost_getpc7159)>>32
	s_setpc_b64 s[14:15]
.LBB1_7150:
	s_or_b64 exec, exec, s[6:7]
	s_and_saveexec_b64 s[6:7], s[4:5]
	s_cbranch_execz .LBB1_7152
.LBB1_7151:
	v_bfe_u32 v4, v5, 8, 3
	v_ffbh_u32_e32 v7, v4
	v_min_u32_e32 v7, 32, v7
	v_lshrrev_b16_e32 v6, 3, v3
	v_subrev_u32_e32 v8, 28, v7
	v_and_b32_e32 v6, 15, v6
	v_lshlrev_b32_e32 v3, v8, v3
	v_sub_u32_e32 v7, 29, v7
	v_and_b32_e32 v3, 7, v3
	v_cmp_eq_u16_e32 vcc, 0, v6
	v_cndmask_b32_e32 v3, v4, v3, vcc
	v_cndmask_b32_e32 v4, v6, v7, vcc
	v_lshlrev_b32_e32 v6, 16, v5
	v_mov_b32_e32 v7, 0x3b800000
	v_lshlrev_b32_e32 v3, 20, v3
	v_and_b32_e32 v6, 0x80000000, v6
	v_lshl_add_u32 v4, v4, 23, v7
	v_or3_b32 v4, v6, v4, v3
.LBB1_7152:
	s_or_b64 exec, exec, s[6:7]
	s_nop 0
	v_mfma_f32_16x16x4f32 a[0:3], v2, v4, a[0:3]
	s_movk_i32 s4, 0xff
	v_and_b32_sdwa v3, v9, s4 dst_sel:DWORD dst_unused:UNUSED_PAD src0_sel:WORD_1 src1_sel:DWORD
	s_movk_i32 s4, 0x7f
	v_cmp_lt_i16_e32 vcc, s4, v3
	s_mov_b64 s[4:5], 0
                                        ; implicit-def: $sgpr10
	s_and_saveexec_b64 s[6:7], vcc
	s_xor_b64 s[6:7], exec, s[6:7]
	s_cbranch_execz .LBB1_7153
; %bb.42993:
	s_getpc_b64 s[14:15]
.Lpost_getpc7160:
	s_add_u32 s14, s14, (.LBB1_21489-.Lpost_getpc7160)&4294967295
	s_addc_u32 s15, s15, (.LBB1_21489-.Lpost_getpc7160)>>32
	s_setpc_b64 s[14:15]
.LBB1_7153:
	s_or_saveexec_b64 s[6:7], s[6:7]
	v_mov_b32_e32 v2, s10
	s_xor_b64 exec, exec, s[6:7]
	s_cbranch_execz .LBB1_7154
; %bb.42995:
	s_getpc_b64 s[14:15]
.Lpost_getpc7161:
	s_add_u32 s14, s14, (.LBB1_21492-.Lpost_getpc7161)&4294967295
	s_addc_u32 s15, s15, (.LBB1_21492-.Lpost_getpc7161)>>32
	s_setpc_b64 s[14:15]
.LBB1_7154:
	s_or_b64 exec, exec, s[6:7]
	s_and_saveexec_b64 s[6:7], s[4:5]
	s_cbranch_execz .LBB1_7156
.LBB1_7155:
	v_bfe_u32 v2, v9, 16, 3
	v_ffbh_u32_e32 v6, v2
	v_min_u32_e32 v6, 32, v6
	v_lshrrev_b32_e32 v3, 19, v9
	v_subrev_u32_e32 v7, 28, v6
	v_and_b32_e32 v3, 15, v3
	v_lshlrev_b32_sdwa v7, v7, v9 dst_sel:DWORD dst_unused:UNUSED_PAD src0_sel:DWORD src1_sel:WORD_1
	v_bfe_u32 v4, v9, 19, 4
	v_sub_u32_e32 v6, 29, v6
	v_and_b32_e32 v7, 7, v7
	v_cmp_eq_u16_e32 vcc, 0, v3
	v_cndmask_b32_e32 v2, v2, v7, vcc
	v_cndmask_b32_e32 v3, v4, v6, vcc
	v_lshlrev_b32_e32 v4, 8, v9
	v_mov_b32_e32 v6, 0x3b800000
	v_lshlrev_b32_e32 v2, 20, v2
	v_and_b32_e32 v4, 0x80000000, v4
	v_lshl_add_u32 v3, v3, 23, v6
	v_or3_b32 v2, v4, v3, v2
.LBB1_7156:
	s_or_b64 exec, exec, s[6:7]
	s_movk_i32 s4, 0xff
	v_and_b32_sdwa v3, v5, s4 dst_sel:DWORD dst_unused:UNUSED_PAD src0_sel:WORD_1 src1_sel:DWORD
	s_movk_i32 s4, 0x7f
	v_cmp_lt_i16_e32 vcc, s4, v3
	s_mov_b64 s[4:5], 0
                                        ; implicit-def: $sgpr10
	s_and_saveexec_b64 s[6:7], vcc
	s_xor_b64 s[6:7], exec, s[6:7]
	s_cbranch_execz .LBB1_7157
; %bb.42997:
	s_getpc_b64 s[14:15]
.Lpost_getpc7162:
	s_add_u32 s14, s14, (.LBB1_21493-.Lpost_getpc7162)&4294967295
	s_addc_u32 s15, s15, (.LBB1_21493-.Lpost_getpc7162)>>32
	s_setpc_b64 s[14:15]
.LBB1_7157:
	s_or_saveexec_b64 s[6:7], s[6:7]
	v_mov_b32_e32 v4, s10
	s_xor_b64 exec, exec, s[6:7]
	s_cbranch_execz .LBB1_7158
; %bb.42999:
	s_getpc_b64 s[14:15]
.Lpost_getpc7163:
	s_add_u32 s14, s14, (.LBB1_21496-.Lpost_getpc7163)&4294967295
	s_addc_u32 s15, s15, (.LBB1_21496-.Lpost_getpc7163)>>32
	s_setpc_b64 s[14:15]
.LBB1_7158:
	s_or_b64 exec, exec, s[6:7]
	s_and_saveexec_b64 s[6:7], s[4:5]
	s_cbranch_execz .LBB1_7160
.LBB1_7159:
	v_bfe_u32 v3, v5, 16, 3
	v_ffbh_u32_e32 v7, v3
	v_min_u32_e32 v7, 32, v7
	v_lshrrev_b32_e32 v4, 19, v5
	v_subrev_u32_e32 v8, 28, v7
	v_and_b32_e32 v4, 15, v4
	v_lshlrev_b32_sdwa v8, v8, v5 dst_sel:DWORD dst_unused:UNUSED_PAD src0_sel:DWORD src1_sel:WORD_1
	v_bfe_u32 v6, v5, 19, 4
	v_sub_u32_e32 v7, 29, v7
	v_and_b32_e32 v8, 7, v8
	v_cmp_eq_u16_e32 vcc, 0, v4
	v_cndmask_b32_e32 v3, v3, v8, vcc
	v_cndmask_b32_e32 v4, v6, v7, vcc
	v_lshlrev_b32_e32 v6, 8, v5
	v_mov_b32_e32 v7, 0x3b800000
	v_lshlrev_b32_e32 v3, 20, v3
	v_and_b32_e32 v6, 0x80000000, v6
	v_lshl_add_u32 v4, v4, 23, v7
	v_or3_b32 v4, v6, v4, v3
.LBB1_7160:
	s_or_b64 exec, exec, s[6:7]
	s_nop 0
	v_mfma_f32_16x16x4f32 a[0:3], v2, v4, a[0:3]
	s_movk_i32 s4, 0x7f
	v_cmp_gt_i16_sdwa s[6:7], v9, s4 src0_sel:BYTE_3 src1_sel:DWORD
	s_mov_b64 s[4:5], 0
                                        ; implicit-def: $sgpr10
	s_and_saveexec_b64 s[8:9], s[6:7]
	s_xor_b64 s[6:7], exec, s[8:9]
	s_cbranch_execz .LBB1_7161
; %bb.43001:
	s_getpc_b64 s[14:15]
.Lpost_getpc7164:
	s_add_u32 s14, s14, (.LBB1_21497-.Lpost_getpc7164)&4294967295
	s_addc_u32 s15, s15, (.LBB1_21497-.Lpost_getpc7164)>>32
	s_setpc_b64 s[14:15]
.LBB1_7161:
	s_or_saveexec_b64 s[6:7], s[6:7]
	v_mov_b32_e32 v2, s10
	s_xor_b64 exec, exec, s[6:7]
	s_cbranch_execz .LBB1_7162
; %bb.43003:
	s_getpc_b64 s[14:15]
.Lpost_getpc7165:
	s_add_u32 s14, s14, (.LBB1_21500-.Lpost_getpc7165)&4294967295
	s_addc_u32 s15, s15, (.LBB1_21500-.Lpost_getpc7165)>>32
	s_setpc_b64 s[14:15]
.LBB1_7162:
	s_or_b64 exec, exec, s[6:7]
	s_and_saveexec_b64 s[6:7], s[4:5]
	s_cbranch_execz .LBB1_7164
.LBB1_7163:
	v_bfe_u32 v2, v9, 24, 3
	v_ffbh_u32_e32 v7, v2
	v_min_u32_e32 v7, 32, v7
	v_lshrrev_b32_e32 v4, 27, v9
	v_subrev_u32_e32 v8, 28, v7
	v_and_b32_e32 v4, 15, v4
	v_lshlrev_b32_sdwa v8, v8, v9 dst_sel:DWORD dst_unused:UNUSED_PAD src0_sel:DWORD src1_sel:BYTE_3
	v_bfe_u32 v6, v9, 27, 4
	v_sub_u32_e32 v7, 29, v7
	v_and_b32_e32 v8, 7, v8
	v_cmp_eq_u16_e32 vcc, 0, v4
	v_cndmask_b32_e32 v2, v2, v8, vcc
	v_cndmask_b32_e32 v4, v6, v7, vcc
	v_mov_b32_e32 v6, 0x3b800000
	v_and_b32_e32 v3, 0x80000000, v9
	v_lshlrev_b32_e32 v2, 20, v2
	v_lshl_add_u32 v4, v4, 23, v6
	v_or3_b32 v2, v3, v4, v2
.LBB1_7164:
	s_or_b64 exec, exec, s[6:7]
	s_movk_i32 s4, 0x7f
	v_cmp_gt_i16_sdwa s[6:7], v5, s4 src0_sel:BYTE_3 src1_sel:DWORD
	s_mov_b64 s[4:5], 0
                                        ; implicit-def: $sgpr10
	s_and_saveexec_b64 s[8:9], s[6:7]
	s_xor_b64 s[6:7], exec, s[8:9]
	s_cbranch_execz .LBB1_7165
; %bb.43005:
	s_getpc_b64 s[14:15]
.Lpost_getpc7166:
	s_add_u32 s14, s14, (.LBB1_21501-.Lpost_getpc7166)&4294967295
	s_addc_u32 s15, s15, (.LBB1_21501-.Lpost_getpc7166)>>32
	s_setpc_b64 s[14:15]
.LBB1_7165:
	s_or_saveexec_b64 s[6:7], s[6:7]
	v_mov_b32_e32 v3, s10
	s_xor_b64 exec, exec, s[6:7]
	s_cbranch_execz .LBB1_7166
; %bb.43007:
	s_getpc_b64 s[14:15]
.Lpost_getpc7167:
	s_add_u32 s14, s14, (.LBB1_21504-.Lpost_getpc7167)&4294967295
	s_addc_u32 s15, s15, (.LBB1_21504-.Lpost_getpc7167)>>32
	s_setpc_b64 s[14:15]
.LBB1_7166:
	s_or_b64 exec, exec, s[6:7]
	s_and_saveexec_b64 s[6:7], s[4:5]
	s_cbranch_execz .LBB1_7168
.LBB1_7167:
	v_bfe_u32 v3, v5, 24, 3
	v_ffbh_u32_e32 v8, v3
	v_min_u32_e32 v8, 32, v8
	v_lshrrev_b32_e32 v6, 27, v5
	v_subrev_u32_e32 v9, 28, v8
	v_and_b32_e32 v4, 0x80000000, v5
	v_and_b32_e32 v6, 15, v6
	v_bfe_u32 v7, v5, 27, 4
	v_lshlrev_b32_sdwa v5, v9, v5 dst_sel:DWORD dst_unused:UNUSED_PAD src0_sel:DWORD src1_sel:BYTE_3
	v_sub_u32_e32 v8, 29, v8
	v_and_b32_e32 v5, 7, v5
	v_cmp_eq_u16_e32 vcc, 0, v6
	v_cndmask_b32_e32 v3, v3, v5, vcc
	v_cndmask_b32_e32 v5, v7, v8, vcc
	v_mov_b32_e32 v6, 0x3b800000
	v_lshlrev_b32_e32 v3, 20, v3
	v_lshl_add_u32 v5, v5, 23, v6
	v_or3_b32 v3, v4, v5, v3
.LBB1_7168:
	s_or_b64 exec, exec, s[6:7]
	s_nop 0
	v_mfma_f32_16x16x4f32 a[0:3], v2, v3, a[0:3]
	s_movk_i32 s4, 0x7f
                                        ; implicit-def: $sgpr10
	s_nop 7
	s_nop 1
	flat_store_dwordx4 v[10:11], a[0:3] offset:880
	flat_load_dwordx4 v[12:15], v[0:1]
	s_nop 0
	flat_load_dwordx2 v[10:11], v[0:1] offset:16
	s_waitcnt vmcnt(0) lgkmcnt(0)
	flat_load_dwordx4 v[6:9], v[12:13] offset:112
	flat_load_dwordx4 v[2:5], v[14:15] offset:128
	s_waitcnt vmcnt(0) lgkmcnt(0)
	v_cmp_gt_i16_sdwa s[6:7], v6, s4 src0_sel:BYTE_0 src1_sel:DWORD
	s_mov_b64 s[4:5], 0
	s_and_saveexec_b64 s[8:9], s[6:7]
	s_xor_b64 s[6:7], exec, s[8:9]
	s_cbranch_execz .LBB1_7169
; %bb.43009:
	s_getpc_b64 s[14:15]
.Lpost_getpc7168:
	s_add_u32 s14, s14, (.LBB1_21505-.Lpost_getpc7168)&4294967295
	s_addc_u32 s15, s15, (.LBB1_21505-.Lpost_getpc7168)>>32
	s_setpc_b64 s[14:15]
.LBB1_7169:
	s_or_saveexec_b64 s[6:7], s[6:7]
	v_mov_b32_e32 v12, s10
	s_xor_b64 exec, exec, s[6:7]
	s_cbranch_execz .LBB1_7170
; %bb.43011:
	s_getpc_b64 s[14:15]
.Lpost_getpc7169:
	s_add_u32 s14, s14, (.LBB1_21508-.Lpost_getpc7169)&4294967295
	s_addc_u32 s15, s15, (.LBB1_21508-.Lpost_getpc7169)>>32
	s_setpc_b64 s[14:15]
.LBB1_7170:
	s_or_b64 exec, exec, s[6:7]
	s_and_saveexec_b64 s[6:7], s[4:5]
	s_cbranch_execz .LBB1_7172
.LBB1_7171:
	v_and_b32_e32 v12, 7, v6
	v_ffbh_u32_e32 v14, v12
	v_min_u32_e32 v14, 32, v14
	v_lshrrev_b16_e32 v13, 3, v6
	v_subrev_u32_e32 v15, 28, v14
	v_and_b32_e32 v13, 15, v13
	v_lshlrev_b32_e32 v15, v15, v6
	v_sub_u32_e32 v14, 29, v14
	v_and_b32_e32 v15, 7, v15
	v_cmp_eq_u16_e32 vcc, 0, v13
	v_cndmask_b32_e32 v12, v12, v15, vcc
	v_cndmask_b32_e32 v13, v13, v14, vcc
	v_lshlrev_b32_e32 v14, 24, v6
	v_mov_b32_e32 v15, 0x3b800000
	v_lshlrev_b32_e32 v12, 20, v12
	v_and_b32_e32 v14, 0x80000000, v14
	v_lshl_add_u32 v13, v13, 23, v15
	v_or3_b32 v12, v14, v13, v12
.LBB1_7172:
	s_or_b64 exec, exec, s[6:7]
	s_movk_i32 s4, 0x7f
	v_cmp_gt_i16_sdwa s[6:7], v2, s4 src0_sel:BYTE_0 src1_sel:DWORD
	s_mov_b64 s[4:5], 0
                                        ; implicit-def: $sgpr10
	s_and_saveexec_b64 s[8:9], s[6:7]
	s_xor_b64 s[6:7], exec, s[8:9]
	s_cbranch_execz .LBB1_7173
; %bb.43013:
	s_getpc_b64 s[14:15]
.Lpost_getpc7170:
	s_add_u32 s14, s14, (.LBB1_21509-.Lpost_getpc7170)&4294967295
	s_addc_u32 s15, s15, (.LBB1_21509-.Lpost_getpc7170)>>32
	s_setpc_b64 s[14:15]
.LBB1_7173:
	s_or_saveexec_b64 s[6:7], s[6:7]
	v_mov_b32_e32 v13, s10
	s_xor_b64 exec, exec, s[6:7]
	s_cbranch_execz .LBB1_7174
; %bb.43015:
	s_getpc_b64 s[14:15]
.Lpost_getpc7171:
	s_add_u32 s14, s14, (.LBB1_21512-.Lpost_getpc7171)&4294967295
	s_addc_u32 s15, s15, (.LBB1_21512-.Lpost_getpc7171)>>32
	s_setpc_b64 s[14:15]
.LBB1_7174:
	s_or_b64 exec, exec, s[6:7]
	s_and_saveexec_b64 s[6:7], s[4:5]
	s_cbranch_execz .LBB1_7176
.LBB1_7175:
	v_and_b32_e32 v13, 7, v2
	v_ffbh_u32_e32 v15, v13
	v_min_u32_e32 v15, 32, v15
	v_lshrrev_b16_e32 v14, 3, v2
	v_subrev_u32_e32 v16, 28, v15
	v_and_b32_e32 v14, 15, v14
	v_lshlrev_b32_e32 v16, v16, v2
	v_sub_u32_e32 v15, 29, v15
	v_and_b32_e32 v16, 7, v16
	v_cmp_eq_u16_e32 vcc, 0, v14
	v_cndmask_b32_e32 v13, v13, v16, vcc
	v_cndmask_b32_e32 v14, v14, v15, vcc
	v_lshlrev_b32_e32 v15, 24, v2
	v_mov_b32_e32 v16, 0x3b800000
	v_lshlrev_b32_e32 v13, 20, v13
	v_and_b32_e32 v15, 0x80000000, v15
	v_lshl_add_u32 v14, v14, 23, v16
	v_or3_b32 v13, v15, v14, v13
.LBB1_7176:
	s_or_b64 exec, exec, s[6:7]
	flat_load_dwordx4 a[0:3], v[10:11]
	s_movk_i32 s4, 0x7f
                                        ; implicit-def: $sgpr10
	s_waitcnt vmcnt(0) lgkmcnt(0)
	v_mfma_f32_16x16x4f32 a[0:3], v12, v13, a[0:3]
	v_lshrrev_b32_e32 v13, 8, v6
	v_cmp_gt_i16_sdwa s[6:7], v13, s4 src0_sel:BYTE_0 src1_sel:DWORD
	s_mov_b64 s[4:5], 0
	s_and_saveexec_b64 s[8:9], s[6:7]
	s_xor_b64 s[6:7], exec, s[8:9]
	s_cbranch_execz .LBB1_7177
; %bb.43017:
	s_getpc_b64 s[14:15]
.Lpost_getpc7172:
	s_add_u32 s14, s14, (.LBB1_21513-.Lpost_getpc7172)&4294967295
	s_addc_u32 s15, s15, (.LBB1_21513-.Lpost_getpc7172)>>32
	s_setpc_b64 s[14:15]
.LBB1_7177:
	s_or_saveexec_b64 s[6:7], s[6:7]
	v_mov_b32_e32 v12, s10
	s_xor_b64 exec, exec, s[6:7]
	s_cbranch_execz .LBB1_7178
; %bb.43019:
	s_getpc_b64 s[14:15]
.Lpost_getpc7173:
	s_add_u32 s14, s14, (.LBB1_21516-.Lpost_getpc7173)&4294967295
	s_addc_u32 s15, s15, (.LBB1_21516-.Lpost_getpc7173)>>32
	s_setpc_b64 s[14:15]
.LBB1_7178:
	s_or_b64 exec, exec, s[6:7]
	s_and_saveexec_b64 s[6:7], s[4:5]
	s_cbranch_execz .LBB1_7180
.LBB1_7179:
	v_bfe_u32 v12, v6, 8, 3
	v_ffbh_u32_e32 v15, v12
	v_min_u32_e32 v15, 32, v15
	v_lshrrev_b16_e32 v14, 3, v13
	v_subrev_u32_e32 v16, 28, v15
	v_and_b32_e32 v14, 15, v14
	v_lshlrev_b32_e32 v13, v16, v13
	v_sub_u32_e32 v15, 29, v15
	v_and_b32_e32 v13, 7, v13
	v_cmp_eq_u16_e32 vcc, 0, v14
	v_cndmask_b32_e32 v12, v12, v13, vcc
	v_cndmask_b32_e32 v13, v14, v15, vcc
	v_lshlrev_b32_e32 v14, 16, v6
	v_mov_b32_e32 v15, 0x3b800000
	v_lshlrev_b32_e32 v12, 20, v12
	v_and_b32_e32 v14, 0x80000000, v14
	v_lshl_add_u32 v13, v13, 23, v15
	v_or3_b32 v12, v14, v13, v12
.LBB1_7180:
	s_or_b64 exec, exec, s[6:7]
	v_lshrrev_b32_e32 v13, 8, v2
	s_movk_i32 s4, 0x7f
	v_cmp_gt_i16_sdwa s[6:7], v13, s4 src0_sel:BYTE_0 src1_sel:DWORD
	s_mov_b64 s[4:5], 0
                                        ; implicit-def: $sgpr10
	s_and_saveexec_b64 s[8:9], s[6:7]
	s_xor_b64 s[6:7], exec, s[8:9]
	s_cbranch_execz .LBB1_7181
; %bb.43021:
	s_getpc_b64 s[14:15]
.Lpost_getpc7174:
	s_add_u32 s14, s14, (.LBB1_21517-.Lpost_getpc7174)&4294967295
	s_addc_u32 s15, s15, (.LBB1_21517-.Lpost_getpc7174)>>32
	s_setpc_b64 s[14:15]
.LBB1_7181:
	s_or_saveexec_b64 s[6:7], s[6:7]
	v_mov_b32_e32 v14, s10
	s_xor_b64 exec, exec, s[6:7]
	s_cbranch_execz .LBB1_7182
; %bb.43023:
	s_getpc_b64 s[14:15]
.Lpost_getpc7175:
	s_add_u32 s14, s14, (.LBB1_21520-.Lpost_getpc7175)&4294967295
	s_addc_u32 s15, s15, (.LBB1_21520-.Lpost_getpc7175)>>32
	s_setpc_b64 s[14:15]
.LBB1_7182:
	s_or_b64 exec, exec, s[6:7]
	s_and_saveexec_b64 s[6:7], s[4:5]
	s_cbranch_execz .LBB1_7184
.LBB1_7183:
	v_bfe_u32 v14, v2, 8, 3
	v_ffbh_u32_e32 v16, v14
	v_min_u32_e32 v16, 32, v16
	v_lshrrev_b16_e32 v15, 3, v13
	v_subrev_u32_e32 v17, 28, v16
	v_and_b32_e32 v15, 15, v15
	v_lshlrev_b32_e32 v13, v17, v13
	v_sub_u32_e32 v16, 29, v16
	v_and_b32_e32 v13, 7, v13
	v_cmp_eq_u16_e32 vcc, 0, v15
	v_cndmask_b32_e32 v13, v14, v13, vcc
	v_cndmask_b32_e32 v14, v15, v16, vcc
	v_lshlrev_b32_e32 v15, 16, v2
	v_mov_b32_e32 v16, 0x3b800000
	v_lshlrev_b32_e32 v13, 20, v13
	v_and_b32_e32 v15, 0x80000000, v15
	v_lshl_add_u32 v14, v14, 23, v16
	v_or3_b32 v14, v15, v14, v13
.LBB1_7184:
	s_or_b64 exec, exec, s[6:7]
	s_nop 0
	v_mfma_f32_16x16x4f32 a[0:3], v12, v14, a[0:3]
	s_movk_i32 s4, 0xff
	v_and_b32_sdwa v13, v6, s4 dst_sel:DWORD dst_unused:UNUSED_PAD src0_sel:WORD_1 src1_sel:DWORD
	s_movk_i32 s4, 0x7f
	v_cmp_lt_i16_e32 vcc, s4, v13
	s_mov_b64 s[4:5], 0
                                        ; implicit-def: $sgpr10
	s_and_saveexec_b64 s[6:7], vcc
	s_xor_b64 s[6:7], exec, s[6:7]
	s_cbranch_execz .LBB1_7185
; %bb.43025:
	s_getpc_b64 s[14:15]
.Lpost_getpc7176:
	s_add_u32 s14, s14, (.LBB1_21521-.Lpost_getpc7176)&4294967295
	s_addc_u32 s15, s15, (.LBB1_21521-.Lpost_getpc7176)>>32
	s_setpc_b64 s[14:15]
.LBB1_7185:
	s_or_saveexec_b64 s[6:7], s[6:7]
	v_mov_b32_e32 v12, s10
	s_xor_b64 exec, exec, s[6:7]
	s_cbranch_execz .LBB1_7186
; %bb.43027:
	s_getpc_b64 s[14:15]
.Lpost_getpc7177:
	s_add_u32 s14, s14, (.LBB1_21524-.Lpost_getpc7177)&4294967295
	s_addc_u32 s15, s15, (.LBB1_21524-.Lpost_getpc7177)>>32
	s_setpc_b64 s[14:15]
.LBB1_7186:
	s_or_b64 exec, exec, s[6:7]
	s_and_saveexec_b64 s[6:7], s[4:5]
	s_cbranch_execz .LBB1_7188
.LBB1_7187:
	v_bfe_u32 v12, v6, 16, 3
	v_ffbh_u32_e32 v15, v12
	v_min_u32_e32 v15, 32, v15
	v_lshrrev_b32_e32 v13, 19, v6
	v_subrev_u32_e32 v16, 28, v15
	v_and_b32_e32 v13, 15, v13
	v_lshlrev_b32_sdwa v16, v16, v6 dst_sel:DWORD dst_unused:UNUSED_PAD src0_sel:DWORD src1_sel:WORD_1
	v_bfe_u32 v14, v6, 19, 4
	v_sub_u32_e32 v15, 29, v15
	v_and_b32_e32 v16, 7, v16
	v_cmp_eq_u16_e32 vcc, 0, v13
	v_cndmask_b32_e32 v12, v12, v16, vcc
	v_cndmask_b32_e32 v13, v14, v15, vcc
	v_lshlrev_b32_e32 v14, 8, v6
	v_mov_b32_e32 v15, 0x3b800000
	v_lshlrev_b32_e32 v12, 20, v12
	v_and_b32_e32 v14, 0x80000000, v14
	v_lshl_add_u32 v13, v13, 23, v15
	v_or3_b32 v12, v14, v13, v12
.LBB1_7188:
	s_or_b64 exec, exec, s[6:7]
	s_movk_i32 s4, 0xff
	v_and_b32_sdwa v13, v2, s4 dst_sel:DWORD dst_unused:UNUSED_PAD src0_sel:WORD_1 src1_sel:DWORD
	s_movk_i32 s4, 0x7f
	v_cmp_lt_i16_e32 vcc, s4, v13
	s_mov_b64 s[4:5], 0
                                        ; implicit-def: $sgpr10
	s_and_saveexec_b64 s[6:7], vcc
	s_xor_b64 s[6:7], exec, s[6:7]
	s_cbranch_execz .LBB1_7189
; %bb.43029:
	s_getpc_b64 s[14:15]
.Lpost_getpc7178:
	s_add_u32 s14, s14, (.LBB1_21525-.Lpost_getpc7178)&4294967295
	s_addc_u32 s15, s15, (.LBB1_21525-.Lpost_getpc7178)>>32
	s_setpc_b64 s[14:15]
.LBB1_7189:
	s_or_saveexec_b64 s[6:7], s[6:7]
	v_mov_b32_e32 v14, s10
	s_xor_b64 exec, exec, s[6:7]
	s_cbranch_execz .LBB1_7190
; %bb.43031:
	s_getpc_b64 s[14:15]
.Lpost_getpc7179:
	s_add_u32 s14, s14, (.LBB1_21528-.Lpost_getpc7179)&4294967295
	s_addc_u32 s15, s15, (.LBB1_21528-.Lpost_getpc7179)>>32
	s_setpc_b64 s[14:15]
.LBB1_7190:
	s_or_b64 exec, exec, s[6:7]
	s_and_saveexec_b64 s[6:7], s[4:5]
	s_cbranch_execz .LBB1_7192
.LBB1_7191:
	v_bfe_u32 v13, v2, 16, 3
	v_ffbh_u32_e32 v16, v13
	v_min_u32_e32 v16, 32, v16
	v_lshrrev_b32_e32 v14, 19, v2
	v_subrev_u32_e32 v17, 28, v16
	v_and_b32_e32 v14, 15, v14
	v_lshlrev_b32_sdwa v17, v17, v2 dst_sel:DWORD dst_unused:UNUSED_PAD src0_sel:DWORD src1_sel:WORD_1
	v_bfe_u32 v15, v2, 19, 4
	v_sub_u32_e32 v16, 29, v16
	v_and_b32_e32 v17, 7, v17
	v_cmp_eq_u16_e32 vcc, 0, v14
	v_cndmask_b32_e32 v13, v13, v17, vcc
	v_cndmask_b32_e32 v14, v15, v16, vcc
	v_lshlrev_b32_e32 v15, 8, v2
	v_mov_b32_e32 v16, 0x3b800000
	v_lshlrev_b32_e32 v13, 20, v13
	v_and_b32_e32 v15, 0x80000000, v15
	v_lshl_add_u32 v14, v14, 23, v16
	v_or3_b32 v14, v15, v14, v13
.LBB1_7192:
	s_or_b64 exec, exec, s[6:7]
	s_nop 0
	v_mfma_f32_16x16x4f32 a[0:3], v12, v14, a[0:3]
	s_movk_i32 s4, 0x7f
	v_cmp_gt_i16_sdwa s[6:7], v6, s4 src0_sel:BYTE_3 src1_sel:DWORD
	s_mov_b64 s[4:5], 0
                                        ; implicit-def: $sgpr10
	s_and_saveexec_b64 s[8:9], s[6:7]
	s_xor_b64 s[6:7], exec, s[8:9]
	s_cbranch_execz .LBB1_7193
; %bb.43033:
	s_getpc_b64 s[14:15]
.Lpost_getpc7180:
	s_add_u32 s14, s14, (.LBB1_21529-.Lpost_getpc7180)&4294967295
	s_addc_u32 s15, s15, (.LBB1_21529-.Lpost_getpc7180)>>32
	s_setpc_b64 s[14:15]
.LBB1_7193:
	s_or_saveexec_b64 s[6:7], s[6:7]
	v_mov_b32_e32 v12, s10
	s_xor_b64 exec, exec, s[6:7]
	s_cbranch_execz .LBB1_7194
; %bb.43035:
	s_getpc_b64 s[14:15]
.Lpost_getpc7181:
	s_add_u32 s14, s14, (.LBB1_21532-.Lpost_getpc7181)&4294967295
	s_addc_u32 s15, s15, (.LBB1_21532-.Lpost_getpc7181)>>32
	s_setpc_b64 s[14:15]
.LBB1_7194:
	s_or_b64 exec, exec, s[6:7]
	s_and_saveexec_b64 s[6:7], s[4:5]
	s_cbranch_execz .LBB1_7196
.LBB1_7195:
	v_bfe_u32 v12, v6, 24, 3
	v_ffbh_u32_e32 v16, v12
	v_min_u32_e32 v16, 32, v16
	v_lshrrev_b32_e32 v14, 27, v6
	v_subrev_u32_e32 v17, 28, v16
	v_and_b32_e32 v13, 0x80000000, v6
	v_and_b32_e32 v14, 15, v14
	v_bfe_u32 v15, v6, 27, 4
	v_lshlrev_b32_sdwa v6, v17, v6 dst_sel:DWORD dst_unused:UNUSED_PAD src0_sel:DWORD src1_sel:BYTE_3
	v_sub_u32_e32 v16, 29, v16
	v_and_b32_e32 v6, 7, v6
	v_cmp_eq_u16_e32 vcc, 0, v14
	v_cndmask_b32_e32 v6, v12, v6, vcc
	v_cndmask_b32_e32 v12, v15, v16, vcc
	v_mov_b32_e32 v14, 0x3b800000
	v_lshlrev_b32_e32 v6, 20, v6
	v_lshl_add_u32 v12, v12, 23, v14
	v_or3_b32 v12, v13, v12, v6
.LBB1_7196:
	s_or_b64 exec, exec, s[6:7]
	s_movk_i32 s4, 0x7f
	v_cmp_gt_i16_sdwa s[6:7], v2, s4 src0_sel:BYTE_3 src1_sel:DWORD
	s_mov_b64 s[4:5], 0
                                        ; implicit-def: $sgpr10
	s_and_saveexec_b64 s[8:9], s[6:7]
	s_xor_b64 s[6:7], exec, s[8:9]
	s_cbranch_execz .LBB1_7197
; %bb.43037:
	s_getpc_b64 s[14:15]
.Lpost_getpc7182:
	s_add_u32 s14, s14, (.LBB1_21533-.Lpost_getpc7182)&4294967295
	s_addc_u32 s15, s15, (.LBB1_21533-.Lpost_getpc7182)>>32
	s_setpc_b64 s[14:15]
.LBB1_7197:
	s_or_saveexec_b64 s[6:7], s[6:7]
	v_mov_b32_e32 v6, s10
	s_xor_b64 exec, exec, s[6:7]
	s_cbranch_execz .LBB1_7198
; %bb.43039:
	s_getpc_b64 s[14:15]
.Lpost_getpc7183:
	s_add_u32 s14, s14, (.LBB1_21536-.Lpost_getpc7183)&4294967295
	s_addc_u32 s15, s15, (.LBB1_21536-.Lpost_getpc7183)>>32
	s_setpc_b64 s[14:15]
.LBB1_7198:
	s_or_b64 exec, exec, s[6:7]
	s_and_saveexec_b64 s[6:7], s[4:5]
	s_cbranch_execz .LBB1_7200
.LBB1_7199:
	v_bfe_u32 v6, v2, 24, 3
	v_ffbh_u32_e32 v16, v6
	v_min_u32_e32 v16, 32, v16
	v_lshrrev_b32_e32 v14, 27, v2
	v_subrev_u32_e32 v17, 28, v16
	v_and_b32_e32 v13, 0x80000000, v2
	v_and_b32_e32 v14, 15, v14
	v_bfe_u32 v15, v2, 27, 4
	v_lshlrev_b32_sdwa v2, v17, v2 dst_sel:DWORD dst_unused:UNUSED_PAD src0_sel:DWORD src1_sel:BYTE_3
	v_sub_u32_e32 v16, 29, v16
	v_and_b32_e32 v2, 7, v2
	v_cmp_eq_u16_e32 vcc, 0, v14
	v_cndmask_b32_e32 v2, v6, v2, vcc
	v_cndmask_b32_e32 v6, v15, v16, vcc
	v_mov_b32_e32 v14, 0x3b800000
	v_lshlrev_b32_e32 v2, 20, v2
	v_lshl_add_u32 v6, v6, 23, v14
	v_or3_b32 v6, v13, v6, v2
.LBB1_7200:
	s_or_b64 exec, exec, s[6:7]
	s_nop 0
	v_mfma_f32_16x16x4f32 a[0:3], v12, v6, a[0:3]
	s_movk_i32 s4, 0x7f
	v_cmp_gt_i16_sdwa s[6:7], v7, s4 src0_sel:BYTE_0 src1_sel:DWORD
	s_mov_b64 s[4:5], 0
                                        ; implicit-def: $sgpr10
	s_and_saveexec_b64 s[8:9], s[6:7]
	s_xor_b64 s[6:7], exec, s[8:9]
	s_cbranch_execz .LBB1_7201
; %bb.43041:
	s_getpc_b64 s[14:15]
.Lpost_getpc7184:
	s_add_u32 s14, s14, (.LBB1_21537-.Lpost_getpc7184)&4294967295
	s_addc_u32 s15, s15, (.LBB1_21537-.Lpost_getpc7184)>>32
	s_setpc_b64 s[14:15]
.LBB1_7201:
	s_or_saveexec_b64 s[6:7], s[6:7]
	v_mov_b32_e32 v2, s10
	s_xor_b64 exec, exec, s[6:7]
	s_cbranch_execz .LBB1_7202
; %bb.43043:
	s_getpc_b64 s[14:15]
.Lpost_getpc7185:
	s_add_u32 s14, s14, (.LBB1_21540-.Lpost_getpc7185)&4294967295
	s_addc_u32 s15, s15, (.LBB1_21540-.Lpost_getpc7185)>>32
	s_setpc_b64 s[14:15]
.LBB1_7202:
	s_or_b64 exec, exec, s[6:7]
	s_and_saveexec_b64 s[6:7], s[4:5]
	s_cbranch_execz .LBB1_7204
.LBB1_7203:
	v_and_b32_e32 v2, 7, v7
	v_ffbh_u32_e32 v12, v2
	v_min_u32_e32 v12, 32, v12
	v_lshrrev_b16_e32 v6, 3, v7
	v_subrev_u32_e32 v13, 28, v12
	v_and_b32_e32 v6, 15, v6
	v_lshlrev_b32_e32 v13, v13, v7
	v_sub_u32_e32 v12, 29, v12
	v_and_b32_e32 v13, 7, v13
	v_cmp_eq_u16_e32 vcc, 0, v6
	v_cndmask_b32_e32 v2, v2, v13, vcc
	v_cndmask_b32_e32 v6, v6, v12, vcc
	v_lshlrev_b32_e32 v12, 24, v7
	v_mov_b32_e32 v13, 0x3b800000
	v_lshlrev_b32_e32 v2, 20, v2
	v_and_b32_e32 v12, 0x80000000, v12
	v_lshl_add_u32 v6, v6, 23, v13
	v_or3_b32 v2, v12, v6, v2
.LBB1_7204:
	s_or_b64 exec, exec, s[6:7]
	s_movk_i32 s4, 0x7f
	v_cmp_gt_i16_sdwa s[6:7], v3, s4 src0_sel:BYTE_0 src1_sel:DWORD
	s_mov_b64 s[4:5], 0
                                        ; implicit-def: $sgpr10
	s_and_saveexec_b64 s[8:9], s[6:7]
	s_xor_b64 s[6:7], exec, s[8:9]
	s_cbranch_execz .LBB1_7205
; %bb.43045:
	s_getpc_b64 s[14:15]
.Lpost_getpc7186:
	s_add_u32 s14, s14, (.LBB1_21541-.Lpost_getpc7186)&4294967295
	s_addc_u32 s15, s15, (.LBB1_21541-.Lpost_getpc7186)>>32
	s_setpc_b64 s[14:15]
.LBB1_7205:
	s_or_saveexec_b64 s[6:7], s[6:7]
	v_mov_b32_e32 v6, s10
	s_xor_b64 exec, exec, s[6:7]
	s_cbranch_execz .LBB1_7206
; %bb.43047:
	s_getpc_b64 s[14:15]
.Lpost_getpc7187:
	s_add_u32 s14, s14, (.LBB1_21544-.Lpost_getpc7187)&4294967295
	s_addc_u32 s15, s15, (.LBB1_21544-.Lpost_getpc7187)>>32
	s_setpc_b64 s[14:15]
.LBB1_7206:
	s_or_b64 exec, exec, s[6:7]
	s_and_saveexec_b64 s[6:7], s[4:5]
	s_cbranch_execz .LBB1_7208
.LBB1_7207:
	v_and_b32_e32 v6, 7, v3
	v_ffbh_u32_e32 v13, v6
	v_min_u32_e32 v13, 32, v13
	v_lshrrev_b16_e32 v12, 3, v3
	v_subrev_u32_e32 v14, 28, v13
	v_and_b32_e32 v12, 15, v12
	v_lshlrev_b32_e32 v14, v14, v3
	v_sub_u32_e32 v13, 29, v13
	v_and_b32_e32 v14, 7, v14
	v_cmp_eq_u16_e32 vcc, 0, v12
	v_cndmask_b32_e32 v6, v6, v14, vcc
	v_cndmask_b32_e32 v12, v12, v13, vcc
	v_lshlrev_b32_e32 v13, 24, v3
	v_mov_b32_e32 v14, 0x3b800000
	v_lshlrev_b32_e32 v6, 20, v6
	v_and_b32_e32 v13, 0x80000000, v13
	v_lshl_add_u32 v12, v12, 23, v14
	v_or3_b32 v6, v13, v12, v6
.LBB1_7208:
	s_or_b64 exec, exec, s[6:7]
	s_nop 0
	v_mfma_f32_16x16x4f32 a[0:3], v2, v6, a[0:3]
	v_lshrrev_b32_e32 v6, 8, v7
	s_movk_i32 s4, 0x7f
	v_cmp_gt_i16_sdwa s[6:7], v6, s4 src0_sel:BYTE_0 src1_sel:DWORD
	s_mov_b64 s[4:5], 0
                                        ; implicit-def: $sgpr10
	s_and_saveexec_b64 s[8:9], s[6:7]
	s_xor_b64 s[6:7], exec, s[8:9]
	s_cbranch_execz .LBB1_7209
; %bb.43049:
	s_getpc_b64 s[14:15]
.Lpost_getpc7188:
	s_add_u32 s14, s14, (.LBB1_21545-.Lpost_getpc7188)&4294967295
	s_addc_u32 s15, s15, (.LBB1_21545-.Lpost_getpc7188)>>32
	s_setpc_b64 s[14:15]
.LBB1_7209:
	s_or_saveexec_b64 s[6:7], s[6:7]
	v_mov_b32_e32 v2, s10
	s_xor_b64 exec, exec, s[6:7]
	s_cbranch_execz .LBB1_7210
; %bb.43051:
	s_getpc_b64 s[14:15]
.Lpost_getpc7189:
	s_add_u32 s14, s14, (.LBB1_21548-.Lpost_getpc7189)&4294967295
	s_addc_u32 s15, s15, (.LBB1_21548-.Lpost_getpc7189)>>32
	s_setpc_b64 s[14:15]
.LBB1_7210:
	s_or_b64 exec, exec, s[6:7]
	s_and_saveexec_b64 s[6:7], s[4:5]
	s_cbranch_execz .LBB1_7212
.LBB1_7211:
	v_bfe_u32 v2, v7, 8, 3
	v_ffbh_u32_e32 v13, v2
	v_min_u32_e32 v13, 32, v13
	v_lshrrev_b16_e32 v12, 3, v6
	v_subrev_u32_e32 v14, 28, v13
	v_and_b32_e32 v12, 15, v12
	v_lshlrev_b32_e32 v6, v14, v6
	v_sub_u32_e32 v13, 29, v13
	v_and_b32_e32 v6, 7, v6
	v_cmp_eq_u16_e32 vcc, 0, v12
	v_cndmask_b32_e32 v2, v2, v6, vcc
	v_cndmask_b32_e32 v6, v12, v13, vcc
	v_lshlrev_b32_e32 v12, 16, v7
	v_mov_b32_e32 v13, 0x3b800000
	v_lshlrev_b32_e32 v2, 20, v2
	v_and_b32_e32 v12, 0x80000000, v12
	v_lshl_add_u32 v6, v6, 23, v13
	v_or3_b32 v2, v12, v6, v2
.LBB1_7212:
	s_or_b64 exec, exec, s[6:7]
	v_lshrrev_b32_e32 v6, 8, v3
	s_movk_i32 s4, 0x7f
	v_cmp_gt_i16_sdwa s[6:7], v6, s4 src0_sel:BYTE_0 src1_sel:DWORD
	s_mov_b64 s[4:5], 0
                                        ; implicit-def: $sgpr10
	s_and_saveexec_b64 s[8:9], s[6:7]
	s_xor_b64 s[6:7], exec, s[8:9]
	s_cbranch_execz .LBB1_7213
; %bb.43053:
	s_getpc_b64 s[14:15]
.Lpost_getpc7190:
	s_add_u32 s14, s14, (.LBB1_21549-.Lpost_getpc7190)&4294967295
	s_addc_u32 s15, s15, (.LBB1_21549-.Lpost_getpc7190)>>32
	s_setpc_b64 s[14:15]
.LBB1_7213:
	s_or_saveexec_b64 s[6:7], s[6:7]
	v_mov_b32_e32 v12, s10
	s_xor_b64 exec, exec, s[6:7]
	s_cbranch_execz .LBB1_7214
; %bb.43055:
	s_getpc_b64 s[14:15]
.Lpost_getpc7191:
	s_add_u32 s14, s14, (.LBB1_21552-.Lpost_getpc7191)&4294967295
	s_addc_u32 s15, s15, (.LBB1_21552-.Lpost_getpc7191)>>32
	s_setpc_b64 s[14:15]
.LBB1_7214:
	s_or_b64 exec, exec, s[6:7]
	s_and_saveexec_b64 s[6:7], s[4:5]
	s_cbranch_execz .LBB1_7216
.LBB1_7215:
	v_bfe_u32 v12, v3, 8, 3
	v_ffbh_u32_e32 v14, v12
	v_min_u32_e32 v14, 32, v14
	v_lshrrev_b16_e32 v13, 3, v6
	v_subrev_u32_e32 v15, 28, v14
	v_and_b32_e32 v13, 15, v13
	v_lshlrev_b32_e32 v6, v15, v6
	v_sub_u32_e32 v14, 29, v14
	v_and_b32_e32 v6, 7, v6
	v_cmp_eq_u16_e32 vcc, 0, v13
	v_cndmask_b32_e32 v6, v12, v6, vcc
	v_cndmask_b32_e32 v12, v13, v14, vcc
	v_lshlrev_b32_e32 v13, 16, v3
	v_mov_b32_e32 v14, 0x3b800000
	v_lshlrev_b32_e32 v6, 20, v6
	v_and_b32_e32 v13, 0x80000000, v13
	v_lshl_add_u32 v12, v12, 23, v14
	v_or3_b32 v12, v13, v12, v6
.LBB1_7216:
	s_or_b64 exec, exec, s[6:7]
	s_nop 0
	v_mfma_f32_16x16x4f32 a[0:3], v2, v12, a[0:3]
	s_movk_i32 s4, 0xff
	v_and_b32_sdwa v6, v7, s4 dst_sel:DWORD dst_unused:UNUSED_PAD src0_sel:WORD_1 src1_sel:DWORD
	s_movk_i32 s4, 0x7f
	v_cmp_lt_i16_e32 vcc, s4, v6
	s_mov_b64 s[4:5], 0
                                        ; implicit-def: $sgpr10
	s_and_saveexec_b64 s[6:7], vcc
	s_xor_b64 s[6:7], exec, s[6:7]
	s_cbranch_execz .LBB1_7217
; %bb.43057:
	s_getpc_b64 s[14:15]
.Lpost_getpc7192:
	s_add_u32 s14, s14, (.LBB1_21553-.Lpost_getpc7192)&4294967295
	s_addc_u32 s15, s15, (.LBB1_21553-.Lpost_getpc7192)>>32
	s_setpc_b64 s[14:15]
.LBB1_7217:
	s_or_saveexec_b64 s[6:7], s[6:7]
	v_mov_b32_e32 v2, s10
	s_xor_b64 exec, exec, s[6:7]
	s_cbranch_execz .LBB1_7218
; %bb.43059:
	s_getpc_b64 s[14:15]
.Lpost_getpc7193:
	s_add_u32 s14, s14, (.LBB1_21556-.Lpost_getpc7193)&4294967295
	s_addc_u32 s15, s15, (.LBB1_21556-.Lpost_getpc7193)>>32
	s_setpc_b64 s[14:15]
.LBB1_7218:
	s_or_b64 exec, exec, s[6:7]
	s_and_saveexec_b64 s[6:7], s[4:5]
	s_cbranch_execz .LBB1_7220
.LBB1_7219:
	v_bfe_u32 v2, v7, 16, 3
	v_ffbh_u32_e32 v13, v2
	v_min_u32_e32 v13, 32, v13
	v_lshrrev_b32_e32 v6, 19, v7
	v_subrev_u32_e32 v14, 28, v13
	v_and_b32_e32 v6, 15, v6
	v_lshlrev_b32_sdwa v14, v14, v7 dst_sel:DWORD dst_unused:UNUSED_PAD src0_sel:DWORD src1_sel:WORD_1
	v_bfe_u32 v12, v7, 19, 4
	v_sub_u32_e32 v13, 29, v13
	v_and_b32_e32 v14, 7, v14
	v_cmp_eq_u16_e32 vcc, 0, v6
	v_cndmask_b32_e32 v2, v2, v14, vcc
	v_cndmask_b32_e32 v6, v12, v13, vcc
	v_lshlrev_b32_e32 v12, 8, v7
	v_mov_b32_e32 v13, 0x3b800000
	v_lshlrev_b32_e32 v2, 20, v2
	v_and_b32_e32 v12, 0x80000000, v12
	v_lshl_add_u32 v6, v6, 23, v13
	v_or3_b32 v2, v12, v6, v2
.LBB1_7220:
	s_or_b64 exec, exec, s[6:7]
	s_movk_i32 s4, 0xff
	v_and_b32_sdwa v6, v3, s4 dst_sel:DWORD dst_unused:UNUSED_PAD src0_sel:WORD_1 src1_sel:DWORD
	s_movk_i32 s4, 0x7f
	v_cmp_lt_i16_e32 vcc, s4, v6
	s_mov_b64 s[4:5], 0
                                        ; implicit-def: $sgpr10
	s_and_saveexec_b64 s[6:7], vcc
	s_xor_b64 s[6:7], exec, s[6:7]
	s_cbranch_execz .LBB1_7221
; %bb.43061:
	s_getpc_b64 s[14:15]
.Lpost_getpc7194:
	s_add_u32 s14, s14, (.LBB1_21557-.Lpost_getpc7194)&4294967295
	s_addc_u32 s15, s15, (.LBB1_21557-.Lpost_getpc7194)>>32
	s_setpc_b64 s[14:15]
.LBB1_7221:
	s_or_saveexec_b64 s[6:7], s[6:7]
	v_mov_b32_e32 v12, s10
	s_xor_b64 exec, exec, s[6:7]
	s_cbranch_execz .LBB1_7222
; %bb.43063:
	s_getpc_b64 s[14:15]
.Lpost_getpc7195:
	s_add_u32 s14, s14, (.LBB1_21560-.Lpost_getpc7195)&4294967295
	s_addc_u32 s15, s15, (.LBB1_21560-.Lpost_getpc7195)>>32
	s_setpc_b64 s[14:15]
.LBB1_7222:
	s_or_b64 exec, exec, s[6:7]
	s_and_saveexec_b64 s[6:7], s[4:5]
	s_cbranch_execz .LBB1_7224
.LBB1_7223:
	v_bfe_u32 v6, v3, 16, 3
	v_ffbh_u32_e32 v14, v6
	v_min_u32_e32 v14, 32, v14
	v_lshrrev_b32_e32 v12, 19, v3
	v_subrev_u32_e32 v15, 28, v14
	v_and_b32_e32 v12, 15, v12
	v_lshlrev_b32_sdwa v15, v15, v3 dst_sel:DWORD dst_unused:UNUSED_PAD src0_sel:DWORD src1_sel:WORD_1
	v_bfe_u32 v13, v3, 19, 4
	v_sub_u32_e32 v14, 29, v14
	v_and_b32_e32 v15, 7, v15
	v_cmp_eq_u16_e32 vcc, 0, v12
	v_cndmask_b32_e32 v6, v6, v15, vcc
	v_cndmask_b32_e32 v12, v13, v14, vcc
	v_lshlrev_b32_e32 v13, 8, v3
	v_mov_b32_e32 v14, 0x3b800000
	v_lshlrev_b32_e32 v6, 20, v6
	v_and_b32_e32 v13, 0x80000000, v13
	v_lshl_add_u32 v12, v12, 23, v14
	v_or3_b32 v12, v13, v12, v6
.LBB1_7224:
	s_or_b64 exec, exec, s[6:7]
	s_nop 0
	v_mfma_f32_16x16x4f32 a[0:3], v2, v12, a[0:3]
	s_movk_i32 s4, 0x7f
	v_cmp_gt_i16_sdwa s[6:7], v7, s4 src0_sel:BYTE_3 src1_sel:DWORD
	s_mov_b64 s[4:5], 0
                                        ; implicit-def: $sgpr10
	s_and_saveexec_b64 s[8:9], s[6:7]
	s_xor_b64 s[6:7], exec, s[8:9]
	s_cbranch_execz .LBB1_7225
; %bb.43065:
	s_getpc_b64 s[14:15]
.Lpost_getpc7196:
	s_add_u32 s14, s14, (.LBB1_21561-.Lpost_getpc7196)&4294967295
	s_addc_u32 s15, s15, (.LBB1_21561-.Lpost_getpc7196)>>32
	s_setpc_b64 s[14:15]
.LBB1_7225:
	s_or_saveexec_b64 s[6:7], s[6:7]
	v_mov_b32_e32 v2, s10
	s_xor_b64 exec, exec, s[6:7]
	s_cbranch_execz .LBB1_7226
; %bb.43067:
	s_getpc_b64 s[14:15]
.Lpost_getpc7197:
	s_add_u32 s14, s14, (.LBB1_21564-.Lpost_getpc7197)&4294967295
	s_addc_u32 s15, s15, (.LBB1_21564-.Lpost_getpc7197)>>32
	s_setpc_b64 s[14:15]
.LBB1_7226:
	s_or_b64 exec, exec, s[6:7]
	s_and_saveexec_b64 s[6:7], s[4:5]
	s_cbranch_execz .LBB1_7228
.LBB1_7227:
	v_bfe_u32 v2, v7, 24, 3
	v_ffbh_u32_e32 v14, v2
	v_min_u32_e32 v14, 32, v14
	v_lshrrev_b32_e32 v12, 27, v7
	v_subrev_u32_e32 v15, 28, v14
	v_and_b32_e32 v6, 0x80000000, v7
	v_and_b32_e32 v12, 15, v12
	v_bfe_u32 v13, v7, 27, 4
	v_lshlrev_b32_sdwa v7, v15, v7 dst_sel:DWORD dst_unused:UNUSED_PAD src0_sel:DWORD src1_sel:BYTE_3
	v_sub_u32_e32 v14, 29, v14
	v_and_b32_e32 v7, 7, v7
	v_cmp_eq_u16_e32 vcc, 0, v12
	v_cndmask_b32_e32 v2, v2, v7, vcc
	v_cndmask_b32_e32 v7, v13, v14, vcc
	v_mov_b32_e32 v12, 0x3b800000
	v_lshlrev_b32_e32 v2, 20, v2
	v_lshl_add_u32 v7, v7, 23, v12
	v_or3_b32 v2, v6, v7, v2
.LBB1_7228:
	s_or_b64 exec, exec, s[6:7]
	s_movk_i32 s4, 0x7f
	v_cmp_gt_i16_sdwa s[6:7], v3, s4 src0_sel:BYTE_3 src1_sel:DWORD
	s_mov_b64 s[4:5], 0
                                        ; implicit-def: $sgpr10
	s_and_saveexec_b64 s[8:9], s[6:7]
	s_xor_b64 s[6:7], exec, s[8:9]
	s_cbranch_execz .LBB1_7229
; %bb.43069:
	s_getpc_b64 s[14:15]
.Lpost_getpc7198:
	s_add_u32 s14, s14, (.LBB1_21565-.Lpost_getpc7198)&4294967295
	s_addc_u32 s15, s15, (.LBB1_21565-.Lpost_getpc7198)>>32
	s_setpc_b64 s[14:15]
.LBB1_7229:
	s_or_saveexec_b64 s[6:7], s[6:7]
	v_mov_b32_e32 v6, s10
	s_xor_b64 exec, exec, s[6:7]
	s_cbranch_execz .LBB1_7230
; %bb.43071:
	s_getpc_b64 s[14:15]
.Lpost_getpc7199:
	s_add_u32 s14, s14, (.LBB1_21568-.Lpost_getpc7199)&4294967295
	s_addc_u32 s15, s15, (.LBB1_21568-.Lpost_getpc7199)>>32
	s_setpc_b64 s[14:15]
.LBB1_7230:
	s_or_b64 exec, exec, s[6:7]
	s_and_saveexec_b64 s[6:7], s[4:5]
	s_cbranch_execz .LBB1_7232
.LBB1_7231:
	v_bfe_u32 v6, v3, 24, 3
	v_ffbh_u32_e32 v14, v6
	v_min_u32_e32 v14, 32, v14
	v_lshrrev_b32_e32 v12, 27, v3
	v_subrev_u32_e32 v15, 28, v14
	v_and_b32_e32 v7, 0x80000000, v3
	v_and_b32_e32 v12, 15, v12
	v_bfe_u32 v13, v3, 27, 4
	v_lshlrev_b32_sdwa v3, v15, v3 dst_sel:DWORD dst_unused:UNUSED_PAD src0_sel:DWORD src1_sel:BYTE_3
	v_sub_u32_e32 v14, 29, v14
	v_and_b32_e32 v3, 7, v3
	v_cmp_eq_u16_e32 vcc, 0, v12
	v_cndmask_b32_e32 v3, v6, v3, vcc
	v_cndmask_b32_e32 v6, v13, v14, vcc
	v_mov_b32_e32 v12, 0x3b800000
	v_lshlrev_b32_e32 v3, 20, v3
	v_lshl_add_u32 v6, v6, 23, v12
	v_or3_b32 v6, v7, v6, v3
.LBB1_7232:
	s_or_b64 exec, exec, s[6:7]
	s_nop 0
	v_mfma_f32_16x16x4f32 a[0:3], v2, v6, a[0:3]
	s_movk_i32 s4, 0x7f
	v_cmp_gt_i16_sdwa s[6:7], v8, s4 src0_sel:BYTE_0 src1_sel:DWORD
	s_mov_b64 s[4:5], 0
                                        ; implicit-def: $sgpr10
	s_and_saveexec_b64 s[8:9], s[6:7]
	s_xor_b64 s[6:7], exec, s[8:9]
	s_cbranch_execz .LBB1_7233
; %bb.43073:
	s_getpc_b64 s[14:15]
.Lpost_getpc7200:
	s_add_u32 s14, s14, (.LBB1_21569-.Lpost_getpc7200)&4294967295
	s_addc_u32 s15, s15, (.LBB1_21569-.Lpost_getpc7200)>>32
	s_setpc_b64 s[14:15]
.LBB1_7233:
	s_or_saveexec_b64 s[6:7], s[6:7]
	v_mov_b32_e32 v2, s10
	s_xor_b64 exec, exec, s[6:7]
	s_cbranch_execz .LBB1_7234
; %bb.43075:
	s_getpc_b64 s[14:15]
.Lpost_getpc7201:
	s_add_u32 s14, s14, (.LBB1_21572-.Lpost_getpc7201)&4294967295
	s_addc_u32 s15, s15, (.LBB1_21572-.Lpost_getpc7201)>>32
	s_setpc_b64 s[14:15]
.LBB1_7234:
	s_or_b64 exec, exec, s[6:7]
	s_and_saveexec_b64 s[6:7], s[4:5]
	s_cbranch_execz .LBB1_7236
.LBB1_7235:
	v_and_b32_e32 v2, 7, v8
	v_ffbh_u32_e32 v6, v2
	v_min_u32_e32 v6, 32, v6
	v_lshrrev_b16_e32 v3, 3, v8
	v_subrev_u32_e32 v7, 28, v6
	v_and_b32_e32 v3, 15, v3
	v_lshlrev_b32_e32 v7, v7, v8
	v_sub_u32_e32 v6, 29, v6
	v_and_b32_e32 v7, 7, v7
	v_cmp_eq_u16_e32 vcc, 0, v3
	v_cndmask_b32_e32 v2, v2, v7, vcc
	v_cndmask_b32_e32 v3, v3, v6, vcc
	v_lshlrev_b32_e32 v6, 24, v8
	v_mov_b32_e32 v7, 0x3b800000
	v_lshlrev_b32_e32 v2, 20, v2
	v_and_b32_e32 v6, 0x80000000, v6
	v_lshl_add_u32 v3, v3, 23, v7
	v_or3_b32 v2, v6, v3, v2
.LBB1_7236:
	s_or_b64 exec, exec, s[6:7]
	s_movk_i32 s4, 0x7f
	v_cmp_gt_i16_sdwa s[6:7], v4, s4 src0_sel:BYTE_0 src1_sel:DWORD
	s_mov_b64 s[4:5], 0
                                        ; implicit-def: $sgpr10
	s_and_saveexec_b64 s[8:9], s[6:7]
	s_xor_b64 s[6:7], exec, s[8:9]
	s_cbranch_execz .LBB1_7237
; %bb.43077:
	s_getpc_b64 s[14:15]
.Lpost_getpc7202:
	s_add_u32 s14, s14, (.LBB1_21573-.Lpost_getpc7202)&4294967295
	s_addc_u32 s15, s15, (.LBB1_21573-.Lpost_getpc7202)>>32
	s_setpc_b64 s[14:15]
.LBB1_7237:
	s_or_saveexec_b64 s[6:7], s[6:7]
	v_mov_b32_e32 v3, s10
	s_xor_b64 exec, exec, s[6:7]
	s_cbranch_execz .LBB1_7238
; %bb.43079:
	s_getpc_b64 s[14:15]
.Lpost_getpc7203:
	s_add_u32 s14, s14, (.LBB1_21576-.Lpost_getpc7203)&4294967295
	s_addc_u32 s15, s15, (.LBB1_21576-.Lpost_getpc7203)>>32
	s_setpc_b64 s[14:15]
.LBB1_7238:
	s_or_b64 exec, exec, s[6:7]
	s_and_saveexec_b64 s[6:7], s[4:5]
	s_cbranch_execz .LBB1_7240
.LBB1_7239:
	v_and_b32_e32 v3, 7, v4
	v_ffbh_u32_e32 v7, v3
	v_min_u32_e32 v7, 32, v7
	v_lshrrev_b16_e32 v6, 3, v4
	v_subrev_u32_e32 v12, 28, v7
	v_and_b32_e32 v6, 15, v6
	v_lshlrev_b32_e32 v12, v12, v4
	v_sub_u32_e32 v7, 29, v7
	v_and_b32_e32 v12, 7, v12
	v_cmp_eq_u16_e32 vcc, 0, v6
	v_cndmask_b32_e32 v3, v3, v12, vcc
	v_cndmask_b32_e32 v6, v6, v7, vcc
	v_lshlrev_b32_e32 v7, 24, v4
	v_mov_b32_e32 v12, 0x3b800000
	v_lshlrev_b32_e32 v3, 20, v3
	v_and_b32_e32 v7, 0x80000000, v7
	v_lshl_add_u32 v6, v6, 23, v12
	v_or3_b32 v3, v7, v6, v3
.LBB1_7240:
	s_or_b64 exec, exec, s[6:7]
	s_nop 0
	v_mfma_f32_16x16x4f32 a[0:3], v2, v3, a[0:3]
	v_lshrrev_b32_e32 v3, 8, v8
	s_movk_i32 s4, 0x7f
	v_cmp_gt_i16_sdwa s[6:7], v3, s4 src0_sel:BYTE_0 src1_sel:DWORD
	s_mov_b64 s[4:5], 0
                                        ; implicit-def: $sgpr10
	s_and_saveexec_b64 s[8:9], s[6:7]
	s_xor_b64 s[6:7], exec, s[8:9]
	s_cbranch_execz .LBB1_7241
; %bb.43081:
	s_getpc_b64 s[14:15]
.Lpost_getpc7204:
	s_add_u32 s14, s14, (.LBB1_21577-.Lpost_getpc7204)&4294967295
	s_addc_u32 s15, s15, (.LBB1_21577-.Lpost_getpc7204)>>32
	s_setpc_b64 s[14:15]
.LBB1_7241:
	s_or_saveexec_b64 s[6:7], s[6:7]
	v_mov_b32_e32 v2, s10
	s_xor_b64 exec, exec, s[6:7]
	s_cbranch_execz .LBB1_7242
; %bb.43083:
	s_getpc_b64 s[14:15]
.Lpost_getpc7205:
	s_add_u32 s14, s14, (.LBB1_21580-.Lpost_getpc7205)&4294967295
	s_addc_u32 s15, s15, (.LBB1_21580-.Lpost_getpc7205)>>32
	s_setpc_b64 s[14:15]
.LBB1_7242:
	s_or_b64 exec, exec, s[6:7]
	s_and_saveexec_b64 s[6:7], s[4:5]
	s_cbranch_execz .LBB1_7244
.LBB1_7243:
	v_bfe_u32 v2, v8, 8, 3
	v_ffbh_u32_e32 v7, v2
	v_min_u32_e32 v7, 32, v7
	v_lshrrev_b16_e32 v6, 3, v3
	v_subrev_u32_e32 v12, 28, v7
	v_and_b32_e32 v6, 15, v6
	v_lshlrev_b32_e32 v3, v12, v3
	v_sub_u32_e32 v7, 29, v7
	v_and_b32_e32 v3, 7, v3
	v_cmp_eq_u16_e32 vcc, 0, v6
	v_cndmask_b32_e32 v2, v2, v3, vcc
	v_cndmask_b32_e32 v3, v6, v7, vcc
	v_lshlrev_b32_e32 v6, 16, v8
	v_mov_b32_e32 v7, 0x3b800000
	v_lshlrev_b32_e32 v2, 20, v2
	v_and_b32_e32 v6, 0x80000000, v6
	v_lshl_add_u32 v3, v3, 23, v7
	v_or3_b32 v2, v6, v3, v2
.LBB1_7244:
	s_or_b64 exec, exec, s[6:7]
	v_lshrrev_b32_e32 v3, 8, v4
	s_movk_i32 s4, 0x7f
	v_cmp_gt_i16_sdwa s[6:7], v3, s4 src0_sel:BYTE_0 src1_sel:DWORD
	s_mov_b64 s[4:5], 0
                                        ; implicit-def: $sgpr10
	s_and_saveexec_b64 s[8:9], s[6:7]
	s_xor_b64 s[6:7], exec, s[8:9]
	s_cbranch_execz .LBB1_7245
; %bb.43085:
	s_getpc_b64 s[14:15]
.Lpost_getpc7206:
	s_add_u32 s14, s14, (.LBB1_21581-.Lpost_getpc7206)&4294967295
	s_addc_u32 s15, s15, (.LBB1_21581-.Lpost_getpc7206)>>32
	s_setpc_b64 s[14:15]
.LBB1_7245:
	s_or_saveexec_b64 s[6:7], s[6:7]
	v_mov_b32_e32 v6, s10
	s_xor_b64 exec, exec, s[6:7]
	s_cbranch_execz .LBB1_7246
; %bb.43087:
	s_getpc_b64 s[14:15]
.Lpost_getpc7207:
	s_add_u32 s14, s14, (.LBB1_21584-.Lpost_getpc7207)&4294967295
	s_addc_u32 s15, s15, (.LBB1_21584-.Lpost_getpc7207)>>32
	s_setpc_b64 s[14:15]
.LBB1_7246:
	s_or_b64 exec, exec, s[6:7]
	s_and_saveexec_b64 s[6:7], s[4:5]
	s_cbranch_execz .LBB1_7248
.LBB1_7247:
	v_bfe_u32 v6, v4, 8, 3
	v_ffbh_u32_e32 v12, v6
	v_min_u32_e32 v12, 32, v12
	v_lshrrev_b16_e32 v7, 3, v3
	v_subrev_u32_e32 v13, 28, v12
	v_and_b32_e32 v7, 15, v7
	v_lshlrev_b32_e32 v3, v13, v3
	v_sub_u32_e32 v12, 29, v12
	v_and_b32_e32 v3, 7, v3
	v_cmp_eq_u16_e32 vcc, 0, v7
	v_cndmask_b32_e32 v3, v6, v3, vcc
	v_cndmask_b32_e32 v6, v7, v12, vcc
	v_lshlrev_b32_e32 v7, 16, v4
	v_mov_b32_e32 v12, 0x3b800000
	v_lshlrev_b32_e32 v3, 20, v3
	v_and_b32_e32 v7, 0x80000000, v7
	v_lshl_add_u32 v6, v6, 23, v12
	v_or3_b32 v6, v7, v6, v3
.LBB1_7248:
	s_or_b64 exec, exec, s[6:7]
	s_nop 0
	v_mfma_f32_16x16x4f32 a[0:3], v2, v6, a[0:3]
	s_movk_i32 s4, 0xff
	v_and_b32_sdwa v3, v8, s4 dst_sel:DWORD dst_unused:UNUSED_PAD src0_sel:WORD_1 src1_sel:DWORD
	s_movk_i32 s4, 0x7f
	v_cmp_lt_i16_e32 vcc, s4, v3
	s_mov_b64 s[4:5], 0
                                        ; implicit-def: $sgpr10
	s_and_saveexec_b64 s[6:7], vcc
	s_xor_b64 s[6:7], exec, s[6:7]
	s_cbranch_execz .LBB1_7249
; %bb.43089:
	s_getpc_b64 s[14:15]
.Lpost_getpc7208:
	s_add_u32 s14, s14, (.LBB1_21585-.Lpost_getpc7208)&4294967295
	s_addc_u32 s15, s15, (.LBB1_21585-.Lpost_getpc7208)>>32
	s_setpc_b64 s[14:15]
.LBB1_7249:
	s_or_saveexec_b64 s[6:7], s[6:7]
	v_mov_b32_e32 v2, s10
	s_xor_b64 exec, exec, s[6:7]
	s_cbranch_execz .LBB1_7250
; %bb.43091:
	s_getpc_b64 s[14:15]
.Lpost_getpc7209:
	s_add_u32 s14, s14, (.LBB1_21588-.Lpost_getpc7209)&4294967295
	s_addc_u32 s15, s15, (.LBB1_21588-.Lpost_getpc7209)>>32
	s_setpc_b64 s[14:15]
.LBB1_7250:
	s_or_b64 exec, exec, s[6:7]
	s_and_saveexec_b64 s[6:7], s[4:5]
	s_cbranch_execz .LBB1_7252
.LBB1_7251:
	v_bfe_u32 v2, v8, 16, 3
	v_ffbh_u32_e32 v7, v2
	v_min_u32_e32 v7, 32, v7
	v_lshrrev_b32_e32 v3, 19, v8
	v_subrev_u32_e32 v12, 28, v7
	v_and_b32_e32 v3, 15, v3
	v_lshlrev_b32_sdwa v12, v12, v8 dst_sel:DWORD dst_unused:UNUSED_PAD src0_sel:DWORD src1_sel:WORD_1
	v_bfe_u32 v6, v8, 19, 4
	v_sub_u32_e32 v7, 29, v7
	v_and_b32_e32 v12, 7, v12
	v_cmp_eq_u16_e32 vcc, 0, v3
	v_cndmask_b32_e32 v2, v2, v12, vcc
	v_cndmask_b32_e32 v3, v6, v7, vcc
	v_lshlrev_b32_e32 v6, 8, v8
	v_mov_b32_e32 v7, 0x3b800000
	v_lshlrev_b32_e32 v2, 20, v2
	v_and_b32_e32 v6, 0x80000000, v6
	v_lshl_add_u32 v3, v3, 23, v7
	v_or3_b32 v2, v6, v3, v2
.LBB1_7252:
	s_or_b64 exec, exec, s[6:7]
	s_movk_i32 s4, 0xff
	v_and_b32_sdwa v3, v4, s4 dst_sel:DWORD dst_unused:UNUSED_PAD src0_sel:WORD_1 src1_sel:DWORD
	s_movk_i32 s4, 0x7f
	v_cmp_lt_i16_e32 vcc, s4, v3
	s_mov_b64 s[4:5], 0
                                        ; implicit-def: $sgpr10
	s_and_saveexec_b64 s[6:7], vcc
	s_xor_b64 s[6:7], exec, s[6:7]
	s_cbranch_execz .LBB1_7253
; %bb.43093:
	s_getpc_b64 s[14:15]
.Lpost_getpc7210:
	s_add_u32 s14, s14, (.LBB1_21589-.Lpost_getpc7210)&4294967295
	s_addc_u32 s15, s15, (.LBB1_21589-.Lpost_getpc7210)>>32
	s_setpc_b64 s[14:15]
.LBB1_7253:
	s_or_saveexec_b64 s[6:7], s[6:7]
	v_mov_b32_e32 v6, s10
	s_xor_b64 exec, exec, s[6:7]
	s_cbranch_execz .LBB1_7254
; %bb.43095:
	s_getpc_b64 s[14:15]
.Lpost_getpc7211:
	s_add_u32 s14, s14, (.LBB1_21592-.Lpost_getpc7211)&4294967295
	s_addc_u32 s15, s15, (.LBB1_21592-.Lpost_getpc7211)>>32
	s_setpc_b64 s[14:15]
.LBB1_7254:
	s_or_b64 exec, exec, s[6:7]
	s_and_saveexec_b64 s[6:7], s[4:5]
	s_cbranch_execz .LBB1_7256
.LBB1_7255:
	v_bfe_u32 v3, v4, 16, 3
	v_ffbh_u32_e32 v12, v3
	v_min_u32_e32 v12, 32, v12
	v_lshrrev_b32_e32 v6, 19, v4
	v_subrev_u32_e32 v13, 28, v12
	v_and_b32_e32 v6, 15, v6
	v_lshlrev_b32_sdwa v13, v13, v4 dst_sel:DWORD dst_unused:UNUSED_PAD src0_sel:DWORD src1_sel:WORD_1
	v_bfe_u32 v7, v4, 19, 4
	v_sub_u32_e32 v12, 29, v12
	v_and_b32_e32 v13, 7, v13
	v_cmp_eq_u16_e32 vcc, 0, v6
	v_cndmask_b32_e32 v3, v3, v13, vcc
	v_cndmask_b32_e32 v6, v7, v12, vcc
	v_lshlrev_b32_e32 v7, 8, v4
	v_mov_b32_e32 v12, 0x3b800000
	v_lshlrev_b32_e32 v3, 20, v3
	v_and_b32_e32 v7, 0x80000000, v7
	v_lshl_add_u32 v6, v6, 23, v12
	v_or3_b32 v6, v7, v6, v3
.LBB1_7256:
	s_or_b64 exec, exec, s[6:7]
	s_nop 0
	v_mfma_f32_16x16x4f32 a[0:3], v2, v6, a[0:3]
	s_movk_i32 s4, 0x7f
	v_cmp_gt_i16_sdwa s[6:7], v8, s4 src0_sel:BYTE_3 src1_sel:DWORD
	s_mov_b64 s[4:5], 0
                                        ; implicit-def: $sgpr10
	s_and_saveexec_b64 s[8:9], s[6:7]
	s_xor_b64 s[6:7], exec, s[8:9]
	s_cbranch_execz .LBB1_7257
; %bb.43097:
	s_getpc_b64 s[14:15]
.Lpost_getpc7212:
	s_add_u32 s14, s14, (.LBB1_21593-.Lpost_getpc7212)&4294967295
	s_addc_u32 s15, s15, (.LBB1_21593-.Lpost_getpc7212)>>32
	s_setpc_b64 s[14:15]
.LBB1_7257:
	s_or_saveexec_b64 s[6:7], s[6:7]
	v_mov_b32_e32 v2, s10
	s_xor_b64 exec, exec, s[6:7]
	s_cbranch_execz .LBB1_7258
; %bb.43099:
	s_getpc_b64 s[14:15]
.Lpost_getpc7213:
	s_add_u32 s14, s14, (.LBB1_21596-.Lpost_getpc7213)&4294967295
	s_addc_u32 s15, s15, (.LBB1_21596-.Lpost_getpc7213)>>32
	s_setpc_b64 s[14:15]
.LBB1_7258:
	s_or_b64 exec, exec, s[6:7]
	s_and_saveexec_b64 s[6:7], s[4:5]
	s_cbranch_execz .LBB1_7260
.LBB1_7259:
	v_bfe_u32 v2, v8, 24, 3
	v_ffbh_u32_e32 v12, v2
	v_min_u32_e32 v12, 32, v12
	v_lshrrev_b32_e32 v6, 27, v8
	v_subrev_u32_e32 v13, 28, v12
	v_and_b32_e32 v3, 0x80000000, v8
	v_and_b32_e32 v6, 15, v6
	v_bfe_u32 v7, v8, 27, 4
	v_lshlrev_b32_sdwa v8, v13, v8 dst_sel:DWORD dst_unused:UNUSED_PAD src0_sel:DWORD src1_sel:BYTE_3
	v_sub_u32_e32 v12, 29, v12
	v_and_b32_e32 v8, 7, v8
	v_cmp_eq_u16_e32 vcc, 0, v6
	v_cndmask_b32_e32 v2, v2, v8, vcc
	v_cndmask_b32_e32 v6, v7, v12, vcc
	v_mov_b32_e32 v7, 0x3b800000
	v_lshlrev_b32_e32 v2, 20, v2
	v_lshl_add_u32 v6, v6, 23, v7
	v_or3_b32 v2, v3, v6, v2
.LBB1_7260:
	s_or_b64 exec, exec, s[6:7]
	s_movk_i32 s4, 0x7f
	v_cmp_gt_i16_sdwa s[6:7], v4, s4 src0_sel:BYTE_3 src1_sel:DWORD
	s_mov_b64 s[4:5], 0
                                        ; implicit-def: $sgpr10
	s_and_saveexec_b64 s[8:9], s[6:7]
	s_xor_b64 s[6:7], exec, s[8:9]
	s_cbranch_execz .LBB1_7261
; %bb.43101:
	s_getpc_b64 s[14:15]
.Lpost_getpc7214:
	s_add_u32 s14, s14, (.LBB1_21597-.Lpost_getpc7214)&4294967295
	s_addc_u32 s15, s15, (.LBB1_21597-.Lpost_getpc7214)>>32
	s_setpc_b64 s[14:15]
.LBB1_7261:
	s_or_saveexec_b64 s[6:7], s[6:7]
	v_mov_b32_e32 v3, s10
	s_xor_b64 exec, exec, s[6:7]
	s_cbranch_execz .LBB1_7262
; %bb.43103:
	s_getpc_b64 s[14:15]
.Lpost_getpc7215:
	s_add_u32 s14, s14, (.LBB1_21600-.Lpost_getpc7215)&4294967295
	s_addc_u32 s15, s15, (.LBB1_21600-.Lpost_getpc7215)>>32
	s_setpc_b64 s[14:15]
.LBB1_7262:
	s_or_b64 exec, exec, s[6:7]
	s_and_saveexec_b64 s[6:7], s[4:5]
	s_cbranch_execz .LBB1_7264
.LBB1_7263:
	v_bfe_u32 v3, v4, 24, 3
	v_ffbh_u32_e32 v12, v3
	v_min_u32_e32 v12, 32, v12
	v_lshrrev_b32_e32 v7, 27, v4
	v_subrev_u32_e32 v13, 28, v12
	v_and_b32_e32 v6, 0x80000000, v4
	v_and_b32_e32 v7, 15, v7
	v_bfe_u32 v8, v4, 27, 4
	v_lshlrev_b32_sdwa v4, v13, v4 dst_sel:DWORD dst_unused:UNUSED_PAD src0_sel:DWORD src1_sel:BYTE_3
	v_sub_u32_e32 v12, 29, v12
	v_and_b32_e32 v4, 7, v4
	v_cmp_eq_u16_e32 vcc, 0, v7
	v_cndmask_b32_e32 v3, v3, v4, vcc
	v_cndmask_b32_e32 v4, v8, v12, vcc
	v_mov_b32_e32 v7, 0x3b800000
	v_lshlrev_b32_e32 v3, 20, v3
	v_lshl_add_u32 v4, v4, 23, v7
	v_or3_b32 v3, v6, v4, v3
.LBB1_7264:
	s_or_b64 exec, exec, s[6:7]
	s_nop 0
	v_mfma_f32_16x16x4f32 a[0:3], v2, v3, a[0:3]
	s_movk_i32 s4, 0x7f
	v_cmp_gt_i16_sdwa s[6:7], v9, s4 src0_sel:BYTE_0 src1_sel:DWORD
	s_mov_b64 s[4:5], 0
                                        ; implicit-def: $sgpr10
	s_and_saveexec_b64 s[8:9], s[6:7]
	s_xor_b64 s[6:7], exec, s[8:9]
	s_cbranch_execz .LBB1_7265
; %bb.43105:
	s_getpc_b64 s[14:15]
.Lpost_getpc7216:
	s_add_u32 s14, s14, (.LBB1_21601-.Lpost_getpc7216)&4294967295
	s_addc_u32 s15, s15, (.LBB1_21601-.Lpost_getpc7216)>>32
	s_setpc_b64 s[14:15]
.LBB1_7265:
	s_or_saveexec_b64 s[6:7], s[6:7]
	v_mov_b32_e32 v2, s10
	s_xor_b64 exec, exec, s[6:7]
	s_cbranch_execz .LBB1_7266
; %bb.43107:
	s_getpc_b64 s[14:15]
.Lpost_getpc7217:
	s_add_u32 s14, s14, (.LBB1_21604-.Lpost_getpc7217)&4294967295
	s_addc_u32 s15, s15, (.LBB1_21604-.Lpost_getpc7217)>>32
	s_setpc_b64 s[14:15]
.LBB1_7266:
	s_or_b64 exec, exec, s[6:7]
	s_and_saveexec_b64 s[6:7], s[4:5]
	s_cbranch_execz .LBB1_7268
.LBB1_7267:
	v_mov_b32_e32 v2, 8
	v_and_b32_e32 v3, 7, v9
	v_lshrrev_b32_sdwa v2, v2, v9 dst_sel:BYTE_1 dst_unused:UNUSED_PAD src0_sel:DWORD src1_sel:DWORD
	v_ffbh_u32_e32 v4, v3
	v_or_b32_sdwa v2, v9, v2 dst_sel:DWORD dst_unused:UNUSED_PAD src0_sel:BYTE_0 src1_sel:DWORD
	v_min_u32_e32 v4, 32, v4
	v_lshrrev_b16_e32 v2, 3, v2
	v_subrev_u32_e32 v6, 28, v4
	v_and_b32_e32 v2, 15, v2
	v_lshlrev_b32_e32 v6, v6, v9
	v_sub_u32_e32 v4, 29, v4
	v_and_b32_e32 v6, 7, v6
	v_cmp_eq_u16_e32 vcc, 0, v2
	v_cndmask_b32_e32 v3, v3, v6, vcc
	v_cndmask_b32_e32 v2, v2, v4, vcc
	v_lshlrev_b32_e32 v4, 24, v9
	v_mov_b32_e32 v6, 0x3b800000
	v_lshlrev_b32_e32 v3, 20, v3
	v_and_b32_e32 v4, 0x80000000, v4
	v_lshl_add_u32 v2, v2, 23, v6
	v_or3_b32 v2, v4, v2, v3
.LBB1_7268:
	s_or_b64 exec, exec, s[6:7]
	s_movk_i32 s4, 0x7f
	v_cmp_gt_i16_sdwa s[6:7], v5, s4 src0_sel:BYTE_0 src1_sel:DWORD
	s_mov_b64 s[4:5], 0
                                        ; implicit-def: $sgpr10
	s_and_saveexec_b64 s[8:9], s[6:7]
	s_xor_b64 s[6:7], exec, s[8:9]
	s_cbranch_execz .LBB1_7269
; %bb.43109:
	s_getpc_b64 s[14:15]
.Lpost_getpc7218:
	s_add_u32 s14, s14, (.LBB1_21605-.Lpost_getpc7218)&4294967295
	s_addc_u32 s15, s15, (.LBB1_21605-.Lpost_getpc7218)>>32
	s_setpc_b64 s[14:15]
.LBB1_7269:
	s_or_saveexec_b64 s[6:7], s[6:7]
	v_mov_b32_e32 v3, s10
	s_xor_b64 exec, exec, s[6:7]
	s_cbranch_execz .LBB1_7270
; %bb.43111:
	s_getpc_b64 s[14:15]
.Lpost_getpc7219:
	s_add_u32 s14, s14, (.LBB1_21608-.Lpost_getpc7219)&4294967295
	s_addc_u32 s15, s15, (.LBB1_21608-.Lpost_getpc7219)>>32
	s_setpc_b64 s[14:15]
.LBB1_7270:
	s_or_b64 exec, exec, s[6:7]
	s_and_saveexec_b64 s[6:7], s[4:5]
	s_cbranch_execz .LBB1_7272
.LBB1_7271:
	v_mov_b32_e32 v3, 8
	v_and_b32_e32 v4, 7, v5
	v_lshrrev_b32_sdwa v3, v3, v5 dst_sel:BYTE_1 dst_unused:UNUSED_PAD src0_sel:DWORD src1_sel:DWORD
	v_ffbh_u32_e32 v6, v4
	v_or_b32_sdwa v3, v5, v3 dst_sel:DWORD dst_unused:UNUSED_PAD src0_sel:BYTE_0 src1_sel:DWORD
	v_min_u32_e32 v6, 32, v6
	v_lshrrev_b16_e32 v3, 3, v3
	v_subrev_u32_e32 v7, 28, v6
	v_and_b32_e32 v3, 15, v3
	v_lshlrev_b32_e32 v7, v7, v5
	v_sub_u32_e32 v6, 29, v6
	v_and_b32_e32 v7, 7, v7
	v_cmp_eq_u16_e32 vcc, 0, v3
	v_cndmask_b32_e32 v4, v4, v7, vcc
	v_cndmask_b32_e32 v3, v3, v6, vcc
	v_lshlrev_b32_e32 v6, 24, v5
	v_mov_b32_e32 v7, 0x3b800000
	v_lshlrev_b32_e32 v4, 20, v4
	v_and_b32_e32 v6, 0x80000000, v6
	v_lshl_add_u32 v3, v3, 23, v7
	v_or3_b32 v3, v6, v3, v4
.LBB1_7272:
	s_or_b64 exec, exec, s[6:7]
	s_nop 0
	v_mfma_f32_16x16x4f32 a[0:3], v2, v3, a[0:3]
	v_lshrrev_b32_e32 v3, 8, v9
	s_movk_i32 s4, 0x7f
	v_cmp_gt_i16_sdwa s[6:7], v3, s4 src0_sel:BYTE_0 src1_sel:DWORD
	s_mov_b64 s[4:5], 0
                                        ; implicit-def: $sgpr10
	s_and_saveexec_b64 s[8:9], s[6:7]
	s_xor_b64 s[6:7], exec, s[8:9]
	s_cbranch_execz .LBB1_7273
; %bb.43113:
	s_getpc_b64 s[14:15]
.Lpost_getpc7220:
	s_add_u32 s14, s14, (.LBB1_21609-.Lpost_getpc7220)&4294967295
	s_addc_u32 s15, s15, (.LBB1_21609-.Lpost_getpc7220)>>32
	s_setpc_b64 s[14:15]
.LBB1_7273:
	s_or_saveexec_b64 s[6:7], s[6:7]
	v_mov_b32_e32 v2, s10
	s_xor_b64 exec, exec, s[6:7]
	s_cbranch_execz .LBB1_7274
; %bb.43115:
	s_getpc_b64 s[14:15]
.Lpost_getpc7221:
	s_add_u32 s14, s14, (.LBB1_21612-.Lpost_getpc7221)&4294967295
	s_addc_u32 s15, s15, (.LBB1_21612-.Lpost_getpc7221)>>32
	s_setpc_b64 s[14:15]
.LBB1_7274:
	s_or_b64 exec, exec, s[6:7]
	s_and_saveexec_b64 s[6:7], s[4:5]
	s_cbranch_execz .LBB1_7276
.LBB1_7275:
	v_bfe_u32 v2, v9, 8, 3
	v_ffbh_u32_e32 v6, v2
	v_min_u32_e32 v6, 32, v6
	v_lshrrev_b16_e32 v4, 3, v3
	v_subrev_u32_e32 v7, 28, v6
	v_and_b32_e32 v4, 15, v4
	v_lshlrev_b32_e32 v3, v7, v3
	v_sub_u32_e32 v6, 29, v6
	v_and_b32_e32 v3, 7, v3
	v_cmp_eq_u16_e32 vcc, 0, v4
	v_cndmask_b32_e32 v2, v2, v3, vcc
	v_cndmask_b32_e32 v3, v4, v6, vcc
	v_lshlrev_b32_e32 v4, 16, v9
	v_mov_b32_e32 v6, 0x3b800000
	v_lshlrev_b32_e32 v2, 20, v2
	v_and_b32_e32 v4, 0x80000000, v4
	v_lshl_add_u32 v3, v3, 23, v6
	v_or3_b32 v2, v4, v3, v2
.LBB1_7276:
	s_or_b64 exec, exec, s[6:7]
	v_lshrrev_b32_e32 v3, 8, v5
	s_movk_i32 s4, 0x7f
	v_cmp_gt_i16_sdwa s[6:7], v3, s4 src0_sel:BYTE_0 src1_sel:DWORD
	s_mov_b64 s[4:5], 0
                                        ; implicit-def: $sgpr10
	s_and_saveexec_b64 s[8:9], s[6:7]
	s_xor_b64 s[6:7], exec, s[8:9]
	s_cbranch_execz .LBB1_7277
; %bb.43117:
	s_getpc_b64 s[14:15]
.Lpost_getpc7222:
	s_add_u32 s14, s14, (.LBB1_21613-.Lpost_getpc7222)&4294967295
	s_addc_u32 s15, s15, (.LBB1_21613-.Lpost_getpc7222)>>32
	s_setpc_b64 s[14:15]
.LBB1_7277:
	s_or_saveexec_b64 s[6:7], s[6:7]
	v_mov_b32_e32 v4, s10
	s_xor_b64 exec, exec, s[6:7]
	s_cbranch_execz .LBB1_7278
; %bb.43119:
	s_getpc_b64 s[14:15]
.Lpost_getpc7223:
	s_add_u32 s14, s14, (.LBB1_21616-.Lpost_getpc7223)&4294967295
	s_addc_u32 s15, s15, (.LBB1_21616-.Lpost_getpc7223)>>32
	s_setpc_b64 s[14:15]
.LBB1_7278:
	s_or_b64 exec, exec, s[6:7]
	s_and_saveexec_b64 s[6:7], s[4:5]
	s_cbranch_execz .LBB1_7280
.LBB1_7279:
	v_bfe_u32 v4, v5, 8, 3
	v_ffbh_u32_e32 v7, v4
	v_min_u32_e32 v7, 32, v7
	v_lshrrev_b16_e32 v6, 3, v3
	v_subrev_u32_e32 v8, 28, v7
	v_and_b32_e32 v6, 15, v6
	v_lshlrev_b32_e32 v3, v8, v3
	v_sub_u32_e32 v7, 29, v7
	v_and_b32_e32 v3, 7, v3
	v_cmp_eq_u16_e32 vcc, 0, v6
	v_cndmask_b32_e32 v3, v4, v3, vcc
	v_cndmask_b32_e32 v4, v6, v7, vcc
	v_lshlrev_b32_e32 v6, 16, v5
	v_mov_b32_e32 v7, 0x3b800000
	v_lshlrev_b32_e32 v3, 20, v3
	v_and_b32_e32 v6, 0x80000000, v6
	v_lshl_add_u32 v4, v4, 23, v7
	v_or3_b32 v4, v6, v4, v3
.LBB1_7280:
	s_or_b64 exec, exec, s[6:7]
	s_nop 0
	v_mfma_f32_16x16x4f32 a[0:3], v2, v4, a[0:3]
	s_movk_i32 s4, 0xff
	v_and_b32_sdwa v3, v9, s4 dst_sel:DWORD dst_unused:UNUSED_PAD src0_sel:WORD_1 src1_sel:DWORD
	s_movk_i32 s4, 0x7f
	v_cmp_lt_i16_e32 vcc, s4, v3
	s_mov_b64 s[4:5], 0
                                        ; implicit-def: $sgpr10
	s_and_saveexec_b64 s[6:7], vcc
	s_xor_b64 s[6:7], exec, s[6:7]
	s_cbranch_execz .LBB1_7281
; %bb.43121:
	s_getpc_b64 s[14:15]
.Lpost_getpc7224:
	s_add_u32 s14, s14, (.LBB1_21617-.Lpost_getpc7224)&4294967295
	s_addc_u32 s15, s15, (.LBB1_21617-.Lpost_getpc7224)>>32
	s_setpc_b64 s[14:15]
.LBB1_7281:
	s_or_saveexec_b64 s[6:7], s[6:7]
	v_mov_b32_e32 v2, s10
	s_xor_b64 exec, exec, s[6:7]
	s_cbranch_execz .LBB1_7282
; %bb.43123:
	s_getpc_b64 s[14:15]
.Lpost_getpc7225:
	s_add_u32 s14, s14, (.LBB1_21620-.Lpost_getpc7225)&4294967295
	s_addc_u32 s15, s15, (.LBB1_21620-.Lpost_getpc7225)>>32
	s_setpc_b64 s[14:15]
.LBB1_7282:
	s_or_b64 exec, exec, s[6:7]
	s_and_saveexec_b64 s[6:7], s[4:5]
	s_cbranch_execz .LBB1_7284
.LBB1_7283:
	v_bfe_u32 v2, v9, 16, 3
	v_ffbh_u32_e32 v6, v2
	v_min_u32_e32 v6, 32, v6
	v_lshrrev_b32_e32 v3, 19, v9
	v_subrev_u32_e32 v7, 28, v6
	v_and_b32_e32 v3, 15, v3
	v_lshlrev_b32_sdwa v7, v7, v9 dst_sel:DWORD dst_unused:UNUSED_PAD src0_sel:DWORD src1_sel:WORD_1
	v_bfe_u32 v4, v9, 19, 4
	v_sub_u32_e32 v6, 29, v6
	v_and_b32_e32 v7, 7, v7
	v_cmp_eq_u16_e32 vcc, 0, v3
	v_cndmask_b32_e32 v2, v2, v7, vcc
	v_cndmask_b32_e32 v3, v4, v6, vcc
	v_lshlrev_b32_e32 v4, 8, v9
	v_mov_b32_e32 v6, 0x3b800000
	v_lshlrev_b32_e32 v2, 20, v2
	v_and_b32_e32 v4, 0x80000000, v4
	v_lshl_add_u32 v3, v3, 23, v6
	v_or3_b32 v2, v4, v3, v2
.LBB1_7284:
	s_or_b64 exec, exec, s[6:7]
	s_movk_i32 s4, 0xff
	v_and_b32_sdwa v3, v5, s4 dst_sel:DWORD dst_unused:UNUSED_PAD src0_sel:WORD_1 src1_sel:DWORD
	s_movk_i32 s4, 0x7f
	v_cmp_lt_i16_e32 vcc, s4, v3
	s_mov_b64 s[4:5], 0
                                        ; implicit-def: $sgpr10
	s_and_saveexec_b64 s[6:7], vcc
	s_xor_b64 s[6:7], exec, s[6:7]
	s_cbranch_execz .LBB1_7285
; %bb.43125:
	s_getpc_b64 s[14:15]
.Lpost_getpc7226:
	s_add_u32 s14, s14, (.LBB1_21621-.Lpost_getpc7226)&4294967295
	s_addc_u32 s15, s15, (.LBB1_21621-.Lpost_getpc7226)>>32
	s_setpc_b64 s[14:15]
.LBB1_7285:
	s_or_saveexec_b64 s[6:7], s[6:7]
	v_mov_b32_e32 v4, s10
	s_xor_b64 exec, exec, s[6:7]
	s_cbranch_execz .LBB1_7286
; %bb.43127:
	s_getpc_b64 s[14:15]
.Lpost_getpc7227:
	s_add_u32 s14, s14, (.LBB1_21624-.Lpost_getpc7227)&4294967295
	s_addc_u32 s15, s15, (.LBB1_21624-.Lpost_getpc7227)>>32
	s_setpc_b64 s[14:15]
.LBB1_7286:
	s_or_b64 exec, exec, s[6:7]
	s_and_saveexec_b64 s[6:7], s[4:5]
	s_cbranch_execz .LBB1_7288
.LBB1_7287:
	v_bfe_u32 v3, v5, 16, 3
	v_ffbh_u32_e32 v7, v3
	v_min_u32_e32 v7, 32, v7
	v_lshrrev_b32_e32 v4, 19, v5
	v_subrev_u32_e32 v8, 28, v7
	v_and_b32_e32 v4, 15, v4
	v_lshlrev_b32_sdwa v8, v8, v5 dst_sel:DWORD dst_unused:UNUSED_PAD src0_sel:DWORD src1_sel:WORD_1
	v_bfe_u32 v6, v5, 19, 4
	v_sub_u32_e32 v7, 29, v7
	v_and_b32_e32 v8, 7, v8
	v_cmp_eq_u16_e32 vcc, 0, v4
	v_cndmask_b32_e32 v3, v3, v8, vcc
	v_cndmask_b32_e32 v4, v6, v7, vcc
	v_lshlrev_b32_e32 v6, 8, v5
	v_mov_b32_e32 v7, 0x3b800000
	v_lshlrev_b32_e32 v3, 20, v3
	v_and_b32_e32 v6, 0x80000000, v6
	v_lshl_add_u32 v4, v4, 23, v7
	v_or3_b32 v4, v6, v4, v3
.LBB1_7288:
	s_or_b64 exec, exec, s[6:7]
	s_nop 0
	v_mfma_f32_16x16x4f32 a[0:3], v2, v4, a[0:3]
	s_movk_i32 s4, 0x7f
	v_cmp_gt_i16_sdwa s[6:7], v9, s4 src0_sel:BYTE_3 src1_sel:DWORD
	s_mov_b64 s[4:5], 0
                                        ; implicit-def: $sgpr10
	s_and_saveexec_b64 s[8:9], s[6:7]
	s_xor_b64 s[6:7], exec, s[8:9]
	s_cbranch_execz .LBB1_7289
; %bb.43129:
	s_getpc_b64 s[14:15]
.Lpost_getpc7228:
	s_add_u32 s14, s14, (.LBB1_21625-.Lpost_getpc7228)&4294967295
	s_addc_u32 s15, s15, (.LBB1_21625-.Lpost_getpc7228)>>32
	s_setpc_b64 s[14:15]
.LBB1_7289:
	s_or_saveexec_b64 s[6:7], s[6:7]
	v_mov_b32_e32 v2, s10
	s_xor_b64 exec, exec, s[6:7]
	s_cbranch_execz .LBB1_7290
; %bb.43131:
	s_getpc_b64 s[14:15]
.Lpost_getpc7229:
	s_add_u32 s14, s14, (.LBB1_21628-.Lpost_getpc7229)&4294967295
	s_addc_u32 s15, s15, (.LBB1_21628-.Lpost_getpc7229)>>32
	s_setpc_b64 s[14:15]
.LBB1_7290:
	s_or_b64 exec, exec, s[6:7]
	s_and_saveexec_b64 s[6:7], s[4:5]
	s_cbranch_execz .LBB1_7292
.LBB1_7291:
	v_bfe_u32 v2, v9, 24, 3
	v_ffbh_u32_e32 v7, v2
	v_min_u32_e32 v7, 32, v7
	v_lshrrev_b32_e32 v4, 27, v9
	v_subrev_u32_e32 v8, 28, v7
	v_and_b32_e32 v4, 15, v4
	v_lshlrev_b32_sdwa v8, v8, v9 dst_sel:DWORD dst_unused:UNUSED_PAD src0_sel:DWORD src1_sel:BYTE_3
	v_bfe_u32 v6, v9, 27, 4
	v_sub_u32_e32 v7, 29, v7
	v_and_b32_e32 v8, 7, v8
	v_cmp_eq_u16_e32 vcc, 0, v4
	v_cndmask_b32_e32 v2, v2, v8, vcc
	v_cndmask_b32_e32 v4, v6, v7, vcc
	v_mov_b32_e32 v6, 0x3b800000
	v_and_b32_e32 v3, 0x80000000, v9
	v_lshlrev_b32_e32 v2, 20, v2
	v_lshl_add_u32 v4, v4, 23, v6
	v_or3_b32 v2, v3, v4, v2
.LBB1_7292:
	s_or_b64 exec, exec, s[6:7]
	s_movk_i32 s4, 0x7f
	v_cmp_gt_i16_sdwa s[6:7], v5, s4 src0_sel:BYTE_3 src1_sel:DWORD
	s_mov_b64 s[4:5], 0
                                        ; implicit-def: $sgpr10
	s_and_saveexec_b64 s[8:9], s[6:7]
	s_xor_b64 s[6:7], exec, s[8:9]
	s_cbranch_execz .LBB1_7293
; %bb.43133:
	s_getpc_b64 s[14:15]
.Lpost_getpc7230:
	s_add_u32 s14, s14, (.LBB1_21629-.Lpost_getpc7230)&4294967295
	s_addc_u32 s15, s15, (.LBB1_21629-.Lpost_getpc7230)>>32
	s_setpc_b64 s[14:15]
.LBB1_7293:
	s_or_saveexec_b64 s[6:7], s[6:7]
	v_mov_b32_e32 v3, s10
	s_xor_b64 exec, exec, s[6:7]
	s_cbranch_execz .LBB1_7294
; %bb.43135:
	s_getpc_b64 s[14:15]
.Lpost_getpc7231:
	s_add_u32 s14, s14, (.LBB1_21632-.Lpost_getpc7231)&4294967295
	s_addc_u32 s15, s15, (.LBB1_21632-.Lpost_getpc7231)>>32
	s_setpc_b64 s[14:15]
.LBB1_7294:
	s_or_b64 exec, exec, s[6:7]
	s_and_saveexec_b64 s[6:7], s[4:5]
	s_cbranch_execz .LBB1_7296
.LBB1_7295:
	v_bfe_u32 v3, v5, 24, 3
	v_ffbh_u32_e32 v8, v3
	v_min_u32_e32 v8, 32, v8
	v_lshrrev_b32_e32 v6, 27, v5
	v_subrev_u32_e32 v9, 28, v8
	v_and_b32_e32 v4, 0x80000000, v5
	v_and_b32_e32 v6, 15, v6
	v_bfe_u32 v7, v5, 27, 4
	v_lshlrev_b32_sdwa v5, v9, v5 dst_sel:DWORD dst_unused:UNUSED_PAD src0_sel:DWORD src1_sel:BYTE_3
	v_sub_u32_e32 v8, 29, v8
	v_and_b32_e32 v5, 7, v5
	v_cmp_eq_u16_e32 vcc, 0, v6
	v_cndmask_b32_e32 v3, v3, v5, vcc
	v_cndmask_b32_e32 v5, v7, v8, vcc
	v_mov_b32_e32 v6, 0x3b800000
	v_lshlrev_b32_e32 v3, 20, v3
	v_lshl_add_u32 v5, v5, 23, v6
	v_or3_b32 v3, v4, v5, v3
.LBB1_7296:
	s_or_b64 exec, exec, s[6:7]
	s_nop 0
	v_mfma_f32_16x16x4f32 a[0:3], v2, v3, a[0:3]
	s_movk_i32 s4, 0x7f
                                        ; implicit-def: $sgpr10
	s_nop 7
	s_nop 1
	flat_store_dwordx4 v[10:11], a[0:3]
	flat_load_dwordx4 v[12:15], v[0:1]
	s_nop 0
	flat_load_dwordx2 v[10:11], v[0:1] offset:16
	s_waitcnt vmcnt(0) lgkmcnt(0)
	flat_load_dwordx4 v[6:9], v[12:13] offset:112
	flat_load_dwordx4 v[2:5], v[14:15] offset:144
	s_waitcnt vmcnt(0) lgkmcnt(0)
	v_cmp_gt_i16_sdwa s[6:7], v6, s4 src0_sel:BYTE_0 src1_sel:DWORD
	s_mov_b64 s[4:5], 0
	s_and_saveexec_b64 s[8:9], s[6:7]
	s_xor_b64 s[6:7], exec, s[8:9]
	s_cbranch_execz .LBB1_7297
; %bb.43137:
	s_getpc_b64 s[14:15]
.Lpost_getpc7232:
	s_add_u32 s14, s14, (.LBB1_21633-.Lpost_getpc7232)&4294967295
	s_addc_u32 s15, s15, (.LBB1_21633-.Lpost_getpc7232)>>32
	s_setpc_b64 s[14:15]
.LBB1_7297:
	s_or_saveexec_b64 s[6:7], s[6:7]
	v_mov_b32_e32 v12, s10
	s_xor_b64 exec, exec, s[6:7]
	s_cbranch_execz .LBB1_7298
; %bb.43139:
	s_getpc_b64 s[14:15]
.Lpost_getpc7233:
	s_add_u32 s14, s14, (.LBB1_21636-.Lpost_getpc7233)&4294967295
	s_addc_u32 s15, s15, (.LBB1_21636-.Lpost_getpc7233)>>32
	s_setpc_b64 s[14:15]
.LBB1_7298:
	s_or_b64 exec, exec, s[6:7]
	s_and_saveexec_b64 s[6:7], s[4:5]
	s_cbranch_execz .LBB1_7300
.LBB1_7299:
	v_and_b32_e32 v12, 7, v6
	v_ffbh_u32_e32 v14, v12
	v_min_u32_e32 v14, 32, v14
	v_lshrrev_b16_e32 v13, 3, v6
	v_subrev_u32_e32 v15, 28, v14
	v_and_b32_e32 v13, 15, v13
	v_lshlrev_b32_e32 v15, v15, v6
	v_sub_u32_e32 v14, 29, v14
	v_and_b32_e32 v15, 7, v15
	v_cmp_eq_u16_e32 vcc, 0, v13
	v_cndmask_b32_e32 v12, v12, v15, vcc
	v_cndmask_b32_e32 v13, v13, v14, vcc
	v_lshlrev_b32_e32 v14, 24, v6
	v_mov_b32_e32 v15, 0x3b800000
	v_lshlrev_b32_e32 v12, 20, v12
	v_and_b32_e32 v14, 0x80000000, v14
	v_lshl_add_u32 v13, v13, 23, v15
	v_or3_b32 v12, v14, v13, v12
.LBB1_7300:
	s_or_b64 exec, exec, s[6:7]
	s_movk_i32 s4, 0x7f
	v_cmp_gt_i16_sdwa s[6:7], v2, s4 src0_sel:BYTE_0 src1_sel:DWORD
	s_mov_b64 s[4:5], 0
                                        ; implicit-def: $sgpr10
	s_and_saveexec_b64 s[8:9], s[6:7]
	s_xor_b64 s[6:7], exec, s[8:9]
	s_cbranch_execz .LBB1_7301
; %bb.43141:
	s_getpc_b64 s[14:15]
.Lpost_getpc7234:
	s_add_u32 s14, s14, (.LBB1_21637-.Lpost_getpc7234)&4294967295
	s_addc_u32 s15, s15, (.LBB1_21637-.Lpost_getpc7234)>>32
	s_setpc_b64 s[14:15]
.LBB1_7301:
	s_or_saveexec_b64 s[6:7], s[6:7]
	v_mov_b32_e32 v13, s10
	s_xor_b64 exec, exec, s[6:7]
	s_cbranch_execz .LBB1_7302
; %bb.43143:
	s_getpc_b64 s[14:15]
.Lpost_getpc7235:
	s_add_u32 s14, s14, (.LBB1_21640-.Lpost_getpc7235)&4294967295
	s_addc_u32 s15, s15, (.LBB1_21640-.Lpost_getpc7235)>>32
	s_setpc_b64 s[14:15]
.LBB1_7302:
	s_or_b64 exec, exec, s[6:7]
	s_and_saveexec_b64 s[6:7], s[4:5]
	s_cbranch_execz .LBB1_7304
.LBB1_7303:
	v_and_b32_e32 v13, 7, v2
	v_ffbh_u32_e32 v15, v13
	v_min_u32_e32 v15, 32, v15
	v_lshrrev_b16_e32 v14, 3, v2
	v_subrev_u32_e32 v16, 28, v15
	v_and_b32_e32 v14, 15, v14
	v_lshlrev_b32_e32 v16, v16, v2
	v_sub_u32_e32 v15, 29, v15
	v_and_b32_e32 v16, 7, v16
	v_cmp_eq_u16_e32 vcc, 0, v14
	v_cndmask_b32_e32 v13, v13, v16, vcc
	v_cndmask_b32_e32 v14, v14, v15, vcc
	v_lshlrev_b32_e32 v15, 24, v2
	v_mov_b32_e32 v16, 0x3b800000
	v_lshlrev_b32_e32 v13, 20, v13
	v_and_b32_e32 v15, 0x80000000, v15
	v_lshl_add_u32 v14, v14, 23, v16
	v_or3_b32 v13, v15, v14, v13
.LBB1_7304:
	s_or_b64 exec, exec, s[6:7]
	flat_load_dwordx4 a[0:3], v[10:11] offset:16
	s_movk_i32 s4, 0x7f
                                        ; implicit-def: $sgpr10
	s_waitcnt vmcnt(0) lgkmcnt(0)
	v_mfma_f32_16x16x4f32 a[0:3], v12, v13, a[0:3]
	v_lshrrev_b32_e32 v13, 8, v6
	v_cmp_gt_i16_sdwa s[6:7], v13, s4 src0_sel:BYTE_0 src1_sel:DWORD
	s_mov_b64 s[4:5], 0
	s_and_saveexec_b64 s[8:9], s[6:7]
	s_xor_b64 s[6:7], exec, s[8:9]
	s_cbranch_execz .LBB1_7305
; %bb.43145:
	s_getpc_b64 s[14:15]
.Lpost_getpc7236:
	s_add_u32 s14, s14, (.LBB1_21641-.Lpost_getpc7236)&4294967295
	s_addc_u32 s15, s15, (.LBB1_21641-.Lpost_getpc7236)>>32
	s_setpc_b64 s[14:15]
.LBB1_7305:
	s_or_saveexec_b64 s[6:7], s[6:7]
	v_mov_b32_e32 v12, s10
	s_xor_b64 exec, exec, s[6:7]
	s_cbranch_execz .LBB1_7306
; %bb.43147:
	s_getpc_b64 s[14:15]
.Lpost_getpc7237:
	s_add_u32 s14, s14, (.LBB1_21644-.Lpost_getpc7237)&4294967295
	s_addc_u32 s15, s15, (.LBB1_21644-.Lpost_getpc7237)>>32
	s_setpc_b64 s[14:15]
.LBB1_7306:
	s_or_b64 exec, exec, s[6:7]
	s_and_saveexec_b64 s[6:7], s[4:5]
	s_cbranch_execz .LBB1_7308
.LBB1_7307:
	v_bfe_u32 v12, v6, 8, 3
	v_ffbh_u32_e32 v15, v12
	v_min_u32_e32 v15, 32, v15
	v_lshrrev_b16_e32 v14, 3, v13
	v_subrev_u32_e32 v16, 28, v15
	v_and_b32_e32 v14, 15, v14
	v_lshlrev_b32_e32 v13, v16, v13
	v_sub_u32_e32 v15, 29, v15
	v_and_b32_e32 v13, 7, v13
	v_cmp_eq_u16_e32 vcc, 0, v14
	v_cndmask_b32_e32 v12, v12, v13, vcc
	v_cndmask_b32_e32 v13, v14, v15, vcc
	v_lshlrev_b32_e32 v14, 16, v6
	v_mov_b32_e32 v15, 0x3b800000
	v_lshlrev_b32_e32 v12, 20, v12
	v_and_b32_e32 v14, 0x80000000, v14
	v_lshl_add_u32 v13, v13, 23, v15
	v_or3_b32 v12, v14, v13, v12
.LBB1_7308:
	s_or_b64 exec, exec, s[6:7]
	v_lshrrev_b32_e32 v13, 8, v2
	s_movk_i32 s4, 0x7f
	v_cmp_gt_i16_sdwa s[6:7], v13, s4 src0_sel:BYTE_0 src1_sel:DWORD
	s_mov_b64 s[4:5], 0
                                        ; implicit-def: $sgpr10
	s_and_saveexec_b64 s[8:9], s[6:7]
	s_xor_b64 s[6:7], exec, s[8:9]
	s_cbranch_execz .LBB1_7309
; %bb.43149:
	s_getpc_b64 s[14:15]
.Lpost_getpc7238:
	s_add_u32 s14, s14, (.LBB1_21645-.Lpost_getpc7238)&4294967295
	s_addc_u32 s15, s15, (.LBB1_21645-.Lpost_getpc7238)>>32
	s_setpc_b64 s[14:15]
.LBB1_7309:
	s_or_saveexec_b64 s[6:7], s[6:7]
	v_mov_b32_e32 v14, s10
	s_xor_b64 exec, exec, s[6:7]
	s_cbranch_execz .LBB1_7310
; %bb.43151:
	s_getpc_b64 s[14:15]
.Lpost_getpc7239:
	s_add_u32 s14, s14, (.LBB1_21648-.Lpost_getpc7239)&4294967295
	s_addc_u32 s15, s15, (.LBB1_21648-.Lpost_getpc7239)>>32
	s_setpc_b64 s[14:15]
.LBB1_7310:
	s_or_b64 exec, exec, s[6:7]
	s_and_saveexec_b64 s[6:7], s[4:5]
	s_cbranch_execz .LBB1_7312
.LBB1_7311:
	v_bfe_u32 v14, v2, 8, 3
	v_ffbh_u32_e32 v16, v14
	v_min_u32_e32 v16, 32, v16
	v_lshrrev_b16_e32 v15, 3, v13
	v_subrev_u32_e32 v17, 28, v16
	v_and_b32_e32 v15, 15, v15
	v_lshlrev_b32_e32 v13, v17, v13
	v_sub_u32_e32 v16, 29, v16
	v_and_b32_e32 v13, 7, v13
	v_cmp_eq_u16_e32 vcc, 0, v15
	v_cndmask_b32_e32 v13, v14, v13, vcc
	v_cndmask_b32_e32 v14, v15, v16, vcc
	v_lshlrev_b32_e32 v15, 16, v2
	v_mov_b32_e32 v16, 0x3b800000
	v_lshlrev_b32_e32 v13, 20, v13
	v_and_b32_e32 v15, 0x80000000, v15
	v_lshl_add_u32 v14, v14, 23, v16
	v_or3_b32 v14, v15, v14, v13
.LBB1_7312:
	s_or_b64 exec, exec, s[6:7]
	s_nop 0
	v_mfma_f32_16x16x4f32 a[0:3], v12, v14, a[0:3]
	s_movk_i32 s4, 0xff
	v_and_b32_sdwa v13, v6, s4 dst_sel:DWORD dst_unused:UNUSED_PAD src0_sel:WORD_1 src1_sel:DWORD
	s_movk_i32 s4, 0x7f
	v_cmp_lt_i16_e32 vcc, s4, v13
	s_mov_b64 s[4:5], 0
                                        ; implicit-def: $sgpr10
	s_and_saveexec_b64 s[6:7], vcc
	s_xor_b64 s[6:7], exec, s[6:7]
	s_cbranch_execz .LBB1_7313
; %bb.43153:
	s_getpc_b64 s[14:15]
.Lpost_getpc7240:
	s_add_u32 s14, s14, (.LBB1_21649-.Lpost_getpc7240)&4294967295
	s_addc_u32 s15, s15, (.LBB1_21649-.Lpost_getpc7240)>>32
	s_setpc_b64 s[14:15]
.LBB1_7313:
	s_or_saveexec_b64 s[6:7], s[6:7]
	v_mov_b32_e32 v12, s10
	s_xor_b64 exec, exec, s[6:7]
	s_cbranch_execz .LBB1_7314
; %bb.43155:
	s_getpc_b64 s[14:15]
.Lpost_getpc7241:
	s_add_u32 s14, s14, (.LBB1_21652-.Lpost_getpc7241)&4294967295
	s_addc_u32 s15, s15, (.LBB1_21652-.Lpost_getpc7241)>>32
	s_setpc_b64 s[14:15]
.LBB1_7314:
	s_or_b64 exec, exec, s[6:7]
	s_and_saveexec_b64 s[6:7], s[4:5]
	s_cbranch_execz .LBB1_7316
.LBB1_7315:
	v_bfe_u32 v12, v6, 16, 3
	v_ffbh_u32_e32 v15, v12
	v_min_u32_e32 v15, 32, v15
	v_lshrrev_b32_e32 v13, 19, v6
	v_subrev_u32_e32 v16, 28, v15
	v_and_b32_e32 v13, 15, v13
	v_lshlrev_b32_sdwa v16, v16, v6 dst_sel:DWORD dst_unused:UNUSED_PAD src0_sel:DWORD src1_sel:WORD_1
	v_bfe_u32 v14, v6, 19, 4
	v_sub_u32_e32 v15, 29, v15
	v_and_b32_e32 v16, 7, v16
	v_cmp_eq_u16_e32 vcc, 0, v13
	v_cndmask_b32_e32 v12, v12, v16, vcc
	v_cndmask_b32_e32 v13, v14, v15, vcc
	v_lshlrev_b32_e32 v14, 8, v6
	v_mov_b32_e32 v15, 0x3b800000
	v_lshlrev_b32_e32 v12, 20, v12
	v_and_b32_e32 v14, 0x80000000, v14
	v_lshl_add_u32 v13, v13, 23, v15
	v_or3_b32 v12, v14, v13, v12
.LBB1_7316:
	s_or_b64 exec, exec, s[6:7]
	s_movk_i32 s4, 0xff
	v_and_b32_sdwa v13, v2, s4 dst_sel:DWORD dst_unused:UNUSED_PAD src0_sel:WORD_1 src1_sel:DWORD
	s_movk_i32 s4, 0x7f
	v_cmp_lt_i16_e32 vcc, s4, v13
	s_mov_b64 s[4:5], 0
                                        ; implicit-def: $sgpr10
	s_and_saveexec_b64 s[6:7], vcc
	s_xor_b64 s[6:7], exec, s[6:7]
	s_cbranch_execz .LBB1_7317
; %bb.43157:
	s_getpc_b64 s[14:15]
.Lpost_getpc7242:
	s_add_u32 s14, s14, (.LBB1_21653-.Lpost_getpc7242)&4294967295
	s_addc_u32 s15, s15, (.LBB1_21653-.Lpost_getpc7242)>>32
	s_setpc_b64 s[14:15]
.LBB1_7317:
	s_or_saveexec_b64 s[6:7], s[6:7]
	v_mov_b32_e32 v14, s10
	s_xor_b64 exec, exec, s[6:7]
	s_cbranch_execz .LBB1_7318
; %bb.43159:
	s_getpc_b64 s[14:15]
.Lpost_getpc7243:
	s_add_u32 s14, s14, (.LBB1_21656-.Lpost_getpc7243)&4294967295
	s_addc_u32 s15, s15, (.LBB1_21656-.Lpost_getpc7243)>>32
	s_setpc_b64 s[14:15]
.LBB1_7318:
	s_or_b64 exec, exec, s[6:7]
	s_and_saveexec_b64 s[6:7], s[4:5]
	s_cbranch_execz .LBB1_7320
.LBB1_7319:
	v_bfe_u32 v13, v2, 16, 3
	v_ffbh_u32_e32 v16, v13
	v_min_u32_e32 v16, 32, v16
	v_lshrrev_b32_e32 v14, 19, v2
	v_subrev_u32_e32 v17, 28, v16
	v_and_b32_e32 v14, 15, v14
	v_lshlrev_b32_sdwa v17, v17, v2 dst_sel:DWORD dst_unused:UNUSED_PAD src0_sel:DWORD src1_sel:WORD_1
	v_bfe_u32 v15, v2, 19, 4
	v_sub_u32_e32 v16, 29, v16
	v_and_b32_e32 v17, 7, v17
	v_cmp_eq_u16_e32 vcc, 0, v14
	v_cndmask_b32_e32 v13, v13, v17, vcc
	v_cndmask_b32_e32 v14, v15, v16, vcc
	v_lshlrev_b32_e32 v15, 8, v2
	v_mov_b32_e32 v16, 0x3b800000
	v_lshlrev_b32_e32 v13, 20, v13
	v_and_b32_e32 v15, 0x80000000, v15
	v_lshl_add_u32 v14, v14, 23, v16
	v_or3_b32 v14, v15, v14, v13
.LBB1_7320:
	s_or_b64 exec, exec, s[6:7]
	s_nop 0
	v_mfma_f32_16x16x4f32 a[0:3], v12, v14, a[0:3]
	s_movk_i32 s4, 0x7f
	v_cmp_gt_i16_sdwa s[6:7], v6, s4 src0_sel:BYTE_3 src1_sel:DWORD
	s_mov_b64 s[4:5], 0
                                        ; implicit-def: $sgpr10
	s_and_saveexec_b64 s[8:9], s[6:7]
	s_xor_b64 s[6:7], exec, s[8:9]
	s_cbranch_execz .LBB1_7321
; %bb.43161:
	s_getpc_b64 s[14:15]
.Lpost_getpc7244:
	s_add_u32 s14, s14, (.LBB1_21657-.Lpost_getpc7244)&4294967295
	s_addc_u32 s15, s15, (.LBB1_21657-.Lpost_getpc7244)>>32
	s_setpc_b64 s[14:15]
.LBB1_7321:
	s_or_saveexec_b64 s[6:7], s[6:7]
	v_mov_b32_e32 v12, s10
	s_xor_b64 exec, exec, s[6:7]
	s_cbranch_execz .LBB1_7322
; %bb.43163:
	s_getpc_b64 s[14:15]
.Lpost_getpc7245:
	s_add_u32 s14, s14, (.LBB1_21660-.Lpost_getpc7245)&4294967295
	s_addc_u32 s15, s15, (.LBB1_21660-.Lpost_getpc7245)>>32
	s_setpc_b64 s[14:15]
.LBB1_7322:
	s_or_b64 exec, exec, s[6:7]
	s_and_saveexec_b64 s[6:7], s[4:5]
	s_cbranch_execz .LBB1_7324
.LBB1_7323:
	v_bfe_u32 v12, v6, 24, 3
	v_ffbh_u32_e32 v16, v12
	v_min_u32_e32 v16, 32, v16
	v_lshrrev_b32_e32 v14, 27, v6
	v_subrev_u32_e32 v17, 28, v16
	v_and_b32_e32 v13, 0x80000000, v6
	v_and_b32_e32 v14, 15, v14
	v_bfe_u32 v15, v6, 27, 4
	v_lshlrev_b32_sdwa v6, v17, v6 dst_sel:DWORD dst_unused:UNUSED_PAD src0_sel:DWORD src1_sel:BYTE_3
	v_sub_u32_e32 v16, 29, v16
	v_and_b32_e32 v6, 7, v6
	v_cmp_eq_u16_e32 vcc, 0, v14
	v_cndmask_b32_e32 v6, v12, v6, vcc
	v_cndmask_b32_e32 v12, v15, v16, vcc
	v_mov_b32_e32 v14, 0x3b800000
	v_lshlrev_b32_e32 v6, 20, v6
	v_lshl_add_u32 v12, v12, 23, v14
	v_or3_b32 v12, v13, v12, v6
.LBB1_7324:
	s_or_b64 exec, exec, s[6:7]
	s_movk_i32 s4, 0x7f
	v_cmp_gt_i16_sdwa s[6:7], v2, s4 src0_sel:BYTE_3 src1_sel:DWORD
	s_mov_b64 s[4:5], 0
                                        ; implicit-def: $sgpr10
	s_and_saveexec_b64 s[8:9], s[6:7]
	s_xor_b64 s[6:7], exec, s[8:9]
	s_cbranch_execz .LBB1_7325
; %bb.43165:
	s_getpc_b64 s[14:15]
.Lpost_getpc7246:
	s_add_u32 s14, s14, (.LBB1_21661-.Lpost_getpc7246)&4294967295
	s_addc_u32 s15, s15, (.LBB1_21661-.Lpost_getpc7246)>>32
	s_setpc_b64 s[14:15]
.LBB1_7325:
	s_or_saveexec_b64 s[6:7], s[6:7]
	v_mov_b32_e32 v6, s10
	s_xor_b64 exec, exec, s[6:7]
	s_cbranch_execz .LBB1_7326
; %bb.43167:
	s_getpc_b64 s[14:15]
.Lpost_getpc7247:
	s_add_u32 s14, s14, (.LBB1_21664-.Lpost_getpc7247)&4294967295
	s_addc_u32 s15, s15, (.LBB1_21664-.Lpost_getpc7247)>>32
	s_setpc_b64 s[14:15]
.LBB1_7326:
	s_or_b64 exec, exec, s[6:7]
	s_and_saveexec_b64 s[6:7], s[4:5]
	s_cbranch_execz .LBB1_7328
.LBB1_7327:
	v_bfe_u32 v6, v2, 24, 3
	v_ffbh_u32_e32 v16, v6
	v_min_u32_e32 v16, 32, v16
	v_lshrrev_b32_e32 v14, 27, v2
	v_subrev_u32_e32 v17, 28, v16
	v_and_b32_e32 v13, 0x80000000, v2
	v_and_b32_e32 v14, 15, v14
	v_bfe_u32 v15, v2, 27, 4
	v_lshlrev_b32_sdwa v2, v17, v2 dst_sel:DWORD dst_unused:UNUSED_PAD src0_sel:DWORD src1_sel:BYTE_3
	v_sub_u32_e32 v16, 29, v16
	v_and_b32_e32 v2, 7, v2
	v_cmp_eq_u16_e32 vcc, 0, v14
	v_cndmask_b32_e32 v2, v6, v2, vcc
	v_cndmask_b32_e32 v6, v15, v16, vcc
	v_mov_b32_e32 v14, 0x3b800000
	v_lshlrev_b32_e32 v2, 20, v2
	v_lshl_add_u32 v6, v6, 23, v14
	v_or3_b32 v6, v13, v6, v2
.LBB1_7328:
	s_or_b64 exec, exec, s[6:7]
	s_nop 0
	v_mfma_f32_16x16x4f32 a[0:3], v12, v6, a[0:3]
	s_movk_i32 s4, 0x7f
	v_cmp_gt_i16_sdwa s[6:7], v7, s4 src0_sel:BYTE_0 src1_sel:DWORD
	s_mov_b64 s[4:5], 0
                                        ; implicit-def: $sgpr10
	s_and_saveexec_b64 s[8:9], s[6:7]
	s_xor_b64 s[6:7], exec, s[8:9]
	s_cbranch_execz .LBB1_7329
; %bb.43169:
	s_getpc_b64 s[14:15]
.Lpost_getpc7248:
	s_add_u32 s14, s14, (.LBB1_21665-.Lpost_getpc7248)&4294967295
	s_addc_u32 s15, s15, (.LBB1_21665-.Lpost_getpc7248)>>32
	s_setpc_b64 s[14:15]
.LBB1_7329:
	s_or_saveexec_b64 s[6:7], s[6:7]
	v_mov_b32_e32 v2, s10
	s_xor_b64 exec, exec, s[6:7]
	s_cbranch_execz .LBB1_7330
; %bb.43171:
	s_getpc_b64 s[14:15]
.Lpost_getpc7249:
	s_add_u32 s14, s14, (.LBB1_21668-.Lpost_getpc7249)&4294967295
	s_addc_u32 s15, s15, (.LBB1_21668-.Lpost_getpc7249)>>32
	s_setpc_b64 s[14:15]
.LBB1_7330:
	s_or_b64 exec, exec, s[6:7]
	s_and_saveexec_b64 s[6:7], s[4:5]
	s_cbranch_execz .LBB1_7332
.LBB1_7331:
	v_and_b32_e32 v2, 7, v7
	v_ffbh_u32_e32 v12, v2
	v_min_u32_e32 v12, 32, v12
	v_lshrrev_b16_e32 v6, 3, v7
	v_subrev_u32_e32 v13, 28, v12
	v_and_b32_e32 v6, 15, v6
	v_lshlrev_b32_e32 v13, v13, v7
	v_sub_u32_e32 v12, 29, v12
	v_and_b32_e32 v13, 7, v13
	v_cmp_eq_u16_e32 vcc, 0, v6
	v_cndmask_b32_e32 v2, v2, v13, vcc
	v_cndmask_b32_e32 v6, v6, v12, vcc
	v_lshlrev_b32_e32 v12, 24, v7
	v_mov_b32_e32 v13, 0x3b800000
	v_lshlrev_b32_e32 v2, 20, v2
	v_and_b32_e32 v12, 0x80000000, v12
	v_lshl_add_u32 v6, v6, 23, v13
	v_or3_b32 v2, v12, v6, v2
.LBB1_7332:
	s_or_b64 exec, exec, s[6:7]
	s_movk_i32 s4, 0x7f
	v_cmp_gt_i16_sdwa s[6:7], v3, s4 src0_sel:BYTE_0 src1_sel:DWORD
	s_mov_b64 s[4:5], 0
                                        ; implicit-def: $sgpr10
	s_and_saveexec_b64 s[8:9], s[6:7]
	s_xor_b64 s[6:7], exec, s[8:9]
	s_cbranch_execz .LBB1_7333
; %bb.43173:
	s_getpc_b64 s[14:15]
.Lpost_getpc7250:
	s_add_u32 s14, s14, (.LBB1_21669-.Lpost_getpc7250)&4294967295
	s_addc_u32 s15, s15, (.LBB1_21669-.Lpost_getpc7250)>>32
	s_setpc_b64 s[14:15]
.LBB1_7333:
	s_or_saveexec_b64 s[6:7], s[6:7]
	v_mov_b32_e32 v6, s10
	s_xor_b64 exec, exec, s[6:7]
	s_cbranch_execz .LBB1_7334
; %bb.43175:
	s_getpc_b64 s[14:15]
.Lpost_getpc7251:
	s_add_u32 s14, s14, (.LBB1_21672-.Lpost_getpc7251)&4294967295
	s_addc_u32 s15, s15, (.LBB1_21672-.Lpost_getpc7251)>>32
	s_setpc_b64 s[14:15]
.LBB1_7334:
	s_or_b64 exec, exec, s[6:7]
	s_and_saveexec_b64 s[6:7], s[4:5]
	s_cbranch_execz .LBB1_7336
.LBB1_7335:
	v_and_b32_e32 v6, 7, v3
	v_ffbh_u32_e32 v13, v6
	v_min_u32_e32 v13, 32, v13
	v_lshrrev_b16_e32 v12, 3, v3
	v_subrev_u32_e32 v14, 28, v13
	v_and_b32_e32 v12, 15, v12
	v_lshlrev_b32_e32 v14, v14, v3
	v_sub_u32_e32 v13, 29, v13
	v_and_b32_e32 v14, 7, v14
	v_cmp_eq_u16_e32 vcc, 0, v12
	v_cndmask_b32_e32 v6, v6, v14, vcc
	v_cndmask_b32_e32 v12, v12, v13, vcc
	v_lshlrev_b32_e32 v13, 24, v3
	v_mov_b32_e32 v14, 0x3b800000
	v_lshlrev_b32_e32 v6, 20, v6
	v_and_b32_e32 v13, 0x80000000, v13
	v_lshl_add_u32 v12, v12, 23, v14
	v_or3_b32 v6, v13, v12, v6
.LBB1_7336:
	s_or_b64 exec, exec, s[6:7]
	s_nop 0
	v_mfma_f32_16x16x4f32 a[0:3], v2, v6, a[0:3]
	v_lshrrev_b32_e32 v6, 8, v7
	s_movk_i32 s4, 0x7f
	v_cmp_gt_i16_sdwa s[6:7], v6, s4 src0_sel:BYTE_0 src1_sel:DWORD
	s_mov_b64 s[4:5], 0
                                        ; implicit-def: $sgpr10
	s_and_saveexec_b64 s[8:9], s[6:7]
	s_xor_b64 s[6:7], exec, s[8:9]
	s_cbranch_execz .LBB1_7337
; %bb.43177:
	s_getpc_b64 s[14:15]
.Lpost_getpc7252:
	s_add_u32 s14, s14, (.LBB1_21673-.Lpost_getpc7252)&4294967295
	s_addc_u32 s15, s15, (.LBB1_21673-.Lpost_getpc7252)>>32
	s_setpc_b64 s[14:15]
.LBB1_7337:
	s_or_saveexec_b64 s[6:7], s[6:7]
	v_mov_b32_e32 v2, s10
	s_xor_b64 exec, exec, s[6:7]
	s_cbranch_execz .LBB1_7338
; %bb.43179:
	s_getpc_b64 s[14:15]
.Lpost_getpc7253:
	s_add_u32 s14, s14, (.LBB1_21676-.Lpost_getpc7253)&4294967295
	s_addc_u32 s15, s15, (.LBB1_21676-.Lpost_getpc7253)>>32
	s_setpc_b64 s[14:15]
.LBB1_7338:
	s_or_b64 exec, exec, s[6:7]
	s_and_saveexec_b64 s[6:7], s[4:5]
	s_cbranch_execz .LBB1_7340
.LBB1_7339:
	v_bfe_u32 v2, v7, 8, 3
	v_ffbh_u32_e32 v13, v2
	v_min_u32_e32 v13, 32, v13
	v_lshrrev_b16_e32 v12, 3, v6
	v_subrev_u32_e32 v14, 28, v13
	v_and_b32_e32 v12, 15, v12
	v_lshlrev_b32_e32 v6, v14, v6
	v_sub_u32_e32 v13, 29, v13
	v_and_b32_e32 v6, 7, v6
	v_cmp_eq_u16_e32 vcc, 0, v12
	v_cndmask_b32_e32 v2, v2, v6, vcc
	v_cndmask_b32_e32 v6, v12, v13, vcc
	v_lshlrev_b32_e32 v12, 16, v7
	v_mov_b32_e32 v13, 0x3b800000
	v_lshlrev_b32_e32 v2, 20, v2
	v_and_b32_e32 v12, 0x80000000, v12
	v_lshl_add_u32 v6, v6, 23, v13
	v_or3_b32 v2, v12, v6, v2
.LBB1_7340:
	s_or_b64 exec, exec, s[6:7]
	v_lshrrev_b32_e32 v6, 8, v3
	s_movk_i32 s4, 0x7f
	v_cmp_gt_i16_sdwa s[6:7], v6, s4 src0_sel:BYTE_0 src1_sel:DWORD
	s_mov_b64 s[4:5], 0
                                        ; implicit-def: $sgpr10
	s_and_saveexec_b64 s[8:9], s[6:7]
	s_xor_b64 s[6:7], exec, s[8:9]
	s_cbranch_execz .LBB1_7341
; %bb.43181:
	s_getpc_b64 s[14:15]
.Lpost_getpc7254:
	s_add_u32 s14, s14, (.LBB1_21677-.Lpost_getpc7254)&4294967295
	s_addc_u32 s15, s15, (.LBB1_21677-.Lpost_getpc7254)>>32
	s_setpc_b64 s[14:15]
.LBB1_7341:
	s_or_saveexec_b64 s[6:7], s[6:7]
	v_mov_b32_e32 v12, s10
	s_xor_b64 exec, exec, s[6:7]
	s_cbranch_execz .LBB1_7342
; %bb.43183:
	s_getpc_b64 s[14:15]
.Lpost_getpc7255:
	s_add_u32 s14, s14, (.LBB1_21680-.Lpost_getpc7255)&4294967295
	s_addc_u32 s15, s15, (.LBB1_21680-.Lpost_getpc7255)>>32
	s_setpc_b64 s[14:15]
.LBB1_7342:
	s_or_b64 exec, exec, s[6:7]
	s_and_saveexec_b64 s[6:7], s[4:5]
	s_cbranch_execz .LBB1_7344
.LBB1_7343:
	v_bfe_u32 v12, v3, 8, 3
	v_ffbh_u32_e32 v14, v12
	v_min_u32_e32 v14, 32, v14
	v_lshrrev_b16_e32 v13, 3, v6
	v_subrev_u32_e32 v15, 28, v14
	v_and_b32_e32 v13, 15, v13
	v_lshlrev_b32_e32 v6, v15, v6
	v_sub_u32_e32 v14, 29, v14
	v_and_b32_e32 v6, 7, v6
	v_cmp_eq_u16_e32 vcc, 0, v13
	v_cndmask_b32_e32 v6, v12, v6, vcc
	v_cndmask_b32_e32 v12, v13, v14, vcc
	v_lshlrev_b32_e32 v13, 16, v3
	v_mov_b32_e32 v14, 0x3b800000
	v_lshlrev_b32_e32 v6, 20, v6
	v_and_b32_e32 v13, 0x80000000, v13
	v_lshl_add_u32 v12, v12, 23, v14
	v_or3_b32 v12, v13, v12, v6
.LBB1_7344:
	s_or_b64 exec, exec, s[6:7]
	s_nop 0
	v_mfma_f32_16x16x4f32 a[0:3], v2, v12, a[0:3]
	s_movk_i32 s4, 0xff
	v_and_b32_sdwa v6, v7, s4 dst_sel:DWORD dst_unused:UNUSED_PAD src0_sel:WORD_1 src1_sel:DWORD
	s_movk_i32 s4, 0x7f
	v_cmp_lt_i16_e32 vcc, s4, v6
	s_mov_b64 s[4:5], 0
                                        ; implicit-def: $sgpr10
	s_and_saveexec_b64 s[6:7], vcc
	s_xor_b64 s[6:7], exec, s[6:7]
	s_cbranch_execz .LBB1_7345
; %bb.43185:
	s_getpc_b64 s[14:15]
.Lpost_getpc7256:
	s_add_u32 s14, s14, (.LBB1_21681-.Lpost_getpc7256)&4294967295
	s_addc_u32 s15, s15, (.LBB1_21681-.Lpost_getpc7256)>>32
	s_setpc_b64 s[14:15]
.LBB1_7345:
	s_or_saveexec_b64 s[6:7], s[6:7]
	v_mov_b32_e32 v2, s10
	s_xor_b64 exec, exec, s[6:7]
	s_cbranch_execz .LBB1_7346
; %bb.43187:
	s_getpc_b64 s[14:15]
.Lpost_getpc7257:
	s_add_u32 s14, s14, (.LBB1_21684-.Lpost_getpc7257)&4294967295
	s_addc_u32 s15, s15, (.LBB1_21684-.Lpost_getpc7257)>>32
	s_setpc_b64 s[14:15]
.LBB1_7346:
	s_or_b64 exec, exec, s[6:7]
	s_and_saveexec_b64 s[6:7], s[4:5]
	s_cbranch_execz .LBB1_7348
.LBB1_7347:
	v_bfe_u32 v2, v7, 16, 3
	v_ffbh_u32_e32 v13, v2
	v_min_u32_e32 v13, 32, v13
	v_lshrrev_b32_e32 v6, 19, v7
	v_subrev_u32_e32 v14, 28, v13
	v_and_b32_e32 v6, 15, v6
	v_lshlrev_b32_sdwa v14, v14, v7 dst_sel:DWORD dst_unused:UNUSED_PAD src0_sel:DWORD src1_sel:WORD_1
	v_bfe_u32 v12, v7, 19, 4
	v_sub_u32_e32 v13, 29, v13
	v_and_b32_e32 v14, 7, v14
	v_cmp_eq_u16_e32 vcc, 0, v6
	v_cndmask_b32_e32 v2, v2, v14, vcc
	v_cndmask_b32_e32 v6, v12, v13, vcc
	v_lshlrev_b32_e32 v12, 8, v7
	v_mov_b32_e32 v13, 0x3b800000
	v_lshlrev_b32_e32 v2, 20, v2
	v_and_b32_e32 v12, 0x80000000, v12
	v_lshl_add_u32 v6, v6, 23, v13
	v_or3_b32 v2, v12, v6, v2
.LBB1_7348:
	s_or_b64 exec, exec, s[6:7]
	s_movk_i32 s4, 0xff
	v_and_b32_sdwa v6, v3, s4 dst_sel:DWORD dst_unused:UNUSED_PAD src0_sel:WORD_1 src1_sel:DWORD
	s_movk_i32 s4, 0x7f
	v_cmp_lt_i16_e32 vcc, s4, v6
	s_mov_b64 s[4:5], 0
                                        ; implicit-def: $sgpr10
	s_and_saveexec_b64 s[6:7], vcc
	s_xor_b64 s[6:7], exec, s[6:7]
	s_cbranch_execz .LBB1_7349
; %bb.43189:
	s_getpc_b64 s[14:15]
.Lpost_getpc7258:
	s_add_u32 s14, s14, (.LBB1_21685-.Lpost_getpc7258)&4294967295
	s_addc_u32 s15, s15, (.LBB1_21685-.Lpost_getpc7258)>>32
	s_setpc_b64 s[14:15]
.LBB1_7349:
	s_or_saveexec_b64 s[6:7], s[6:7]
	v_mov_b32_e32 v12, s10
	s_xor_b64 exec, exec, s[6:7]
	s_cbranch_execz .LBB1_7350
; %bb.43191:
	s_getpc_b64 s[14:15]
.Lpost_getpc7259:
	s_add_u32 s14, s14, (.LBB1_21688-.Lpost_getpc7259)&4294967295
	s_addc_u32 s15, s15, (.LBB1_21688-.Lpost_getpc7259)>>32
	s_setpc_b64 s[14:15]
.LBB1_7350:
	s_or_b64 exec, exec, s[6:7]
	s_and_saveexec_b64 s[6:7], s[4:5]
	s_cbranch_execz .LBB1_7352
.LBB1_7351:
	v_bfe_u32 v6, v3, 16, 3
	v_ffbh_u32_e32 v14, v6
	v_min_u32_e32 v14, 32, v14
	v_lshrrev_b32_e32 v12, 19, v3
	v_subrev_u32_e32 v15, 28, v14
	v_and_b32_e32 v12, 15, v12
	v_lshlrev_b32_sdwa v15, v15, v3 dst_sel:DWORD dst_unused:UNUSED_PAD src0_sel:DWORD src1_sel:WORD_1
	v_bfe_u32 v13, v3, 19, 4
	v_sub_u32_e32 v14, 29, v14
	v_and_b32_e32 v15, 7, v15
	v_cmp_eq_u16_e32 vcc, 0, v12
	v_cndmask_b32_e32 v6, v6, v15, vcc
	v_cndmask_b32_e32 v12, v13, v14, vcc
	v_lshlrev_b32_e32 v13, 8, v3
	v_mov_b32_e32 v14, 0x3b800000
	v_lshlrev_b32_e32 v6, 20, v6
	v_and_b32_e32 v13, 0x80000000, v13
	v_lshl_add_u32 v12, v12, 23, v14
	v_or3_b32 v12, v13, v12, v6
.LBB1_7352:
	s_or_b64 exec, exec, s[6:7]
	s_nop 0
	v_mfma_f32_16x16x4f32 a[0:3], v2, v12, a[0:3]
	s_movk_i32 s4, 0x7f
	v_cmp_gt_i16_sdwa s[6:7], v7, s4 src0_sel:BYTE_3 src1_sel:DWORD
	s_mov_b64 s[4:5], 0
                                        ; implicit-def: $sgpr10
	s_and_saveexec_b64 s[8:9], s[6:7]
	s_xor_b64 s[6:7], exec, s[8:9]
	s_cbranch_execz .LBB1_7353
; %bb.43193:
	s_getpc_b64 s[14:15]
.Lpost_getpc7260:
	s_add_u32 s14, s14, (.LBB1_21689-.Lpost_getpc7260)&4294967295
	s_addc_u32 s15, s15, (.LBB1_21689-.Lpost_getpc7260)>>32
	s_setpc_b64 s[14:15]
.LBB1_7353:
	s_or_saveexec_b64 s[6:7], s[6:7]
	v_mov_b32_e32 v2, s10
	s_xor_b64 exec, exec, s[6:7]
	s_cbranch_execz .LBB1_7354
; %bb.43195:
	s_getpc_b64 s[14:15]
.Lpost_getpc7261:
	s_add_u32 s14, s14, (.LBB1_21692-.Lpost_getpc7261)&4294967295
	s_addc_u32 s15, s15, (.LBB1_21692-.Lpost_getpc7261)>>32
	s_setpc_b64 s[14:15]
.LBB1_7354:
	s_or_b64 exec, exec, s[6:7]
	s_and_saveexec_b64 s[6:7], s[4:5]
	s_cbranch_execz .LBB1_7356
.LBB1_7355:
	v_bfe_u32 v2, v7, 24, 3
	v_ffbh_u32_e32 v14, v2
	v_min_u32_e32 v14, 32, v14
	v_lshrrev_b32_e32 v12, 27, v7
	v_subrev_u32_e32 v15, 28, v14
	v_and_b32_e32 v6, 0x80000000, v7
	v_and_b32_e32 v12, 15, v12
	v_bfe_u32 v13, v7, 27, 4
	v_lshlrev_b32_sdwa v7, v15, v7 dst_sel:DWORD dst_unused:UNUSED_PAD src0_sel:DWORD src1_sel:BYTE_3
	v_sub_u32_e32 v14, 29, v14
	v_and_b32_e32 v7, 7, v7
	v_cmp_eq_u16_e32 vcc, 0, v12
	v_cndmask_b32_e32 v2, v2, v7, vcc
	v_cndmask_b32_e32 v7, v13, v14, vcc
	v_mov_b32_e32 v12, 0x3b800000
	v_lshlrev_b32_e32 v2, 20, v2
	v_lshl_add_u32 v7, v7, 23, v12
	v_or3_b32 v2, v6, v7, v2
.LBB1_7356:
	s_or_b64 exec, exec, s[6:7]
	s_movk_i32 s4, 0x7f
	v_cmp_gt_i16_sdwa s[6:7], v3, s4 src0_sel:BYTE_3 src1_sel:DWORD
	s_mov_b64 s[4:5], 0
                                        ; implicit-def: $sgpr10
	s_and_saveexec_b64 s[8:9], s[6:7]
	s_xor_b64 s[6:7], exec, s[8:9]
	s_cbranch_execz .LBB1_7357
; %bb.43197:
	s_getpc_b64 s[14:15]
.Lpost_getpc7262:
	s_add_u32 s14, s14, (.LBB1_21693-.Lpost_getpc7262)&4294967295
	s_addc_u32 s15, s15, (.LBB1_21693-.Lpost_getpc7262)>>32
	s_setpc_b64 s[14:15]
.LBB1_7357:
	s_or_saveexec_b64 s[6:7], s[6:7]
	v_mov_b32_e32 v6, s10
	s_xor_b64 exec, exec, s[6:7]
	s_cbranch_execz .LBB1_7358
; %bb.43199:
	s_getpc_b64 s[14:15]
.Lpost_getpc7263:
	s_add_u32 s14, s14, (.LBB1_21696-.Lpost_getpc7263)&4294967295
	s_addc_u32 s15, s15, (.LBB1_21696-.Lpost_getpc7263)>>32
	s_setpc_b64 s[14:15]
.LBB1_7358:
	s_or_b64 exec, exec, s[6:7]
	s_and_saveexec_b64 s[6:7], s[4:5]
	s_cbranch_execz .LBB1_7360
.LBB1_7359:
	v_bfe_u32 v6, v3, 24, 3
	v_ffbh_u32_e32 v14, v6
	v_min_u32_e32 v14, 32, v14
	v_lshrrev_b32_e32 v12, 27, v3
	v_subrev_u32_e32 v15, 28, v14
	v_and_b32_e32 v7, 0x80000000, v3
	v_and_b32_e32 v12, 15, v12
	v_bfe_u32 v13, v3, 27, 4
	v_lshlrev_b32_sdwa v3, v15, v3 dst_sel:DWORD dst_unused:UNUSED_PAD src0_sel:DWORD src1_sel:BYTE_3
	v_sub_u32_e32 v14, 29, v14
	v_and_b32_e32 v3, 7, v3
	v_cmp_eq_u16_e32 vcc, 0, v12
	v_cndmask_b32_e32 v3, v6, v3, vcc
	v_cndmask_b32_e32 v6, v13, v14, vcc
	v_mov_b32_e32 v12, 0x3b800000
	v_lshlrev_b32_e32 v3, 20, v3
	v_lshl_add_u32 v6, v6, 23, v12
	v_or3_b32 v6, v7, v6, v3
.LBB1_7360:
	s_or_b64 exec, exec, s[6:7]
	s_nop 0
	v_mfma_f32_16x16x4f32 a[0:3], v2, v6, a[0:3]
	s_movk_i32 s4, 0x7f
	v_cmp_gt_i16_sdwa s[6:7], v8, s4 src0_sel:BYTE_0 src1_sel:DWORD
	s_mov_b64 s[4:5], 0
                                        ; implicit-def: $sgpr10
	s_and_saveexec_b64 s[8:9], s[6:7]
	s_xor_b64 s[6:7], exec, s[8:9]
	s_cbranch_execz .LBB1_7361
; %bb.43201:
	s_getpc_b64 s[14:15]
.Lpost_getpc7264:
	s_add_u32 s14, s14, (.LBB1_21697-.Lpost_getpc7264)&4294967295
	s_addc_u32 s15, s15, (.LBB1_21697-.Lpost_getpc7264)>>32
	s_setpc_b64 s[14:15]
.LBB1_7361:
	s_or_saveexec_b64 s[6:7], s[6:7]
	v_mov_b32_e32 v2, s10
	s_xor_b64 exec, exec, s[6:7]
	s_cbranch_execz .LBB1_7362
; %bb.43203:
	s_getpc_b64 s[14:15]
.Lpost_getpc7265:
	s_add_u32 s14, s14, (.LBB1_21700-.Lpost_getpc7265)&4294967295
	s_addc_u32 s15, s15, (.LBB1_21700-.Lpost_getpc7265)>>32
	s_setpc_b64 s[14:15]
.LBB1_7362:
	s_or_b64 exec, exec, s[6:7]
	s_and_saveexec_b64 s[6:7], s[4:5]
	s_cbranch_execz .LBB1_7364
.LBB1_7363:
	v_and_b32_e32 v2, 7, v8
	v_ffbh_u32_e32 v6, v2
	v_min_u32_e32 v6, 32, v6
	v_lshrrev_b16_e32 v3, 3, v8
	v_subrev_u32_e32 v7, 28, v6
	v_and_b32_e32 v3, 15, v3
	v_lshlrev_b32_e32 v7, v7, v8
	v_sub_u32_e32 v6, 29, v6
	v_and_b32_e32 v7, 7, v7
	v_cmp_eq_u16_e32 vcc, 0, v3
	v_cndmask_b32_e32 v2, v2, v7, vcc
	v_cndmask_b32_e32 v3, v3, v6, vcc
	v_lshlrev_b32_e32 v6, 24, v8
	v_mov_b32_e32 v7, 0x3b800000
	v_lshlrev_b32_e32 v2, 20, v2
	v_and_b32_e32 v6, 0x80000000, v6
	v_lshl_add_u32 v3, v3, 23, v7
	v_or3_b32 v2, v6, v3, v2
.LBB1_7364:
	s_or_b64 exec, exec, s[6:7]
	s_movk_i32 s4, 0x7f
	v_cmp_gt_i16_sdwa s[6:7], v4, s4 src0_sel:BYTE_0 src1_sel:DWORD
	s_mov_b64 s[4:5], 0
                                        ; implicit-def: $sgpr10
	s_and_saveexec_b64 s[8:9], s[6:7]
	s_xor_b64 s[6:7], exec, s[8:9]
	s_cbranch_execz .LBB1_7365
; %bb.43205:
	s_getpc_b64 s[14:15]
.Lpost_getpc7266:
	s_add_u32 s14, s14, (.LBB1_21701-.Lpost_getpc7266)&4294967295
	s_addc_u32 s15, s15, (.LBB1_21701-.Lpost_getpc7266)>>32
	s_setpc_b64 s[14:15]
.LBB1_7365:
	s_or_saveexec_b64 s[6:7], s[6:7]
	v_mov_b32_e32 v3, s10
	s_xor_b64 exec, exec, s[6:7]
	s_cbranch_execz .LBB1_7366
; %bb.43207:
	s_getpc_b64 s[14:15]
.Lpost_getpc7267:
	s_add_u32 s14, s14, (.LBB1_21704-.Lpost_getpc7267)&4294967295
	s_addc_u32 s15, s15, (.LBB1_21704-.Lpost_getpc7267)>>32
	s_setpc_b64 s[14:15]
.LBB1_7366:
	s_or_b64 exec, exec, s[6:7]
	s_and_saveexec_b64 s[6:7], s[4:5]
	s_cbranch_execz .LBB1_7368
.LBB1_7367:
	v_and_b32_e32 v3, 7, v4
	v_ffbh_u32_e32 v7, v3
	v_min_u32_e32 v7, 32, v7
	v_lshrrev_b16_e32 v6, 3, v4
	v_subrev_u32_e32 v12, 28, v7
	v_and_b32_e32 v6, 15, v6
	v_lshlrev_b32_e32 v12, v12, v4
	v_sub_u32_e32 v7, 29, v7
	v_and_b32_e32 v12, 7, v12
	v_cmp_eq_u16_e32 vcc, 0, v6
	v_cndmask_b32_e32 v3, v3, v12, vcc
	v_cndmask_b32_e32 v6, v6, v7, vcc
	v_lshlrev_b32_e32 v7, 24, v4
	v_mov_b32_e32 v12, 0x3b800000
	v_lshlrev_b32_e32 v3, 20, v3
	v_and_b32_e32 v7, 0x80000000, v7
	v_lshl_add_u32 v6, v6, 23, v12
	v_or3_b32 v3, v7, v6, v3
.LBB1_7368:
	s_or_b64 exec, exec, s[6:7]
	s_nop 0
	v_mfma_f32_16x16x4f32 a[0:3], v2, v3, a[0:3]
	v_lshrrev_b32_e32 v3, 8, v8
	s_movk_i32 s4, 0x7f
	v_cmp_gt_i16_sdwa s[6:7], v3, s4 src0_sel:BYTE_0 src1_sel:DWORD
	s_mov_b64 s[4:5], 0
                                        ; implicit-def: $sgpr10
	s_and_saveexec_b64 s[8:9], s[6:7]
	s_xor_b64 s[6:7], exec, s[8:9]
	s_cbranch_execz .LBB1_7369
; %bb.43209:
	s_getpc_b64 s[14:15]
.Lpost_getpc7268:
	s_add_u32 s14, s14, (.LBB1_21705-.Lpost_getpc7268)&4294967295
	s_addc_u32 s15, s15, (.LBB1_21705-.Lpost_getpc7268)>>32
	s_setpc_b64 s[14:15]
.LBB1_7369:
	s_or_saveexec_b64 s[6:7], s[6:7]
	v_mov_b32_e32 v2, s10
	s_xor_b64 exec, exec, s[6:7]
	s_cbranch_execz .LBB1_7370
; %bb.43211:
	s_getpc_b64 s[14:15]
.Lpost_getpc7269:
	s_add_u32 s14, s14, (.LBB1_21708-.Lpost_getpc7269)&4294967295
	s_addc_u32 s15, s15, (.LBB1_21708-.Lpost_getpc7269)>>32
	s_setpc_b64 s[14:15]
.LBB1_7370:
	s_or_b64 exec, exec, s[6:7]
	s_and_saveexec_b64 s[6:7], s[4:5]
	s_cbranch_execz .LBB1_7372
.LBB1_7371:
	v_bfe_u32 v2, v8, 8, 3
	v_ffbh_u32_e32 v7, v2
	v_min_u32_e32 v7, 32, v7
	v_lshrrev_b16_e32 v6, 3, v3
	v_subrev_u32_e32 v12, 28, v7
	v_and_b32_e32 v6, 15, v6
	v_lshlrev_b32_e32 v3, v12, v3
	v_sub_u32_e32 v7, 29, v7
	v_and_b32_e32 v3, 7, v3
	v_cmp_eq_u16_e32 vcc, 0, v6
	v_cndmask_b32_e32 v2, v2, v3, vcc
	v_cndmask_b32_e32 v3, v6, v7, vcc
	v_lshlrev_b32_e32 v6, 16, v8
	v_mov_b32_e32 v7, 0x3b800000
	v_lshlrev_b32_e32 v2, 20, v2
	v_and_b32_e32 v6, 0x80000000, v6
	v_lshl_add_u32 v3, v3, 23, v7
	v_or3_b32 v2, v6, v3, v2
.LBB1_7372:
	s_or_b64 exec, exec, s[6:7]
	v_lshrrev_b32_e32 v3, 8, v4
	s_movk_i32 s4, 0x7f
	v_cmp_gt_i16_sdwa s[6:7], v3, s4 src0_sel:BYTE_0 src1_sel:DWORD
	s_mov_b64 s[4:5], 0
                                        ; implicit-def: $sgpr10
	s_and_saveexec_b64 s[8:9], s[6:7]
	s_xor_b64 s[6:7], exec, s[8:9]
	s_cbranch_execz .LBB1_7373
; %bb.43213:
	s_getpc_b64 s[14:15]
.Lpost_getpc7270:
	s_add_u32 s14, s14, (.LBB1_21709-.Lpost_getpc7270)&4294967295
	s_addc_u32 s15, s15, (.LBB1_21709-.Lpost_getpc7270)>>32
	s_setpc_b64 s[14:15]
.LBB1_7373:
	s_or_saveexec_b64 s[6:7], s[6:7]
	v_mov_b32_e32 v6, s10
	s_xor_b64 exec, exec, s[6:7]
	s_cbranch_execz .LBB1_7374
; %bb.43215:
	s_getpc_b64 s[14:15]
.Lpost_getpc7271:
	s_add_u32 s14, s14, (.LBB1_21712-.Lpost_getpc7271)&4294967295
	s_addc_u32 s15, s15, (.LBB1_21712-.Lpost_getpc7271)>>32
	s_setpc_b64 s[14:15]
.LBB1_7374:
	s_or_b64 exec, exec, s[6:7]
	s_and_saveexec_b64 s[6:7], s[4:5]
	s_cbranch_execz .LBB1_7376
.LBB1_7375:
	v_bfe_u32 v6, v4, 8, 3
	v_ffbh_u32_e32 v12, v6
	v_min_u32_e32 v12, 32, v12
	v_lshrrev_b16_e32 v7, 3, v3
	v_subrev_u32_e32 v13, 28, v12
	v_and_b32_e32 v7, 15, v7
	v_lshlrev_b32_e32 v3, v13, v3
	v_sub_u32_e32 v12, 29, v12
	v_and_b32_e32 v3, 7, v3
	v_cmp_eq_u16_e32 vcc, 0, v7
	v_cndmask_b32_e32 v3, v6, v3, vcc
	v_cndmask_b32_e32 v6, v7, v12, vcc
	v_lshlrev_b32_e32 v7, 16, v4
	v_mov_b32_e32 v12, 0x3b800000
	v_lshlrev_b32_e32 v3, 20, v3
	v_and_b32_e32 v7, 0x80000000, v7
	v_lshl_add_u32 v6, v6, 23, v12
	v_or3_b32 v6, v7, v6, v3
.LBB1_7376:
	s_or_b64 exec, exec, s[6:7]
	s_nop 0
	v_mfma_f32_16x16x4f32 a[0:3], v2, v6, a[0:3]
	s_movk_i32 s4, 0xff
	v_and_b32_sdwa v3, v8, s4 dst_sel:DWORD dst_unused:UNUSED_PAD src0_sel:WORD_1 src1_sel:DWORD
	s_movk_i32 s4, 0x7f
	v_cmp_lt_i16_e32 vcc, s4, v3
	s_mov_b64 s[4:5], 0
                                        ; implicit-def: $sgpr10
	s_and_saveexec_b64 s[6:7], vcc
	s_xor_b64 s[6:7], exec, s[6:7]
	s_cbranch_execz .LBB1_7377
; %bb.43217:
	s_getpc_b64 s[14:15]
.Lpost_getpc7272:
	s_add_u32 s14, s14, (.LBB1_21713-.Lpost_getpc7272)&4294967295
	s_addc_u32 s15, s15, (.LBB1_21713-.Lpost_getpc7272)>>32
	s_setpc_b64 s[14:15]
.LBB1_7377:
	s_or_saveexec_b64 s[6:7], s[6:7]
	v_mov_b32_e32 v2, s10
	s_xor_b64 exec, exec, s[6:7]
	s_cbranch_execz .LBB1_7378
; %bb.43219:
	s_getpc_b64 s[14:15]
.Lpost_getpc7273:
	s_add_u32 s14, s14, (.LBB1_21716-.Lpost_getpc7273)&4294967295
	s_addc_u32 s15, s15, (.LBB1_21716-.Lpost_getpc7273)>>32
	s_setpc_b64 s[14:15]
.LBB1_7378:
	s_or_b64 exec, exec, s[6:7]
	s_and_saveexec_b64 s[6:7], s[4:5]
	s_cbranch_execz .LBB1_7380
.LBB1_7379:
	v_bfe_u32 v2, v8, 16, 3
	v_ffbh_u32_e32 v7, v2
	v_min_u32_e32 v7, 32, v7
	v_lshrrev_b32_e32 v3, 19, v8
	v_subrev_u32_e32 v12, 28, v7
	v_and_b32_e32 v3, 15, v3
	v_lshlrev_b32_sdwa v12, v12, v8 dst_sel:DWORD dst_unused:UNUSED_PAD src0_sel:DWORD src1_sel:WORD_1
	v_bfe_u32 v6, v8, 19, 4
	v_sub_u32_e32 v7, 29, v7
	v_and_b32_e32 v12, 7, v12
	v_cmp_eq_u16_e32 vcc, 0, v3
	v_cndmask_b32_e32 v2, v2, v12, vcc
	v_cndmask_b32_e32 v3, v6, v7, vcc
	v_lshlrev_b32_e32 v6, 8, v8
	v_mov_b32_e32 v7, 0x3b800000
	v_lshlrev_b32_e32 v2, 20, v2
	v_and_b32_e32 v6, 0x80000000, v6
	v_lshl_add_u32 v3, v3, 23, v7
	v_or3_b32 v2, v6, v3, v2
.LBB1_7380:
	s_or_b64 exec, exec, s[6:7]
	s_movk_i32 s4, 0xff
	v_and_b32_sdwa v3, v4, s4 dst_sel:DWORD dst_unused:UNUSED_PAD src0_sel:WORD_1 src1_sel:DWORD
	s_movk_i32 s4, 0x7f
	v_cmp_lt_i16_e32 vcc, s4, v3
	s_mov_b64 s[4:5], 0
                                        ; implicit-def: $sgpr10
	s_and_saveexec_b64 s[6:7], vcc
	s_xor_b64 s[6:7], exec, s[6:7]
	s_cbranch_execz .LBB1_7381
; %bb.43221:
	s_getpc_b64 s[14:15]
.Lpost_getpc7274:
	s_add_u32 s14, s14, (.LBB1_21717-.Lpost_getpc7274)&4294967295
	s_addc_u32 s15, s15, (.LBB1_21717-.Lpost_getpc7274)>>32
	s_setpc_b64 s[14:15]
.LBB1_7381:
	s_or_saveexec_b64 s[6:7], s[6:7]
	v_mov_b32_e32 v6, s10
	s_xor_b64 exec, exec, s[6:7]
	s_cbranch_execz .LBB1_7382
; %bb.43223:
	s_getpc_b64 s[14:15]
.Lpost_getpc7275:
	s_add_u32 s14, s14, (.LBB1_21720-.Lpost_getpc7275)&4294967295
	s_addc_u32 s15, s15, (.LBB1_21720-.Lpost_getpc7275)>>32
	s_setpc_b64 s[14:15]
.LBB1_7382:
	s_or_b64 exec, exec, s[6:7]
	s_and_saveexec_b64 s[6:7], s[4:5]
	s_cbranch_execz .LBB1_7384
.LBB1_7383:
	v_bfe_u32 v3, v4, 16, 3
	v_ffbh_u32_e32 v12, v3
	v_min_u32_e32 v12, 32, v12
	v_lshrrev_b32_e32 v6, 19, v4
	v_subrev_u32_e32 v13, 28, v12
	v_and_b32_e32 v6, 15, v6
	v_lshlrev_b32_sdwa v13, v13, v4 dst_sel:DWORD dst_unused:UNUSED_PAD src0_sel:DWORD src1_sel:WORD_1
	v_bfe_u32 v7, v4, 19, 4
	v_sub_u32_e32 v12, 29, v12
	v_and_b32_e32 v13, 7, v13
	v_cmp_eq_u16_e32 vcc, 0, v6
	v_cndmask_b32_e32 v3, v3, v13, vcc
	v_cndmask_b32_e32 v6, v7, v12, vcc
	v_lshlrev_b32_e32 v7, 8, v4
	v_mov_b32_e32 v12, 0x3b800000
	v_lshlrev_b32_e32 v3, 20, v3
	v_and_b32_e32 v7, 0x80000000, v7
	v_lshl_add_u32 v6, v6, 23, v12
	v_or3_b32 v6, v7, v6, v3
.LBB1_7384:
	s_or_b64 exec, exec, s[6:7]
	s_nop 0
	v_mfma_f32_16x16x4f32 a[0:3], v2, v6, a[0:3]
	s_movk_i32 s4, 0x7f
	v_cmp_gt_i16_sdwa s[6:7], v8, s4 src0_sel:BYTE_3 src1_sel:DWORD
	s_mov_b64 s[4:5], 0
                                        ; implicit-def: $sgpr10
	s_and_saveexec_b64 s[8:9], s[6:7]
	s_xor_b64 s[6:7], exec, s[8:9]
	s_cbranch_execz .LBB1_7385
; %bb.43225:
	s_getpc_b64 s[14:15]
.Lpost_getpc7276:
	s_add_u32 s14, s14, (.LBB1_21721-.Lpost_getpc7276)&4294967295
	s_addc_u32 s15, s15, (.LBB1_21721-.Lpost_getpc7276)>>32
	s_setpc_b64 s[14:15]
.LBB1_7385:
	s_or_saveexec_b64 s[6:7], s[6:7]
	v_mov_b32_e32 v2, s10
	s_xor_b64 exec, exec, s[6:7]
	s_cbranch_execz .LBB1_7386
; %bb.43227:
	s_getpc_b64 s[14:15]
.Lpost_getpc7277:
	s_add_u32 s14, s14, (.LBB1_21724-.Lpost_getpc7277)&4294967295
	s_addc_u32 s15, s15, (.LBB1_21724-.Lpost_getpc7277)>>32
	s_setpc_b64 s[14:15]
.LBB1_7386:
	s_or_b64 exec, exec, s[6:7]
	s_and_saveexec_b64 s[6:7], s[4:5]
	s_cbranch_execz .LBB1_7388
.LBB1_7387:
	v_bfe_u32 v2, v8, 24, 3
	v_ffbh_u32_e32 v12, v2
	v_min_u32_e32 v12, 32, v12
	v_lshrrev_b32_e32 v6, 27, v8
	v_subrev_u32_e32 v13, 28, v12
	v_and_b32_e32 v3, 0x80000000, v8
	v_and_b32_e32 v6, 15, v6
	v_bfe_u32 v7, v8, 27, 4
	v_lshlrev_b32_sdwa v8, v13, v8 dst_sel:DWORD dst_unused:UNUSED_PAD src0_sel:DWORD src1_sel:BYTE_3
	v_sub_u32_e32 v12, 29, v12
	v_and_b32_e32 v8, 7, v8
	v_cmp_eq_u16_e32 vcc, 0, v6
	v_cndmask_b32_e32 v2, v2, v8, vcc
	v_cndmask_b32_e32 v6, v7, v12, vcc
	v_mov_b32_e32 v7, 0x3b800000
	v_lshlrev_b32_e32 v2, 20, v2
	v_lshl_add_u32 v6, v6, 23, v7
	v_or3_b32 v2, v3, v6, v2
.LBB1_7388:
	s_or_b64 exec, exec, s[6:7]
	s_movk_i32 s4, 0x7f
	v_cmp_gt_i16_sdwa s[6:7], v4, s4 src0_sel:BYTE_3 src1_sel:DWORD
	s_mov_b64 s[4:5], 0
                                        ; implicit-def: $sgpr10
	s_and_saveexec_b64 s[8:9], s[6:7]
	s_xor_b64 s[6:7], exec, s[8:9]
	s_cbranch_execz .LBB1_7389
; %bb.43229:
	s_getpc_b64 s[14:15]
.Lpost_getpc7278:
	s_add_u32 s14, s14, (.LBB1_21725-.Lpost_getpc7278)&4294967295
	s_addc_u32 s15, s15, (.LBB1_21725-.Lpost_getpc7278)>>32
	s_setpc_b64 s[14:15]
.LBB1_7389:
	s_or_saveexec_b64 s[6:7], s[6:7]
	v_mov_b32_e32 v3, s10
	s_xor_b64 exec, exec, s[6:7]
	s_cbranch_execz .LBB1_7390
; %bb.43231:
	s_getpc_b64 s[14:15]
.Lpost_getpc7279:
	s_add_u32 s14, s14, (.LBB1_21728-.Lpost_getpc7279)&4294967295
	s_addc_u32 s15, s15, (.LBB1_21728-.Lpost_getpc7279)>>32
	s_setpc_b64 s[14:15]
.LBB1_7390:
	s_or_b64 exec, exec, s[6:7]
	s_and_saveexec_b64 s[6:7], s[4:5]
	s_cbranch_execz .LBB1_7392
.LBB1_7391:
	v_bfe_u32 v3, v4, 24, 3
	v_ffbh_u32_e32 v12, v3
	v_min_u32_e32 v12, 32, v12
	v_lshrrev_b32_e32 v7, 27, v4
	v_subrev_u32_e32 v13, 28, v12
	v_and_b32_e32 v6, 0x80000000, v4
	v_and_b32_e32 v7, 15, v7
	v_bfe_u32 v8, v4, 27, 4
	v_lshlrev_b32_sdwa v4, v13, v4 dst_sel:DWORD dst_unused:UNUSED_PAD src0_sel:DWORD src1_sel:BYTE_3
	v_sub_u32_e32 v12, 29, v12
	v_and_b32_e32 v4, 7, v4
	v_cmp_eq_u16_e32 vcc, 0, v7
	v_cndmask_b32_e32 v3, v3, v4, vcc
	v_cndmask_b32_e32 v4, v8, v12, vcc
	v_mov_b32_e32 v7, 0x3b800000
	v_lshlrev_b32_e32 v3, 20, v3
	v_lshl_add_u32 v4, v4, 23, v7
	v_or3_b32 v3, v6, v4, v3
.LBB1_7392:
	s_or_b64 exec, exec, s[6:7]
	s_nop 0
	v_mfma_f32_16x16x4f32 a[0:3], v2, v3, a[0:3]
	s_movk_i32 s4, 0x7f
	v_cmp_gt_i16_sdwa s[6:7], v9, s4 src0_sel:BYTE_0 src1_sel:DWORD
	s_mov_b64 s[4:5], 0
                                        ; implicit-def: $sgpr10
	s_and_saveexec_b64 s[8:9], s[6:7]
	s_xor_b64 s[6:7], exec, s[8:9]
	s_cbranch_execz .LBB1_7393
; %bb.43233:
	s_getpc_b64 s[14:15]
.Lpost_getpc7280:
	s_add_u32 s14, s14, (.LBB1_21729-.Lpost_getpc7280)&4294967295
	s_addc_u32 s15, s15, (.LBB1_21729-.Lpost_getpc7280)>>32
	s_setpc_b64 s[14:15]
.LBB1_7393:
	s_or_saveexec_b64 s[6:7], s[6:7]
	v_mov_b32_e32 v2, s10
	s_xor_b64 exec, exec, s[6:7]
	s_cbranch_execz .LBB1_7394
; %bb.43235:
	s_getpc_b64 s[14:15]
.Lpost_getpc7281:
	s_add_u32 s14, s14, (.LBB1_21732-.Lpost_getpc7281)&4294967295
	s_addc_u32 s15, s15, (.LBB1_21732-.Lpost_getpc7281)>>32
	s_setpc_b64 s[14:15]
.LBB1_7394:
	s_or_b64 exec, exec, s[6:7]
	s_and_saveexec_b64 s[6:7], s[4:5]
	s_cbranch_execz .LBB1_7396
.LBB1_7395:
	v_mov_b32_e32 v2, 8
	v_and_b32_e32 v3, 7, v9
	v_lshrrev_b32_sdwa v2, v2, v9 dst_sel:BYTE_1 dst_unused:UNUSED_PAD src0_sel:DWORD src1_sel:DWORD
	v_ffbh_u32_e32 v4, v3
	v_or_b32_sdwa v2, v9, v2 dst_sel:DWORD dst_unused:UNUSED_PAD src0_sel:BYTE_0 src1_sel:DWORD
	v_min_u32_e32 v4, 32, v4
	v_lshrrev_b16_e32 v2, 3, v2
	v_subrev_u32_e32 v6, 28, v4
	v_and_b32_e32 v2, 15, v2
	v_lshlrev_b32_e32 v6, v6, v9
	v_sub_u32_e32 v4, 29, v4
	v_and_b32_e32 v6, 7, v6
	v_cmp_eq_u16_e32 vcc, 0, v2
	v_cndmask_b32_e32 v3, v3, v6, vcc
	v_cndmask_b32_e32 v2, v2, v4, vcc
	v_lshlrev_b32_e32 v4, 24, v9
	v_mov_b32_e32 v6, 0x3b800000
	v_lshlrev_b32_e32 v3, 20, v3
	v_and_b32_e32 v4, 0x80000000, v4
	v_lshl_add_u32 v2, v2, 23, v6
	v_or3_b32 v2, v4, v2, v3
.LBB1_7396:
	s_or_b64 exec, exec, s[6:7]
	s_movk_i32 s4, 0x7f
	v_cmp_gt_i16_sdwa s[6:7], v5, s4 src0_sel:BYTE_0 src1_sel:DWORD
	s_mov_b64 s[4:5], 0
                                        ; implicit-def: $sgpr10
	s_and_saveexec_b64 s[8:9], s[6:7]
	s_xor_b64 s[6:7], exec, s[8:9]
	s_cbranch_execz .LBB1_7397
; %bb.43237:
	s_getpc_b64 s[14:15]
.Lpost_getpc7282:
	s_add_u32 s14, s14, (.LBB1_21733-.Lpost_getpc7282)&4294967295
	s_addc_u32 s15, s15, (.LBB1_21733-.Lpost_getpc7282)>>32
	s_setpc_b64 s[14:15]
.LBB1_7397:
	s_or_saveexec_b64 s[6:7], s[6:7]
	v_mov_b32_e32 v3, s10
	s_xor_b64 exec, exec, s[6:7]
	s_cbranch_execz .LBB1_7398
; %bb.43239:
	s_getpc_b64 s[14:15]
.Lpost_getpc7283:
	s_add_u32 s14, s14, (.LBB1_21736-.Lpost_getpc7283)&4294967295
	s_addc_u32 s15, s15, (.LBB1_21736-.Lpost_getpc7283)>>32
	s_setpc_b64 s[14:15]
.LBB1_7398:
	s_or_b64 exec, exec, s[6:7]
	s_and_saveexec_b64 s[6:7], s[4:5]
	s_cbranch_execz .LBB1_7400
.LBB1_7399:
	v_mov_b32_e32 v3, 8
	v_and_b32_e32 v4, 7, v5
	v_lshrrev_b32_sdwa v3, v3, v5 dst_sel:BYTE_1 dst_unused:UNUSED_PAD src0_sel:DWORD src1_sel:DWORD
	v_ffbh_u32_e32 v6, v4
	v_or_b32_sdwa v3, v5, v3 dst_sel:DWORD dst_unused:UNUSED_PAD src0_sel:BYTE_0 src1_sel:DWORD
	v_min_u32_e32 v6, 32, v6
	v_lshrrev_b16_e32 v3, 3, v3
	v_subrev_u32_e32 v7, 28, v6
	v_and_b32_e32 v3, 15, v3
	v_lshlrev_b32_e32 v7, v7, v5
	v_sub_u32_e32 v6, 29, v6
	v_and_b32_e32 v7, 7, v7
	v_cmp_eq_u16_e32 vcc, 0, v3
	v_cndmask_b32_e32 v4, v4, v7, vcc
	v_cndmask_b32_e32 v3, v3, v6, vcc
	v_lshlrev_b32_e32 v6, 24, v5
	v_mov_b32_e32 v7, 0x3b800000
	v_lshlrev_b32_e32 v4, 20, v4
	v_and_b32_e32 v6, 0x80000000, v6
	v_lshl_add_u32 v3, v3, 23, v7
	v_or3_b32 v3, v6, v3, v4
.LBB1_7400:
	s_or_b64 exec, exec, s[6:7]
	s_nop 0
	v_mfma_f32_16x16x4f32 a[0:3], v2, v3, a[0:3]
	v_lshrrev_b32_e32 v3, 8, v9
	s_movk_i32 s4, 0x7f
	v_cmp_gt_i16_sdwa s[6:7], v3, s4 src0_sel:BYTE_0 src1_sel:DWORD
	s_mov_b64 s[4:5], 0
                                        ; implicit-def: $sgpr10
	s_and_saveexec_b64 s[8:9], s[6:7]
	s_xor_b64 s[6:7], exec, s[8:9]
	s_cbranch_execz .LBB1_7401
; %bb.43241:
	s_getpc_b64 s[14:15]
.Lpost_getpc7284:
	s_add_u32 s14, s14, (.LBB1_21737-.Lpost_getpc7284)&4294967295
	s_addc_u32 s15, s15, (.LBB1_21737-.Lpost_getpc7284)>>32
	s_setpc_b64 s[14:15]
.LBB1_7401:
	s_or_saveexec_b64 s[6:7], s[6:7]
	v_mov_b32_e32 v2, s10
	s_xor_b64 exec, exec, s[6:7]
	s_cbranch_execz .LBB1_7402
; %bb.43243:
	s_getpc_b64 s[14:15]
.Lpost_getpc7285:
	s_add_u32 s14, s14, (.LBB1_21740-.Lpost_getpc7285)&4294967295
	s_addc_u32 s15, s15, (.LBB1_21740-.Lpost_getpc7285)>>32
	s_setpc_b64 s[14:15]
.LBB1_7402:
	s_or_b64 exec, exec, s[6:7]
	s_and_saveexec_b64 s[6:7], s[4:5]
	s_cbranch_execz .LBB1_7404
.LBB1_7403:
	v_bfe_u32 v2, v9, 8, 3
	v_ffbh_u32_e32 v6, v2
	v_min_u32_e32 v6, 32, v6
	v_lshrrev_b16_e32 v4, 3, v3
	v_subrev_u32_e32 v7, 28, v6
	v_and_b32_e32 v4, 15, v4
	v_lshlrev_b32_e32 v3, v7, v3
	v_sub_u32_e32 v6, 29, v6
	v_and_b32_e32 v3, 7, v3
	v_cmp_eq_u16_e32 vcc, 0, v4
	v_cndmask_b32_e32 v2, v2, v3, vcc
	v_cndmask_b32_e32 v3, v4, v6, vcc
	v_lshlrev_b32_e32 v4, 16, v9
	v_mov_b32_e32 v6, 0x3b800000
	v_lshlrev_b32_e32 v2, 20, v2
	v_and_b32_e32 v4, 0x80000000, v4
	v_lshl_add_u32 v3, v3, 23, v6
	v_or3_b32 v2, v4, v3, v2
.LBB1_7404:
	s_or_b64 exec, exec, s[6:7]
	v_lshrrev_b32_e32 v3, 8, v5
	s_movk_i32 s4, 0x7f
	v_cmp_gt_i16_sdwa s[6:7], v3, s4 src0_sel:BYTE_0 src1_sel:DWORD
	s_mov_b64 s[4:5], 0
                                        ; implicit-def: $sgpr10
	s_and_saveexec_b64 s[8:9], s[6:7]
	s_xor_b64 s[6:7], exec, s[8:9]
	s_cbranch_execz .LBB1_7405
; %bb.43245:
	s_getpc_b64 s[14:15]
.Lpost_getpc7286:
	s_add_u32 s14, s14, (.LBB1_21741-.Lpost_getpc7286)&4294967295
	s_addc_u32 s15, s15, (.LBB1_21741-.Lpost_getpc7286)>>32
	s_setpc_b64 s[14:15]
.LBB1_7405:
	s_or_saveexec_b64 s[6:7], s[6:7]
	v_mov_b32_e32 v4, s10
	s_xor_b64 exec, exec, s[6:7]
	s_cbranch_execz .LBB1_7406
; %bb.43247:
	s_getpc_b64 s[14:15]
.Lpost_getpc7287:
	s_add_u32 s14, s14, (.LBB1_21744-.Lpost_getpc7287)&4294967295
	s_addc_u32 s15, s15, (.LBB1_21744-.Lpost_getpc7287)>>32
	s_setpc_b64 s[14:15]
.LBB1_7406:
	s_or_b64 exec, exec, s[6:7]
	s_and_saveexec_b64 s[6:7], s[4:5]
	s_cbranch_execz .LBB1_7408
.LBB1_7407:
	v_bfe_u32 v4, v5, 8, 3
	v_ffbh_u32_e32 v7, v4
	v_min_u32_e32 v7, 32, v7
	v_lshrrev_b16_e32 v6, 3, v3
	v_subrev_u32_e32 v8, 28, v7
	v_and_b32_e32 v6, 15, v6
	v_lshlrev_b32_e32 v3, v8, v3
	v_sub_u32_e32 v7, 29, v7
	v_and_b32_e32 v3, 7, v3
	v_cmp_eq_u16_e32 vcc, 0, v6
	v_cndmask_b32_e32 v3, v4, v3, vcc
	v_cndmask_b32_e32 v4, v6, v7, vcc
	v_lshlrev_b32_e32 v6, 16, v5
	v_mov_b32_e32 v7, 0x3b800000
	v_lshlrev_b32_e32 v3, 20, v3
	v_and_b32_e32 v6, 0x80000000, v6
	v_lshl_add_u32 v4, v4, 23, v7
	v_or3_b32 v4, v6, v4, v3
.LBB1_7408:
	s_or_b64 exec, exec, s[6:7]
	s_nop 0
	v_mfma_f32_16x16x4f32 a[0:3], v2, v4, a[0:3]
	s_movk_i32 s4, 0xff
	v_and_b32_sdwa v3, v9, s4 dst_sel:DWORD dst_unused:UNUSED_PAD src0_sel:WORD_1 src1_sel:DWORD
	s_movk_i32 s4, 0x7f
	v_cmp_lt_i16_e32 vcc, s4, v3
	s_mov_b64 s[4:5], 0
                                        ; implicit-def: $sgpr10
	s_and_saveexec_b64 s[6:7], vcc
	s_xor_b64 s[6:7], exec, s[6:7]
	s_cbranch_execz .LBB1_7409
; %bb.43249:
	s_getpc_b64 s[14:15]
.Lpost_getpc7288:
	s_add_u32 s14, s14, (.LBB1_21745-.Lpost_getpc7288)&4294967295
	s_addc_u32 s15, s15, (.LBB1_21745-.Lpost_getpc7288)>>32
	s_setpc_b64 s[14:15]
.LBB1_7409:
	s_or_saveexec_b64 s[6:7], s[6:7]
	v_mov_b32_e32 v2, s10
	s_xor_b64 exec, exec, s[6:7]
	s_cbranch_execz .LBB1_7410
; %bb.43251:
	s_getpc_b64 s[14:15]
.Lpost_getpc7289:
	s_add_u32 s14, s14, (.LBB1_21748-.Lpost_getpc7289)&4294967295
	s_addc_u32 s15, s15, (.LBB1_21748-.Lpost_getpc7289)>>32
	s_setpc_b64 s[14:15]
.LBB1_7410:
	s_or_b64 exec, exec, s[6:7]
	s_and_saveexec_b64 s[6:7], s[4:5]
	s_cbranch_execz .LBB1_7412
.LBB1_7411:
	v_bfe_u32 v2, v9, 16, 3
	v_ffbh_u32_e32 v6, v2
	v_min_u32_e32 v6, 32, v6
	v_lshrrev_b32_e32 v3, 19, v9
	v_subrev_u32_e32 v7, 28, v6
	v_and_b32_e32 v3, 15, v3
	v_lshlrev_b32_sdwa v7, v7, v9 dst_sel:DWORD dst_unused:UNUSED_PAD src0_sel:DWORD src1_sel:WORD_1
	v_bfe_u32 v4, v9, 19, 4
	v_sub_u32_e32 v6, 29, v6
	v_and_b32_e32 v7, 7, v7
	v_cmp_eq_u16_e32 vcc, 0, v3
	v_cndmask_b32_e32 v2, v2, v7, vcc
	v_cndmask_b32_e32 v3, v4, v6, vcc
	v_lshlrev_b32_e32 v4, 8, v9
	v_mov_b32_e32 v6, 0x3b800000
	v_lshlrev_b32_e32 v2, 20, v2
	v_and_b32_e32 v4, 0x80000000, v4
	v_lshl_add_u32 v3, v3, 23, v6
	v_or3_b32 v2, v4, v3, v2
.LBB1_7412:
	s_or_b64 exec, exec, s[6:7]
	s_movk_i32 s4, 0xff
	v_and_b32_sdwa v3, v5, s4 dst_sel:DWORD dst_unused:UNUSED_PAD src0_sel:WORD_1 src1_sel:DWORD
	s_movk_i32 s4, 0x7f
	v_cmp_lt_i16_e32 vcc, s4, v3
	s_mov_b64 s[4:5], 0
                                        ; implicit-def: $sgpr10
	s_and_saveexec_b64 s[6:7], vcc
	s_xor_b64 s[6:7], exec, s[6:7]
	s_cbranch_execz .LBB1_7413
; %bb.43253:
	s_getpc_b64 s[14:15]
.Lpost_getpc7290:
	s_add_u32 s14, s14, (.LBB1_21749-.Lpost_getpc7290)&4294967295
	s_addc_u32 s15, s15, (.LBB1_21749-.Lpost_getpc7290)>>32
	s_setpc_b64 s[14:15]
.LBB1_7413:
	s_or_saveexec_b64 s[6:7], s[6:7]
	v_mov_b32_e32 v4, s10
	s_xor_b64 exec, exec, s[6:7]
	s_cbranch_execz .LBB1_7414
; %bb.43255:
	s_getpc_b64 s[14:15]
.Lpost_getpc7291:
	s_add_u32 s14, s14, (.LBB1_21752-.Lpost_getpc7291)&4294967295
	s_addc_u32 s15, s15, (.LBB1_21752-.Lpost_getpc7291)>>32
	s_setpc_b64 s[14:15]
.LBB1_7414:
	s_or_b64 exec, exec, s[6:7]
	s_and_saveexec_b64 s[6:7], s[4:5]
	s_cbranch_execz .LBB1_7416
.LBB1_7415:
	v_bfe_u32 v3, v5, 16, 3
	v_ffbh_u32_e32 v7, v3
	v_min_u32_e32 v7, 32, v7
	v_lshrrev_b32_e32 v4, 19, v5
	v_subrev_u32_e32 v8, 28, v7
	v_and_b32_e32 v4, 15, v4
	v_lshlrev_b32_sdwa v8, v8, v5 dst_sel:DWORD dst_unused:UNUSED_PAD src0_sel:DWORD src1_sel:WORD_1
	v_bfe_u32 v6, v5, 19, 4
	v_sub_u32_e32 v7, 29, v7
	v_and_b32_e32 v8, 7, v8
	v_cmp_eq_u16_e32 vcc, 0, v4
	v_cndmask_b32_e32 v3, v3, v8, vcc
	v_cndmask_b32_e32 v4, v6, v7, vcc
	v_lshlrev_b32_e32 v6, 8, v5
	v_mov_b32_e32 v7, 0x3b800000
	v_lshlrev_b32_e32 v3, 20, v3
	v_and_b32_e32 v6, 0x80000000, v6
	v_lshl_add_u32 v4, v4, 23, v7
	v_or3_b32 v4, v6, v4, v3
.LBB1_7416:
	s_or_b64 exec, exec, s[6:7]
	s_nop 0
	v_mfma_f32_16x16x4f32 a[0:3], v2, v4, a[0:3]
	s_movk_i32 s4, 0x7f
	v_cmp_gt_i16_sdwa s[6:7], v9, s4 src0_sel:BYTE_3 src1_sel:DWORD
	s_mov_b64 s[4:5], 0
                                        ; implicit-def: $sgpr10
	s_and_saveexec_b64 s[8:9], s[6:7]
	s_xor_b64 s[6:7], exec, s[8:9]
	s_cbranch_execz .LBB1_7417
; %bb.43257:
	s_getpc_b64 s[14:15]
.Lpost_getpc7292:
	s_add_u32 s14, s14, (.LBB1_21753-.Lpost_getpc7292)&4294967295
	s_addc_u32 s15, s15, (.LBB1_21753-.Lpost_getpc7292)>>32
	s_setpc_b64 s[14:15]
.LBB1_7417:
	s_or_saveexec_b64 s[6:7], s[6:7]
	v_mov_b32_e32 v2, s10
	s_xor_b64 exec, exec, s[6:7]
	s_cbranch_execz .LBB1_7418
; %bb.43259:
	s_getpc_b64 s[14:15]
.Lpost_getpc7293:
	s_add_u32 s14, s14, (.LBB1_21756-.Lpost_getpc7293)&4294967295
	s_addc_u32 s15, s15, (.LBB1_21756-.Lpost_getpc7293)>>32
	s_setpc_b64 s[14:15]
.LBB1_7418:
	s_or_b64 exec, exec, s[6:7]
	s_and_saveexec_b64 s[6:7], s[4:5]
	s_cbranch_execz .LBB1_7420
.LBB1_7419:
	v_bfe_u32 v2, v9, 24, 3
	v_ffbh_u32_e32 v7, v2
	v_min_u32_e32 v7, 32, v7
	v_lshrrev_b32_e32 v4, 27, v9
	v_subrev_u32_e32 v8, 28, v7
	v_and_b32_e32 v4, 15, v4
	v_lshlrev_b32_sdwa v8, v8, v9 dst_sel:DWORD dst_unused:UNUSED_PAD src0_sel:DWORD src1_sel:BYTE_3
	v_bfe_u32 v6, v9, 27, 4
	v_sub_u32_e32 v7, 29, v7
	v_and_b32_e32 v8, 7, v8
	v_cmp_eq_u16_e32 vcc, 0, v4
	v_cndmask_b32_e32 v2, v2, v8, vcc
	v_cndmask_b32_e32 v4, v6, v7, vcc
	v_mov_b32_e32 v6, 0x3b800000
	v_and_b32_e32 v3, 0x80000000, v9
	v_lshlrev_b32_e32 v2, 20, v2
	v_lshl_add_u32 v4, v4, 23, v6
	v_or3_b32 v2, v3, v4, v2
.LBB1_7420:
	s_or_b64 exec, exec, s[6:7]
	s_movk_i32 s4, 0x7f
	v_cmp_gt_i16_sdwa s[6:7], v5, s4 src0_sel:BYTE_3 src1_sel:DWORD
	s_mov_b64 s[4:5], 0
                                        ; implicit-def: $sgpr10
	s_and_saveexec_b64 s[8:9], s[6:7]
	s_xor_b64 s[6:7], exec, s[8:9]
	s_cbranch_execz .LBB1_7421
; %bb.43261:
	s_getpc_b64 s[14:15]
.Lpost_getpc7294:
	s_add_u32 s14, s14, (.LBB1_21757-.Lpost_getpc7294)&4294967295
	s_addc_u32 s15, s15, (.LBB1_21757-.Lpost_getpc7294)>>32
	s_setpc_b64 s[14:15]
.LBB1_7421:
	s_or_saveexec_b64 s[6:7], s[6:7]
	v_mov_b32_e32 v3, s10
	s_xor_b64 exec, exec, s[6:7]
	s_cbranch_execz .LBB1_7422
; %bb.43263:
	s_getpc_b64 s[14:15]
.Lpost_getpc7295:
	s_add_u32 s14, s14, (.LBB1_21760-.Lpost_getpc7295)&4294967295
	s_addc_u32 s15, s15, (.LBB1_21760-.Lpost_getpc7295)>>32
	s_setpc_b64 s[14:15]
.LBB1_7422:
	s_or_b64 exec, exec, s[6:7]
	s_and_saveexec_b64 s[6:7], s[4:5]
	s_cbranch_execz .LBB1_7424
.LBB1_7423:
	v_bfe_u32 v3, v5, 24, 3
	v_ffbh_u32_e32 v8, v3
	v_min_u32_e32 v8, 32, v8
	v_lshrrev_b32_e32 v6, 27, v5
	v_subrev_u32_e32 v9, 28, v8
	v_and_b32_e32 v4, 0x80000000, v5
	v_and_b32_e32 v6, 15, v6
	v_bfe_u32 v7, v5, 27, 4
	v_lshlrev_b32_sdwa v5, v9, v5 dst_sel:DWORD dst_unused:UNUSED_PAD src0_sel:DWORD src1_sel:BYTE_3
	v_sub_u32_e32 v8, 29, v8
	v_and_b32_e32 v5, 7, v5
	v_cmp_eq_u16_e32 vcc, 0, v6
	v_cndmask_b32_e32 v3, v3, v5, vcc
	v_cndmask_b32_e32 v5, v7, v8, vcc
	v_mov_b32_e32 v6, 0x3b800000
	v_lshlrev_b32_e32 v3, 20, v3
	v_lshl_add_u32 v5, v5, 23, v6
	v_or3_b32 v3, v4, v5, v3
.LBB1_7424:
	s_or_b64 exec, exec, s[6:7]
	s_nop 0
	v_mfma_f32_16x16x4f32 a[0:3], v2, v3, a[0:3]
	s_movk_i32 s4, 0x7f
                                        ; implicit-def: $sgpr10
	s_nop 7
	s_nop 1
	flat_store_dwordx4 v[10:11], a[0:3] offset:16
	flat_load_dwordx4 v[12:15], v[0:1]
	s_nop 0
	flat_load_dwordx2 v[10:11], v[0:1] offset:16
	s_waitcnt vmcnt(0) lgkmcnt(0)
	flat_load_dwordx4 v[6:9], v[12:13] offset:112
	flat_load_dwordx4 v[2:5], v[14:15] offset:160
	s_waitcnt vmcnt(0) lgkmcnt(0)
	v_cmp_gt_i16_sdwa s[6:7], v6, s4 src0_sel:BYTE_0 src1_sel:DWORD
	s_mov_b64 s[4:5], 0
	s_and_saveexec_b64 s[8:9], s[6:7]
	s_xor_b64 s[6:7], exec, s[8:9]
	s_cbranch_execz .LBB1_7425
; %bb.43265:
	s_getpc_b64 s[14:15]
.Lpost_getpc7296:
	s_add_u32 s14, s14, (.LBB1_21761-.Lpost_getpc7296)&4294967295
	s_addc_u32 s15, s15, (.LBB1_21761-.Lpost_getpc7296)>>32
	s_setpc_b64 s[14:15]
.LBB1_7425:
	s_or_saveexec_b64 s[6:7], s[6:7]
	v_mov_b32_e32 v12, s10
	s_xor_b64 exec, exec, s[6:7]
	s_cbranch_execz .LBB1_7426
; %bb.43267:
	s_getpc_b64 s[14:15]
.Lpost_getpc7297:
	s_add_u32 s14, s14, (.LBB1_21764-.Lpost_getpc7297)&4294967295
	s_addc_u32 s15, s15, (.LBB1_21764-.Lpost_getpc7297)>>32
	s_setpc_b64 s[14:15]
.LBB1_7426:
	s_or_b64 exec, exec, s[6:7]
	s_and_saveexec_b64 s[6:7], s[4:5]
	s_cbranch_execz .LBB1_7428
.LBB1_7427:
	v_and_b32_e32 v12, 7, v6
	v_ffbh_u32_e32 v14, v12
	v_min_u32_e32 v14, 32, v14
	v_lshrrev_b16_e32 v13, 3, v6
	v_subrev_u32_e32 v15, 28, v14
	v_and_b32_e32 v13, 15, v13
	v_lshlrev_b32_e32 v15, v15, v6
	v_sub_u32_e32 v14, 29, v14
	v_and_b32_e32 v15, 7, v15
	v_cmp_eq_u16_e32 vcc, 0, v13
	v_cndmask_b32_e32 v12, v12, v15, vcc
	v_cndmask_b32_e32 v13, v13, v14, vcc
	v_lshlrev_b32_e32 v14, 24, v6
	v_mov_b32_e32 v15, 0x3b800000
	v_lshlrev_b32_e32 v12, 20, v12
	v_and_b32_e32 v14, 0x80000000, v14
	v_lshl_add_u32 v13, v13, 23, v15
	v_or3_b32 v12, v14, v13, v12
.LBB1_7428:
	s_or_b64 exec, exec, s[6:7]
	s_movk_i32 s4, 0x7f
	v_cmp_gt_i16_sdwa s[6:7], v2, s4 src0_sel:BYTE_0 src1_sel:DWORD
	s_mov_b64 s[4:5], 0
                                        ; implicit-def: $sgpr10
	s_and_saveexec_b64 s[8:9], s[6:7]
	s_xor_b64 s[6:7], exec, s[8:9]
	s_cbranch_execz .LBB1_7429
; %bb.43269:
	s_getpc_b64 s[14:15]
.Lpost_getpc7298:
	s_add_u32 s14, s14, (.LBB1_21765-.Lpost_getpc7298)&4294967295
	s_addc_u32 s15, s15, (.LBB1_21765-.Lpost_getpc7298)>>32
	s_setpc_b64 s[14:15]
.LBB1_7429:
	s_or_saveexec_b64 s[6:7], s[6:7]
	v_mov_b32_e32 v13, s10
	s_xor_b64 exec, exec, s[6:7]
	s_cbranch_execz .LBB1_7430
; %bb.43271:
	s_getpc_b64 s[14:15]
.Lpost_getpc7299:
	s_add_u32 s14, s14, (.LBB1_21768-.Lpost_getpc7299)&4294967295
	s_addc_u32 s15, s15, (.LBB1_21768-.Lpost_getpc7299)>>32
	s_setpc_b64 s[14:15]
.LBB1_7430:
	s_or_b64 exec, exec, s[6:7]
	s_and_saveexec_b64 s[6:7], s[4:5]
	s_cbranch_execz .LBB1_7432
.LBB1_7431:
	v_and_b32_e32 v13, 7, v2
	v_ffbh_u32_e32 v15, v13
	v_min_u32_e32 v15, 32, v15
	v_lshrrev_b16_e32 v14, 3, v2
	v_subrev_u32_e32 v16, 28, v15
	v_and_b32_e32 v14, 15, v14
	v_lshlrev_b32_e32 v16, v16, v2
	v_sub_u32_e32 v15, 29, v15
	v_and_b32_e32 v16, 7, v16
	v_cmp_eq_u16_e32 vcc, 0, v14
	v_cndmask_b32_e32 v13, v13, v16, vcc
	v_cndmask_b32_e32 v14, v14, v15, vcc
	v_lshlrev_b32_e32 v15, 24, v2
	v_mov_b32_e32 v16, 0x3b800000
	v_lshlrev_b32_e32 v13, 20, v13
	v_and_b32_e32 v15, 0x80000000, v15
	v_lshl_add_u32 v14, v14, 23, v16
	v_or3_b32 v13, v15, v14, v13
.LBB1_7432:
	s_or_b64 exec, exec, s[6:7]
	flat_load_dwordx4 a[0:3], v[10:11] offset:32
	s_movk_i32 s4, 0x7f
                                        ; implicit-def: $sgpr10
	s_waitcnt vmcnt(0) lgkmcnt(0)
	v_mfma_f32_16x16x4f32 a[0:3], v12, v13, a[0:3]
	v_lshrrev_b32_e32 v13, 8, v6
	v_cmp_gt_i16_sdwa s[6:7], v13, s4 src0_sel:BYTE_0 src1_sel:DWORD
	s_mov_b64 s[4:5], 0
	s_and_saveexec_b64 s[8:9], s[6:7]
	s_xor_b64 s[6:7], exec, s[8:9]
	s_cbranch_execz .LBB1_7433
; %bb.43273:
	s_getpc_b64 s[14:15]
.Lpost_getpc7300:
	s_add_u32 s14, s14, (.LBB1_21769-.Lpost_getpc7300)&4294967295
	s_addc_u32 s15, s15, (.LBB1_21769-.Lpost_getpc7300)>>32
	s_setpc_b64 s[14:15]
.LBB1_7433:
	s_or_saveexec_b64 s[6:7], s[6:7]
	v_mov_b32_e32 v12, s10
	s_xor_b64 exec, exec, s[6:7]
	s_cbranch_execz .LBB1_7434
; %bb.43275:
	s_getpc_b64 s[14:15]
.Lpost_getpc7301:
	s_add_u32 s14, s14, (.LBB1_21772-.Lpost_getpc7301)&4294967295
	s_addc_u32 s15, s15, (.LBB1_21772-.Lpost_getpc7301)>>32
	s_setpc_b64 s[14:15]
.LBB1_7434:
	s_or_b64 exec, exec, s[6:7]
	s_and_saveexec_b64 s[6:7], s[4:5]
	s_cbranch_execz .LBB1_7436
.LBB1_7435:
	v_bfe_u32 v12, v6, 8, 3
	v_ffbh_u32_e32 v15, v12
	v_min_u32_e32 v15, 32, v15
	v_lshrrev_b16_e32 v14, 3, v13
	v_subrev_u32_e32 v16, 28, v15
	v_and_b32_e32 v14, 15, v14
	v_lshlrev_b32_e32 v13, v16, v13
	v_sub_u32_e32 v15, 29, v15
	v_and_b32_e32 v13, 7, v13
	v_cmp_eq_u16_e32 vcc, 0, v14
	v_cndmask_b32_e32 v12, v12, v13, vcc
	v_cndmask_b32_e32 v13, v14, v15, vcc
	v_lshlrev_b32_e32 v14, 16, v6
	v_mov_b32_e32 v15, 0x3b800000
	v_lshlrev_b32_e32 v12, 20, v12
	v_and_b32_e32 v14, 0x80000000, v14
	v_lshl_add_u32 v13, v13, 23, v15
	v_or3_b32 v12, v14, v13, v12
.LBB1_7436:
	s_or_b64 exec, exec, s[6:7]
	v_lshrrev_b32_e32 v13, 8, v2
	s_movk_i32 s4, 0x7f
	v_cmp_gt_i16_sdwa s[6:7], v13, s4 src0_sel:BYTE_0 src1_sel:DWORD
	s_mov_b64 s[4:5], 0
                                        ; implicit-def: $sgpr10
	s_and_saveexec_b64 s[8:9], s[6:7]
	s_xor_b64 s[6:7], exec, s[8:9]
	s_cbranch_execz .LBB1_7437
; %bb.43277:
	s_getpc_b64 s[14:15]
.Lpost_getpc7302:
	s_add_u32 s14, s14, (.LBB1_21773-.Lpost_getpc7302)&4294967295
	s_addc_u32 s15, s15, (.LBB1_21773-.Lpost_getpc7302)>>32
	s_setpc_b64 s[14:15]
.LBB1_7437:
	s_or_saveexec_b64 s[6:7], s[6:7]
	v_mov_b32_e32 v14, s10
	s_xor_b64 exec, exec, s[6:7]
	s_cbranch_execz .LBB1_7438
; %bb.43279:
	s_getpc_b64 s[14:15]
.Lpost_getpc7303:
	s_add_u32 s14, s14, (.LBB1_21776-.Lpost_getpc7303)&4294967295
	s_addc_u32 s15, s15, (.LBB1_21776-.Lpost_getpc7303)>>32
	s_setpc_b64 s[14:15]
.LBB1_7438:
	s_or_b64 exec, exec, s[6:7]
	s_and_saveexec_b64 s[6:7], s[4:5]
	s_cbranch_execz .LBB1_7440
.LBB1_7439:
	v_bfe_u32 v14, v2, 8, 3
	v_ffbh_u32_e32 v16, v14
	v_min_u32_e32 v16, 32, v16
	v_lshrrev_b16_e32 v15, 3, v13
	v_subrev_u32_e32 v17, 28, v16
	v_and_b32_e32 v15, 15, v15
	v_lshlrev_b32_e32 v13, v17, v13
	v_sub_u32_e32 v16, 29, v16
	v_and_b32_e32 v13, 7, v13
	v_cmp_eq_u16_e32 vcc, 0, v15
	v_cndmask_b32_e32 v13, v14, v13, vcc
	v_cndmask_b32_e32 v14, v15, v16, vcc
	v_lshlrev_b32_e32 v15, 16, v2
	v_mov_b32_e32 v16, 0x3b800000
	v_lshlrev_b32_e32 v13, 20, v13
	v_and_b32_e32 v15, 0x80000000, v15
	v_lshl_add_u32 v14, v14, 23, v16
	v_or3_b32 v14, v15, v14, v13
.LBB1_7440:
	s_or_b64 exec, exec, s[6:7]
	s_nop 0
	v_mfma_f32_16x16x4f32 a[0:3], v12, v14, a[0:3]
	s_movk_i32 s4, 0xff
	v_and_b32_sdwa v13, v6, s4 dst_sel:DWORD dst_unused:UNUSED_PAD src0_sel:WORD_1 src1_sel:DWORD
	s_movk_i32 s4, 0x7f
	v_cmp_lt_i16_e32 vcc, s4, v13
	s_mov_b64 s[4:5], 0
                                        ; implicit-def: $sgpr10
	s_and_saveexec_b64 s[6:7], vcc
	s_xor_b64 s[6:7], exec, s[6:7]
	s_cbranch_execz .LBB1_7441
; %bb.43281:
	s_getpc_b64 s[14:15]
.Lpost_getpc7304:
	s_add_u32 s14, s14, (.LBB1_21777-.Lpost_getpc7304)&4294967295
	s_addc_u32 s15, s15, (.LBB1_21777-.Lpost_getpc7304)>>32
	s_setpc_b64 s[14:15]
.LBB1_7441:
	s_or_saveexec_b64 s[6:7], s[6:7]
	v_mov_b32_e32 v12, s10
	s_xor_b64 exec, exec, s[6:7]
	s_cbranch_execz .LBB1_7442
; %bb.43283:
	s_getpc_b64 s[14:15]
.Lpost_getpc7305:
	s_add_u32 s14, s14, (.LBB1_21780-.Lpost_getpc7305)&4294967295
	s_addc_u32 s15, s15, (.LBB1_21780-.Lpost_getpc7305)>>32
	s_setpc_b64 s[14:15]
.LBB1_7442:
	s_or_b64 exec, exec, s[6:7]
	s_and_saveexec_b64 s[6:7], s[4:5]
	s_cbranch_execz .LBB1_7444
.LBB1_7443:
	v_bfe_u32 v12, v6, 16, 3
	v_ffbh_u32_e32 v15, v12
	v_min_u32_e32 v15, 32, v15
	v_lshrrev_b32_e32 v13, 19, v6
	v_subrev_u32_e32 v16, 28, v15
	v_and_b32_e32 v13, 15, v13
	v_lshlrev_b32_sdwa v16, v16, v6 dst_sel:DWORD dst_unused:UNUSED_PAD src0_sel:DWORD src1_sel:WORD_1
	v_bfe_u32 v14, v6, 19, 4
	v_sub_u32_e32 v15, 29, v15
	v_and_b32_e32 v16, 7, v16
	v_cmp_eq_u16_e32 vcc, 0, v13
	v_cndmask_b32_e32 v12, v12, v16, vcc
	v_cndmask_b32_e32 v13, v14, v15, vcc
	v_lshlrev_b32_e32 v14, 8, v6
	v_mov_b32_e32 v15, 0x3b800000
	v_lshlrev_b32_e32 v12, 20, v12
	v_and_b32_e32 v14, 0x80000000, v14
	v_lshl_add_u32 v13, v13, 23, v15
	v_or3_b32 v12, v14, v13, v12
.LBB1_7444:
	s_or_b64 exec, exec, s[6:7]
	s_movk_i32 s4, 0xff
	v_and_b32_sdwa v13, v2, s4 dst_sel:DWORD dst_unused:UNUSED_PAD src0_sel:WORD_1 src1_sel:DWORD
	s_movk_i32 s4, 0x7f
	v_cmp_lt_i16_e32 vcc, s4, v13
	s_mov_b64 s[4:5], 0
                                        ; implicit-def: $sgpr10
	s_and_saveexec_b64 s[6:7], vcc
	s_xor_b64 s[6:7], exec, s[6:7]
	s_cbranch_execz .LBB1_7445
; %bb.43285:
	s_getpc_b64 s[14:15]
.Lpost_getpc7306:
	s_add_u32 s14, s14, (.LBB1_21781-.Lpost_getpc7306)&4294967295
	s_addc_u32 s15, s15, (.LBB1_21781-.Lpost_getpc7306)>>32
	s_setpc_b64 s[14:15]
.LBB1_7445:
	s_or_saveexec_b64 s[6:7], s[6:7]
	v_mov_b32_e32 v14, s10
	s_xor_b64 exec, exec, s[6:7]
	s_cbranch_execz .LBB1_7446
; %bb.43287:
	s_getpc_b64 s[14:15]
.Lpost_getpc7307:
	s_add_u32 s14, s14, (.LBB1_21784-.Lpost_getpc7307)&4294967295
	s_addc_u32 s15, s15, (.LBB1_21784-.Lpost_getpc7307)>>32
	s_setpc_b64 s[14:15]
.LBB1_7446:
	s_or_b64 exec, exec, s[6:7]
	s_and_saveexec_b64 s[6:7], s[4:5]
	s_cbranch_execz .LBB1_7448
.LBB1_7447:
	v_bfe_u32 v13, v2, 16, 3
	v_ffbh_u32_e32 v16, v13
	v_min_u32_e32 v16, 32, v16
	v_lshrrev_b32_e32 v14, 19, v2
	v_subrev_u32_e32 v17, 28, v16
	v_and_b32_e32 v14, 15, v14
	v_lshlrev_b32_sdwa v17, v17, v2 dst_sel:DWORD dst_unused:UNUSED_PAD src0_sel:DWORD src1_sel:WORD_1
	v_bfe_u32 v15, v2, 19, 4
	v_sub_u32_e32 v16, 29, v16
	v_and_b32_e32 v17, 7, v17
	v_cmp_eq_u16_e32 vcc, 0, v14
	v_cndmask_b32_e32 v13, v13, v17, vcc
	v_cndmask_b32_e32 v14, v15, v16, vcc
	v_lshlrev_b32_e32 v15, 8, v2
	v_mov_b32_e32 v16, 0x3b800000
	v_lshlrev_b32_e32 v13, 20, v13
	v_and_b32_e32 v15, 0x80000000, v15
	v_lshl_add_u32 v14, v14, 23, v16
	v_or3_b32 v14, v15, v14, v13
.LBB1_7448:
	s_or_b64 exec, exec, s[6:7]
	s_nop 0
	v_mfma_f32_16x16x4f32 a[0:3], v12, v14, a[0:3]
	s_movk_i32 s4, 0x7f
	v_cmp_gt_i16_sdwa s[6:7], v6, s4 src0_sel:BYTE_3 src1_sel:DWORD
	s_mov_b64 s[4:5], 0
                                        ; implicit-def: $sgpr10
	s_and_saveexec_b64 s[8:9], s[6:7]
	s_xor_b64 s[6:7], exec, s[8:9]
	s_cbranch_execz .LBB1_7449
; %bb.43289:
	s_getpc_b64 s[14:15]
.Lpost_getpc7308:
	s_add_u32 s14, s14, (.LBB1_21785-.Lpost_getpc7308)&4294967295
	s_addc_u32 s15, s15, (.LBB1_21785-.Lpost_getpc7308)>>32
	s_setpc_b64 s[14:15]
.LBB1_7449:
	s_or_saveexec_b64 s[6:7], s[6:7]
	v_mov_b32_e32 v12, s10
	s_xor_b64 exec, exec, s[6:7]
	s_cbranch_execz .LBB1_7450
; %bb.43291:
	s_getpc_b64 s[14:15]
.Lpost_getpc7309:
	s_add_u32 s14, s14, (.LBB1_21788-.Lpost_getpc7309)&4294967295
	s_addc_u32 s15, s15, (.LBB1_21788-.Lpost_getpc7309)>>32
	s_setpc_b64 s[14:15]
.LBB1_7450:
	s_or_b64 exec, exec, s[6:7]
	s_and_saveexec_b64 s[6:7], s[4:5]
	s_cbranch_execz .LBB1_7452
.LBB1_7451:
	v_bfe_u32 v12, v6, 24, 3
	v_ffbh_u32_e32 v16, v12
	v_min_u32_e32 v16, 32, v16
	v_lshrrev_b32_e32 v14, 27, v6
	v_subrev_u32_e32 v17, 28, v16
	v_and_b32_e32 v13, 0x80000000, v6
	v_and_b32_e32 v14, 15, v14
	v_bfe_u32 v15, v6, 27, 4
	v_lshlrev_b32_sdwa v6, v17, v6 dst_sel:DWORD dst_unused:UNUSED_PAD src0_sel:DWORD src1_sel:BYTE_3
	v_sub_u32_e32 v16, 29, v16
	v_and_b32_e32 v6, 7, v6
	v_cmp_eq_u16_e32 vcc, 0, v14
	v_cndmask_b32_e32 v6, v12, v6, vcc
	v_cndmask_b32_e32 v12, v15, v16, vcc
	v_mov_b32_e32 v14, 0x3b800000
	v_lshlrev_b32_e32 v6, 20, v6
	v_lshl_add_u32 v12, v12, 23, v14
	v_or3_b32 v12, v13, v12, v6
.LBB1_7452:
	s_or_b64 exec, exec, s[6:7]
	s_movk_i32 s4, 0x7f
	v_cmp_gt_i16_sdwa s[6:7], v2, s4 src0_sel:BYTE_3 src1_sel:DWORD
	s_mov_b64 s[4:5], 0
                                        ; implicit-def: $sgpr10
	s_and_saveexec_b64 s[8:9], s[6:7]
	s_xor_b64 s[6:7], exec, s[8:9]
	s_cbranch_execz .LBB1_7453
; %bb.43293:
	s_getpc_b64 s[14:15]
.Lpost_getpc7310:
	s_add_u32 s14, s14, (.LBB1_21789-.Lpost_getpc7310)&4294967295
	s_addc_u32 s15, s15, (.LBB1_21789-.Lpost_getpc7310)>>32
	s_setpc_b64 s[14:15]
.LBB1_7453:
	s_or_saveexec_b64 s[6:7], s[6:7]
	v_mov_b32_e32 v6, s10
	s_xor_b64 exec, exec, s[6:7]
	s_cbranch_execz .LBB1_7454
; %bb.43295:
	s_getpc_b64 s[14:15]
.Lpost_getpc7311:
	s_add_u32 s14, s14, (.LBB1_21792-.Lpost_getpc7311)&4294967295
	s_addc_u32 s15, s15, (.LBB1_21792-.Lpost_getpc7311)>>32
	s_setpc_b64 s[14:15]
.LBB1_7454:
	s_or_b64 exec, exec, s[6:7]
	s_and_saveexec_b64 s[6:7], s[4:5]
	s_cbranch_execz .LBB1_7456
.LBB1_7455:
	v_bfe_u32 v6, v2, 24, 3
	v_ffbh_u32_e32 v16, v6
	v_min_u32_e32 v16, 32, v16
	v_lshrrev_b32_e32 v14, 27, v2
	v_subrev_u32_e32 v17, 28, v16
	v_and_b32_e32 v13, 0x80000000, v2
	v_and_b32_e32 v14, 15, v14
	v_bfe_u32 v15, v2, 27, 4
	v_lshlrev_b32_sdwa v2, v17, v2 dst_sel:DWORD dst_unused:UNUSED_PAD src0_sel:DWORD src1_sel:BYTE_3
	v_sub_u32_e32 v16, 29, v16
	v_and_b32_e32 v2, 7, v2
	v_cmp_eq_u16_e32 vcc, 0, v14
	v_cndmask_b32_e32 v2, v6, v2, vcc
	v_cndmask_b32_e32 v6, v15, v16, vcc
	v_mov_b32_e32 v14, 0x3b800000
	v_lshlrev_b32_e32 v2, 20, v2
	v_lshl_add_u32 v6, v6, 23, v14
	v_or3_b32 v6, v13, v6, v2
.LBB1_7456:
	s_or_b64 exec, exec, s[6:7]
	s_nop 0
	v_mfma_f32_16x16x4f32 a[0:3], v12, v6, a[0:3]
	s_movk_i32 s4, 0x7f
	v_cmp_gt_i16_sdwa s[6:7], v7, s4 src0_sel:BYTE_0 src1_sel:DWORD
	s_mov_b64 s[4:5], 0
                                        ; implicit-def: $sgpr10
	s_and_saveexec_b64 s[8:9], s[6:7]
	s_xor_b64 s[6:7], exec, s[8:9]
	s_cbranch_execz .LBB1_7457
; %bb.43297:
	s_getpc_b64 s[14:15]
.Lpost_getpc7312:
	s_add_u32 s14, s14, (.LBB1_21793-.Lpost_getpc7312)&4294967295
	s_addc_u32 s15, s15, (.LBB1_21793-.Lpost_getpc7312)>>32
	s_setpc_b64 s[14:15]
.LBB1_7457:
	s_or_saveexec_b64 s[6:7], s[6:7]
	v_mov_b32_e32 v2, s10
	s_xor_b64 exec, exec, s[6:7]
	s_cbranch_execz .LBB1_7458
; %bb.43299:
	s_getpc_b64 s[14:15]
.Lpost_getpc7313:
	s_add_u32 s14, s14, (.LBB1_21796-.Lpost_getpc7313)&4294967295
	s_addc_u32 s15, s15, (.LBB1_21796-.Lpost_getpc7313)>>32
	s_setpc_b64 s[14:15]
.LBB1_7458:
	s_or_b64 exec, exec, s[6:7]
	s_and_saveexec_b64 s[6:7], s[4:5]
	s_cbranch_execz .LBB1_7460
.LBB1_7459:
	v_and_b32_e32 v2, 7, v7
	v_ffbh_u32_e32 v12, v2
	v_min_u32_e32 v12, 32, v12
	v_lshrrev_b16_e32 v6, 3, v7
	v_subrev_u32_e32 v13, 28, v12
	v_and_b32_e32 v6, 15, v6
	v_lshlrev_b32_e32 v13, v13, v7
	v_sub_u32_e32 v12, 29, v12
	v_and_b32_e32 v13, 7, v13
	v_cmp_eq_u16_e32 vcc, 0, v6
	v_cndmask_b32_e32 v2, v2, v13, vcc
	v_cndmask_b32_e32 v6, v6, v12, vcc
	v_lshlrev_b32_e32 v12, 24, v7
	v_mov_b32_e32 v13, 0x3b800000
	v_lshlrev_b32_e32 v2, 20, v2
	v_and_b32_e32 v12, 0x80000000, v12
	v_lshl_add_u32 v6, v6, 23, v13
	v_or3_b32 v2, v12, v6, v2
.LBB1_7460:
	s_or_b64 exec, exec, s[6:7]
	s_movk_i32 s4, 0x7f
	v_cmp_gt_i16_sdwa s[6:7], v3, s4 src0_sel:BYTE_0 src1_sel:DWORD
	s_mov_b64 s[4:5], 0
                                        ; implicit-def: $sgpr10
	s_and_saveexec_b64 s[8:9], s[6:7]
	s_xor_b64 s[6:7], exec, s[8:9]
	s_cbranch_execz .LBB1_7461
; %bb.43301:
	s_getpc_b64 s[14:15]
.Lpost_getpc7314:
	s_add_u32 s14, s14, (.LBB1_21797-.Lpost_getpc7314)&4294967295
	s_addc_u32 s15, s15, (.LBB1_21797-.Lpost_getpc7314)>>32
	s_setpc_b64 s[14:15]
.LBB1_7461:
	s_or_saveexec_b64 s[6:7], s[6:7]
	v_mov_b32_e32 v6, s10
	s_xor_b64 exec, exec, s[6:7]
	s_cbranch_execz .LBB1_7462
; %bb.43303:
	s_getpc_b64 s[14:15]
.Lpost_getpc7315:
	s_add_u32 s14, s14, (.LBB1_21800-.Lpost_getpc7315)&4294967295
	s_addc_u32 s15, s15, (.LBB1_21800-.Lpost_getpc7315)>>32
	s_setpc_b64 s[14:15]
.LBB1_7462:
	s_or_b64 exec, exec, s[6:7]
	s_and_saveexec_b64 s[6:7], s[4:5]
	s_cbranch_execz .LBB1_7464
.LBB1_7463:
	v_and_b32_e32 v6, 7, v3
	v_ffbh_u32_e32 v13, v6
	v_min_u32_e32 v13, 32, v13
	v_lshrrev_b16_e32 v12, 3, v3
	v_subrev_u32_e32 v14, 28, v13
	v_and_b32_e32 v12, 15, v12
	v_lshlrev_b32_e32 v14, v14, v3
	v_sub_u32_e32 v13, 29, v13
	v_and_b32_e32 v14, 7, v14
	v_cmp_eq_u16_e32 vcc, 0, v12
	v_cndmask_b32_e32 v6, v6, v14, vcc
	v_cndmask_b32_e32 v12, v12, v13, vcc
	v_lshlrev_b32_e32 v13, 24, v3
	v_mov_b32_e32 v14, 0x3b800000
	v_lshlrev_b32_e32 v6, 20, v6
	v_and_b32_e32 v13, 0x80000000, v13
	v_lshl_add_u32 v12, v12, 23, v14
	v_or3_b32 v6, v13, v12, v6
.LBB1_7464:
	s_or_b64 exec, exec, s[6:7]
	s_nop 0
	v_mfma_f32_16x16x4f32 a[0:3], v2, v6, a[0:3]
	v_lshrrev_b32_e32 v6, 8, v7
	s_movk_i32 s4, 0x7f
	v_cmp_gt_i16_sdwa s[6:7], v6, s4 src0_sel:BYTE_0 src1_sel:DWORD
	s_mov_b64 s[4:5], 0
                                        ; implicit-def: $sgpr10
	s_and_saveexec_b64 s[8:9], s[6:7]
	s_xor_b64 s[6:7], exec, s[8:9]
	s_cbranch_execz .LBB1_7465
; %bb.43305:
	s_getpc_b64 s[14:15]
.Lpost_getpc7316:
	s_add_u32 s14, s14, (.LBB1_21801-.Lpost_getpc7316)&4294967295
	s_addc_u32 s15, s15, (.LBB1_21801-.Lpost_getpc7316)>>32
	s_setpc_b64 s[14:15]
.LBB1_7465:
	s_or_saveexec_b64 s[6:7], s[6:7]
	v_mov_b32_e32 v2, s10
	s_xor_b64 exec, exec, s[6:7]
	s_cbranch_execz .LBB1_7466
; %bb.43307:
	s_getpc_b64 s[14:15]
.Lpost_getpc7317:
	s_add_u32 s14, s14, (.LBB1_21804-.Lpost_getpc7317)&4294967295
	s_addc_u32 s15, s15, (.LBB1_21804-.Lpost_getpc7317)>>32
	s_setpc_b64 s[14:15]
.LBB1_7466:
	s_or_b64 exec, exec, s[6:7]
	s_and_saveexec_b64 s[6:7], s[4:5]
	s_cbranch_execz .LBB1_7468
.LBB1_7467:
	v_bfe_u32 v2, v7, 8, 3
	v_ffbh_u32_e32 v13, v2
	v_min_u32_e32 v13, 32, v13
	v_lshrrev_b16_e32 v12, 3, v6
	v_subrev_u32_e32 v14, 28, v13
	v_and_b32_e32 v12, 15, v12
	v_lshlrev_b32_e32 v6, v14, v6
	v_sub_u32_e32 v13, 29, v13
	v_and_b32_e32 v6, 7, v6
	v_cmp_eq_u16_e32 vcc, 0, v12
	v_cndmask_b32_e32 v2, v2, v6, vcc
	v_cndmask_b32_e32 v6, v12, v13, vcc
	v_lshlrev_b32_e32 v12, 16, v7
	v_mov_b32_e32 v13, 0x3b800000
	v_lshlrev_b32_e32 v2, 20, v2
	v_and_b32_e32 v12, 0x80000000, v12
	v_lshl_add_u32 v6, v6, 23, v13
	v_or3_b32 v2, v12, v6, v2
.LBB1_7468:
	s_or_b64 exec, exec, s[6:7]
	v_lshrrev_b32_e32 v6, 8, v3
	s_movk_i32 s4, 0x7f
	v_cmp_gt_i16_sdwa s[6:7], v6, s4 src0_sel:BYTE_0 src1_sel:DWORD
	s_mov_b64 s[4:5], 0
                                        ; implicit-def: $sgpr10
	s_and_saveexec_b64 s[8:9], s[6:7]
	s_xor_b64 s[6:7], exec, s[8:9]
	s_cbranch_execz .LBB1_7469
; %bb.43309:
	s_getpc_b64 s[14:15]
.Lpost_getpc7318:
	s_add_u32 s14, s14, (.LBB1_21805-.Lpost_getpc7318)&4294967295
	s_addc_u32 s15, s15, (.LBB1_21805-.Lpost_getpc7318)>>32
	s_setpc_b64 s[14:15]
.LBB1_7469:
	s_or_saveexec_b64 s[6:7], s[6:7]
	v_mov_b32_e32 v12, s10
	s_xor_b64 exec, exec, s[6:7]
	s_cbranch_execz .LBB1_7470
; %bb.43311:
	s_getpc_b64 s[14:15]
.Lpost_getpc7319:
	s_add_u32 s14, s14, (.LBB1_21808-.Lpost_getpc7319)&4294967295
	s_addc_u32 s15, s15, (.LBB1_21808-.Lpost_getpc7319)>>32
	s_setpc_b64 s[14:15]
.LBB1_7470:
	s_or_b64 exec, exec, s[6:7]
	s_and_saveexec_b64 s[6:7], s[4:5]
	s_cbranch_execz .LBB1_7472
.LBB1_7471:
	v_bfe_u32 v12, v3, 8, 3
	v_ffbh_u32_e32 v14, v12
	v_min_u32_e32 v14, 32, v14
	v_lshrrev_b16_e32 v13, 3, v6
	v_subrev_u32_e32 v15, 28, v14
	v_and_b32_e32 v13, 15, v13
	v_lshlrev_b32_e32 v6, v15, v6
	v_sub_u32_e32 v14, 29, v14
	v_and_b32_e32 v6, 7, v6
	v_cmp_eq_u16_e32 vcc, 0, v13
	v_cndmask_b32_e32 v6, v12, v6, vcc
	v_cndmask_b32_e32 v12, v13, v14, vcc
	v_lshlrev_b32_e32 v13, 16, v3
	v_mov_b32_e32 v14, 0x3b800000
	v_lshlrev_b32_e32 v6, 20, v6
	v_and_b32_e32 v13, 0x80000000, v13
	v_lshl_add_u32 v12, v12, 23, v14
	v_or3_b32 v12, v13, v12, v6
.LBB1_7472:
	s_or_b64 exec, exec, s[6:7]
	s_nop 0
	v_mfma_f32_16x16x4f32 a[0:3], v2, v12, a[0:3]
	s_movk_i32 s4, 0xff
	v_and_b32_sdwa v6, v7, s4 dst_sel:DWORD dst_unused:UNUSED_PAD src0_sel:WORD_1 src1_sel:DWORD
	s_movk_i32 s4, 0x7f
	v_cmp_lt_i16_e32 vcc, s4, v6
	s_mov_b64 s[4:5], 0
                                        ; implicit-def: $sgpr10
	s_and_saveexec_b64 s[6:7], vcc
	s_xor_b64 s[6:7], exec, s[6:7]
	s_cbranch_execz .LBB1_7473
; %bb.43313:
	s_getpc_b64 s[14:15]
.Lpost_getpc7320:
	s_add_u32 s14, s14, (.LBB1_21809-.Lpost_getpc7320)&4294967295
	s_addc_u32 s15, s15, (.LBB1_21809-.Lpost_getpc7320)>>32
	s_setpc_b64 s[14:15]
.LBB1_7473:
	s_or_saveexec_b64 s[6:7], s[6:7]
	v_mov_b32_e32 v2, s10
	s_xor_b64 exec, exec, s[6:7]
	s_cbranch_execz .LBB1_7474
; %bb.43315:
	s_getpc_b64 s[14:15]
.Lpost_getpc7321:
	s_add_u32 s14, s14, (.LBB1_21812-.Lpost_getpc7321)&4294967295
	s_addc_u32 s15, s15, (.LBB1_21812-.Lpost_getpc7321)>>32
	s_setpc_b64 s[14:15]
.LBB1_7474:
	s_or_b64 exec, exec, s[6:7]
	s_and_saveexec_b64 s[6:7], s[4:5]
	s_cbranch_execz .LBB1_7476
.LBB1_7475:
	v_bfe_u32 v2, v7, 16, 3
	v_ffbh_u32_e32 v13, v2
	v_min_u32_e32 v13, 32, v13
	v_lshrrev_b32_e32 v6, 19, v7
	v_subrev_u32_e32 v14, 28, v13
	v_and_b32_e32 v6, 15, v6
	v_lshlrev_b32_sdwa v14, v14, v7 dst_sel:DWORD dst_unused:UNUSED_PAD src0_sel:DWORD src1_sel:WORD_1
	v_bfe_u32 v12, v7, 19, 4
	v_sub_u32_e32 v13, 29, v13
	v_and_b32_e32 v14, 7, v14
	v_cmp_eq_u16_e32 vcc, 0, v6
	v_cndmask_b32_e32 v2, v2, v14, vcc
	v_cndmask_b32_e32 v6, v12, v13, vcc
	v_lshlrev_b32_e32 v12, 8, v7
	v_mov_b32_e32 v13, 0x3b800000
	v_lshlrev_b32_e32 v2, 20, v2
	v_and_b32_e32 v12, 0x80000000, v12
	v_lshl_add_u32 v6, v6, 23, v13
	v_or3_b32 v2, v12, v6, v2
.LBB1_7476:
	s_or_b64 exec, exec, s[6:7]
	s_movk_i32 s4, 0xff
	v_and_b32_sdwa v6, v3, s4 dst_sel:DWORD dst_unused:UNUSED_PAD src0_sel:WORD_1 src1_sel:DWORD
	s_movk_i32 s4, 0x7f
	v_cmp_lt_i16_e32 vcc, s4, v6
	s_mov_b64 s[4:5], 0
                                        ; implicit-def: $sgpr10
	s_and_saveexec_b64 s[6:7], vcc
	s_xor_b64 s[6:7], exec, s[6:7]
	s_cbranch_execz .LBB1_7477
; %bb.43317:
	s_getpc_b64 s[14:15]
.Lpost_getpc7322:
	s_add_u32 s14, s14, (.LBB1_21813-.Lpost_getpc7322)&4294967295
	s_addc_u32 s15, s15, (.LBB1_21813-.Lpost_getpc7322)>>32
	s_setpc_b64 s[14:15]
.LBB1_7477:
	s_or_saveexec_b64 s[6:7], s[6:7]
	v_mov_b32_e32 v12, s10
	s_xor_b64 exec, exec, s[6:7]
	s_cbranch_execz .LBB1_7478
; %bb.43319:
	s_getpc_b64 s[14:15]
.Lpost_getpc7323:
	s_add_u32 s14, s14, (.LBB1_21816-.Lpost_getpc7323)&4294967295
	s_addc_u32 s15, s15, (.LBB1_21816-.Lpost_getpc7323)>>32
	s_setpc_b64 s[14:15]
.LBB1_7478:
	s_or_b64 exec, exec, s[6:7]
	s_and_saveexec_b64 s[6:7], s[4:5]
	s_cbranch_execz .LBB1_7480
.LBB1_7479:
	v_bfe_u32 v6, v3, 16, 3
	v_ffbh_u32_e32 v14, v6
	v_min_u32_e32 v14, 32, v14
	v_lshrrev_b32_e32 v12, 19, v3
	v_subrev_u32_e32 v15, 28, v14
	v_and_b32_e32 v12, 15, v12
	v_lshlrev_b32_sdwa v15, v15, v3 dst_sel:DWORD dst_unused:UNUSED_PAD src0_sel:DWORD src1_sel:WORD_1
	v_bfe_u32 v13, v3, 19, 4
	v_sub_u32_e32 v14, 29, v14
	v_and_b32_e32 v15, 7, v15
	v_cmp_eq_u16_e32 vcc, 0, v12
	v_cndmask_b32_e32 v6, v6, v15, vcc
	v_cndmask_b32_e32 v12, v13, v14, vcc
	v_lshlrev_b32_e32 v13, 8, v3
	v_mov_b32_e32 v14, 0x3b800000
	v_lshlrev_b32_e32 v6, 20, v6
	v_and_b32_e32 v13, 0x80000000, v13
	v_lshl_add_u32 v12, v12, 23, v14
	v_or3_b32 v12, v13, v12, v6
.LBB1_7480:
	s_or_b64 exec, exec, s[6:7]
	s_nop 0
	v_mfma_f32_16x16x4f32 a[0:3], v2, v12, a[0:3]
	s_movk_i32 s4, 0x7f
	v_cmp_gt_i16_sdwa s[6:7], v7, s4 src0_sel:BYTE_3 src1_sel:DWORD
	s_mov_b64 s[4:5], 0
                                        ; implicit-def: $sgpr10
	s_and_saveexec_b64 s[8:9], s[6:7]
	s_xor_b64 s[6:7], exec, s[8:9]
	s_cbranch_execz .LBB1_7481
; %bb.43321:
	s_getpc_b64 s[14:15]
.Lpost_getpc7324:
	s_add_u32 s14, s14, (.LBB1_21817-.Lpost_getpc7324)&4294967295
	s_addc_u32 s15, s15, (.LBB1_21817-.Lpost_getpc7324)>>32
	s_setpc_b64 s[14:15]
.LBB1_7481:
	s_or_saveexec_b64 s[6:7], s[6:7]
	v_mov_b32_e32 v2, s10
	s_xor_b64 exec, exec, s[6:7]
	s_cbranch_execz .LBB1_7482
; %bb.43323:
	s_getpc_b64 s[14:15]
.Lpost_getpc7325:
	s_add_u32 s14, s14, (.LBB1_21820-.Lpost_getpc7325)&4294967295
	s_addc_u32 s15, s15, (.LBB1_21820-.Lpost_getpc7325)>>32
	s_setpc_b64 s[14:15]
.LBB1_7482:
	s_or_b64 exec, exec, s[6:7]
	s_and_saveexec_b64 s[6:7], s[4:5]
	s_cbranch_execz .LBB1_7484
.LBB1_7483:
	v_bfe_u32 v2, v7, 24, 3
	v_ffbh_u32_e32 v14, v2
	v_min_u32_e32 v14, 32, v14
	v_lshrrev_b32_e32 v12, 27, v7
	v_subrev_u32_e32 v15, 28, v14
	v_and_b32_e32 v6, 0x80000000, v7
	v_and_b32_e32 v12, 15, v12
	v_bfe_u32 v13, v7, 27, 4
	v_lshlrev_b32_sdwa v7, v15, v7 dst_sel:DWORD dst_unused:UNUSED_PAD src0_sel:DWORD src1_sel:BYTE_3
	v_sub_u32_e32 v14, 29, v14
	v_and_b32_e32 v7, 7, v7
	v_cmp_eq_u16_e32 vcc, 0, v12
	v_cndmask_b32_e32 v2, v2, v7, vcc
	v_cndmask_b32_e32 v7, v13, v14, vcc
	v_mov_b32_e32 v12, 0x3b800000
	v_lshlrev_b32_e32 v2, 20, v2
	v_lshl_add_u32 v7, v7, 23, v12
	v_or3_b32 v2, v6, v7, v2
.LBB1_7484:
	s_or_b64 exec, exec, s[6:7]
	s_movk_i32 s4, 0x7f
	v_cmp_gt_i16_sdwa s[6:7], v3, s4 src0_sel:BYTE_3 src1_sel:DWORD
	s_mov_b64 s[4:5], 0
                                        ; implicit-def: $sgpr10
	s_and_saveexec_b64 s[8:9], s[6:7]
	s_xor_b64 s[6:7], exec, s[8:9]
	s_cbranch_execz .LBB1_7485
; %bb.43325:
	s_getpc_b64 s[14:15]
.Lpost_getpc7326:
	s_add_u32 s14, s14, (.LBB1_21821-.Lpost_getpc7326)&4294967295
	s_addc_u32 s15, s15, (.LBB1_21821-.Lpost_getpc7326)>>32
	s_setpc_b64 s[14:15]
.LBB1_7485:
	s_or_saveexec_b64 s[6:7], s[6:7]
	v_mov_b32_e32 v6, s10
	s_xor_b64 exec, exec, s[6:7]
	s_cbranch_execz .LBB1_7486
; %bb.43327:
	s_getpc_b64 s[14:15]
.Lpost_getpc7327:
	s_add_u32 s14, s14, (.LBB1_21824-.Lpost_getpc7327)&4294967295
	s_addc_u32 s15, s15, (.LBB1_21824-.Lpost_getpc7327)>>32
	s_setpc_b64 s[14:15]
.LBB1_7486:
	s_or_b64 exec, exec, s[6:7]
	s_and_saveexec_b64 s[6:7], s[4:5]
	s_cbranch_execz .LBB1_7488
.LBB1_7487:
	v_bfe_u32 v6, v3, 24, 3
	v_ffbh_u32_e32 v14, v6
	v_min_u32_e32 v14, 32, v14
	v_lshrrev_b32_e32 v12, 27, v3
	v_subrev_u32_e32 v15, 28, v14
	v_and_b32_e32 v7, 0x80000000, v3
	v_and_b32_e32 v12, 15, v12
	v_bfe_u32 v13, v3, 27, 4
	v_lshlrev_b32_sdwa v3, v15, v3 dst_sel:DWORD dst_unused:UNUSED_PAD src0_sel:DWORD src1_sel:BYTE_3
	v_sub_u32_e32 v14, 29, v14
	v_and_b32_e32 v3, 7, v3
	v_cmp_eq_u16_e32 vcc, 0, v12
	v_cndmask_b32_e32 v3, v6, v3, vcc
	v_cndmask_b32_e32 v6, v13, v14, vcc
	v_mov_b32_e32 v12, 0x3b800000
	v_lshlrev_b32_e32 v3, 20, v3
	v_lshl_add_u32 v6, v6, 23, v12
	v_or3_b32 v6, v7, v6, v3
.LBB1_7488:
	s_or_b64 exec, exec, s[6:7]
	s_nop 0
	v_mfma_f32_16x16x4f32 a[0:3], v2, v6, a[0:3]
	s_movk_i32 s4, 0x7f
	v_cmp_gt_i16_sdwa s[6:7], v8, s4 src0_sel:BYTE_0 src1_sel:DWORD
	s_mov_b64 s[4:5], 0
                                        ; implicit-def: $sgpr10
	s_and_saveexec_b64 s[8:9], s[6:7]
	s_xor_b64 s[6:7], exec, s[8:9]
	s_cbranch_execz .LBB1_7489
; %bb.43329:
	s_getpc_b64 s[14:15]
.Lpost_getpc7328:
	s_add_u32 s14, s14, (.LBB1_21825-.Lpost_getpc7328)&4294967295
	s_addc_u32 s15, s15, (.LBB1_21825-.Lpost_getpc7328)>>32
	s_setpc_b64 s[14:15]
.LBB1_7489:
	s_or_saveexec_b64 s[6:7], s[6:7]
	v_mov_b32_e32 v2, s10
	s_xor_b64 exec, exec, s[6:7]
	s_cbranch_execz .LBB1_7490
; %bb.43331:
	s_getpc_b64 s[14:15]
.Lpost_getpc7329:
	s_add_u32 s14, s14, (.LBB1_21828-.Lpost_getpc7329)&4294967295
	s_addc_u32 s15, s15, (.LBB1_21828-.Lpost_getpc7329)>>32
	s_setpc_b64 s[14:15]
.LBB1_7490:
	s_or_b64 exec, exec, s[6:7]
	s_and_saveexec_b64 s[6:7], s[4:5]
	s_cbranch_execz .LBB1_7492
.LBB1_7491:
	v_and_b32_e32 v2, 7, v8
	v_ffbh_u32_e32 v6, v2
	v_min_u32_e32 v6, 32, v6
	v_lshrrev_b16_e32 v3, 3, v8
	v_subrev_u32_e32 v7, 28, v6
	v_and_b32_e32 v3, 15, v3
	v_lshlrev_b32_e32 v7, v7, v8
	v_sub_u32_e32 v6, 29, v6
	v_and_b32_e32 v7, 7, v7
	v_cmp_eq_u16_e32 vcc, 0, v3
	v_cndmask_b32_e32 v2, v2, v7, vcc
	v_cndmask_b32_e32 v3, v3, v6, vcc
	v_lshlrev_b32_e32 v6, 24, v8
	v_mov_b32_e32 v7, 0x3b800000
	v_lshlrev_b32_e32 v2, 20, v2
	v_and_b32_e32 v6, 0x80000000, v6
	v_lshl_add_u32 v3, v3, 23, v7
	v_or3_b32 v2, v6, v3, v2
.LBB1_7492:
	s_or_b64 exec, exec, s[6:7]
	s_movk_i32 s4, 0x7f
	v_cmp_gt_i16_sdwa s[6:7], v4, s4 src0_sel:BYTE_0 src1_sel:DWORD
	s_mov_b64 s[4:5], 0
                                        ; implicit-def: $sgpr10
	s_and_saveexec_b64 s[8:9], s[6:7]
	s_xor_b64 s[6:7], exec, s[8:9]
	s_cbranch_execz .LBB1_7493
; %bb.43333:
	s_getpc_b64 s[14:15]
.Lpost_getpc7330:
	s_add_u32 s14, s14, (.LBB1_21829-.Lpost_getpc7330)&4294967295
	s_addc_u32 s15, s15, (.LBB1_21829-.Lpost_getpc7330)>>32
	s_setpc_b64 s[14:15]
.LBB1_7493:
	s_or_saveexec_b64 s[6:7], s[6:7]
	v_mov_b32_e32 v3, s10
	s_xor_b64 exec, exec, s[6:7]
	s_cbranch_execz .LBB1_7494
; %bb.43335:
	s_getpc_b64 s[14:15]
.Lpost_getpc7331:
	s_add_u32 s14, s14, (.LBB1_21832-.Lpost_getpc7331)&4294967295
	s_addc_u32 s15, s15, (.LBB1_21832-.Lpost_getpc7331)>>32
	s_setpc_b64 s[14:15]
.LBB1_7494:
	s_or_b64 exec, exec, s[6:7]
	s_and_saveexec_b64 s[6:7], s[4:5]
	s_cbranch_execz .LBB1_7496
.LBB1_7495:
	v_and_b32_e32 v3, 7, v4
	v_ffbh_u32_e32 v7, v3
	v_min_u32_e32 v7, 32, v7
	v_lshrrev_b16_e32 v6, 3, v4
	v_subrev_u32_e32 v12, 28, v7
	v_and_b32_e32 v6, 15, v6
	v_lshlrev_b32_e32 v12, v12, v4
	v_sub_u32_e32 v7, 29, v7
	v_and_b32_e32 v12, 7, v12
	v_cmp_eq_u16_e32 vcc, 0, v6
	v_cndmask_b32_e32 v3, v3, v12, vcc
	v_cndmask_b32_e32 v6, v6, v7, vcc
	v_lshlrev_b32_e32 v7, 24, v4
	v_mov_b32_e32 v12, 0x3b800000
	v_lshlrev_b32_e32 v3, 20, v3
	v_and_b32_e32 v7, 0x80000000, v7
	v_lshl_add_u32 v6, v6, 23, v12
	v_or3_b32 v3, v7, v6, v3
.LBB1_7496:
	s_or_b64 exec, exec, s[6:7]
	s_nop 0
	v_mfma_f32_16x16x4f32 a[0:3], v2, v3, a[0:3]
	v_lshrrev_b32_e32 v3, 8, v8
	s_movk_i32 s4, 0x7f
	v_cmp_gt_i16_sdwa s[6:7], v3, s4 src0_sel:BYTE_0 src1_sel:DWORD
	s_mov_b64 s[4:5], 0
                                        ; implicit-def: $sgpr10
	s_and_saveexec_b64 s[8:9], s[6:7]
	s_xor_b64 s[6:7], exec, s[8:9]
	s_cbranch_execz .LBB1_7497
; %bb.43337:
	s_getpc_b64 s[14:15]
.Lpost_getpc7332:
	s_add_u32 s14, s14, (.LBB1_21833-.Lpost_getpc7332)&4294967295
	s_addc_u32 s15, s15, (.LBB1_21833-.Lpost_getpc7332)>>32
	s_setpc_b64 s[14:15]
.LBB1_7497:
	s_or_saveexec_b64 s[6:7], s[6:7]
	v_mov_b32_e32 v2, s10
	s_xor_b64 exec, exec, s[6:7]
	s_cbranch_execz .LBB1_7498
; %bb.43339:
	s_getpc_b64 s[14:15]
.Lpost_getpc7333:
	s_add_u32 s14, s14, (.LBB1_21836-.Lpost_getpc7333)&4294967295
	s_addc_u32 s15, s15, (.LBB1_21836-.Lpost_getpc7333)>>32
	s_setpc_b64 s[14:15]
.LBB1_7498:
	s_or_b64 exec, exec, s[6:7]
	s_and_saveexec_b64 s[6:7], s[4:5]
	s_cbranch_execz .LBB1_7500
.LBB1_7499:
	v_bfe_u32 v2, v8, 8, 3
	v_ffbh_u32_e32 v7, v2
	v_min_u32_e32 v7, 32, v7
	v_lshrrev_b16_e32 v6, 3, v3
	v_subrev_u32_e32 v12, 28, v7
	v_and_b32_e32 v6, 15, v6
	v_lshlrev_b32_e32 v3, v12, v3
	v_sub_u32_e32 v7, 29, v7
	v_and_b32_e32 v3, 7, v3
	v_cmp_eq_u16_e32 vcc, 0, v6
	v_cndmask_b32_e32 v2, v2, v3, vcc
	v_cndmask_b32_e32 v3, v6, v7, vcc
	v_lshlrev_b32_e32 v6, 16, v8
	v_mov_b32_e32 v7, 0x3b800000
	v_lshlrev_b32_e32 v2, 20, v2
	v_and_b32_e32 v6, 0x80000000, v6
	v_lshl_add_u32 v3, v3, 23, v7
	v_or3_b32 v2, v6, v3, v2
.LBB1_7500:
	s_or_b64 exec, exec, s[6:7]
	v_lshrrev_b32_e32 v3, 8, v4
	s_movk_i32 s4, 0x7f
	v_cmp_gt_i16_sdwa s[6:7], v3, s4 src0_sel:BYTE_0 src1_sel:DWORD
	s_mov_b64 s[4:5], 0
                                        ; implicit-def: $sgpr10
	s_and_saveexec_b64 s[8:9], s[6:7]
	s_xor_b64 s[6:7], exec, s[8:9]
	s_cbranch_execz .LBB1_7501
; %bb.43341:
	s_getpc_b64 s[14:15]
.Lpost_getpc7334:
	s_add_u32 s14, s14, (.LBB1_21837-.Lpost_getpc7334)&4294967295
	s_addc_u32 s15, s15, (.LBB1_21837-.Lpost_getpc7334)>>32
	s_setpc_b64 s[14:15]
.LBB1_7501:
	s_or_saveexec_b64 s[6:7], s[6:7]
	v_mov_b32_e32 v6, s10
	s_xor_b64 exec, exec, s[6:7]
	s_cbranch_execz .LBB1_7502
; %bb.43343:
	s_getpc_b64 s[14:15]
.Lpost_getpc7335:
	s_add_u32 s14, s14, (.LBB1_21840-.Lpost_getpc7335)&4294967295
	s_addc_u32 s15, s15, (.LBB1_21840-.Lpost_getpc7335)>>32
	s_setpc_b64 s[14:15]
.LBB1_7502:
	s_or_b64 exec, exec, s[6:7]
	s_and_saveexec_b64 s[6:7], s[4:5]
	s_cbranch_execz .LBB1_7504
.LBB1_7503:
	v_bfe_u32 v6, v4, 8, 3
	v_ffbh_u32_e32 v12, v6
	v_min_u32_e32 v12, 32, v12
	v_lshrrev_b16_e32 v7, 3, v3
	v_subrev_u32_e32 v13, 28, v12
	v_and_b32_e32 v7, 15, v7
	v_lshlrev_b32_e32 v3, v13, v3
	v_sub_u32_e32 v12, 29, v12
	v_and_b32_e32 v3, 7, v3
	v_cmp_eq_u16_e32 vcc, 0, v7
	v_cndmask_b32_e32 v3, v6, v3, vcc
	v_cndmask_b32_e32 v6, v7, v12, vcc
	v_lshlrev_b32_e32 v7, 16, v4
	v_mov_b32_e32 v12, 0x3b800000
	v_lshlrev_b32_e32 v3, 20, v3
	v_and_b32_e32 v7, 0x80000000, v7
	v_lshl_add_u32 v6, v6, 23, v12
	v_or3_b32 v6, v7, v6, v3
.LBB1_7504:
	s_or_b64 exec, exec, s[6:7]
	s_nop 0
	v_mfma_f32_16x16x4f32 a[0:3], v2, v6, a[0:3]
	s_movk_i32 s4, 0xff
	v_and_b32_sdwa v3, v8, s4 dst_sel:DWORD dst_unused:UNUSED_PAD src0_sel:WORD_1 src1_sel:DWORD
	s_movk_i32 s4, 0x7f
	v_cmp_lt_i16_e32 vcc, s4, v3
	s_mov_b64 s[4:5], 0
                                        ; implicit-def: $sgpr10
	s_and_saveexec_b64 s[6:7], vcc
	s_xor_b64 s[6:7], exec, s[6:7]
	s_cbranch_execz .LBB1_7505
; %bb.43345:
	s_getpc_b64 s[14:15]
.Lpost_getpc7336:
	s_add_u32 s14, s14, (.LBB1_21841-.Lpost_getpc7336)&4294967295
	s_addc_u32 s15, s15, (.LBB1_21841-.Lpost_getpc7336)>>32
	s_setpc_b64 s[14:15]
.LBB1_7505:
	s_or_saveexec_b64 s[6:7], s[6:7]
	v_mov_b32_e32 v2, s10
	s_xor_b64 exec, exec, s[6:7]
	s_cbranch_execz .LBB1_7506
; %bb.43347:
	s_getpc_b64 s[14:15]
.Lpost_getpc7337:
	s_add_u32 s14, s14, (.LBB1_21844-.Lpost_getpc7337)&4294967295
	s_addc_u32 s15, s15, (.LBB1_21844-.Lpost_getpc7337)>>32
	s_setpc_b64 s[14:15]
.LBB1_7506:
	s_or_b64 exec, exec, s[6:7]
	s_and_saveexec_b64 s[6:7], s[4:5]
	s_cbranch_execz .LBB1_7508
.LBB1_7507:
	v_bfe_u32 v2, v8, 16, 3
	v_ffbh_u32_e32 v7, v2
	v_min_u32_e32 v7, 32, v7
	v_lshrrev_b32_e32 v3, 19, v8
	v_subrev_u32_e32 v12, 28, v7
	v_and_b32_e32 v3, 15, v3
	v_lshlrev_b32_sdwa v12, v12, v8 dst_sel:DWORD dst_unused:UNUSED_PAD src0_sel:DWORD src1_sel:WORD_1
	v_bfe_u32 v6, v8, 19, 4
	v_sub_u32_e32 v7, 29, v7
	v_and_b32_e32 v12, 7, v12
	v_cmp_eq_u16_e32 vcc, 0, v3
	v_cndmask_b32_e32 v2, v2, v12, vcc
	v_cndmask_b32_e32 v3, v6, v7, vcc
	v_lshlrev_b32_e32 v6, 8, v8
	v_mov_b32_e32 v7, 0x3b800000
	v_lshlrev_b32_e32 v2, 20, v2
	v_and_b32_e32 v6, 0x80000000, v6
	v_lshl_add_u32 v3, v3, 23, v7
	v_or3_b32 v2, v6, v3, v2
.LBB1_7508:
	s_or_b64 exec, exec, s[6:7]
	s_movk_i32 s4, 0xff
	v_and_b32_sdwa v3, v4, s4 dst_sel:DWORD dst_unused:UNUSED_PAD src0_sel:WORD_1 src1_sel:DWORD
	s_movk_i32 s4, 0x7f
	v_cmp_lt_i16_e32 vcc, s4, v3
	s_mov_b64 s[4:5], 0
                                        ; implicit-def: $sgpr10
	s_and_saveexec_b64 s[6:7], vcc
	s_xor_b64 s[6:7], exec, s[6:7]
	s_cbranch_execz .LBB1_7509
; %bb.43349:
	s_getpc_b64 s[14:15]
.Lpost_getpc7338:
	s_add_u32 s14, s14, (.LBB1_21845-.Lpost_getpc7338)&4294967295
	s_addc_u32 s15, s15, (.LBB1_21845-.Lpost_getpc7338)>>32
	s_setpc_b64 s[14:15]
.LBB1_7509:
	s_or_saveexec_b64 s[6:7], s[6:7]
	v_mov_b32_e32 v6, s10
	s_xor_b64 exec, exec, s[6:7]
	s_cbranch_execz .LBB1_7510
; %bb.43351:
	s_getpc_b64 s[14:15]
.Lpost_getpc7339:
	s_add_u32 s14, s14, (.LBB1_21848-.Lpost_getpc7339)&4294967295
	s_addc_u32 s15, s15, (.LBB1_21848-.Lpost_getpc7339)>>32
	s_setpc_b64 s[14:15]
.LBB1_7510:
	s_or_b64 exec, exec, s[6:7]
	s_and_saveexec_b64 s[6:7], s[4:5]
	s_cbranch_execz .LBB1_7512
.LBB1_7511:
	v_bfe_u32 v3, v4, 16, 3
	v_ffbh_u32_e32 v12, v3
	v_min_u32_e32 v12, 32, v12
	v_lshrrev_b32_e32 v6, 19, v4
	v_subrev_u32_e32 v13, 28, v12
	v_and_b32_e32 v6, 15, v6
	v_lshlrev_b32_sdwa v13, v13, v4 dst_sel:DWORD dst_unused:UNUSED_PAD src0_sel:DWORD src1_sel:WORD_1
	v_bfe_u32 v7, v4, 19, 4
	v_sub_u32_e32 v12, 29, v12
	v_and_b32_e32 v13, 7, v13
	v_cmp_eq_u16_e32 vcc, 0, v6
	v_cndmask_b32_e32 v3, v3, v13, vcc
	v_cndmask_b32_e32 v6, v7, v12, vcc
	v_lshlrev_b32_e32 v7, 8, v4
	v_mov_b32_e32 v12, 0x3b800000
	v_lshlrev_b32_e32 v3, 20, v3
	v_and_b32_e32 v7, 0x80000000, v7
	v_lshl_add_u32 v6, v6, 23, v12
	v_or3_b32 v6, v7, v6, v3
.LBB1_7512:
	s_or_b64 exec, exec, s[6:7]
	s_nop 0
	v_mfma_f32_16x16x4f32 a[0:3], v2, v6, a[0:3]
	s_movk_i32 s4, 0x7f
	v_cmp_gt_i16_sdwa s[6:7], v8, s4 src0_sel:BYTE_3 src1_sel:DWORD
	s_mov_b64 s[4:5], 0
                                        ; implicit-def: $sgpr10
	s_and_saveexec_b64 s[8:9], s[6:7]
	s_xor_b64 s[6:7], exec, s[8:9]
	s_cbranch_execz .LBB1_7513
; %bb.43353:
	s_getpc_b64 s[14:15]
.Lpost_getpc7340:
	s_add_u32 s14, s14, (.LBB1_21849-.Lpost_getpc7340)&4294967295
	s_addc_u32 s15, s15, (.LBB1_21849-.Lpost_getpc7340)>>32
	s_setpc_b64 s[14:15]
.LBB1_7513:
	s_or_saveexec_b64 s[6:7], s[6:7]
	v_mov_b32_e32 v2, s10
	s_xor_b64 exec, exec, s[6:7]
	s_cbranch_execz .LBB1_7514
; %bb.43355:
	s_getpc_b64 s[14:15]
.Lpost_getpc7341:
	s_add_u32 s14, s14, (.LBB1_21852-.Lpost_getpc7341)&4294967295
	s_addc_u32 s15, s15, (.LBB1_21852-.Lpost_getpc7341)>>32
	s_setpc_b64 s[14:15]
.LBB1_7514:
	s_or_b64 exec, exec, s[6:7]
	s_and_saveexec_b64 s[6:7], s[4:5]
	s_cbranch_execz .LBB1_7516
.LBB1_7515:
	v_bfe_u32 v2, v8, 24, 3
	v_ffbh_u32_e32 v12, v2
	v_min_u32_e32 v12, 32, v12
	v_lshrrev_b32_e32 v6, 27, v8
	v_subrev_u32_e32 v13, 28, v12
	v_and_b32_e32 v3, 0x80000000, v8
	v_and_b32_e32 v6, 15, v6
	v_bfe_u32 v7, v8, 27, 4
	v_lshlrev_b32_sdwa v8, v13, v8 dst_sel:DWORD dst_unused:UNUSED_PAD src0_sel:DWORD src1_sel:BYTE_3
	v_sub_u32_e32 v12, 29, v12
	v_and_b32_e32 v8, 7, v8
	v_cmp_eq_u16_e32 vcc, 0, v6
	v_cndmask_b32_e32 v2, v2, v8, vcc
	v_cndmask_b32_e32 v6, v7, v12, vcc
	v_mov_b32_e32 v7, 0x3b800000
	v_lshlrev_b32_e32 v2, 20, v2
	v_lshl_add_u32 v6, v6, 23, v7
	v_or3_b32 v2, v3, v6, v2
.LBB1_7516:
	s_or_b64 exec, exec, s[6:7]
	s_movk_i32 s4, 0x7f
	v_cmp_gt_i16_sdwa s[6:7], v4, s4 src0_sel:BYTE_3 src1_sel:DWORD
	s_mov_b64 s[4:5], 0
                                        ; implicit-def: $sgpr10
	s_and_saveexec_b64 s[8:9], s[6:7]
	s_xor_b64 s[6:7], exec, s[8:9]
	s_cbranch_execz .LBB1_7517
; %bb.43357:
	s_getpc_b64 s[14:15]
.Lpost_getpc7342:
	s_add_u32 s14, s14, (.LBB1_21853-.Lpost_getpc7342)&4294967295
	s_addc_u32 s15, s15, (.LBB1_21853-.Lpost_getpc7342)>>32
	s_setpc_b64 s[14:15]
.LBB1_7517:
	s_or_saveexec_b64 s[6:7], s[6:7]
	v_mov_b32_e32 v3, s10
	s_xor_b64 exec, exec, s[6:7]
	s_cbranch_execz .LBB1_7518
; %bb.43359:
	s_getpc_b64 s[14:15]
.Lpost_getpc7343:
	s_add_u32 s14, s14, (.LBB1_21856-.Lpost_getpc7343)&4294967295
	s_addc_u32 s15, s15, (.LBB1_21856-.Lpost_getpc7343)>>32
	s_setpc_b64 s[14:15]
.LBB1_7518:
	s_or_b64 exec, exec, s[6:7]
	s_and_saveexec_b64 s[6:7], s[4:5]
	s_cbranch_execz .LBB1_7520
.LBB1_7519:
	v_bfe_u32 v3, v4, 24, 3
	v_ffbh_u32_e32 v12, v3
	v_min_u32_e32 v12, 32, v12
	v_lshrrev_b32_e32 v7, 27, v4
	v_subrev_u32_e32 v13, 28, v12
	v_and_b32_e32 v6, 0x80000000, v4
	v_and_b32_e32 v7, 15, v7
	v_bfe_u32 v8, v4, 27, 4
	v_lshlrev_b32_sdwa v4, v13, v4 dst_sel:DWORD dst_unused:UNUSED_PAD src0_sel:DWORD src1_sel:BYTE_3
	v_sub_u32_e32 v12, 29, v12
	v_and_b32_e32 v4, 7, v4
	v_cmp_eq_u16_e32 vcc, 0, v7
	v_cndmask_b32_e32 v3, v3, v4, vcc
	v_cndmask_b32_e32 v4, v8, v12, vcc
	v_mov_b32_e32 v7, 0x3b800000
	v_lshlrev_b32_e32 v3, 20, v3
	v_lshl_add_u32 v4, v4, 23, v7
	v_or3_b32 v3, v6, v4, v3
.LBB1_7520:
	s_or_b64 exec, exec, s[6:7]
	s_nop 0
	v_mfma_f32_16x16x4f32 a[0:3], v2, v3, a[0:3]
	s_movk_i32 s4, 0x7f
	v_cmp_gt_i16_sdwa s[6:7], v9, s4 src0_sel:BYTE_0 src1_sel:DWORD
	s_mov_b64 s[4:5], 0
                                        ; implicit-def: $sgpr10
	s_and_saveexec_b64 s[8:9], s[6:7]
	s_xor_b64 s[6:7], exec, s[8:9]
	s_cbranch_execz .LBB1_7521
; %bb.43361:
	s_getpc_b64 s[14:15]
.Lpost_getpc7344:
	s_add_u32 s14, s14, (.LBB1_21857-.Lpost_getpc7344)&4294967295
	s_addc_u32 s15, s15, (.LBB1_21857-.Lpost_getpc7344)>>32
	s_setpc_b64 s[14:15]
.LBB1_7521:
	s_or_saveexec_b64 s[6:7], s[6:7]
	v_mov_b32_e32 v2, s10
	s_xor_b64 exec, exec, s[6:7]
	s_cbranch_execz .LBB1_7522
; %bb.43363:
	s_getpc_b64 s[14:15]
.Lpost_getpc7345:
	s_add_u32 s14, s14, (.LBB1_21860-.Lpost_getpc7345)&4294967295
	s_addc_u32 s15, s15, (.LBB1_21860-.Lpost_getpc7345)>>32
	s_setpc_b64 s[14:15]
.LBB1_7522:
	s_or_b64 exec, exec, s[6:7]
	s_and_saveexec_b64 s[6:7], s[4:5]
	s_cbranch_execz .LBB1_7524
.LBB1_7523:
	v_mov_b32_e32 v2, 8
	v_and_b32_e32 v3, 7, v9
	v_lshrrev_b32_sdwa v2, v2, v9 dst_sel:BYTE_1 dst_unused:UNUSED_PAD src0_sel:DWORD src1_sel:DWORD
	v_ffbh_u32_e32 v4, v3
	v_or_b32_sdwa v2, v9, v2 dst_sel:DWORD dst_unused:UNUSED_PAD src0_sel:BYTE_0 src1_sel:DWORD
	v_min_u32_e32 v4, 32, v4
	v_lshrrev_b16_e32 v2, 3, v2
	v_subrev_u32_e32 v6, 28, v4
	v_and_b32_e32 v2, 15, v2
	v_lshlrev_b32_e32 v6, v6, v9
	v_sub_u32_e32 v4, 29, v4
	v_and_b32_e32 v6, 7, v6
	v_cmp_eq_u16_e32 vcc, 0, v2
	v_cndmask_b32_e32 v3, v3, v6, vcc
	v_cndmask_b32_e32 v2, v2, v4, vcc
	v_lshlrev_b32_e32 v4, 24, v9
	v_mov_b32_e32 v6, 0x3b800000
	v_lshlrev_b32_e32 v3, 20, v3
	v_and_b32_e32 v4, 0x80000000, v4
	v_lshl_add_u32 v2, v2, 23, v6
	v_or3_b32 v2, v4, v2, v3
.LBB1_7524:
	s_or_b64 exec, exec, s[6:7]
	s_movk_i32 s4, 0x7f
	v_cmp_gt_i16_sdwa s[6:7], v5, s4 src0_sel:BYTE_0 src1_sel:DWORD
	s_mov_b64 s[4:5], 0
                                        ; implicit-def: $sgpr10
	s_and_saveexec_b64 s[8:9], s[6:7]
	s_xor_b64 s[6:7], exec, s[8:9]
	s_cbranch_execz .LBB1_7525
; %bb.43365:
	s_getpc_b64 s[14:15]
.Lpost_getpc7346:
	s_add_u32 s14, s14, (.LBB1_21861-.Lpost_getpc7346)&4294967295
	s_addc_u32 s15, s15, (.LBB1_21861-.Lpost_getpc7346)>>32
	s_setpc_b64 s[14:15]
.LBB1_7525:
	s_or_saveexec_b64 s[6:7], s[6:7]
	v_mov_b32_e32 v3, s10
	s_xor_b64 exec, exec, s[6:7]
	s_cbranch_execz .LBB1_7526
; %bb.43367:
	s_getpc_b64 s[14:15]
.Lpost_getpc7347:
	s_add_u32 s14, s14, (.LBB1_21864-.Lpost_getpc7347)&4294967295
	s_addc_u32 s15, s15, (.LBB1_21864-.Lpost_getpc7347)>>32
	s_setpc_b64 s[14:15]
.LBB1_7526:
	s_or_b64 exec, exec, s[6:7]
	s_and_saveexec_b64 s[6:7], s[4:5]
	s_cbranch_execz .LBB1_7528
.LBB1_7527:
	v_mov_b32_e32 v3, 8
	v_and_b32_e32 v4, 7, v5
	v_lshrrev_b32_sdwa v3, v3, v5 dst_sel:BYTE_1 dst_unused:UNUSED_PAD src0_sel:DWORD src1_sel:DWORD
	v_ffbh_u32_e32 v6, v4
	v_or_b32_sdwa v3, v5, v3 dst_sel:DWORD dst_unused:UNUSED_PAD src0_sel:BYTE_0 src1_sel:DWORD
	v_min_u32_e32 v6, 32, v6
	v_lshrrev_b16_e32 v3, 3, v3
	v_subrev_u32_e32 v7, 28, v6
	v_and_b32_e32 v3, 15, v3
	v_lshlrev_b32_e32 v7, v7, v5
	v_sub_u32_e32 v6, 29, v6
	v_and_b32_e32 v7, 7, v7
	v_cmp_eq_u16_e32 vcc, 0, v3
	v_cndmask_b32_e32 v4, v4, v7, vcc
	v_cndmask_b32_e32 v3, v3, v6, vcc
	v_lshlrev_b32_e32 v6, 24, v5
	v_mov_b32_e32 v7, 0x3b800000
	v_lshlrev_b32_e32 v4, 20, v4
	v_and_b32_e32 v6, 0x80000000, v6
	v_lshl_add_u32 v3, v3, 23, v7
	v_or3_b32 v3, v6, v3, v4
.LBB1_7528:
	s_or_b64 exec, exec, s[6:7]
	s_nop 0
	v_mfma_f32_16x16x4f32 a[0:3], v2, v3, a[0:3]
	v_lshrrev_b32_e32 v3, 8, v9
	s_movk_i32 s4, 0x7f
	v_cmp_gt_i16_sdwa s[6:7], v3, s4 src0_sel:BYTE_0 src1_sel:DWORD
	s_mov_b64 s[4:5], 0
                                        ; implicit-def: $sgpr10
	s_and_saveexec_b64 s[8:9], s[6:7]
	s_xor_b64 s[6:7], exec, s[8:9]
	s_cbranch_execz .LBB1_7529
; %bb.43369:
	s_getpc_b64 s[14:15]
.Lpost_getpc7348:
	s_add_u32 s14, s14, (.LBB1_21865-.Lpost_getpc7348)&4294967295
	s_addc_u32 s15, s15, (.LBB1_21865-.Lpost_getpc7348)>>32
	s_setpc_b64 s[14:15]
.LBB1_7529:
	s_or_saveexec_b64 s[6:7], s[6:7]
	v_mov_b32_e32 v2, s10
	s_xor_b64 exec, exec, s[6:7]
	s_cbranch_execz .LBB1_7530
; %bb.43371:
	s_getpc_b64 s[14:15]
.Lpost_getpc7349:
	s_add_u32 s14, s14, (.LBB1_21868-.Lpost_getpc7349)&4294967295
	s_addc_u32 s15, s15, (.LBB1_21868-.Lpost_getpc7349)>>32
	s_setpc_b64 s[14:15]
.LBB1_7530:
	s_or_b64 exec, exec, s[6:7]
	s_and_saveexec_b64 s[6:7], s[4:5]
	s_cbranch_execz .LBB1_7532
.LBB1_7531:
	v_bfe_u32 v2, v9, 8, 3
	v_ffbh_u32_e32 v6, v2
	v_min_u32_e32 v6, 32, v6
	v_lshrrev_b16_e32 v4, 3, v3
	v_subrev_u32_e32 v7, 28, v6
	v_and_b32_e32 v4, 15, v4
	v_lshlrev_b32_e32 v3, v7, v3
	v_sub_u32_e32 v6, 29, v6
	v_and_b32_e32 v3, 7, v3
	v_cmp_eq_u16_e32 vcc, 0, v4
	v_cndmask_b32_e32 v2, v2, v3, vcc
	v_cndmask_b32_e32 v3, v4, v6, vcc
	v_lshlrev_b32_e32 v4, 16, v9
	v_mov_b32_e32 v6, 0x3b800000
	v_lshlrev_b32_e32 v2, 20, v2
	v_and_b32_e32 v4, 0x80000000, v4
	v_lshl_add_u32 v3, v3, 23, v6
	v_or3_b32 v2, v4, v3, v2
.LBB1_7532:
	s_or_b64 exec, exec, s[6:7]
	v_lshrrev_b32_e32 v3, 8, v5
	s_movk_i32 s4, 0x7f
	v_cmp_gt_i16_sdwa s[6:7], v3, s4 src0_sel:BYTE_0 src1_sel:DWORD
	s_mov_b64 s[4:5], 0
                                        ; implicit-def: $sgpr10
	s_and_saveexec_b64 s[8:9], s[6:7]
	s_xor_b64 s[6:7], exec, s[8:9]
	s_cbranch_execz .LBB1_7533
; %bb.43373:
	s_getpc_b64 s[14:15]
.Lpost_getpc7350:
	s_add_u32 s14, s14, (.LBB1_21869-.Lpost_getpc7350)&4294967295
	s_addc_u32 s15, s15, (.LBB1_21869-.Lpost_getpc7350)>>32
	s_setpc_b64 s[14:15]
.LBB1_7533:
	s_or_saveexec_b64 s[6:7], s[6:7]
	v_mov_b32_e32 v4, s10
	s_xor_b64 exec, exec, s[6:7]
	s_cbranch_execz .LBB1_7534
; %bb.43375:
	s_getpc_b64 s[14:15]
.Lpost_getpc7351:
	s_add_u32 s14, s14, (.LBB1_21872-.Lpost_getpc7351)&4294967295
	s_addc_u32 s15, s15, (.LBB1_21872-.Lpost_getpc7351)>>32
	s_setpc_b64 s[14:15]
.LBB1_7534:
	s_or_b64 exec, exec, s[6:7]
	s_and_saveexec_b64 s[6:7], s[4:5]
	s_cbranch_execz .LBB1_7536
.LBB1_7535:
	v_bfe_u32 v4, v5, 8, 3
	v_ffbh_u32_e32 v7, v4
	v_min_u32_e32 v7, 32, v7
	v_lshrrev_b16_e32 v6, 3, v3
	v_subrev_u32_e32 v8, 28, v7
	v_and_b32_e32 v6, 15, v6
	v_lshlrev_b32_e32 v3, v8, v3
	v_sub_u32_e32 v7, 29, v7
	v_and_b32_e32 v3, 7, v3
	v_cmp_eq_u16_e32 vcc, 0, v6
	v_cndmask_b32_e32 v3, v4, v3, vcc
	v_cndmask_b32_e32 v4, v6, v7, vcc
	v_lshlrev_b32_e32 v6, 16, v5
	v_mov_b32_e32 v7, 0x3b800000
	v_lshlrev_b32_e32 v3, 20, v3
	v_and_b32_e32 v6, 0x80000000, v6
	v_lshl_add_u32 v4, v4, 23, v7
	v_or3_b32 v4, v6, v4, v3
.LBB1_7536:
	s_or_b64 exec, exec, s[6:7]
	s_nop 0
	v_mfma_f32_16x16x4f32 a[0:3], v2, v4, a[0:3]
	s_movk_i32 s4, 0xff
	v_and_b32_sdwa v3, v9, s4 dst_sel:DWORD dst_unused:UNUSED_PAD src0_sel:WORD_1 src1_sel:DWORD
	s_movk_i32 s4, 0x7f
	v_cmp_lt_i16_e32 vcc, s4, v3
	s_mov_b64 s[4:5], 0
                                        ; implicit-def: $sgpr10
	s_and_saveexec_b64 s[6:7], vcc
	s_xor_b64 s[6:7], exec, s[6:7]
	s_cbranch_execz .LBB1_7537
; %bb.43377:
	s_getpc_b64 s[14:15]
.Lpost_getpc7352:
	s_add_u32 s14, s14, (.LBB1_21873-.Lpost_getpc7352)&4294967295
	s_addc_u32 s15, s15, (.LBB1_21873-.Lpost_getpc7352)>>32
	s_setpc_b64 s[14:15]
.LBB1_7537:
	s_or_saveexec_b64 s[6:7], s[6:7]
	v_mov_b32_e32 v2, s10
	s_xor_b64 exec, exec, s[6:7]
	s_cbranch_execz .LBB1_7538
; %bb.43379:
	s_getpc_b64 s[14:15]
.Lpost_getpc7353:
	s_add_u32 s14, s14, (.LBB1_21876-.Lpost_getpc7353)&4294967295
	s_addc_u32 s15, s15, (.LBB1_21876-.Lpost_getpc7353)>>32
	s_setpc_b64 s[14:15]
.LBB1_7538:
	s_or_b64 exec, exec, s[6:7]
	s_and_saveexec_b64 s[6:7], s[4:5]
	s_cbranch_execz .LBB1_7540
.LBB1_7539:
	v_bfe_u32 v2, v9, 16, 3
	v_ffbh_u32_e32 v6, v2
	v_min_u32_e32 v6, 32, v6
	v_lshrrev_b32_e32 v3, 19, v9
	v_subrev_u32_e32 v7, 28, v6
	v_and_b32_e32 v3, 15, v3
	v_lshlrev_b32_sdwa v7, v7, v9 dst_sel:DWORD dst_unused:UNUSED_PAD src0_sel:DWORD src1_sel:WORD_1
	v_bfe_u32 v4, v9, 19, 4
	v_sub_u32_e32 v6, 29, v6
	v_and_b32_e32 v7, 7, v7
	v_cmp_eq_u16_e32 vcc, 0, v3
	v_cndmask_b32_e32 v2, v2, v7, vcc
	v_cndmask_b32_e32 v3, v4, v6, vcc
	v_lshlrev_b32_e32 v4, 8, v9
	v_mov_b32_e32 v6, 0x3b800000
	v_lshlrev_b32_e32 v2, 20, v2
	v_and_b32_e32 v4, 0x80000000, v4
	v_lshl_add_u32 v3, v3, 23, v6
	v_or3_b32 v2, v4, v3, v2
.LBB1_7540:
	s_or_b64 exec, exec, s[6:7]
	s_movk_i32 s4, 0xff
	v_and_b32_sdwa v3, v5, s4 dst_sel:DWORD dst_unused:UNUSED_PAD src0_sel:WORD_1 src1_sel:DWORD
	s_movk_i32 s4, 0x7f
	v_cmp_lt_i16_e32 vcc, s4, v3
	s_mov_b64 s[4:5], 0
                                        ; implicit-def: $sgpr10
	s_and_saveexec_b64 s[6:7], vcc
	s_xor_b64 s[6:7], exec, s[6:7]
	s_cbranch_execz .LBB1_7541
; %bb.43381:
	s_getpc_b64 s[14:15]
.Lpost_getpc7354:
	s_add_u32 s14, s14, (.LBB1_21877-.Lpost_getpc7354)&4294967295
	s_addc_u32 s15, s15, (.LBB1_21877-.Lpost_getpc7354)>>32
	s_setpc_b64 s[14:15]
.LBB1_7541:
	s_or_saveexec_b64 s[6:7], s[6:7]
	v_mov_b32_e32 v4, s10
	s_xor_b64 exec, exec, s[6:7]
	s_cbranch_execz .LBB1_7542
; %bb.43383:
	s_getpc_b64 s[14:15]
.Lpost_getpc7355:
	s_add_u32 s14, s14, (.LBB1_21880-.Lpost_getpc7355)&4294967295
	s_addc_u32 s15, s15, (.LBB1_21880-.Lpost_getpc7355)>>32
	s_setpc_b64 s[14:15]
.LBB1_7542:
	s_or_b64 exec, exec, s[6:7]
	s_and_saveexec_b64 s[6:7], s[4:5]
	s_cbranch_execz .LBB1_7544
.LBB1_7543:
	v_bfe_u32 v3, v5, 16, 3
	v_ffbh_u32_e32 v7, v3
	v_min_u32_e32 v7, 32, v7
	v_lshrrev_b32_e32 v4, 19, v5
	v_subrev_u32_e32 v8, 28, v7
	v_and_b32_e32 v4, 15, v4
	v_lshlrev_b32_sdwa v8, v8, v5 dst_sel:DWORD dst_unused:UNUSED_PAD src0_sel:DWORD src1_sel:WORD_1
	v_bfe_u32 v6, v5, 19, 4
	v_sub_u32_e32 v7, 29, v7
	v_and_b32_e32 v8, 7, v8
	v_cmp_eq_u16_e32 vcc, 0, v4
	v_cndmask_b32_e32 v3, v3, v8, vcc
	v_cndmask_b32_e32 v4, v6, v7, vcc
	v_lshlrev_b32_e32 v6, 8, v5
	v_mov_b32_e32 v7, 0x3b800000
	v_lshlrev_b32_e32 v3, 20, v3
	v_and_b32_e32 v6, 0x80000000, v6
	v_lshl_add_u32 v4, v4, 23, v7
	v_or3_b32 v4, v6, v4, v3
.LBB1_7544:
	s_or_b64 exec, exec, s[6:7]
	s_nop 0
	v_mfma_f32_16x16x4f32 a[0:3], v2, v4, a[0:3]
	s_movk_i32 s4, 0x7f
	v_cmp_gt_i16_sdwa s[6:7], v9, s4 src0_sel:BYTE_3 src1_sel:DWORD
	s_mov_b64 s[4:5], 0
                                        ; implicit-def: $sgpr10
	s_and_saveexec_b64 s[8:9], s[6:7]
	s_xor_b64 s[6:7], exec, s[8:9]
	s_cbranch_execz .LBB1_7545
; %bb.43385:
	s_getpc_b64 s[14:15]
.Lpost_getpc7356:
	s_add_u32 s14, s14, (.LBB1_21881-.Lpost_getpc7356)&4294967295
	s_addc_u32 s15, s15, (.LBB1_21881-.Lpost_getpc7356)>>32
	s_setpc_b64 s[14:15]
.LBB1_7545:
	s_or_saveexec_b64 s[6:7], s[6:7]
	v_mov_b32_e32 v2, s10
	s_xor_b64 exec, exec, s[6:7]
	s_cbranch_execz .LBB1_7546
; %bb.43387:
	s_getpc_b64 s[14:15]
.Lpost_getpc7357:
	s_add_u32 s14, s14, (.LBB1_21884-.Lpost_getpc7357)&4294967295
	s_addc_u32 s15, s15, (.LBB1_21884-.Lpost_getpc7357)>>32
	s_setpc_b64 s[14:15]
.LBB1_7546:
	s_or_b64 exec, exec, s[6:7]
	s_and_saveexec_b64 s[6:7], s[4:5]
	s_cbranch_execz .LBB1_7548
.LBB1_7547:
	v_bfe_u32 v2, v9, 24, 3
	v_ffbh_u32_e32 v7, v2
	v_min_u32_e32 v7, 32, v7
	v_lshrrev_b32_e32 v4, 27, v9
	v_subrev_u32_e32 v8, 28, v7
	v_and_b32_e32 v4, 15, v4
	v_lshlrev_b32_sdwa v8, v8, v9 dst_sel:DWORD dst_unused:UNUSED_PAD src0_sel:DWORD src1_sel:BYTE_3
	v_bfe_u32 v6, v9, 27, 4
	v_sub_u32_e32 v7, 29, v7
	v_and_b32_e32 v8, 7, v8
	v_cmp_eq_u16_e32 vcc, 0, v4
	v_cndmask_b32_e32 v2, v2, v8, vcc
	v_cndmask_b32_e32 v4, v6, v7, vcc
	v_mov_b32_e32 v6, 0x3b800000
	v_and_b32_e32 v3, 0x80000000, v9
	v_lshlrev_b32_e32 v2, 20, v2
	v_lshl_add_u32 v4, v4, 23, v6
	v_or3_b32 v2, v3, v4, v2
.LBB1_7548:
	s_or_b64 exec, exec, s[6:7]
	s_movk_i32 s4, 0x7f
	v_cmp_gt_i16_sdwa s[6:7], v5, s4 src0_sel:BYTE_3 src1_sel:DWORD
	s_mov_b64 s[4:5], 0
                                        ; implicit-def: $sgpr10
	s_and_saveexec_b64 s[8:9], s[6:7]
	s_xor_b64 s[6:7], exec, s[8:9]
	s_cbranch_execz .LBB1_7549
; %bb.43389:
	s_getpc_b64 s[14:15]
.Lpost_getpc7358:
	s_add_u32 s14, s14, (.LBB1_21885-.Lpost_getpc7358)&4294967295
	s_addc_u32 s15, s15, (.LBB1_21885-.Lpost_getpc7358)>>32
	s_setpc_b64 s[14:15]
.LBB1_7549:
	s_or_saveexec_b64 s[6:7], s[6:7]
	v_mov_b32_e32 v3, s10
	s_xor_b64 exec, exec, s[6:7]
	s_cbranch_execz .LBB1_7550
; %bb.43391:
	s_getpc_b64 s[14:15]
.Lpost_getpc7359:
	s_add_u32 s14, s14, (.LBB1_21888-.Lpost_getpc7359)&4294967295
	s_addc_u32 s15, s15, (.LBB1_21888-.Lpost_getpc7359)>>32
	s_setpc_b64 s[14:15]
.LBB1_7550:
	s_or_b64 exec, exec, s[6:7]
	s_and_saveexec_b64 s[6:7], s[4:5]
	s_cbranch_execz .LBB1_7552
.LBB1_7551:
	v_bfe_u32 v3, v5, 24, 3
	v_ffbh_u32_e32 v8, v3
	v_min_u32_e32 v8, 32, v8
	v_lshrrev_b32_e32 v6, 27, v5
	v_subrev_u32_e32 v9, 28, v8
	v_and_b32_e32 v4, 0x80000000, v5
	v_and_b32_e32 v6, 15, v6
	v_bfe_u32 v7, v5, 27, 4
	v_lshlrev_b32_sdwa v5, v9, v5 dst_sel:DWORD dst_unused:UNUSED_PAD src0_sel:DWORD src1_sel:BYTE_3
	v_sub_u32_e32 v8, 29, v8
	v_and_b32_e32 v5, 7, v5
	v_cmp_eq_u16_e32 vcc, 0, v6
	v_cndmask_b32_e32 v3, v3, v5, vcc
	v_cndmask_b32_e32 v5, v7, v8, vcc
	v_mov_b32_e32 v6, 0x3b800000
	v_lshlrev_b32_e32 v3, 20, v3
	v_lshl_add_u32 v5, v5, 23, v6
	v_or3_b32 v3, v4, v5, v3
.LBB1_7552:
	s_or_b64 exec, exec, s[6:7]
	s_nop 0
	v_mfma_f32_16x16x4f32 a[0:3], v2, v3, a[0:3]
	s_movk_i32 s4, 0x7f
                                        ; implicit-def: $sgpr10
	s_nop 7
	s_nop 1
	flat_store_dwordx4 v[10:11], a[0:3] offset:32
	flat_load_dwordx4 v[12:15], v[0:1]
	s_nop 0
	flat_load_dwordx2 v[10:11], v[0:1] offset:16
	s_waitcnt vmcnt(0) lgkmcnt(0)
	flat_load_dwordx4 v[6:9], v[12:13] offset:112
	flat_load_dwordx4 v[2:5], v[14:15] offset:176
	s_waitcnt vmcnt(0) lgkmcnt(0)
	v_cmp_gt_i16_sdwa s[6:7], v6, s4 src0_sel:BYTE_0 src1_sel:DWORD
	s_mov_b64 s[4:5], 0
	s_and_saveexec_b64 s[8:9], s[6:7]
	s_xor_b64 s[6:7], exec, s[8:9]
	s_cbranch_execz .LBB1_7553
; %bb.43393:
	s_getpc_b64 s[14:15]
.Lpost_getpc7360:
	s_add_u32 s14, s14, (.LBB1_21889-.Lpost_getpc7360)&4294967295
	s_addc_u32 s15, s15, (.LBB1_21889-.Lpost_getpc7360)>>32
	s_setpc_b64 s[14:15]
.LBB1_7553:
	s_or_saveexec_b64 s[6:7], s[6:7]
	v_mov_b32_e32 v12, s10
	s_xor_b64 exec, exec, s[6:7]
	s_cbranch_execz .LBB1_7554
; %bb.43395:
	s_getpc_b64 s[14:15]
.Lpost_getpc7361:
	s_add_u32 s14, s14, (.LBB1_21892-.Lpost_getpc7361)&4294967295
	s_addc_u32 s15, s15, (.LBB1_21892-.Lpost_getpc7361)>>32
	s_setpc_b64 s[14:15]
.LBB1_7554:
	s_or_b64 exec, exec, s[6:7]
	s_and_saveexec_b64 s[6:7], s[4:5]
	s_cbranch_execz .LBB1_7556
.LBB1_7555:
	v_and_b32_e32 v12, 7, v6
	v_ffbh_u32_e32 v14, v12
	v_min_u32_e32 v14, 32, v14
	v_lshrrev_b16_e32 v13, 3, v6
	v_subrev_u32_e32 v15, 28, v14
	v_and_b32_e32 v13, 15, v13
	v_lshlrev_b32_e32 v15, v15, v6
	v_sub_u32_e32 v14, 29, v14
	v_and_b32_e32 v15, 7, v15
	v_cmp_eq_u16_e32 vcc, 0, v13
	v_cndmask_b32_e32 v12, v12, v15, vcc
	v_cndmask_b32_e32 v13, v13, v14, vcc
	v_lshlrev_b32_e32 v14, 24, v6
	v_mov_b32_e32 v15, 0x3b800000
	v_lshlrev_b32_e32 v12, 20, v12
	v_and_b32_e32 v14, 0x80000000, v14
	v_lshl_add_u32 v13, v13, 23, v15
	v_or3_b32 v12, v14, v13, v12
.LBB1_7556:
	s_or_b64 exec, exec, s[6:7]
	s_movk_i32 s4, 0x7f
	v_cmp_gt_i16_sdwa s[6:7], v2, s4 src0_sel:BYTE_0 src1_sel:DWORD
	s_mov_b64 s[4:5], 0
                                        ; implicit-def: $sgpr10
	s_and_saveexec_b64 s[8:9], s[6:7]
	s_xor_b64 s[6:7], exec, s[8:9]
	s_cbranch_execz .LBB1_7557
; %bb.43397:
	s_getpc_b64 s[14:15]
.Lpost_getpc7362:
	s_add_u32 s14, s14, (.LBB1_21893-.Lpost_getpc7362)&4294967295
	s_addc_u32 s15, s15, (.LBB1_21893-.Lpost_getpc7362)>>32
	s_setpc_b64 s[14:15]
.LBB1_7557:
	s_or_saveexec_b64 s[6:7], s[6:7]
	v_mov_b32_e32 v13, s10
	s_xor_b64 exec, exec, s[6:7]
	s_cbranch_execz .LBB1_7558
; %bb.43399:
	s_getpc_b64 s[14:15]
.Lpost_getpc7363:
	s_add_u32 s14, s14, (.LBB1_21896-.Lpost_getpc7363)&4294967295
	s_addc_u32 s15, s15, (.LBB1_21896-.Lpost_getpc7363)>>32
	s_setpc_b64 s[14:15]
.LBB1_7558:
	s_or_b64 exec, exec, s[6:7]
	s_and_saveexec_b64 s[6:7], s[4:5]
	s_cbranch_execz .LBB1_7560
.LBB1_7559:
	v_and_b32_e32 v13, 7, v2
	v_ffbh_u32_e32 v15, v13
	v_min_u32_e32 v15, 32, v15
	v_lshrrev_b16_e32 v14, 3, v2
	v_subrev_u32_e32 v16, 28, v15
	v_and_b32_e32 v14, 15, v14
	v_lshlrev_b32_e32 v16, v16, v2
	v_sub_u32_e32 v15, 29, v15
	v_and_b32_e32 v16, 7, v16
	v_cmp_eq_u16_e32 vcc, 0, v14
	v_cndmask_b32_e32 v13, v13, v16, vcc
	v_cndmask_b32_e32 v14, v14, v15, vcc
	v_lshlrev_b32_e32 v15, 24, v2
	v_mov_b32_e32 v16, 0x3b800000
	v_lshlrev_b32_e32 v13, 20, v13
	v_and_b32_e32 v15, 0x80000000, v15
	v_lshl_add_u32 v14, v14, 23, v16
	v_or3_b32 v13, v15, v14, v13
.LBB1_7560:
	s_or_b64 exec, exec, s[6:7]
	flat_load_dwordx4 a[0:3], v[10:11] offset:48
	s_movk_i32 s4, 0x7f
                                        ; implicit-def: $sgpr10
	s_waitcnt vmcnt(0) lgkmcnt(0)
	v_mfma_f32_16x16x4f32 a[0:3], v12, v13, a[0:3]
	v_lshrrev_b32_e32 v13, 8, v6
	v_cmp_gt_i16_sdwa s[6:7], v13, s4 src0_sel:BYTE_0 src1_sel:DWORD
	s_mov_b64 s[4:5], 0
	s_and_saveexec_b64 s[8:9], s[6:7]
	s_xor_b64 s[6:7], exec, s[8:9]
	s_cbranch_execz .LBB1_7561
; %bb.43401:
	s_getpc_b64 s[14:15]
.Lpost_getpc7364:
	s_add_u32 s14, s14, (.LBB1_21897-.Lpost_getpc7364)&4294967295
	s_addc_u32 s15, s15, (.LBB1_21897-.Lpost_getpc7364)>>32
	s_setpc_b64 s[14:15]
.LBB1_7561:
	s_or_saveexec_b64 s[6:7], s[6:7]
	v_mov_b32_e32 v12, s10
	s_xor_b64 exec, exec, s[6:7]
	s_cbranch_execz .LBB1_7562
; %bb.43403:
	s_getpc_b64 s[14:15]
.Lpost_getpc7365:
	s_add_u32 s14, s14, (.LBB1_21900-.Lpost_getpc7365)&4294967295
	s_addc_u32 s15, s15, (.LBB1_21900-.Lpost_getpc7365)>>32
	s_setpc_b64 s[14:15]
.LBB1_7562:
	s_or_b64 exec, exec, s[6:7]
	s_and_saveexec_b64 s[6:7], s[4:5]
	s_cbranch_execz .LBB1_7564
.LBB1_7563:
	v_bfe_u32 v12, v6, 8, 3
	v_ffbh_u32_e32 v15, v12
	v_min_u32_e32 v15, 32, v15
	v_lshrrev_b16_e32 v14, 3, v13
	v_subrev_u32_e32 v16, 28, v15
	v_and_b32_e32 v14, 15, v14
	v_lshlrev_b32_e32 v13, v16, v13
	v_sub_u32_e32 v15, 29, v15
	v_and_b32_e32 v13, 7, v13
	v_cmp_eq_u16_e32 vcc, 0, v14
	v_cndmask_b32_e32 v12, v12, v13, vcc
	v_cndmask_b32_e32 v13, v14, v15, vcc
	v_lshlrev_b32_e32 v14, 16, v6
	v_mov_b32_e32 v15, 0x3b800000
	v_lshlrev_b32_e32 v12, 20, v12
	v_and_b32_e32 v14, 0x80000000, v14
	v_lshl_add_u32 v13, v13, 23, v15
	v_or3_b32 v12, v14, v13, v12
.LBB1_7564:
	s_or_b64 exec, exec, s[6:7]
	v_lshrrev_b32_e32 v13, 8, v2
	s_movk_i32 s4, 0x7f
	v_cmp_gt_i16_sdwa s[6:7], v13, s4 src0_sel:BYTE_0 src1_sel:DWORD
	s_mov_b64 s[4:5], 0
                                        ; implicit-def: $sgpr10
	s_and_saveexec_b64 s[8:9], s[6:7]
	s_xor_b64 s[6:7], exec, s[8:9]
	s_cbranch_execz .LBB1_7565
; %bb.43405:
	s_getpc_b64 s[14:15]
.Lpost_getpc7366:
	s_add_u32 s14, s14, (.LBB1_21901-.Lpost_getpc7366)&4294967295
	s_addc_u32 s15, s15, (.LBB1_21901-.Lpost_getpc7366)>>32
	s_setpc_b64 s[14:15]
.LBB1_7565:
	s_or_saveexec_b64 s[6:7], s[6:7]
	v_mov_b32_e32 v14, s10
	s_xor_b64 exec, exec, s[6:7]
	s_cbranch_execz .LBB1_7566
; %bb.43407:
	s_getpc_b64 s[14:15]
.Lpost_getpc7367:
	s_add_u32 s14, s14, (.LBB1_21904-.Lpost_getpc7367)&4294967295
	s_addc_u32 s15, s15, (.LBB1_21904-.Lpost_getpc7367)>>32
	s_setpc_b64 s[14:15]
.LBB1_7566:
	s_or_b64 exec, exec, s[6:7]
	s_and_saveexec_b64 s[6:7], s[4:5]
	s_cbranch_execz .LBB1_7568
.LBB1_7567:
	v_bfe_u32 v14, v2, 8, 3
	v_ffbh_u32_e32 v16, v14
	v_min_u32_e32 v16, 32, v16
	v_lshrrev_b16_e32 v15, 3, v13
	v_subrev_u32_e32 v17, 28, v16
	v_and_b32_e32 v15, 15, v15
	v_lshlrev_b32_e32 v13, v17, v13
	v_sub_u32_e32 v16, 29, v16
	v_and_b32_e32 v13, 7, v13
	v_cmp_eq_u16_e32 vcc, 0, v15
	v_cndmask_b32_e32 v13, v14, v13, vcc
	v_cndmask_b32_e32 v14, v15, v16, vcc
	v_lshlrev_b32_e32 v15, 16, v2
	v_mov_b32_e32 v16, 0x3b800000
	v_lshlrev_b32_e32 v13, 20, v13
	v_and_b32_e32 v15, 0x80000000, v15
	v_lshl_add_u32 v14, v14, 23, v16
	v_or3_b32 v14, v15, v14, v13
.LBB1_7568:
	s_or_b64 exec, exec, s[6:7]
	s_nop 0
	v_mfma_f32_16x16x4f32 a[0:3], v12, v14, a[0:3]
	s_movk_i32 s4, 0xff
	v_and_b32_sdwa v13, v6, s4 dst_sel:DWORD dst_unused:UNUSED_PAD src0_sel:WORD_1 src1_sel:DWORD
	s_movk_i32 s4, 0x7f
	v_cmp_lt_i16_e32 vcc, s4, v13
	s_mov_b64 s[4:5], 0
                                        ; implicit-def: $sgpr10
	s_and_saveexec_b64 s[6:7], vcc
	s_xor_b64 s[6:7], exec, s[6:7]
	s_cbranch_execz .LBB1_7569
; %bb.43409:
	s_getpc_b64 s[14:15]
.Lpost_getpc7368:
	s_add_u32 s14, s14, (.LBB1_21905-.Lpost_getpc7368)&4294967295
	s_addc_u32 s15, s15, (.LBB1_21905-.Lpost_getpc7368)>>32
	s_setpc_b64 s[14:15]
.LBB1_7569:
	s_or_saveexec_b64 s[6:7], s[6:7]
	v_mov_b32_e32 v12, s10
	s_xor_b64 exec, exec, s[6:7]
	s_cbranch_execz .LBB1_7570
; %bb.43411:
	s_getpc_b64 s[14:15]
.Lpost_getpc7369:
	s_add_u32 s14, s14, (.LBB1_21908-.Lpost_getpc7369)&4294967295
	s_addc_u32 s15, s15, (.LBB1_21908-.Lpost_getpc7369)>>32
	s_setpc_b64 s[14:15]
.LBB1_7570:
	s_or_b64 exec, exec, s[6:7]
	s_and_saveexec_b64 s[6:7], s[4:5]
	s_cbranch_execz .LBB1_7572
.LBB1_7571:
	v_bfe_u32 v12, v6, 16, 3
	v_ffbh_u32_e32 v15, v12
	v_min_u32_e32 v15, 32, v15
	v_lshrrev_b32_e32 v13, 19, v6
	v_subrev_u32_e32 v16, 28, v15
	v_and_b32_e32 v13, 15, v13
	v_lshlrev_b32_sdwa v16, v16, v6 dst_sel:DWORD dst_unused:UNUSED_PAD src0_sel:DWORD src1_sel:WORD_1
	v_bfe_u32 v14, v6, 19, 4
	v_sub_u32_e32 v15, 29, v15
	v_and_b32_e32 v16, 7, v16
	v_cmp_eq_u16_e32 vcc, 0, v13
	v_cndmask_b32_e32 v12, v12, v16, vcc
	v_cndmask_b32_e32 v13, v14, v15, vcc
	v_lshlrev_b32_e32 v14, 8, v6
	v_mov_b32_e32 v15, 0x3b800000
	v_lshlrev_b32_e32 v12, 20, v12
	v_and_b32_e32 v14, 0x80000000, v14
	v_lshl_add_u32 v13, v13, 23, v15
	v_or3_b32 v12, v14, v13, v12
.LBB1_7572:
	s_or_b64 exec, exec, s[6:7]
	s_movk_i32 s4, 0xff
	v_and_b32_sdwa v13, v2, s4 dst_sel:DWORD dst_unused:UNUSED_PAD src0_sel:WORD_1 src1_sel:DWORD
	s_movk_i32 s4, 0x7f
	v_cmp_lt_i16_e32 vcc, s4, v13
	s_mov_b64 s[4:5], 0
                                        ; implicit-def: $sgpr10
	s_and_saveexec_b64 s[6:7], vcc
	s_xor_b64 s[6:7], exec, s[6:7]
	s_cbranch_execz .LBB1_7573
; %bb.43413:
	s_getpc_b64 s[14:15]
.Lpost_getpc7370:
	s_add_u32 s14, s14, (.LBB1_21909-.Lpost_getpc7370)&4294967295
	s_addc_u32 s15, s15, (.LBB1_21909-.Lpost_getpc7370)>>32
	s_setpc_b64 s[14:15]
.LBB1_7573:
	s_or_saveexec_b64 s[6:7], s[6:7]
	v_mov_b32_e32 v14, s10
	s_xor_b64 exec, exec, s[6:7]
	s_cbranch_execz .LBB1_7574
; %bb.43415:
	s_getpc_b64 s[14:15]
.Lpost_getpc7371:
	s_add_u32 s14, s14, (.LBB1_21912-.Lpost_getpc7371)&4294967295
	s_addc_u32 s15, s15, (.LBB1_21912-.Lpost_getpc7371)>>32
	s_setpc_b64 s[14:15]
.LBB1_7574:
	s_or_b64 exec, exec, s[6:7]
	s_and_saveexec_b64 s[6:7], s[4:5]
	s_cbranch_execz .LBB1_7576
.LBB1_7575:
	v_bfe_u32 v13, v2, 16, 3
	v_ffbh_u32_e32 v16, v13
	v_min_u32_e32 v16, 32, v16
	v_lshrrev_b32_e32 v14, 19, v2
	v_subrev_u32_e32 v17, 28, v16
	v_and_b32_e32 v14, 15, v14
	v_lshlrev_b32_sdwa v17, v17, v2 dst_sel:DWORD dst_unused:UNUSED_PAD src0_sel:DWORD src1_sel:WORD_1
	v_bfe_u32 v15, v2, 19, 4
	v_sub_u32_e32 v16, 29, v16
	v_and_b32_e32 v17, 7, v17
	v_cmp_eq_u16_e32 vcc, 0, v14
	v_cndmask_b32_e32 v13, v13, v17, vcc
	v_cndmask_b32_e32 v14, v15, v16, vcc
	v_lshlrev_b32_e32 v15, 8, v2
	v_mov_b32_e32 v16, 0x3b800000
	v_lshlrev_b32_e32 v13, 20, v13
	v_and_b32_e32 v15, 0x80000000, v15
	v_lshl_add_u32 v14, v14, 23, v16
	v_or3_b32 v14, v15, v14, v13
.LBB1_7576:
	s_or_b64 exec, exec, s[6:7]
	s_nop 0
	v_mfma_f32_16x16x4f32 a[0:3], v12, v14, a[0:3]
	s_movk_i32 s4, 0x7f
	v_cmp_gt_i16_sdwa s[6:7], v6, s4 src0_sel:BYTE_3 src1_sel:DWORD
	s_mov_b64 s[4:5], 0
                                        ; implicit-def: $sgpr10
	s_and_saveexec_b64 s[8:9], s[6:7]
	s_xor_b64 s[6:7], exec, s[8:9]
	s_cbranch_execz .LBB1_7577
; %bb.43417:
	s_getpc_b64 s[14:15]
.Lpost_getpc7372:
	s_add_u32 s14, s14, (.LBB1_21913-.Lpost_getpc7372)&4294967295
	s_addc_u32 s15, s15, (.LBB1_21913-.Lpost_getpc7372)>>32
	s_setpc_b64 s[14:15]
.LBB1_7577:
	s_or_saveexec_b64 s[6:7], s[6:7]
	v_mov_b32_e32 v12, s10
	s_xor_b64 exec, exec, s[6:7]
	s_cbranch_execz .LBB1_7578
; %bb.43419:
	s_getpc_b64 s[14:15]
.Lpost_getpc7373:
	s_add_u32 s14, s14, (.LBB1_21916-.Lpost_getpc7373)&4294967295
	s_addc_u32 s15, s15, (.LBB1_21916-.Lpost_getpc7373)>>32
	s_setpc_b64 s[14:15]
.LBB1_7578:
	s_or_b64 exec, exec, s[6:7]
	s_and_saveexec_b64 s[6:7], s[4:5]
	s_cbranch_execz .LBB1_7580
.LBB1_7579:
	v_bfe_u32 v12, v6, 24, 3
	v_ffbh_u32_e32 v16, v12
	v_min_u32_e32 v16, 32, v16
	v_lshrrev_b32_e32 v14, 27, v6
	v_subrev_u32_e32 v17, 28, v16
	v_and_b32_e32 v13, 0x80000000, v6
	v_and_b32_e32 v14, 15, v14
	v_bfe_u32 v15, v6, 27, 4
	v_lshlrev_b32_sdwa v6, v17, v6 dst_sel:DWORD dst_unused:UNUSED_PAD src0_sel:DWORD src1_sel:BYTE_3
	v_sub_u32_e32 v16, 29, v16
	v_and_b32_e32 v6, 7, v6
	v_cmp_eq_u16_e32 vcc, 0, v14
	v_cndmask_b32_e32 v6, v12, v6, vcc
	v_cndmask_b32_e32 v12, v15, v16, vcc
	v_mov_b32_e32 v14, 0x3b800000
	v_lshlrev_b32_e32 v6, 20, v6
	v_lshl_add_u32 v12, v12, 23, v14
	v_or3_b32 v12, v13, v12, v6
.LBB1_7580:
	s_or_b64 exec, exec, s[6:7]
	s_movk_i32 s4, 0x7f
	v_cmp_gt_i16_sdwa s[6:7], v2, s4 src0_sel:BYTE_3 src1_sel:DWORD
	s_mov_b64 s[4:5], 0
                                        ; implicit-def: $sgpr10
	s_and_saveexec_b64 s[8:9], s[6:7]
	s_xor_b64 s[6:7], exec, s[8:9]
	s_cbranch_execz .LBB1_7581
; %bb.43421:
	s_getpc_b64 s[14:15]
.Lpost_getpc7374:
	s_add_u32 s14, s14, (.LBB1_21917-.Lpost_getpc7374)&4294967295
	s_addc_u32 s15, s15, (.LBB1_21917-.Lpost_getpc7374)>>32
	s_setpc_b64 s[14:15]
.LBB1_7581:
	s_or_saveexec_b64 s[6:7], s[6:7]
	v_mov_b32_e32 v6, s10
	s_xor_b64 exec, exec, s[6:7]
	s_cbranch_execz .LBB1_7582
; %bb.43423:
	s_getpc_b64 s[14:15]
.Lpost_getpc7375:
	s_add_u32 s14, s14, (.LBB1_21920-.Lpost_getpc7375)&4294967295
	s_addc_u32 s15, s15, (.LBB1_21920-.Lpost_getpc7375)>>32
	s_setpc_b64 s[14:15]
.LBB1_7582:
	s_or_b64 exec, exec, s[6:7]
	s_and_saveexec_b64 s[6:7], s[4:5]
	s_cbranch_execz .LBB1_7584
.LBB1_7583:
	v_bfe_u32 v6, v2, 24, 3
	v_ffbh_u32_e32 v16, v6
	v_min_u32_e32 v16, 32, v16
	v_lshrrev_b32_e32 v14, 27, v2
	v_subrev_u32_e32 v17, 28, v16
	v_and_b32_e32 v13, 0x80000000, v2
	v_and_b32_e32 v14, 15, v14
	v_bfe_u32 v15, v2, 27, 4
	v_lshlrev_b32_sdwa v2, v17, v2 dst_sel:DWORD dst_unused:UNUSED_PAD src0_sel:DWORD src1_sel:BYTE_3
	v_sub_u32_e32 v16, 29, v16
	v_and_b32_e32 v2, 7, v2
	v_cmp_eq_u16_e32 vcc, 0, v14
	v_cndmask_b32_e32 v2, v6, v2, vcc
	v_cndmask_b32_e32 v6, v15, v16, vcc
	v_mov_b32_e32 v14, 0x3b800000
	v_lshlrev_b32_e32 v2, 20, v2
	v_lshl_add_u32 v6, v6, 23, v14
	v_or3_b32 v6, v13, v6, v2
.LBB1_7584:
	s_or_b64 exec, exec, s[6:7]
	s_nop 0
	v_mfma_f32_16x16x4f32 a[0:3], v12, v6, a[0:3]
	s_movk_i32 s4, 0x7f
	v_cmp_gt_i16_sdwa s[6:7], v7, s4 src0_sel:BYTE_0 src1_sel:DWORD
	s_mov_b64 s[4:5], 0
                                        ; implicit-def: $sgpr10
	s_and_saveexec_b64 s[8:9], s[6:7]
	s_xor_b64 s[6:7], exec, s[8:9]
	s_cbranch_execz .LBB1_7585
; %bb.43425:
	s_getpc_b64 s[14:15]
.Lpost_getpc7376:
	s_add_u32 s14, s14, (.LBB1_21921-.Lpost_getpc7376)&4294967295
	s_addc_u32 s15, s15, (.LBB1_21921-.Lpost_getpc7376)>>32
	s_setpc_b64 s[14:15]
.LBB1_7585:
	s_or_saveexec_b64 s[6:7], s[6:7]
	v_mov_b32_e32 v2, s10
	s_xor_b64 exec, exec, s[6:7]
	s_cbranch_execz .LBB1_7586
; %bb.43427:
	s_getpc_b64 s[14:15]
.Lpost_getpc7377:
	s_add_u32 s14, s14, (.LBB1_21924-.Lpost_getpc7377)&4294967295
	s_addc_u32 s15, s15, (.LBB1_21924-.Lpost_getpc7377)>>32
	s_setpc_b64 s[14:15]
.LBB1_7586:
	s_or_b64 exec, exec, s[6:7]
	s_and_saveexec_b64 s[6:7], s[4:5]
	s_cbranch_execz .LBB1_7588
.LBB1_7587:
	v_and_b32_e32 v2, 7, v7
	v_ffbh_u32_e32 v12, v2
	v_min_u32_e32 v12, 32, v12
	v_lshrrev_b16_e32 v6, 3, v7
	v_subrev_u32_e32 v13, 28, v12
	v_and_b32_e32 v6, 15, v6
	v_lshlrev_b32_e32 v13, v13, v7
	v_sub_u32_e32 v12, 29, v12
	v_and_b32_e32 v13, 7, v13
	v_cmp_eq_u16_e32 vcc, 0, v6
	v_cndmask_b32_e32 v2, v2, v13, vcc
	v_cndmask_b32_e32 v6, v6, v12, vcc
	v_lshlrev_b32_e32 v12, 24, v7
	v_mov_b32_e32 v13, 0x3b800000
	v_lshlrev_b32_e32 v2, 20, v2
	v_and_b32_e32 v12, 0x80000000, v12
	v_lshl_add_u32 v6, v6, 23, v13
	v_or3_b32 v2, v12, v6, v2
.LBB1_7588:
	s_or_b64 exec, exec, s[6:7]
	s_movk_i32 s4, 0x7f
	v_cmp_gt_i16_sdwa s[6:7], v3, s4 src0_sel:BYTE_0 src1_sel:DWORD
	s_mov_b64 s[4:5], 0
                                        ; implicit-def: $sgpr10
	s_and_saveexec_b64 s[8:9], s[6:7]
	s_xor_b64 s[6:7], exec, s[8:9]
	s_cbranch_execz .LBB1_7589
; %bb.43429:
	s_getpc_b64 s[14:15]
.Lpost_getpc7378:
	s_add_u32 s14, s14, (.LBB1_21925-.Lpost_getpc7378)&4294967295
	s_addc_u32 s15, s15, (.LBB1_21925-.Lpost_getpc7378)>>32
	s_setpc_b64 s[14:15]
.LBB1_7589:
	s_or_saveexec_b64 s[6:7], s[6:7]
	v_mov_b32_e32 v6, s10
	s_xor_b64 exec, exec, s[6:7]
	s_cbranch_execz .LBB1_7590
; %bb.43431:
	s_getpc_b64 s[14:15]
.Lpost_getpc7379:
	s_add_u32 s14, s14, (.LBB1_21928-.Lpost_getpc7379)&4294967295
	s_addc_u32 s15, s15, (.LBB1_21928-.Lpost_getpc7379)>>32
	s_setpc_b64 s[14:15]
.LBB1_7590:
	s_or_b64 exec, exec, s[6:7]
	s_and_saveexec_b64 s[6:7], s[4:5]
	s_cbranch_execz .LBB1_7592
.LBB1_7591:
	v_and_b32_e32 v6, 7, v3
	v_ffbh_u32_e32 v13, v6
	v_min_u32_e32 v13, 32, v13
	v_lshrrev_b16_e32 v12, 3, v3
	v_subrev_u32_e32 v14, 28, v13
	v_and_b32_e32 v12, 15, v12
	v_lshlrev_b32_e32 v14, v14, v3
	v_sub_u32_e32 v13, 29, v13
	v_and_b32_e32 v14, 7, v14
	v_cmp_eq_u16_e32 vcc, 0, v12
	v_cndmask_b32_e32 v6, v6, v14, vcc
	v_cndmask_b32_e32 v12, v12, v13, vcc
	v_lshlrev_b32_e32 v13, 24, v3
	v_mov_b32_e32 v14, 0x3b800000
	v_lshlrev_b32_e32 v6, 20, v6
	v_and_b32_e32 v13, 0x80000000, v13
	v_lshl_add_u32 v12, v12, 23, v14
	v_or3_b32 v6, v13, v12, v6
.LBB1_7592:
	s_or_b64 exec, exec, s[6:7]
	s_nop 0
	v_mfma_f32_16x16x4f32 a[0:3], v2, v6, a[0:3]
	v_lshrrev_b32_e32 v6, 8, v7
	s_movk_i32 s4, 0x7f
	v_cmp_gt_i16_sdwa s[6:7], v6, s4 src0_sel:BYTE_0 src1_sel:DWORD
	s_mov_b64 s[4:5], 0
                                        ; implicit-def: $sgpr10
	s_and_saveexec_b64 s[8:9], s[6:7]
	s_xor_b64 s[6:7], exec, s[8:9]
	s_cbranch_execz .LBB1_7593
; %bb.43433:
	s_getpc_b64 s[14:15]
.Lpost_getpc7380:
	s_add_u32 s14, s14, (.LBB1_21929-.Lpost_getpc7380)&4294967295
	s_addc_u32 s15, s15, (.LBB1_21929-.Lpost_getpc7380)>>32
	s_setpc_b64 s[14:15]
.LBB1_7593:
	s_or_saveexec_b64 s[6:7], s[6:7]
	v_mov_b32_e32 v2, s10
	s_xor_b64 exec, exec, s[6:7]
	s_cbranch_execz .LBB1_7594
; %bb.43435:
	s_getpc_b64 s[14:15]
.Lpost_getpc7381:
	s_add_u32 s14, s14, (.LBB1_21932-.Lpost_getpc7381)&4294967295
	s_addc_u32 s15, s15, (.LBB1_21932-.Lpost_getpc7381)>>32
	s_setpc_b64 s[14:15]
.LBB1_7594:
	s_or_b64 exec, exec, s[6:7]
	s_and_saveexec_b64 s[6:7], s[4:5]
	s_cbranch_execz .LBB1_7596
.LBB1_7595:
	v_bfe_u32 v2, v7, 8, 3
	v_ffbh_u32_e32 v13, v2
	v_min_u32_e32 v13, 32, v13
	v_lshrrev_b16_e32 v12, 3, v6
	v_subrev_u32_e32 v14, 28, v13
	v_and_b32_e32 v12, 15, v12
	v_lshlrev_b32_e32 v6, v14, v6
	v_sub_u32_e32 v13, 29, v13
	v_and_b32_e32 v6, 7, v6
	v_cmp_eq_u16_e32 vcc, 0, v12
	v_cndmask_b32_e32 v2, v2, v6, vcc
	v_cndmask_b32_e32 v6, v12, v13, vcc
	v_lshlrev_b32_e32 v12, 16, v7
	v_mov_b32_e32 v13, 0x3b800000
	v_lshlrev_b32_e32 v2, 20, v2
	v_and_b32_e32 v12, 0x80000000, v12
	v_lshl_add_u32 v6, v6, 23, v13
	v_or3_b32 v2, v12, v6, v2
.LBB1_7596:
	s_or_b64 exec, exec, s[6:7]
	v_lshrrev_b32_e32 v6, 8, v3
	s_movk_i32 s4, 0x7f
	v_cmp_gt_i16_sdwa s[6:7], v6, s4 src0_sel:BYTE_0 src1_sel:DWORD
	s_mov_b64 s[4:5], 0
                                        ; implicit-def: $sgpr10
	s_and_saveexec_b64 s[8:9], s[6:7]
	s_xor_b64 s[6:7], exec, s[8:9]
	s_cbranch_execz .LBB1_7597
; %bb.43437:
	s_getpc_b64 s[14:15]
.Lpost_getpc7382:
	s_add_u32 s14, s14, (.LBB1_21933-.Lpost_getpc7382)&4294967295
	s_addc_u32 s15, s15, (.LBB1_21933-.Lpost_getpc7382)>>32
	s_setpc_b64 s[14:15]
.LBB1_7597:
	s_or_saveexec_b64 s[6:7], s[6:7]
	v_mov_b32_e32 v12, s10
	s_xor_b64 exec, exec, s[6:7]
	s_cbranch_execz .LBB1_7598
; %bb.43439:
	s_getpc_b64 s[14:15]
.Lpost_getpc7383:
	s_add_u32 s14, s14, (.LBB1_21936-.Lpost_getpc7383)&4294967295
	s_addc_u32 s15, s15, (.LBB1_21936-.Lpost_getpc7383)>>32
	s_setpc_b64 s[14:15]
.LBB1_7598:
	s_or_b64 exec, exec, s[6:7]
	s_and_saveexec_b64 s[6:7], s[4:5]
	s_cbranch_execz .LBB1_7600
.LBB1_7599:
	v_bfe_u32 v12, v3, 8, 3
	v_ffbh_u32_e32 v14, v12
	v_min_u32_e32 v14, 32, v14
	v_lshrrev_b16_e32 v13, 3, v6
	v_subrev_u32_e32 v15, 28, v14
	v_and_b32_e32 v13, 15, v13
	v_lshlrev_b32_e32 v6, v15, v6
	v_sub_u32_e32 v14, 29, v14
	v_and_b32_e32 v6, 7, v6
	v_cmp_eq_u16_e32 vcc, 0, v13
	v_cndmask_b32_e32 v6, v12, v6, vcc
	v_cndmask_b32_e32 v12, v13, v14, vcc
	v_lshlrev_b32_e32 v13, 16, v3
	v_mov_b32_e32 v14, 0x3b800000
	v_lshlrev_b32_e32 v6, 20, v6
	v_and_b32_e32 v13, 0x80000000, v13
	v_lshl_add_u32 v12, v12, 23, v14
	v_or3_b32 v12, v13, v12, v6
.LBB1_7600:
	s_or_b64 exec, exec, s[6:7]
	s_nop 0
	v_mfma_f32_16x16x4f32 a[0:3], v2, v12, a[0:3]
	s_movk_i32 s4, 0xff
	v_and_b32_sdwa v6, v7, s4 dst_sel:DWORD dst_unused:UNUSED_PAD src0_sel:WORD_1 src1_sel:DWORD
	s_movk_i32 s4, 0x7f
	v_cmp_lt_i16_e32 vcc, s4, v6
	s_mov_b64 s[4:5], 0
                                        ; implicit-def: $sgpr10
	s_and_saveexec_b64 s[6:7], vcc
	s_xor_b64 s[6:7], exec, s[6:7]
	s_cbranch_execz .LBB1_7601
; %bb.43441:
	s_getpc_b64 s[14:15]
.Lpost_getpc7384:
	s_add_u32 s14, s14, (.LBB1_21937-.Lpost_getpc7384)&4294967295
	s_addc_u32 s15, s15, (.LBB1_21937-.Lpost_getpc7384)>>32
	s_setpc_b64 s[14:15]
.LBB1_7601:
	s_or_saveexec_b64 s[6:7], s[6:7]
	v_mov_b32_e32 v2, s10
	s_xor_b64 exec, exec, s[6:7]
	s_cbranch_execz .LBB1_7602
; %bb.43443:
	s_getpc_b64 s[14:15]
.Lpost_getpc7385:
	s_add_u32 s14, s14, (.LBB1_21940-.Lpost_getpc7385)&4294967295
	s_addc_u32 s15, s15, (.LBB1_21940-.Lpost_getpc7385)>>32
	s_setpc_b64 s[14:15]
.LBB1_7602:
	s_or_b64 exec, exec, s[6:7]
	s_and_saveexec_b64 s[6:7], s[4:5]
	s_cbranch_execz .LBB1_7604
.LBB1_7603:
	v_bfe_u32 v2, v7, 16, 3
	v_ffbh_u32_e32 v13, v2
	v_min_u32_e32 v13, 32, v13
	v_lshrrev_b32_e32 v6, 19, v7
	v_subrev_u32_e32 v14, 28, v13
	v_and_b32_e32 v6, 15, v6
	v_lshlrev_b32_sdwa v14, v14, v7 dst_sel:DWORD dst_unused:UNUSED_PAD src0_sel:DWORD src1_sel:WORD_1
	v_bfe_u32 v12, v7, 19, 4
	v_sub_u32_e32 v13, 29, v13
	v_and_b32_e32 v14, 7, v14
	v_cmp_eq_u16_e32 vcc, 0, v6
	v_cndmask_b32_e32 v2, v2, v14, vcc
	v_cndmask_b32_e32 v6, v12, v13, vcc
	v_lshlrev_b32_e32 v12, 8, v7
	v_mov_b32_e32 v13, 0x3b800000
	v_lshlrev_b32_e32 v2, 20, v2
	v_and_b32_e32 v12, 0x80000000, v12
	v_lshl_add_u32 v6, v6, 23, v13
	v_or3_b32 v2, v12, v6, v2
.LBB1_7604:
	s_or_b64 exec, exec, s[6:7]
	s_movk_i32 s4, 0xff
	v_and_b32_sdwa v6, v3, s4 dst_sel:DWORD dst_unused:UNUSED_PAD src0_sel:WORD_1 src1_sel:DWORD
	s_movk_i32 s4, 0x7f
	v_cmp_lt_i16_e32 vcc, s4, v6
	s_mov_b64 s[4:5], 0
                                        ; implicit-def: $sgpr10
	s_and_saveexec_b64 s[6:7], vcc
	s_xor_b64 s[6:7], exec, s[6:7]
	s_cbranch_execz .LBB1_7605
; %bb.43445:
	s_getpc_b64 s[14:15]
.Lpost_getpc7386:
	s_add_u32 s14, s14, (.LBB1_21941-.Lpost_getpc7386)&4294967295
	s_addc_u32 s15, s15, (.LBB1_21941-.Lpost_getpc7386)>>32
	s_setpc_b64 s[14:15]
.LBB1_7605:
	s_or_saveexec_b64 s[6:7], s[6:7]
	v_mov_b32_e32 v12, s10
	s_xor_b64 exec, exec, s[6:7]
	s_cbranch_execz .LBB1_7606
; %bb.43447:
	s_getpc_b64 s[14:15]
.Lpost_getpc7387:
	s_add_u32 s14, s14, (.LBB1_21944-.Lpost_getpc7387)&4294967295
	s_addc_u32 s15, s15, (.LBB1_21944-.Lpost_getpc7387)>>32
	s_setpc_b64 s[14:15]
.LBB1_7606:
	s_or_b64 exec, exec, s[6:7]
	s_and_saveexec_b64 s[6:7], s[4:5]
	s_cbranch_execz .LBB1_7608
.LBB1_7607:
	v_bfe_u32 v6, v3, 16, 3
	v_ffbh_u32_e32 v14, v6
	v_min_u32_e32 v14, 32, v14
	v_lshrrev_b32_e32 v12, 19, v3
	v_subrev_u32_e32 v15, 28, v14
	v_and_b32_e32 v12, 15, v12
	v_lshlrev_b32_sdwa v15, v15, v3 dst_sel:DWORD dst_unused:UNUSED_PAD src0_sel:DWORD src1_sel:WORD_1
	v_bfe_u32 v13, v3, 19, 4
	v_sub_u32_e32 v14, 29, v14
	v_and_b32_e32 v15, 7, v15
	v_cmp_eq_u16_e32 vcc, 0, v12
	v_cndmask_b32_e32 v6, v6, v15, vcc
	v_cndmask_b32_e32 v12, v13, v14, vcc
	v_lshlrev_b32_e32 v13, 8, v3
	v_mov_b32_e32 v14, 0x3b800000
	v_lshlrev_b32_e32 v6, 20, v6
	v_and_b32_e32 v13, 0x80000000, v13
	v_lshl_add_u32 v12, v12, 23, v14
	v_or3_b32 v12, v13, v12, v6
.LBB1_7608:
	s_or_b64 exec, exec, s[6:7]
	s_nop 0
	v_mfma_f32_16x16x4f32 a[0:3], v2, v12, a[0:3]
	s_movk_i32 s4, 0x7f
	v_cmp_gt_i16_sdwa s[6:7], v7, s4 src0_sel:BYTE_3 src1_sel:DWORD
	s_mov_b64 s[4:5], 0
                                        ; implicit-def: $sgpr10
	s_and_saveexec_b64 s[8:9], s[6:7]
	s_xor_b64 s[6:7], exec, s[8:9]
	s_cbranch_execz .LBB1_7609
; %bb.43449:
	s_getpc_b64 s[14:15]
.Lpost_getpc7388:
	s_add_u32 s14, s14, (.LBB1_21945-.Lpost_getpc7388)&4294967295
	s_addc_u32 s15, s15, (.LBB1_21945-.Lpost_getpc7388)>>32
	s_setpc_b64 s[14:15]
.LBB1_7609:
	s_or_saveexec_b64 s[6:7], s[6:7]
	v_mov_b32_e32 v2, s10
	s_xor_b64 exec, exec, s[6:7]
	s_cbranch_execz .LBB1_7610
; %bb.43451:
	s_getpc_b64 s[14:15]
.Lpost_getpc7389:
	s_add_u32 s14, s14, (.LBB1_21948-.Lpost_getpc7389)&4294967295
	s_addc_u32 s15, s15, (.LBB1_21948-.Lpost_getpc7389)>>32
	s_setpc_b64 s[14:15]
.LBB1_7610:
	s_or_b64 exec, exec, s[6:7]
	s_and_saveexec_b64 s[6:7], s[4:5]
	s_cbranch_execz .LBB1_7612
.LBB1_7611:
	v_bfe_u32 v2, v7, 24, 3
	v_ffbh_u32_e32 v14, v2
	v_min_u32_e32 v14, 32, v14
	v_lshrrev_b32_e32 v12, 27, v7
	v_subrev_u32_e32 v15, 28, v14
	v_and_b32_e32 v6, 0x80000000, v7
	v_and_b32_e32 v12, 15, v12
	v_bfe_u32 v13, v7, 27, 4
	v_lshlrev_b32_sdwa v7, v15, v7 dst_sel:DWORD dst_unused:UNUSED_PAD src0_sel:DWORD src1_sel:BYTE_3
	v_sub_u32_e32 v14, 29, v14
	v_and_b32_e32 v7, 7, v7
	v_cmp_eq_u16_e32 vcc, 0, v12
	v_cndmask_b32_e32 v2, v2, v7, vcc
	v_cndmask_b32_e32 v7, v13, v14, vcc
	v_mov_b32_e32 v12, 0x3b800000
	v_lshlrev_b32_e32 v2, 20, v2
	v_lshl_add_u32 v7, v7, 23, v12
	v_or3_b32 v2, v6, v7, v2
.LBB1_7612:
	s_or_b64 exec, exec, s[6:7]
	s_movk_i32 s4, 0x7f
	v_cmp_gt_i16_sdwa s[6:7], v3, s4 src0_sel:BYTE_3 src1_sel:DWORD
	s_mov_b64 s[4:5], 0
                                        ; implicit-def: $sgpr10
	s_and_saveexec_b64 s[8:9], s[6:7]
	s_xor_b64 s[6:7], exec, s[8:9]
	s_cbranch_execz .LBB1_7613
; %bb.43453:
	s_getpc_b64 s[14:15]
.Lpost_getpc7390:
	s_add_u32 s14, s14, (.LBB1_21949-.Lpost_getpc7390)&4294967295
	s_addc_u32 s15, s15, (.LBB1_21949-.Lpost_getpc7390)>>32
	s_setpc_b64 s[14:15]
.LBB1_7613:
	s_or_saveexec_b64 s[6:7], s[6:7]
	v_mov_b32_e32 v6, s10
	s_xor_b64 exec, exec, s[6:7]
	s_cbranch_execz .LBB1_7614
; %bb.43455:
	s_getpc_b64 s[14:15]
.Lpost_getpc7391:
	s_add_u32 s14, s14, (.LBB1_21952-.Lpost_getpc7391)&4294967295
	s_addc_u32 s15, s15, (.LBB1_21952-.Lpost_getpc7391)>>32
	s_setpc_b64 s[14:15]
.LBB1_7614:
	s_or_b64 exec, exec, s[6:7]
	s_and_saveexec_b64 s[6:7], s[4:5]
	s_cbranch_execz .LBB1_7616
.LBB1_7615:
	v_bfe_u32 v6, v3, 24, 3
	v_ffbh_u32_e32 v14, v6
	v_min_u32_e32 v14, 32, v14
	v_lshrrev_b32_e32 v12, 27, v3
	v_subrev_u32_e32 v15, 28, v14
	v_and_b32_e32 v7, 0x80000000, v3
	v_and_b32_e32 v12, 15, v12
	v_bfe_u32 v13, v3, 27, 4
	v_lshlrev_b32_sdwa v3, v15, v3 dst_sel:DWORD dst_unused:UNUSED_PAD src0_sel:DWORD src1_sel:BYTE_3
	v_sub_u32_e32 v14, 29, v14
	v_and_b32_e32 v3, 7, v3
	v_cmp_eq_u16_e32 vcc, 0, v12
	v_cndmask_b32_e32 v3, v6, v3, vcc
	v_cndmask_b32_e32 v6, v13, v14, vcc
	v_mov_b32_e32 v12, 0x3b800000
	v_lshlrev_b32_e32 v3, 20, v3
	v_lshl_add_u32 v6, v6, 23, v12
	v_or3_b32 v6, v7, v6, v3
.LBB1_7616:
	s_or_b64 exec, exec, s[6:7]
	s_nop 0
	v_mfma_f32_16x16x4f32 a[0:3], v2, v6, a[0:3]
	s_movk_i32 s4, 0x7f
	v_cmp_gt_i16_sdwa s[6:7], v8, s4 src0_sel:BYTE_0 src1_sel:DWORD
	s_mov_b64 s[4:5], 0
                                        ; implicit-def: $sgpr10
	s_and_saveexec_b64 s[8:9], s[6:7]
	s_xor_b64 s[6:7], exec, s[8:9]
	s_cbranch_execz .LBB1_7617
; %bb.43457:
	s_getpc_b64 s[14:15]
.Lpost_getpc7392:
	s_add_u32 s14, s14, (.LBB1_21953-.Lpost_getpc7392)&4294967295
	s_addc_u32 s15, s15, (.LBB1_21953-.Lpost_getpc7392)>>32
	s_setpc_b64 s[14:15]
.LBB1_7617:
	s_or_saveexec_b64 s[6:7], s[6:7]
	v_mov_b32_e32 v2, s10
	s_xor_b64 exec, exec, s[6:7]
	s_cbranch_execz .LBB1_7618
; %bb.43459:
	s_getpc_b64 s[14:15]
.Lpost_getpc7393:
	s_add_u32 s14, s14, (.LBB1_21956-.Lpost_getpc7393)&4294967295
	s_addc_u32 s15, s15, (.LBB1_21956-.Lpost_getpc7393)>>32
	s_setpc_b64 s[14:15]
.LBB1_7618:
	s_or_b64 exec, exec, s[6:7]
	s_and_saveexec_b64 s[6:7], s[4:5]
	s_cbranch_execz .LBB1_7620
.LBB1_7619:
	v_and_b32_e32 v2, 7, v8
	v_ffbh_u32_e32 v6, v2
	v_min_u32_e32 v6, 32, v6
	v_lshrrev_b16_e32 v3, 3, v8
	v_subrev_u32_e32 v7, 28, v6
	v_and_b32_e32 v3, 15, v3
	v_lshlrev_b32_e32 v7, v7, v8
	v_sub_u32_e32 v6, 29, v6
	v_and_b32_e32 v7, 7, v7
	v_cmp_eq_u16_e32 vcc, 0, v3
	v_cndmask_b32_e32 v2, v2, v7, vcc
	v_cndmask_b32_e32 v3, v3, v6, vcc
	v_lshlrev_b32_e32 v6, 24, v8
	v_mov_b32_e32 v7, 0x3b800000
	v_lshlrev_b32_e32 v2, 20, v2
	v_and_b32_e32 v6, 0x80000000, v6
	v_lshl_add_u32 v3, v3, 23, v7
	v_or3_b32 v2, v6, v3, v2
.LBB1_7620:
	s_or_b64 exec, exec, s[6:7]
	s_movk_i32 s4, 0x7f
	v_cmp_gt_i16_sdwa s[6:7], v4, s4 src0_sel:BYTE_0 src1_sel:DWORD
	s_mov_b64 s[4:5], 0
                                        ; implicit-def: $sgpr10
	s_and_saveexec_b64 s[8:9], s[6:7]
	s_xor_b64 s[6:7], exec, s[8:9]
	s_cbranch_execz .LBB1_7621
; %bb.43461:
	s_getpc_b64 s[14:15]
.Lpost_getpc7394:
	s_add_u32 s14, s14, (.LBB1_21957-.Lpost_getpc7394)&4294967295
	s_addc_u32 s15, s15, (.LBB1_21957-.Lpost_getpc7394)>>32
	s_setpc_b64 s[14:15]
.LBB1_7621:
	s_or_saveexec_b64 s[6:7], s[6:7]
	v_mov_b32_e32 v3, s10
	s_xor_b64 exec, exec, s[6:7]
	s_cbranch_execz .LBB1_7622
; %bb.43463:
	s_getpc_b64 s[14:15]
.Lpost_getpc7395:
	s_add_u32 s14, s14, (.LBB1_21960-.Lpost_getpc7395)&4294967295
	s_addc_u32 s15, s15, (.LBB1_21960-.Lpost_getpc7395)>>32
	s_setpc_b64 s[14:15]
.LBB1_7622:
	s_or_b64 exec, exec, s[6:7]
	s_and_saveexec_b64 s[6:7], s[4:5]
	s_cbranch_execz .LBB1_7624
.LBB1_7623:
	v_and_b32_e32 v3, 7, v4
	v_ffbh_u32_e32 v7, v3
	v_min_u32_e32 v7, 32, v7
	v_lshrrev_b16_e32 v6, 3, v4
	v_subrev_u32_e32 v12, 28, v7
	v_and_b32_e32 v6, 15, v6
	v_lshlrev_b32_e32 v12, v12, v4
	v_sub_u32_e32 v7, 29, v7
	v_and_b32_e32 v12, 7, v12
	v_cmp_eq_u16_e32 vcc, 0, v6
	v_cndmask_b32_e32 v3, v3, v12, vcc
	v_cndmask_b32_e32 v6, v6, v7, vcc
	v_lshlrev_b32_e32 v7, 24, v4
	v_mov_b32_e32 v12, 0x3b800000
	v_lshlrev_b32_e32 v3, 20, v3
	v_and_b32_e32 v7, 0x80000000, v7
	v_lshl_add_u32 v6, v6, 23, v12
	v_or3_b32 v3, v7, v6, v3
.LBB1_7624:
	s_or_b64 exec, exec, s[6:7]
	s_nop 0
	v_mfma_f32_16x16x4f32 a[0:3], v2, v3, a[0:3]
	v_lshrrev_b32_e32 v3, 8, v8
	s_movk_i32 s4, 0x7f
	v_cmp_gt_i16_sdwa s[6:7], v3, s4 src0_sel:BYTE_0 src1_sel:DWORD
	s_mov_b64 s[4:5], 0
                                        ; implicit-def: $sgpr10
	s_and_saveexec_b64 s[8:9], s[6:7]
	s_xor_b64 s[6:7], exec, s[8:9]
	s_cbranch_execz .LBB1_7625
; %bb.43465:
	s_getpc_b64 s[14:15]
.Lpost_getpc7396:
	s_add_u32 s14, s14, (.LBB1_21961-.Lpost_getpc7396)&4294967295
	s_addc_u32 s15, s15, (.LBB1_21961-.Lpost_getpc7396)>>32
	s_setpc_b64 s[14:15]
.LBB1_7625:
	s_or_saveexec_b64 s[6:7], s[6:7]
	v_mov_b32_e32 v2, s10
	s_xor_b64 exec, exec, s[6:7]
	s_cbranch_execz .LBB1_7626
; %bb.43467:
	s_getpc_b64 s[14:15]
.Lpost_getpc7397:
	s_add_u32 s14, s14, (.LBB1_21964-.Lpost_getpc7397)&4294967295
	s_addc_u32 s15, s15, (.LBB1_21964-.Lpost_getpc7397)>>32
	s_setpc_b64 s[14:15]
.LBB1_7626:
	s_or_b64 exec, exec, s[6:7]
	s_and_saveexec_b64 s[6:7], s[4:5]
	s_cbranch_execz .LBB1_7628
.LBB1_7627:
	v_bfe_u32 v2, v8, 8, 3
	v_ffbh_u32_e32 v7, v2
	v_min_u32_e32 v7, 32, v7
	v_lshrrev_b16_e32 v6, 3, v3
	v_subrev_u32_e32 v12, 28, v7
	v_and_b32_e32 v6, 15, v6
	v_lshlrev_b32_e32 v3, v12, v3
	v_sub_u32_e32 v7, 29, v7
	v_and_b32_e32 v3, 7, v3
	v_cmp_eq_u16_e32 vcc, 0, v6
	v_cndmask_b32_e32 v2, v2, v3, vcc
	v_cndmask_b32_e32 v3, v6, v7, vcc
	v_lshlrev_b32_e32 v6, 16, v8
	v_mov_b32_e32 v7, 0x3b800000
	v_lshlrev_b32_e32 v2, 20, v2
	v_and_b32_e32 v6, 0x80000000, v6
	v_lshl_add_u32 v3, v3, 23, v7
	v_or3_b32 v2, v6, v3, v2
.LBB1_7628:
	s_or_b64 exec, exec, s[6:7]
	v_lshrrev_b32_e32 v3, 8, v4
	s_movk_i32 s4, 0x7f
	v_cmp_gt_i16_sdwa s[6:7], v3, s4 src0_sel:BYTE_0 src1_sel:DWORD
	s_mov_b64 s[4:5], 0
                                        ; implicit-def: $sgpr10
	s_and_saveexec_b64 s[8:9], s[6:7]
	s_xor_b64 s[6:7], exec, s[8:9]
	s_cbranch_execz .LBB1_7629
; %bb.43469:
	s_getpc_b64 s[14:15]
.Lpost_getpc7398:
	s_add_u32 s14, s14, (.LBB1_21965-.Lpost_getpc7398)&4294967295
	s_addc_u32 s15, s15, (.LBB1_21965-.Lpost_getpc7398)>>32
	s_setpc_b64 s[14:15]
.LBB1_7629:
	s_or_saveexec_b64 s[6:7], s[6:7]
	v_mov_b32_e32 v6, s10
	s_xor_b64 exec, exec, s[6:7]
	s_cbranch_execz .LBB1_7630
; %bb.43471:
	s_getpc_b64 s[14:15]
.Lpost_getpc7399:
	s_add_u32 s14, s14, (.LBB1_21968-.Lpost_getpc7399)&4294967295
	s_addc_u32 s15, s15, (.LBB1_21968-.Lpost_getpc7399)>>32
	s_setpc_b64 s[14:15]
.LBB1_7630:
	s_or_b64 exec, exec, s[6:7]
	s_and_saveexec_b64 s[6:7], s[4:5]
	s_cbranch_execz .LBB1_7632
.LBB1_7631:
	v_bfe_u32 v6, v4, 8, 3
	v_ffbh_u32_e32 v12, v6
	v_min_u32_e32 v12, 32, v12
	v_lshrrev_b16_e32 v7, 3, v3
	v_subrev_u32_e32 v13, 28, v12
	v_and_b32_e32 v7, 15, v7
	v_lshlrev_b32_e32 v3, v13, v3
	v_sub_u32_e32 v12, 29, v12
	v_and_b32_e32 v3, 7, v3
	v_cmp_eq_u16_e32 vcc, 0, v7
	v_cndmask_b32_e32 v3, v6, v3, vcc
	v_cndmask_b32_e32 v6, v7, v12, vcc
	v_lshlrev_b32_e32 v7, 16, v4
	v_mov_b32_e32 v12, 0x3b800000
	v_lshlrev_b32_e32 v3, 20, v3
	v_and_b32_e32 v7, 0x80000000, v7
	v_lshl_add_u32 v6, v6, 23, v12
	v_or3_b32 v6, v7, v6, v3
.LBB1_7632:
	s_or_b64 exec, exec, s[6:7]
	s_nop 0
	v_mfma_f32_16x16x4f32 a[0:3], v2, v6, a[0:3]
	s_movk_i32 s4, 0xff
	v_and_b32_sdwa v3, v8, s4 dst_sel:DWORD dst_unused:UNUSED_PAD src0_sel:WORD_1 src1_sel:DWORD
	s_movk_i32 s4, 0x7f
	v_cmp_lt_i16_e32 vcc, s4, v3
	s_mov_b64 s[4:5], 0
                                        ; implicit-def: $sgpr10
	s_and_saveexec_b64 s[6:7], vcc
	s_xor_b64 s[6:7], exec, s[6:7]
	s_cbranch_execz .LBB1_7633
; %bb.43473:
	s_getpc_b64 s[14:15]
.Lpost_getpc7400:
	s_add_u32 s14, s14, (.LBB1_21969-.Lpost_getpc7400)&4294967295
	s_addc_u32 s15, s15, (.LBB1_21969-.Lpost_getpc7400)>>32
	s_setpc_b64 s[14:15]
.LBB1_7633:
	s_or_saveexec_b64 s[6:7], s[6:7]
	v_mov_b32_e32 v2, s10
	s_xor_b64 exec, exec, s[6:7]
	s_cbranch_execz .LBB1_7634
; %bb.43475:
	s_getpc_b64 s[14:15]
.Lpost_getpc7401:
	s_add_u32 s14, s14, (.LBB1_21972-.Lpost_getpc7401)&4294967295
	s_addc_u32 s15, s15, (.LBB1_21972-.Lpost_getpc7401)>>32
	s_setpc_b64 s[14:15]
.LBB1_7634:
	s_or_b64 exec, exec, s[6:7]
	s_and_saveexec_b64 s[6:7], s[4:5]
	s_cbranch_execz .LBB1_7636
.LBB1_7635:
	v_bfe_u32 v2, v8, 16, 3
	v_ffbh_u32_e32 v7, v2
	v_min_u32_e32 v7, 32, v7
	v_lshrrev_b32_e32 v3, 19, v8
	v_subrev_u32_e32 v12, 28, v7
	v_and_b32_e32 v3, 15, v3
	v_lshlrev_b32_sdwa v12, v12, v8 dst_sel:DWORD dst_unused:UNUSED_PAD src0_sel:DWORD src1_sel:WORD_1
	v_bfe_u32 v6, v8, 19, 4
	v_sub_u32_e32 v7, 29, v7
	v_and_b32_e32 v12, 7, v12
	v_cmp_eq_u16_e32 vcc, 0, v3
	v_cndmask_b32_e32 v2, v2, v12, vcc
	v_cndmask_b32_e32 v3, v6, v7, vcc
	v_lshlrev_b32_e32 v6, 8, v8
	v_mov_b32_e32 v7, 0x3b800000
	v_lshlrev_b32_e32 v2, 20, v2
	v_and_b32_e32 v6, 0x80000000, v6
	v_lshl_add_u32 v3, v3, 23, v7
	v_or3_b32 v2, v6, v3, v2
.LBB1_7636:
	s_or_b64 exec, exec, s[6:7]
	s_movk_i32 s4, 0xff
	v_and_b32_sdwa v3, v4, s4 dst_sel:DWORD dst_unused:UNUSED_PAD src0_sel:WORD_1 src1_sel:DWORD
	s_movk_i32 s4, 0x7f
	v_cmp_lt_i16_e32 vcc, s4, v3
	s_mov_b64 s[4:5], 0
                                        ; implicit-def: $sgpr10
	s_and_saveexec_b64 s[6:7], vcc
	s_xor_b64 s[6:7], exec, s[6:7]
	s_cbranch_execz .LBB1_7637
; %bb.43477:
	s_getpc_b64 s[14:15]
.Lpost_getpc7402:
	s_add_u32 s14, s14, (.LBB1_21973-.Lpost_getpc7402)&4294967295
	s_addc_u32 s15, s15, (.LBB1_21973-.Lpost_getpc7402)>>32
	s_setpc_b64 s[14:15]
.LBB1_7637:
	s_or_saveexec_b64 s[6:7], s[6:7]
	v_mov_b32_e32 v6, s10
	s_xor_b64 exec, exec, s[6:7]
	s_cbranch_execz .LBB1_7638
; %bb.43479:
	s_getpc_b64 s[14:15]
.Lpost_getpc7403:
	s_add_u32 s14, s14, (.LBB1_21976-.Lpost_getpc7403)&4294967295
	s_addc_u32 s15, s15, (.LBB1_21976-.Lpost_getpc7403)>>32
	s_setpc_b64 s[14:15]
.LBB1_7638:
	s_or_b64 exec, exec, s[6:7]
	s_and_saveexec_b64 s[6:7], s[4:5]
	s_cbranch_execz .LBB1_7640
.LBB1_7639:
	v_bfe_u32 v3, v4, 16, 3
	v_ffbh_u32_e32 v12, v3
	v_min_u32_e32 v12, 32, v12
	v_lshrrev_b32_e32 v6, 19, v4
	v_subrev_u32_e32 v13, 28, v12
	v_and_b32_e32 v6, 15, v6
	v_lshlrev_b32_sdwa v13, v13, v4 dst_sel:DWORD dst_unused:UNUSED_PAD src0_sel:DWORD src1_sel:WORD_1
	v_bfe_u32 v7, v4, 19, 4
	v_sub_u32_e32 v12, 29, v12
	v_and_b32_e32 v13, 7, v13
	v_cmp_eq_u16_e32 vcc, 0, v6
	v_cndmask_b32_e32 v3, v3, v13, vcc
	v_cndmask_b32_e32 v6, v7, v12, vcc
	v_lshlrev_b32_e32 v7, 8, v4
	v_mov_b32_e32 v12, 0x3b800000
	v_lshlrev_b32_e32 v3, 20, v3
	v_and_b32_e32 v7, 0x80000000, v7
	v_lshl_add_u32 v6, v6, 23, v12
	v_or3_b32 v6, v7, v6, v3
.LBB1_7640:
	s_or_b64 exec, exec, s[6:7]
	s_nop 0
	v_mfma_f32_16x16x4f32 a[0:3], v2, v6, a[0:3]
	s_movk_i32 s4, 0x7f
	v_cmp_gt_i16_sdwa s[6:7], v8, s4 src0_sel:BYTE_3 src1_sel:DWORD
	s_mov_b64 s[4:5], 0
                                        ; implicit-def: $sgpr10
	s_and_saveexec_b64 s[8:9], s[6:7]
	s_xor_b64 s[6:7], exec, s[8:9]
	s_cbranch_execz .LBB1_7641
; %bb.43481:
	s_getpc_b64 s[14:15]
.Lpost_getpc7404:
	s_add_u32 s14, s14, (.LBB1_21977-.Lpost_getpc7404)&4294967295
	s_addc_u32 s15, s15, (.LBB1_21977-.Lpost_getpc7404)>>32
	s_setpc_b64 s[14:15]
.LBB1_7641:
	s_or_saveexec_b64 s[6:7], s[6:7]
	v_mov_b32_e32 v2, s10
	s_xor_b64 exec, exec, s[6:7]
	s_cbranch_execz .LBB1_7642
; %bb.43483:
	s_getpc_b64 s[14:15]
.Lpost_getpc7405:
	s_add_u32 s14, s14, (.LBB1_21980-.Lpost_getpc7405)&4294967295
	s_addc_u32 s15, s15, (.LBB1_21980-.Lpost_getpc7405)>>32
	s_setpc_b64 s[14:15]
.LBB1_7642:
	s_or_b64 exec, exec, s[6:7]
	s_and_saveexec_b64 s[6:7], s[4:5]
	s_cbranch_execz .LBB1_7644
.LBB1_7643:
	v_bfe_u32 v2, v8, 24, 3
	v_ffbh_u32_e32 v12, v2
	v_min_u32_e32 v12, 32, v12
	v_lshrrev_b32_e32 v6, 27, v8
	v_subrev_u32_e32 v13, 28, v12
	v_and_b32_e32 v3, 0x80000000, v8
	v_and_b32_e32 v6, 15, v6
	v_bfe_u32 v7, v8, 27, 4
	v_lshlrev_b32_sdwa v8, v13, v8 dst_sel:DWORD dst_unused:UNUSED_PAD src0_sel:DWORD src1_sel:BYTE_3
	v_sub_u32_e32 v12, 29, v12
	v_and_b32_e32 v8, 7, v8
	v_cmp_eq_u16_e32 vcc, 0, v6
	v_cndmask_b32_e32 v2, v2, v8, vcc
	v_cndmask_b32_e32 v6, v7, v12, vcc
	v_mov_b32_e32 v7, 0x3b800000
	v_lshlrev_b32_e32 v2, 20, v2
	v_lshl_add_u32 v6, v6, 23, v7
	v_or3_b32 v2, v3, v6, v2
.LBB1_7644:
	s_or_b64 exec, exec, s[6:7]
	s_movk_i32 s4, 0x7f
	v_cmp_gt_i16_sdwa s[6:7], v4, s4 src0_sel:BYTE_3 src1_sel:DWORD
	s_mov_b64 s[4:5], 0
                                        ; implicit-def: $sgpr10
	s_and_saveexec_b64 s[8:9], s[6:7]
	s_xor_b64 s[6:7], exec, s[8:9]
	s_cbranch_execz .LBB1_7645
; %bb.43485:
	s_getpc_b64 s[14:15]
.Lpost_getpc7406:
	s_add_u32 s14, s14, (.LBB1_21981-.Lpost_getpc7406)&4294967295
	s_addc_u32 s15, s15, (.LBB1_21981-.Lpost_getpc7406)>>32
	s_setpc_b64 s[14:15]
.LBB1_7645:
	s_or_saveexec_b64 s[6:7], s[6:7]
	v_mov_b32_e32 v3, s10
	s_xor_b64 exec, exec, s[6:7]
	s_cbranch_execz .LBB1_7646
; %bb.43487:
	s_getpc_b64 s[14:15]
.Lpost_getpc7407:
	s_add_u32 s14, s14, (.LBB1_21984-.Lpost_getpc7407)&4294967295
	s_addc_u32 s15, s15, (.LBB1_21984-.Lpost_getpc7407)>>32
	s_setpc_b64 s[14:15]
.LBB1_7646:
	s_or_b64 exec, exec, s[6:7]
	s_and_saveexec_b64 s[6:7], s[4:5]
	s_cbranch_execz .LBB1_7648
.LBB1_7647:
	v_bfe_u32 v3, v4, 24, 3
	v_ffbh_u32_e32 v12, v3
	v_min_u32_e32 v12, 32, v12
	v_lshrrev_b32_e32 v7, 27, v4
	v_subrev_u32_e32 v13, 28, v12
	v_and_b32_e32 v6, 0x80000000, v4
	v_and_b32_e32 v7, 15, v7
	v_bfe_u32 v8, v4, 27, 4
	v_lshlrev_b32_sdwa v4, v13, v4 dst_sel:DWORD dst_unused:UNUSED_PAD src0_sel:DWORD src1_sel:BYTE_3
	v_sub_u32_e32 v12, 29, v12
	v_and_b32_e32 v4, 7, v4
	v_cmp_eq_u16_e32 vcc, 0, v7
	v_cndmask_b32_e32 v3, v3, v4, vcc
	v_cndmask_b32_e32 v4, v8, v12, vcc
	v_mov_b32_e32 v7, 0x3b800000
	v_lshlrev_b32_e32 v3, 20, v3
	v_lshl_add_u32 v4, v4, 23, v7
	v_or3_b32 v3, v6, v4, v3
.LBB1_7648:
	s_or_b64 exec, exec, s[6:7]
	s_nop 0
	v_mfma_f32_16x16x4f32 a[0:3], v2, v3, a[0:3]
	s_movk_i32 s4, 0x7f
	v_cmp_gt_i16_sdwa s[6:7], v9, s4 src0_sel:BYTE_0 src1_sel:DWORD
	s_mov_b64 s[4:5], 0
                                        ; implicit-def: $sgpr10
	s_and_saveexec_b64 s[8:9], s[6:7]
	s_xor_b64 s[6:7], exec, s[8:9]
	s_cbranch_execz .LBB1_7649
; %bb.43489:
	s_getpc_b64 s[14:15]
.Lpost_getpc7408:
	s_add_u32 s14, s14, (.LBB1_21985-.Lpost_getpc7408)&4294967295
	s_addc_u32 s15, s15, (.LBB1_21985-.Lpost_getpc7408)>>32
	s_setpc_b64 s[14:15]
.LBB1_7649:
	s_or_saveexec_b64 s[6:7], s[6:7]
	v_mov_b32_e32 v2, s10
	s_xor_b64 exec, exec, s[6:7]
	s_cbranch_execz .LBB1_7650
; %bb.43491:
	s_getpc_b64 s[14:15]
.Lpost_getpc7409:
	s_add_u32 s14, s14, (.LBB1_21988-.Lpost_getpc7409)&4294967295
	s_addc_u32 s15, s15, (.LBB1_21988-.Lpost_getpc7409)>>32
	s_setpc_b64 s[14:15]
.LBB1_7650:
	s_or_b64 exec, exec, s[6:7]
	s_and_saveexec_b64 s[6:7], s[4:5]
	s_cbranch_execz .LBB1_7652
.LBB1_7651:
	v_mov_b32_e32 v2, 8
	v_and_b32_e32 v3, 7, v9
	v_lshrrev_b32_sdwa v2, v2, v9 dst_sel:BYTE_1 dst_unused:UNUSED_PAD src0_sel:DWORD src1_sel:DWORD
	v_ffbh_u32_e32 v4, v3
	v_or_b32_sdwa v2, v9, v2 dst_sel:DWORD dst_unused:UNUSED_PAD src0_sel:BYTE_0 src1_sel:DWORD
	v_min_u32_e32 v4, 32, v4
	v_lshrrev_b16_e32 v2, 3, v2
	v_subrev_u32_e32 v6, 28, v4
	v_and_b32_e32 v2, 15, v2
	v_lshlrev_b32_e32 v6, v6, v9
	v_sub_u32_e32 v4, 29, v4
	v_and_b32_e32 v6, 7, v6
	v_cmp_eq_u16_e32 vcc, 0, v2
	v_cndmask_b32_e32 v3, v3, v6, vcc
	v_cndmask_b32_e32 v2, v2, v4, vcc
	v_lshlrev_b32_e32 v4, 24, v9
	v_mov_b32_e32 v6, 0x3b800000
	v_lshlrev_b32_e32 v3, 20, v3
	v_and_b32_e32 v4, 0x80000000, v4
	v_lshl_add_u32 v2, v2, 23, v6
	v_or3_b32 v2, v4, v2, v3
.LBB1_7652:
	s_or_b64 exec, exec, s[6:7]
	s_movk_i32 s4, 0x7f
	v_cmp_gt_i16_sdwa s[6:7], v5, s4 src0_sel:BYTE_0 src1_sel:DWORD
	s_mov_b64 s[4:5], 0
                                        ; implicit-def: $sgpr10
	s_and_saveexec_b64 s[8:9], s[6:7]
	s_xor_b64 s[6:7], exec, s[8:9]
	s_cbranch_execz .LBB1_7653
; %bb.43493:
	s_getpc_b64 s[14:15]
.Lpost_getpc7410:
	s_add_u32 s14, s14, (.LBB1_21989-.Lpost_getpc7410)&4294967295
	s_addc_u32 s15, s15, (.LBB1_21989-.Lpost_getpc7410)>>32
	s_setpc_b64 s[14:15]
.LBB1_7653:
	s_or_saveexec_b64 s[6:7], s[6:7]
	v_mov_b32_e32 v3, s10
	s_xor_b64 exec, exec, s[6:7]
	s_cbranch_execz .LBB1_7654
; %bb.43495:
	s_getpc_b64 s[14:15]
.Lpost_getpc7411:
	s_add_u32 s14, s14, (.LBB1_21992-.Lpost_getpc7411)&4294967295
	s_addc_u32 s15, s15, (.LBB1_21992-.Lpost_getpc7411)>>32
	s_setpc_b64 s[14:15]
.LBB1_7654:
	s_or_b64 exec, exec, s[6:7]
	s_and_saveexec_b64 s[6:7], s[4:5]
	s_cbranch_execz .LBB1_7656
.LBB1_7655:
	v_mov_b32_e32 v3, 8
	v_and_b32_e32 v4, 7, v5
	v_lshrrev_b32_sdwa v3, v3, v5 dst_sel:BYTE_1 dst_unused:UNUSED_PAD src0_sel:DWORD src1_sel:DWORD
	v_ffbh_u32_e32 v6, v4
	v_or_b32_sdwa v3, v5, v3 dst_sel:DWORD dst_unused:UNUSED_PAD src0_sel:BYTE_0 src1_sel:DWORD
	v_min_u32_e32 v6, 32, v6
	v_lshrrev_b16_e32 v3, 3, v3
	v_subrev_u32_e32 v7, 28, v6
	v_and_b32_e32 v3, 15, v3
	v_lshlrev_b32_e32 v7, v7, v5
	v_sub_u32_e32 v6, 29, v6
	v_and_b32_e32 v7, 7, v7
	v_cmp_eq_u16_e32 vcc, 0, v3
	v_cndmask_b32_e32 v4, v4, v7, vcc
	v_cndmask_b32_e32 v3, v3, v6, vcc
	v_lshlrev_b32_e32 v6, 24, v5
	v_mov_b32_e32 v7, 0x3b800000
	v_lshlrev_b32_e32 v4, 20, v4
	v_and_b32_e32 v6, 0x80000000, v6
	v_lshl_add_u32 v3, v3, 23, v7
	v_or3_b32 v3, v6, v3, v4
.LBB1_7656:
	s_or_b64 exec, exec, s[6:7]
	s_nop 0
	v_mfma_f32_16x16x4f32 a[0:3], v2, v3, a[0:3]
	v_lshrrev_b32_e32 v3, 8, v9
	s_movk_i32 s4, 0x7f
	v_cmp_gt_i16_sdwa s[6:7], v3, s4 src0_sel:BYTE_0 src1_sel:DWORD
	s_mov_b64 s[4:5], 0
                                        ; implicit-def: $sgpr10
	s_and_saveexec_b64 s[8:9], s[6:7]
	s_xor_b64 s[6:7], exec, s[8:9]
	s_cbranch_execz .LBB1_7657
; %bb.43497:
	s_getpc_b64 s[14:15]
.Lpost_getpc7412:
	s_add_u32 s14, s14, (.LBB1_21993-.Lpost_getpc7412)&4294967295
	s_addc_u32 s15, s15, (.LBB1_21993-.Lpost_getpc7412)>>32
	s_setpc_b64 s[14:15]
.LBB1_7657:
	s_or_saveexec_b64 s[6:7], s[6:7]
	v_mov_b32_e32 v2, s10
	s_xor_b64 exec, exec, s[6:7]
	s_cbranch_execz .LBB1_7658
; %bb.43499:
	s_getpc_b64 s[14:15]
.Lpost_getpc7413:
	s_add_u32 s14, s14, (.LBB1_21996-.Lpost_getpc7413)&4294967295
	s_addc_u32 s15, s15, (.LBB1_21996-.Lpost_getpc7413)>>32
	s_setpc_b64 s[14:15]
.LBB1_7658:
	s_or_b64 exec, exec, s[6:7]
	s_and_saveexec_b64 s[6:7], s[4:5]
	s_cbranch_execz .LBB1_7660
.LBB1_7659:
	v_bfe_u32 v2, v9, 8, 3
	v_ffbh_u32_e32 v6, v2
	v_min_u32_e32 v6, 32, v6
	v_lshrrev_b16_e32 v4, 3, v3
	v_subrev_u32_e32 v7, 28, v6
	v_and_b32_e32 v4, 15, v4
	v_lshlrev_b32_e32 v3, v7, v3
	v_sub_u32_e32 v6, 29, v6
	v_and_b32_e32 v3, 7, v3
	v_cmp_eq_u16_e32 vcc, 0, v4
	v_cndmask_b32_e32 v2, v2, v3, vcc
	v_cndmask_b32_e32 v3, v4, v6, vcc
	v_lshlrev_b32_e32 v4, 16, v9
	v_mov_b32_e32 v6, 0x3b800000
	v_lshlrev_b32_e32 v2, 20, v2
	v_and_b32_e32 v4, 0x80000000, v4
	v_lshl_add_u32 v3, v3, 23, v6
	v_or3_b32 v2, v4, v3, v2
.LBB1_7660:
	s_or_b64 exec, exec, s[6:7]
	v_lshrrev_b32_e32 v3, 8, v5
	s_movk_i32 s4, 0x7f
	v_cmp_gt_i16_sdwa s[6:7], v3, s4 src0_sel:BYTE_0 src1_sel:DWORD
	s_mov_b64 s[4:5], 0
                                        ; implicit-def: $sgpr10
	s_and_saveexec_b64 s[8:9], s[6:7]
	s_xor_b64 s[6:7], exec, s[8:9]
	s_cbranch_execz .LBB1_7661
; %bb.43501:
	s_getpc_b64 s[14:15]
.Lpost_getpc7414:
	s_add_u32 s14, s14, (.LBB1_21997-.Lpost_getpc7414)&4294967295
	s_addc_u32 s15, s15, (.LBB1_21997-.Lpost_getpc7414)>>32
	s_setpc_b64 s[14:15]
.LBB1_7661:
	s_or_saveexec_b64 s[6:7], s[6:7]
	v_mov_b32_e32 v4, s10
	s_xor_b64 exec, exec, s[6:7]
	s_cbranch_execz .LBB1_7662
; %bb.43503:
	s_getpc_b64 s[14:15]
.Lpost_getpc7415:
	s_add_u32 s14, s14, (.LBB1_22000-.Lpost_getpc7415)&4294967295
	s_addc_u32 s15, s15, (.LBB1_22000-.Lpost_getpc7415)>>32
	s_setpc_b64 s[14:15]
.LBB1_7662:
	s_or_b64 exec, exec, s[6:7]
	s_and_saveexec_b64 s[6:7], s[4:5]
	s_cbranch_execz .LBB1_7664
.LBB1_7663:
	v_bfe_u32 v4, v5, 8, 3
	v_ffbh_u32_e32 v7, v4
	v_min_u32_e32 v7, 32, v7
	v_lshrrev_b16_e32 v6, 3, v3
	v_subrev_u32_e32 v8, 28, v7
	v_and_b32_e32 v6, 15, v6
	v_lshlrev_b32_e32 v3, v8, v3
	v_sub_u32_e32 v7, 29, v7
	v_and_b32_e32 v3, 7, v3
	v_cmp_eq_u16_e32 vcc, 0, v6
	v_cndmask_b32_e32 v3, v4, v3, vcc
	v_cndmask_b32_e32 v4, v6, v7, vcc
	v_lshlrev_b32_e32 v6, 16, v5
	v_mov_b32_e32 v7, 0x3b800000
	v_lshlrev_b32_e32 v3, 20, v3
	v_and_b32_e32 v6, 0x80000000, v6
	v_lshl_add_u32 v4, v4, 23, v7
	v_or3_b32 v4, v6, v4, v3
.LBB1_7664:
	s_or_b64 exec, exec, s[6:7]
	s_nop 0
	v_mfma_f32_16x16x4f32 a[0:3], v2, v4, a[0:3]
	s_movk_i32 s4, 0xff
	v_and_b32_sdwa v3, v9, s4 dst_sel:DWORD dst_unused:UNUSED_PAD src0_sel:WORD_1 src1_sel:DWORD
	s_movk_i32 s4, 0x7f
	v_cmp_lt_i16_e32 vcc, s4, v3
	s_mov_b64 s[4:5], 0
                                        ; implicit-def: $sgpr10
	s_and_saveexec_b64 s[6:7], vcc
	s_xor_b64 s[6:7], exec, s[6:7]
	s_cbranch_execz .LBB1_7665
; %bb.43505:
	s_getpc_b64 s[14:15]
.Lpost_getpc7416:
	s_add_u32 s14, s14, (.LBB1_22001-.Lpost_getpc7416)&4294967295
	s_addc_u32 s15, s15, (.LBB1_22001-.Lpost_getpc7416)>>32
	s_setpc_b64 s[14:15]
.LBB1_7665:
	s_or_saveexec_b64 s[6:7], s[6:7]
	v_mov_b32_e32 v2, s10
	s_xor_b64 exec, exec, s[6:7]
	s_cbranch_execz .LBB1_7666
; %bb.43507:
	s_getpc_b64 s[14:15]
.Lpost_getpc7417:
	s_add_u32 s14, s14, (.LBB1_22004-.Lpost_getpc7417)&4294967295
	s_addc_u32 s15, s15, (.LBB1_22004-.Lpost_getpc7417)>>32
	s_setpc_b64 s[14:15]
.LBB1_7666:
	s_or_b64 exec, exec, s[6:7]
	s_and_saveexec_b64 s[6:7], s[4:5]
	s_cbranch_execz .LBB1_7668
.LBB1_7667:
	v_bfe_u32 v2, v9, 16, 3
	v_ffbh_u32_e32 v6, v2
	v_min_u32_e32 v6, 32, v6
	v_lshrrev_b32_e32 v3, 19, v9
	v_subrev_u32_e32 v7, 28, v6
	v_and_b32_e32 v3, 15, v3
	v_lshlrev_b32_sdwa v7, v7, v9 dst_sel:DWORD dst_unused:UNUSED_PAD src0_sel:DWORD src1_sel:WORD_1
	v_bfe_u32 v4, v9, 19, 4
	v_sub_u32_e32 v6, 29, v6
	v_and_b32_e32 v7, 7, v7
	v_cmp_eq_u16_e32 vcc, 0, v3
	v_cndmask_b32_e32 v2, v2, v7, vcc
	v_cndmask_b32_e32 v3, v4, v6, vcc
	v_lshlrev_b32_e32 v4, 8, v9
	v_mov_b32_e32 v6, 0x3b800000
	v_lshlrev_b32_e32 v2, 20, v2
	v_and_b32_e32 v4, 0x80000000, v4
	v_lshl_add_u32 v3, v3, 23, v6
	v_or3_b32 v2, v4, v3, v2
.LBB1_7668:
	s_or_b64 exec, exec, s[6:7]
	s_movk_i32 s4, 0xff
	v_and_b32_sdwa v3, v5, s4 dst_sel:DWORD dst_unused:UNUSED_PAD src0_sel:WORD_1 src1_sel:DWORD
	s_movk_i32 s4, 0x7f
	v_cmp_lt_i16_e32 vcc, s4, v3
	s_mov_b64 s[4:5], 0
                                        ; implicit-def: $sgpr10
	s_and_saveexec_b64 s[6:7], vcc
	s_xor_b64 s[6:7], exec, s[6:7]
	s_cbranch_execz .LBB1_7669
; %bb.43509:
	s_getpc_b64 s[14:15]
.Lpost_getpc7418:
	s_add_u32 s14, s14, (.LBB1_22005-.Lpost_getpc7418)&4294967295
	s_addc_u32 s15, s15, (.LBB1_22005-.Lpost_getpc7418)>>32
	s_setpc_b64 s[14:15]
.LBB1_7669:
	s_or_saveexec_b64 s[6:7], s[6:7]
	v_mov_b32_e32 v4, s10
	s_xor_b64 exec, exec, s[6:7]
	s_cbranch_execz .LBB1_7670
; %bb.43511:
	s_getpc_b64 s[14:15]
.Lpost_getpc7419:
	s_add_u32 s14, s14, (.LBB1_22008-.Lpost_getpc7419)&4294967295
	s_addc_u32 s15, s15, (.LBB1_22008-.Lpost_getpc7419)>>32
	s_setpc_b64 s[14:15]
.LBB1_7670:
	s_or_b64 exec, exec, s[6:7]
	s_and_saveexec_b64 s[6:7], s[4:5]
	s_cbranch_execz .LBB1_7672
.LBB1_7671:
	v_bfe_u32 v3, v5, 16, 3
	v_ffbh_u32_e32 v7, v3
	v_min_u32_e32 v7, 32, v7
	v_lshrrev_b32_e32 v4, 19, v5
	v_subrev_u32_e32 v8, 28, v7
	v_and_b32_e32 v4, 15, v4
	v_lshlrev_b32_sdwa v8, v8, v5 dst_sel:DWORD dst_unused:UNUSED_PAD src0_sel:DWORD src1_sel:WORD_1
	v_bfe_u32 v6, v5, 19, 4
	v_sub_u32_e32 v7, 29, v7
	v_and_b32_e32 v8, 7, v8
	v_cmp_eq_u16_e32 vcc, 0, v4
	v_cndmask_b32_e32 v3, v3, v8, vcc
	v_cndmask_b32_e32 v4, v6, v7, vcc
	v_lshlrev_b32_e32 v6, 8, v5
	v_mov_b32_e32 v7, 0x3b800000
	v_lshlrev_b32_e32 v3, 20, v3
	v_and_b32_e32 v6, 0x80000000, v6
	v_lshl_add_u32 v4, v4, 23, v7
	v_or3_b32 v4, v6, v4, v3
.LBB1_7672:
	s_or_b64 exec, exec, s[6:7]
	s_nop 0
	v_mfma_f32_16x16x4f32 a[0:3], v2, v4, a[0:3]
	s_movk_i32 s4, 0x7f
	v_cmp_gt_i16_sdwa s[6:7], v9, s4 src0_sel:BYTE_3 src1_sel:DWORD
	s_mov_b64 s[4:5], 0
                                        ; implicit-def: $sgpr10
	s_and_saveexec_b64 s[8:9], s[6:7]
	s_xor_b64 s[6:7], exec, s[8:9]
	s_cbranch_execz .LBB1_7673
; %bb.43513:
	s_getpc_b64 s[14:15]
.Lpost_getpc7420:
	s_add_u32 s14, s14, (.LBB1_22009-.Lpost_getpc7420)&4294967295
	s_addc_u32 s15, s15, (.LBB1_22009-.Lpost_getpc7420)>>32
	s_setpc_b64 s[14:15]
.LBB1_7673:
	s_or_saveexec_b64 s[6:7], s[6:7]
	v_mov_b32_e32 v2, s10
	s_xor_b64 exec, exec, s[6:7]
	s_cbranch_execz .LBB1_7674
; %bb.43515:
	s_getpc_b64 s[14:15]
.Lpost_getpc7421:
	s_add_u32 s14, s14, (.LBB1_22012-.Lpost_getpc7421)&4294967295
	s_addc_u32 s15, s15, (.LBB1_22012-.Lpost_getpc7421)>>32
	s_setpc_b64 s[14:15]
.LBB1_7674:
	s_or_b64 exec, exec, s[6:7]
	s_and_saveexec_b64 s[6:7], s[4:5]
	s_cbranch_execz .LBB1_7676
.LBB1_7675:
	v_bfe_u32 v2, v9, 24, 3
	v_ffbh_u32_e32 v7, v2
	v_min_u32_e32 v7, 32, v7
	v_lshrrev_b32_e32 v4, 27, v9
	v_subrev_u32_e32 v8, 28, v7
	v_and_b32_e32 v4, 15, v4
	v_lshlrev_b32_sdwa v8, v8, v9 dst_sel:DWORD dst_unused:UNUSED_PAD src0_sel:DWORD src1_sel:BYTE_3
	v_bfe_u32 v6, v9, 27, 4
	v_sub_u32_e32 v7, 29, v7
	v_and_b32_e32 v8, 7, v8
	v_cmp_eq_u16_e32 vcc, 0, v4
	v_cndmask_b32_e32 v2, v2, v8, vcc
	v_cndmask_b32_e32 v4, v6, v7, vcc
	v_mov_b32_e32 v6, 0x3b800000
	v_and_b32_e32 v3, 0x80000000, v9
	v_lshlrev_b32_e32 v2, 20, v2
	v_lshl_add_u32 v4, v4, 23, v6
	v_or3_b32 v2, v3, v4, v2
.LBB1_7676:
	s_or_b64 exec, exec, s[6:7]
	s_movk_i32 s4, 0x7f
	v_cmp_gt_i16_sdwa s[6:7], v5, s4 src0_sel:BYTE_3 src1_sel:DWORD
	s_mov_b64 s[4:5], 0
                                        ; implicit-def: $sgpr10
	s_and_saveexec_b64 s[8:9], s[6:7]
	s_xor_b64 s[6:7], exec, s[8:9]
	s_cbranch_execz .LBB1_7677
; %bb.43517:
	s_getpc_b64 s[14:15]
.Lpost_getpc7422:
	s_add_u32 s14, s14, (.LBB1_22013-.Lpost_getpc7422)&4294967295
	s_addc_u32 s15, s15, (.LBB1_22013-.Lpost_getpc7422)>>32
	s_setpc_b64 s[14:15]
.LBB1_7677:
	s_or_saveexec_b64 s[6:7], s[6:7]
	v_mov_b32_e32 v3, s10
	s_xor_b64 exec, exec, s[6:7]
	s_cbranch_execz .LBB1_7678
; %bb.43519:
	s_getpc_b64 s[14:15]
.Lpost_getpc7423:
	s_add_u32 s14, s14, (.LBB1_22016-.Lpost_getpc7423)&4294967295
	s_addc_u32 s15, s15, (.LBB1_22016-.Lpost_getpc7423)>>32
	s_setpc_b64 s[14:15]
.LBB1_7678:
	s_or_b64 exec, exec, s[6:7]
	s_and_saveexec_b64 s[6:7], s[4:5]
	s_cbranch_execz .LBB1_7680
.LBB1_7679:
	v_bfe_u32 v3, v5, 24, 3
	v_ffbh_u32_e32 v8, v3
	v_min_u32_e32 v8, 32, v8
	v_lshrrev_b32_e32 v6, 27, v5
	v_subrev_u32_e32 v9, 28, v8
	v_and_b32_e32 v4, 0x80000000, v5
	v_and_b32_e32 v6, 15, v6
	v_bfe_u32 v7, v5, 27, 4
	v_lshlrev_b32_sdwa v5, v9, v5 dst_sel:DWORD dst_unused:UNUSED_PAD src0_sel:DWORD src1_sel:BYTE_3
	v_sub_u32_e32 v8, 29, v8
	v_and_b32_e32 v5, 7, v5
	v_cmp_eq_u16_e32 vcc, 0, v6
	v_cndmask_b32_e32 v3, v3, v5, vcc
	v_cndmask_b32_e32 v5, v7, v8, vcc
	v_mov_b32_e32 v6, 0x3b800000
	v_lshlrev_b32_e32 v3, 20, v3
	v_lshl_add_u32 v5, v5, 23, v6
	v_or3_b32 v3, v4, v5, v3
.LBB1_7680:
	s_or_b64 exec, exec, s[6:7]
	s_nop 0
	v_mfma_f32_16x16x4f32 a[0:3], v2, v3, a[0:3]
	s_movk_i32 s4, 0x7f
                                        ; implicit-def: $sgpr10
	s_nop 7
	s_nop 1
	flat_store_dwordx4 v[10:11], a[0:3] offset:48
	flat_load_dwordx4 v[12:15], v[0:1]
	s_nop 0
	flat_load_dwordx2 v[10:11], v[0:1] offset:16
	s_waitcnt vmcnt(0) lgkmcnt(0)
	flat_load_dwordx4 v[6:9], v[12:13] offset:112
	flat_load_dwordx4 v[2:5], v[14:15] offset:192
	s_waitcnt vmcnt(0) lgkmcnt(0)
	v_cmp_gt_i16_sdwa s[6:7], v6, s4 src0_sel:BYTE_0 src1_sel:DWORD
	s_mov_b64 s[4:5], 0
	s_and_saveexec_b64 s[8:9], s[6:7]
	s_xor_b64 s[6:7], exec, s[8:9]
	s_cbranch_execz .LBB1_7681
; %bb.43521:
	s_getpc_b64 s[14:15]
.Lpost_getpc7424:
	s_add_u32 s14, s14, (.LBB1_22017-.Lpost_getpc7424)&4294967295
	s_addc_u32 s15, s15, (.LBB1_22017-.Lpost_getpc7424)>>32
	s_setpc_b64 s[14:15]
.LBB1_7681:
	s_or_saveexec_b64 s[6:7], s[6:7]
	v_mov_b32_e32 v12, s10
	s_xor_b64 exec, exec, s[6:7]
	s_cbranch_execz .LBB1_7682
; %bb.43523:
	s_getpc_b64 s[14:15]
.Lpost_getpc7425:
	s_add_u32 s14, s14, (.LBB1_22020-.Lpost_getpc7425)&4294967295
	s_addc_u32 s15, s15, (.LBB1_22020-.Lpost_getpc7425)>>32
	s_setpc_b64 s[14:15]
.LBB1_7682:
	s_or_b64 exec, exec, s[6:7]
	s_and_saveexec_b64 s[6:7], s[4:5]
	s_cbranch_execz .LBB1_7684
.LBB1_7683:
	v_and_b32_e32 v12, 7, v6
	v_ffbh_u32_e32 v14, v12
	v_min_u32_e32 v14, 32, v14
	v_lshrrev_b16_e32 v13, 3, v6
	v_subrev_u32_e32 v15, 28, v14
	v_and_b32_e32 v13, 15, v13
	v_lshlrev_b32_e32 v15, v15, v6
	v_sub_u32_e32 v14, 29, v14
	v_and_b32_e32 v15, 7, v15
	v_cmp_eq_u16_e32 vcc, 0, v13
	v_cndmask_b32_e32 v12, v12, v15, vcc
	v_cndmask_b32_e32 v13, v13, v14, vcc
	v_lshlrev_b32_e32 v14, 24, v6
	v_mov_b32_e32 v15, 0x3b800000
	v_lshlrev_b32_e32 v12, 20, v12
	v_and_b32_e32 v14, 0x80000000, v14
	v_lshl_add_u32 v13, v13, 23, v15
	v_or3_b32 v12, v14, v13, v12
.LBB1_7684:
	s_or_b64 exec, exec, s[6:7]
	s_movk_i32 s4, 0x7f
	v_cmp_gt_i16_sdwa s[6:7], v2, s4 src0_sel:BYTE_0 src1_sel:DWORD
	s_mov_b64 s[4:5], 0
                                        ; implicit-def: $sgpr10
	s_and_saveexec_b64 s[8:9], s[6:7]
	s_xor_b64 s[6:7], exec, s[8:9]
	s_cbranch_execz .LBB1_7685
; %bb.43525:
	s_getpc_b64 s[14:15]
.Lpost_getpc7426:
	s_add_u32 s14, s14, (.LBB1_22021-.Lpost_getpc7426)&4294967295
	s_addc_u32 s15, s15, (.LBB1_22021-.Lpost_getpc7426)>>32
	s_setpc_b64 s[14:15]
.LBB1_7685:
	s_or_saveexec_b64 s[6:7], s[6:7]
	v_mov_b32_e32 v13, s10
	s_xor_b64 exec, exec, s[6:7]
	s_cbranch_execz .LBB1_7686
; %bb.43527:
	s_getpc_b64 s[14:15]
.Lpost_getpc7427:
	s_add_u32 s14, s14, (.LBB1_22024-.Lpost_getpc7427)&4294967295
	s_addc_u32 s15, s15, (.LBB1_22024-.Lpost_getpc7427)>>32
	s_setpc_b64 s[14:15]
.LBB1_7686:
	s_or_b64 exec, exec, s[6:7]
	s_and_saveexec_b64 s[6:7], s[4:5]
	s_cbranch_execz .LBB1_7688
.LBB1_7687:
	v_and_b32_e32 v13, 7, v2
	v_ffbh_u32_e32 v15, v13
	v_min_u32_e32 v15, 32, v15
	v_lshrrev_b16_e32 v14, 3, v2
	v_subrev_u32_e32 v16, 28, v15
	v_and_b32_e32 v14, 15, v14
	v_lshlrev_b32_e32 v16, v16, v2
	v_sub_u32_e32 v15, 29, v15
	v_and_b32_e32 v16, 7, v16
	v_cmp_eq_u16_e32 vcc, 0, v14
	v_cndmask_b32_e32 v13, v13, v16, vcc
	v_cndmask_b32_e32 v14, v14, v15, vcc
	v_lshlrev_b32_e32 v15, 24, v2
	v_mov_b32_e32 v16, 0x3b800000
	v_lshlrev_b32_e32 v13, 20, v13
	v_and_b32_e32 v15, 0x80000000, v15
	v_lshl_add_u32 v14, v14, 23, v16
	v_or3_b32 v13, v15, v14, v13
.LBB1_7688:
	s_or_b64 exec, exec, s[6:7]
	flat_load_dwordx4 a[0:3], v[10:11] offset:64
	s_movk_i32 s4, 0x7f
                                        ; implicit-def: $sgpr10
	s_waitcnt vmcnt(0) lgkmcnt(0)
	v_mfma_f32_16x16x4f32 a[0:3], v12, v13, a[0:3]
	v_lshrrev_b32_e32 v13, 8, v6
	v_cmp_gt_i16_sdwa s[6:7], v13, s4 src0_sel:BYTE_0 src1_sel:DWORD
	s_mov_b64 s[4:5], 0
	s_and_saveexec_b64 s[8:9], s[6:7]
	s_xor_b64 s[6:7], exec, s[8:9]
	s_cbranch_execz .LBB1_7689
; %bb.43529:
	s_getpc_b64 s[14:15]
.Lpost_getpc7428:
	s_add_u32 s14, s14, (.LBB1_22025-.Lpost_getpc7428)&4294967295
	s_addc_u32 s15, s15, (.LBB1_22025-.Lpost_getpc7428)>>32
	s_setpc_b64 s[14:15]
.LBB1_7689:
	s_or_saveexec_b64 s[6:7], s[6:7]
	v_mov_b32_e32 v12, s10
	s_xor_b64 exec, exec, s[6:7]
	s_cbranch_execz .LBB1_7690
; %bb.43531:
	s_getpc_b64 s[14:15]
.Lpost_getpc7429:
	s_add_u32 s14, s14, (.LBB1_22028-.Lpost_getpc7429)&4294967295
	s_addc_u32 s15, s15, (.LBB1_22028-.Lpost_getpc7429)>>32
	s_setpc_b64 s[14:15]
.LBB1_7690:
	s_or_b64 exec, exec, s[6:7]
	s_and_saveexec_b64 s[6:7], s[4:5]
	s_cbranch_execz .LBB1_7692
.LBB1_7691:
	v_bfe_u32 v12, v6, 8, 3
	v_ffbh_u32_e32 v15, v12
	v_min_u32_e32 v15, 32, v15
	v_lshrrev_b16_e32 v14, 3, v13
	v_subrev_u32_e32 v16, 28, v15
	v_and_b32_e32 v14, 15, v14
	v_lshlrev_b32_e32 v13, v16, v13
	v_sub_u32_e32 v15, 29, v15
	v_and_b32_e32 v13, 7, v13
	v_cmp_eq_u16_e32 vcc, 0, v14
	v_cndmask_b32_e32 v12, v12, v13, vcc
	v_cndmask_b32_e32 v13, v14, v15, vcc
	v_lshlrev_b32_e32 v14, 16, v6
	v_mov_b32_e32 v15, 0x3b800000
	v_lshlrev_b32_e32 v12, 20, v12
	v_and_b32_e32 v14, 0x80000000, v14
	v_lshl_add_u32 v13, v13, 23, v15
	v_or3_b32 v12, v14, v13, v12
.LBB1_7692:
	s_or_b64 exec, exec, s[6:7]
	v_lshrrev_b32_e32 v13, 8, v2
	s_movk_i32 s4, 0x7f
	v_cmp_gt_i16_sdwa s[6:7], v13, s4 src0_sel:BYTE_0 src1_sel:DWORD
	s_mov_b64 s[4:5], 0
                                        ; implicit-def: $sgpr10
	s_and_saveexec_b64 s[8:9], s[6:7]
	s_xor_b64 s[6:7], exec, s[8:9]
	s_cbranch_execz .LBB1_7693
; %bb.43533:
	s_getpc_b64 s[14:15]
.Lpost_getpc7430:
	s_add_u32 s14, s14, (.LBB1_22029-.Lpost_getpc7430)&4294967295
	s_addc_u32 s15, s15, (.LBB1_22029-.Lpost_getpc7430)>>32
	s_setpc_b64 s[14:15]
.LBB1_7693:
	s_or_saveexec_b64 s[6:7], s[6:7]
	v_mov_b32_e32 v14, s10
	s_xor_b64 exec, exec, s[6:7]
	s_cbranch_execz .LBB1_7694
; %bb.43535:
	s_getpc_b64 s[14:15]
.Lpost_getpc7431:
	s_add_u32 s14, s14, (.LBB1_22032-.Lpost_getpc7431)&4294967295
	s_addc_u32 s15, s15, (.LBB1_22032-.Lpost_getpc7431)>>32
	s_setpc_b64 s[14:15]
.LBB1_7694:
	s_or_b64 exec, exec, s[6:7]
	s_and_saveexec_b64 s[6:7], s[4:5]
	s_cbranch_execz .LBB1_7696
.LBB1_7695:
	v_bfe_u32 v14, v2, 8, 3
	v_ffbh_u32_e32 v16, v14
	v_min_u32_e32 v16, 32, v16
	v_lshrrev_b16_e32 v15, 3, v13
	v_subrev_u32_e32 v17, 28, v16
	v_and_b32_e32 v15, 15, v15
	v_lshlrev_b32_e32 v13, v17, v13
	v_sub_u32_e32 v16, 29, v16
	v_and_b32_e32 v13, 7, v13
	v_cmp_eq_u16_e32 vcc, 0, v15
	v_cndmask_b32_e32 v13, v14, v13, vcc
	v_cndmask_b32_e32 v14, v15, v16, vcc
	v_lshlrev_b32_e32 v15, 16, v2
	v_mov_b32_e32 v16, 0x3b800000
	v_lshlrev_b32_e32 v13, 20, v13
	v_and_b32_e32 v15, 0x80000000, v15
	v_lshl_add_u32 v14, v14, 23, v16
	v_or3_b32 v14, v15, v14, v13
.LBB1_7696:
	s_or_b64 exec, exec, s[6:7]
	s_nop 0
	v_mfma_f32_16x16x4f32 a[0:3], v12, v14, a[0:3]
	s_movk_i32 s4, 0xff
	v_and_b32_sdwa v13, v6, s4 dst_sel:DWORD dst_unused:UNUSED_PAD src0_sel:WORD_1 src1_sel:DWORD
	s_movk_i32 s4, 0x7f
	v_cmp_lt_i16_e32 vcc, s4, v13
	s_mov_b64 s[4:5], 0
                                        ; implicit-def: $sgpr10
	s_and_saveexec_b64 s[6:7], vcc
	s_xor_b64 s[6:7], exec, s[6:7]
	s_cbranch_execz .LBB1_7697
; %bb.43537:
	s_getpc_b64 s[14:15]
.Lpost_getpc7432:
	s_add_u32 s14, s14, (.LBB1_22033-.Lpost_getpc7432)&4294967295
	s_addc_u32 s15, s15, (.LBB1_22033-.Lpost_getpc7432)>>32
	s_setpc_b64 s[14:15]
.LBB1_7697:
	s_or_saveexec_b64 s[6:7], s[6:7]
	v_mov_b32_e32 v12, s10
	s_xor_b64 exec, exec, s[6:7]
	s_cbranch_execz .LBB1_7698
; %bb.43539:
	s_getpc_b64 s[14:15]
.Lpost_getpc7433:
	s_add_u32 s14, s14, (.LBB1_22036-.Lpost_getpc7433)&4294967295
	s_addc_u32 s15, s15, (.LBB1_22036-.Lpost_getpc7433)>>32
	s_setpc_b64 s[14:15]
.LBB1_7698:
	s_or_b64 exec, exec, s[6:7]
	s_and_saveexec_b64 s[6:7], s[4:5]
	s_cbranch_execz .LBB1_7700
.LBB1_7699:
	v_bfe_u32 v12, v6, 16, 3
	v_ffbh_u32_e32 v15, v12
	v_min_u32_e32 v15, 32, v15
	v_lshrrev_b32_e32 v13, 19, v6
	v_subrev_u32_e32 v16, 28, v15
	v_and_b32_e32 v13, 15, v13
	v_lshlrev_b32_sdwa v16, v16, v6 dst_sel:DWORD dst_unused:UNUSED_PAD src0_sel:DWORD src1_sel:WORD_1
	v_bfe_u32 v14, v6, 19, 4
	v_sub_u32_e32 v15, 29, v15
	v_and_b32_e32 v16, 7, v16
	v_cmp_eq_u16_e32 vcc, 0, v13
	v_cndmask_b32_e32 v12, v12, v16, vcc
	v_cndmask_b32_e32 v13, v14, v15, vcc
	v_lshlrev_b32_e32 v14, 8, v6
	v_mov_b32_e32 v15, 0x3b800000
	v_lshlrev_b32_e32 v12, 20, v12
	v_and_b32_e32 v14, 0x80000000, v14
	v_lshl_add_u32 v13, v13, 23, v15
	v_or3_b32 v12, v14, v13, v12
.LBB1_7700:
	s_or_b64 exec, exec, s[6:7]
	s_movk_i32 s4, 0xff
	v_and_b32_sdwa v13, v2, s4 dst_sel:DWORD dst_unused:UNUSED_PAD src0_sel:WORD_1 src1_sel:DWORD
	s_movk_i32 s4, 0x7f
	v_cmp_lt_i16_e32 vcc, s4, v13
	s_mov_b64 s[4:5], 0
                                        ; implicit-def: $sgpr10
	s_and_saveexec_b64 s[6:7], vcc
	s_xor_b64 s[6:7], exec, s[6:7]
	s_cbranch_execz .LBB1_7701
; %bb.43541:
	s_getpc_b64 s[14:15]
.Lpost_getpc7434:
	s_add_u32 s14, s14, (.LBB1_22037-.Lpost_getpc7434)&4294967295
	s_addc_u32 s15, s15, (.LBB1_22037-.Lpost_getpc7434)>>32
	s_setpc_b64 s[14:15]
.LBB1_7701:
	s_or_saveexec_b64 s[6:7], s[6:7]
	v_mov_b32_e32 v14, s10
	s_xor_b64 exec, exec, s[6:7]
	s_cbranch_execz .LBB1_7702
; %bb.43543:
	s_getpc_b64 s[14:15]
.Lpost_getpc7435:
	s_add_u32 s14, s14, (.LBB1_22040-.Lpost_getpc7435)&4294967295
	s_addc_u32 s15, s15, (.LBB1_22040-.Lpost_getpc7435)>>32
	s_setpc_b64 s[14:15]
.LBB1_7702:
	s_or_b64 exec, exec, s[6:7]
	s_and_saveexec_b64 s[6:7], s[4:5]
	s_cbranch_execz .LBB1_7704
.LBB1_7703:
	v_bfe_u32 v13, v2, 16, 3
	v_ffbh_u32_e32 v16, v13
	v_min_u32_e32 v16, 32, v16
	v_lshrrev_b32_e32 v14, 19, v2
	v_subrev_u32_e32 v17, 28, v16
	v_and_b32_e32 v14, 15, v14
	v_lshlrev_b32_sdwa v17, v17, v2 dst_sel:DWORD dst_unused:UNUSED_PAD src0_sel:DWORD src1_sel:WORD_1
	v_bfe_u32 v15, v2, 19, 4
	v_sub_u32_e32 v16, 29, v16
	v_and_b32_e32 v17, 7, v17
	v_cmp_eq_u16_e32 vcc, 0, v14
	v_cndmask_b32_e32 v13, v13, v17, vcc
	v_cndmask_b32_e32 v14, v15, v16, vcc
	v_lshlrev_b32_e32 v15, 8, v2
	v_mov_b32_e32 v16, 0x3b800000
	v_lshlrev_b32_e32 v13, 20, v13
	v_and_b32_e32 v15, 0x80000000, v15
	v_lshl_add_u32 v14, v14, 23, v16
	v_or3_b32 v14, v15, v14, v13
.LBB1_7704:
	s_or_b64 exec, exec, s[6:7]
	s_nop 0
	v_mfma_f32_16x16x4f32 a[0:3], v12, v14, a[0:3]
	s_movk_i32 s4, 0x7f
	v_cmp_gt_i16_sdwa s[6:7], v6, s4 src0_sel:BYTE_3 src1_sel:DWORD
	s_mov_b64 s[4:5], 0
                                        ; implicit-def: $sgpr10
	s_and_saveexec_b64 s[8:9], s[6:7]
	s_xor_b64 s[6:7], exec, s[8:9]
	s_cbranch_execz .LBB1_7705
; %bb.43545:
	s_getpc_b64 s[14:15]
.Lpost_getpc7436:
	s_add_u32 s14, s14, (.LBB1_22041-.Lpost_getpc7436)&4294967295
	s_addc_u32 s15, s15, (.LBB1_22041-.Lpost_getpc7436)>>32
	s_setpc_b64 s[14:15]
.LBB1_7705:
	s_or_saveexec_b64 s[6:7], s[6:7]
	v_mov_b32_e32 v12, s10
	s_xor_b64 exec, exec, s[6:7]
	s_cbranch_execz .LBB1_7706
; %bb.43547:
	s_getpc_b64 s[14:15]
.Lpost_getpc7437:
	s_add_u32 s14, s14, (.LBB1_22044-.Lpost_getpc7437)&4294967295
	s_addc_u32 s15, s15, (.LBB1_22044-.Lpost_getpc7437)>>32
	s_setpc_b64 s[14:15]
.LBB1_7706:
	s_or_b64 exec, exec, s[6:7]
	s_and_saveexec_b64 s[6:7], s[4:5]
	s_cbranch_execz .LBB1_7708
.LBB1_7707:
	v_bfe_u32 v12, v6, 24, 3
	v_ffbh_u32_e32 v16, v12
	v_min_u32_e32 v16, 32, v16
	v_lshrrev_b32_e32 v14, 27, v6
	v_subrev_u32_e32 v17, 28, v16
	v_and_b32_e32 v13, 0x80000000, v6
	v_and_b32_e32 v14, 15, v14
	v_bfe_u32 v15, v6, 27, 4
	v_lshlrev_b32_sdwa v6, v17, v6 dst_sel:DWORD dst_unused:UNUSED_PAD src0_sel:DWORD src1_sel:BYTE_3
	v_sub_u32_e32 v16, 29, v16
	v_and_b32_e32 v6, 7, v6
	v_cmp_eq_u16_e32 vcc, 0, v14
	v_cndmask_b32_e32 v6, v12, v6, vcc
	v_cndmask_b32_e32 v12, v15, v16, vcc
	v_mov_b32_e32 v14, 0x3b800000
	v_lshlrev_b32_e32 v6, 20, v6
	v_lshl_add_u32 v12, v12, 23, v14
	v_or3_b32 v12, v13, v12, v6
.LBB1_7708:
	s_or_b64 exec, exec, s[6:7]
	s_movk_i32 s4, 0x7f
	v_cmp_gt_i16_sdwa s[6:7], v2, s4 src0_sel:BYTE_3 src1_sel:DWORD
	s_mov_b64 s[4:5], 0
                                        ; implicit-def: $sgpr10
	s_and_saveexec_b64 s[8:9], s[6:7]
	s_xor_b64 s[6:7], exec, s[8:9]
	s_cbranch_execz .LBB1_7709
; %bb.43549:
	s_getpc_b64 s[14:15]
.Lpost_getpc7438:
	s_add_u32 s14, s14, (.LBB1_22045-.Lpost_getpc7438)&4294967295
	s_addc_u32 s15, s15, (.LBB1_22045-.Lpost_getpc7438)>>32
	s_setpc_b64 s[14:15]
.LBB1_7709:
	s_or_saveexec_b64 s[6:7], s[6:7]
	v_mov_b32_e32 v6, s10
	s_xor_b64 exec, exec, s[6:7]
	s_cbranch_execz .LBB1_7710
; %bb.43551:
	s_getpc_b64 s[14:15]
.Lpost_getpc7439:
	s_add_u32 s14, s14, (.LBB1_22048-.Lpost_getpc7439)&4294967295
	s_addc_u32 s15, s15, (.LBB1_22048-.Lpost_getpc7439)>>32
	s_setpc_b64 s[14:15]
.LBB1_7710:
	s_or_b64 exec, exec, s[6:7]
	s_and_saveexec_b64 s[6:7], s[4:5]
	s_cbranch_execz .LBB1_7712
.LBB1_7711:
	v_bfe_u32 v6, v2, 24, 3
	v_ffbh_u32_e32 v16, v6
	v_min_u32_e32 v16, 32, v16
	v_lshrrev_b32_e32 v14, 27, v2
	v_subrev_u32_e32 v17, 28, v16
	v_and_b32_e32 v13, 0x80000000, v2
	v_and_b32_e32 v14, 15, v14
	v_bfe_u32 v15, v2, 27, 4
	v_lshlrev_b32_sdwa v2, v17, v2 dst_sel:DWORD dst_unused:UNUSED_PAD src0_sel:DWORD src1_sel:BYTE_3
	v_sub_u32_e32 v16, 29, v16
	v_and_b32_e32 v2, 7, v2
	v_cmp_eq_u16_e32 vcc, 0, v14
	v_cndmask_b32_e32 v2, v6, v2, vcc
	v_cndmask_b32_e32 v6, v15, v16, vcc
	v_mov_b32_e32 v14, 0x3b800000
	v_lshlrev_b32_e32 v2, 20, v2
	v_lshl_add_u32 v6, v6, 23, v14
	v_or3_b32 v6, v13, v6, v2
.LBB1_7712:
	s_or_b64 exec, exec, s[6:7]
	s_nop 0
	v_mfma_f32_16x16x4f32 a[0:3], v12, v6, a[0:3]
	s_movk_i32 s4, 0x7f
	v_cmp_gt_i16_sdwa s[6:7], v7, s4 src0_sel:BYTE_0 src1_sel:DWORD
	s_mov_b64 s[4:5], 0
                                        ; implicit-def: $sgpr10
	s_and_saveexec_b64 s[8:9], s[6:7]
	s_xor_b64 s[6:7], exec, s[8:9]
	s_cbranch_execz .LBB1_7713
; %bb.43553:
	s_getpc_b64 s[14:15]
.Lpost_getpc7440:
	s_add_u32 s14, s14, (.LBB1_22049-.Lpost_getpc7440)&4294967295
	s_addc_u32 s15, s15, (.LBB1_22049-.Lpost_getpc7440)>>32
	s_setpc_b64 s[14:15]
.LBB1_7713:
	s_or_saveexec_b64 s[6:7], s[6:7]
	v_mov_b32_e32 v2, s10
	s_xor_b64 exec, exec, s[6:7]
	s_cbranch_execz .LBB1_7714
; %bb.43555:
	s_getpc_b64 s[14:15]
.Lpost_getpc7441:
	s_add_u32 s14, s14, (.LBB1_22052-.Lpost_getpc7441)&4294967295
	s_addc_u32 s15, s15, (.LBB1_22052-.Lpost_getpc7441)>>32
	s_setpc_b64 s[14:15]
.LBB1_7714:
	s_or_b64 exec, exec, s[6:7]
	s_and_saveexec_b64 s[6:7], s[4:5]
	s_cbranch_execz .LBB1_7716
.LBB1_7715:
	v_and_b32_e32 v2, 7, v7
	v_ffbh_u32_e32 v12, v2
	v_min_u32_e32 v12, 32, v12
	v_lshrrev_b16_e32 v6, 3, v7
	v_subrev_u32_e32 v13, 28, v12
	v_and_b32_e32 v6, 15, v6
	v_lshlrev_b32_e32 v13, v13, v7
	v_sub_u32_e32 v12, 29, v12
	v_and_b32_e32 v13, 7, v13
	v_cmp_eq_u16_e32 vcc, 0, v6
	v_cndmask_b32_e32 v2, v2, v13, vcc
	v_cndmask_b32_e32 v6, v6, v12, vcc
	v_lshlrev_b32_e32 v12, 24, v7
	v_mov_b32_e32 v13, 0x3b800000
	v_lshlrev_b32_e32 v2, 20, v2
	v_and_b32_e32 v12, 0x80000000, v12
	v_lshl_add_u32 v6, v6, 23, v13
	v_or3_b32 v2, v12, v6, v2
.LBB1_7716:
	s_or_b64 exec, exec, s[6:7]
	s_movk_i32 s4, 0x7f
	v_cmp_gt_i16_sdwa s[6:7], v3, s4 src0_sel:BYTE_0 src1_sel:DWORD
	s_mov_b64 s[4:5], 0
                                        ; implicit-def: $sgpr10
	s_and_saveexec_b64 s[8:9], s[6:7]
	s_xor_b64 s[6:7], exec, s[8:9]
	s_cbranch_execz .LBB1_7717
; %bb.43557:
	s_getpc_b64 s[14:15]
.Lpost_getpc7442:
	s_add_u32 s14, s14, (.LBB1_22053-.Lpost_getpc7442)&4294967295
	s_addc_u32 s15, s15, (.LBB1_22053-.Lpost_getpc7442)>>32
	s_setpc_b64 s[14:15]
.LBB1_7717:
	s_or_saveexec_b64 s[6:7], s[6:7]
	v_mov_b32_e32 v6, s10
	s_xor_b64 exec, exec, s[6:7]
	s_cbranch_execz .LBB1_7718
; %bb.43559:
	s_getpc_b64 s[14:15]
.Lpost_getpc7443:
	s_add_u32 s14, s14, (.LBB1_22056-.Lpost_getpc7443)&4294967295
	s_addc_u32 s15, s15, (.LBB1_22056-.Lpost_getpc7443)>>32
	s_setpc_b64 s[14:15]
.LBB1_7718:
	s_or_b64 exec, exec, s[6:7]
	s_and_saveexec_b64 s[6:7], s[4:5]
	s_cbranch_execz .LBB1_7720
.LBB1_7719:
	v_and_b32_e32 v6, 7, v3
	v_ffbh_u32_e32 v13, v6
	v_min_u32_e32 v13, 32, v13
	v_lshrrev_b16_e32 v12, 3, v3
	v_subrev_u32_e32 v14, 28, v13
	v_and_b32_e32 v12, 15, v12
	v_lshlrev_b32_e32 v14, v14, v3
	v_sub_u32_e32 v13, 29, v13
	v_and_b32_e32 v14, 7, v14
	v_cmp_eq_u16_e32 vcc, 0, v12
	v_cndmask_b32_e32 v6, v6, v14, vcc
	v_cndmask_b32_e32 v12, v12, v13, vcc
	v_lshlrev_b32_e32 v13, 24, v3
	v_mov_b32_e32 v14, 0x3b800000
	v_lshlrev_b32_e32 v6, 20, v6
	v_and_b32_e32 v13, 0x80000000, v13
	v_lshl_add_u32 v12, v12, 23, v14
	v_or3_b32 v6, v13, v12, v6
.LBB1_7720:
	s_or_b64 exec, exec, s[6:7]
	s_nop 0
	v_mfma_f32_16x16x4f32 a[0:3], v2, v6, a[0:3]
	v_lshrrev_b32_e32 v6, 8, v7
	s_movk_i32 s4, 0x7f
	v_cmp_gt_i16_sdwa s[6:7], v6, s4 src0_sel:BYTE_0 src1_sel:DWORD
	s_mov_b64 s[4:5], 0
                                        ; implicit-def: $sgpr10
	s_and_saveexec_b64 s[8:9], s[6:7]
	s_xor_b64 s[6:7], exec, s[8:9]
	s_cbranch_execz .LBB1_7721
; %bb.43561:
	s_getpc_b64 s[14:15]
.Lpost_getpc7444:
	s_add_u32 s14, s14, (.LBB1_22057-.Lpost_getpc7444)&4294967295
	s_addc_u32 s15, s15, (.LBB1_22057-.Lpost_getpc7444)>>32
	s_setpc_b64 s[14:15]
.LBB1_7721:
	s_or_saveexec_b64 s[6:7], s[6:7]
	v_mov_b32_e32 v2, s10
	s_xor_b64 exec, exec, s[6:7]
	s_cbranch_execz .LBB1_7722
; %bb.43563:
	s_getpc_b64 s[14:15]
.Lpost_getpc7445:
	s_add_u32 s14, s14, (.LBB1_22060-.Lpost_getpc7445)&4294967295
	s_addc_u32 s15, s15, (.LBB1_22060-.Lpost_getpc7445)>>32
	s_setpc_b64 s[14:15]
.LBB1_7722:
	s_or_b64 exec, exec, s[6:7]
	s_and_saveexec_b64 s[6:7], s[4:5]
	s_cbranch_execz .LBB1_7724
.LBB1_7723:
	v_bfe_u32 v2, v7, 8, 3
	v_ffbh_u32_e32 v13, v2
	v_min_u32_e32 v13, 32, v13
	v_lshrrev_b16_e32 v12, 3, v6
	v_subrev_u32_e32 v14, 28, v13
	v_and_b32_e32 v12, 15, v12
	v_lshlrev_b32_e32 v6, v14, v6
	v_sub_u32_e32 v13, 29, v13
	v_and_b32_e32 v6, 7, v6
	v_cmp_eq_u16_e32 vcc, 0, v12
	v_cndmask_b32_e32 v2, v2, v6, vcc
	v_cndmask_b32_e32 v6, v12, v13, vcc
	v_lshlrev_b32_e32 v12, 16, v7
	v_mov_b32_e32 v13, 0x3b800000
	v_lshlrev_b32_e32 v2, 20, v2
	v_and_b32_e32 v12, 0x80000000, v12
	v_lshl_add_u32 v6, v6, 23, v13
	v_or3_b32 v2, v12, v6, v2
.LBB1_7724:
	s_or_b64 exec, exec, s[6:7]
	v_lshrrev_b32_e32 v6, 8, v3
	s_movk_i32 s4, 0x7f
	v_cmp_gt_i16_sdwa s[6:7], v6, s4 src0_sel:BYTE_0 src1_sel:DWORD
	s_mov_b64 s[4:5], 0
                                        ; implicit-def: $sgpr10
	s_and_saveexec_b64 s[8:9], s[6:7]
	s_xor_b64 s[6:7], exec, s[8:9]
	s_cbranch_execz .LBB1_7725
; %bb.43565:
	s_getpc_b64 s[14:15]
.Lpost_getpc7446:
	s_add_u32 s14, s14, (.LBB1_22061-.Lpost_getpc7446)&4294967295
	s_addc_u32 s15, s15, (.LBB1_22061-.Lpost_getpc7446)>>32
	s_setpc_b64 s[14:15]
.LBB1_7725:
	s_or_saveexec_b64 s[6:7], s[6:7]
	v_mov_b32_e32 v12, s10
	s_xor_b64 exec, exec, s[6:7]
	s_cbranch_execz .LBB1_7726
; %bb.43567:
	s_getpc_b64 s[14:15]
.Lpost_getpc7447:
	s_add_u32 s14, s14, (.LBB1_22064-.Lpost_getpc7447)&4294967295
	s_addc_u32 s15, s15, (.LBB1_22064-.Lpost_getpc7447)>>32
	s_setpc_b64 s[14:15]
.LBB1_7726:
	s_or_b64 exec, exec, s[6:7]
	s_and_saveexec_b64 s[6:7], s[4:5]
	s_cbranch_execz .LBB1_7728
.LBB1_7727:
	v_bfe_u32 v12, v3, 8, 3
	v_ffbh_u32_e32 v14, v12
	v_min_u32_e32 v14, 32, v14
	v_lshrrev_b16_e32 v13, 3, v6
	v_subrev_u32_e32 v15, 28, v14
	v_and_b32_e32 v13, 15, v13
	v_lshlrev_b32_e32 v6, v15, v6
	v_sub_u32_e32 v14, 29, v14
	v_and_b32_e32 v6, 7, v6
	v_cmp_eq_u16_e32 vcc, 0, v13
	v_cndmask_b32_e32 v6, v12, v6, vcc
	v_cndmask_b32_e32 v12, v13, v14, vcc
	v_lshlrev_b32_e32 v13, 16, v3
	v_mov_b32_e32 v14, 0x3b800000
	v_lshlrev_b32_e32 v6, 20, v6
	v_and_b32_e32 v13, 0x80000000, v13
	v_lshl_add_u32 v12, v12, 23, v14
	v_or3_b32 v12, v13, v12, v6
.LBB1_7728:
	s_or_b64 exec, exec, s[6:7]
	s_nop 0
	v_mfma_f32_16x16x4f32 a[0:3], v2, v12, a[0:3]
	s_movk_i32 s4, 0xff
	v_and_b32_sdwa v6, v7, s4 dst_sel:DWORD dst_unused:UNUSED_PAD src0_sel:WORD_1 src1_sel:DWORD
	s_movk_i32 s4, 0x7f
	v_cmp_lt_i16_e32 vcc, s4, v6
	s_mov_b64 s[4:5], 0
                                        ; implicit-def: $sgpr10
	s_and_saveexec_b64 s[6:7], vcc
	s_xor_b64 s[6:7], exec, s[6:7]
	s_cbranch_execz .LBB1_7729
; %bb.43569:
	s_getpc_b64 s[14:15]
.Lpost_getpc7448:
	s_add_u32 s14, s14, (.LBB1_22065-.Lpost_getpc7448)&4294967295
	s_addc_u32 s15, s15, (.LBB1_22065-.Lpost_getpc7448)>>32
	s_setpc_b64 s[14:15]
.LBB1_7729:
	s_or_saveexec_b64 s[6:7], s[6:7]
	v_mov_b32_e32 v2, s10
	s_xor_b64 exec, exec, s[6:7]
	s_cbranch_execz .LBB1_7730
; %bb.43571:
	s_getpc_b64 s[14:15]
.Lpost_getpc7449:
	s_add_u32 s14, s14, (.LBB1_22068-.Lpost_getpc7449)&4294967295
	s_addc_u32 s15, s15, (.LBB1_22068-.Lpost_getpc7449)>>32
	s_setpc_b64 s[14:15]
.LBB1_7730:
	s_or_b64 exec, exec, s[6:7]
	s_and_saveexec_b64 s[6:7], s[4:5]
	s_cbranch_execz .LBB1_7732
.LBB1_7731:
	v_bfe_u32 v2, v7, 16, 3
	v_ffbh_u32_e32 v13, v2
	v_min_u32_e32 v13, 32, v13
	v_lshrrev_b32_e32 v6, 19, v7
	v_subrev_u32_e32 v14, 28, v13
	v_and_b32_e32 v6, 15, v6
	v_lshlrev_b32_sdwa v14, v14, v7 dst_sel:DWORD dst_unused:UNUSED_PAD src0_sel:DWORD src1_sel:WORD_1
	v_bfe_u32 v12, v7, 19, 4
	v_sub_u32_e32 v13, 29, v13
	v_and_b32_e32 v14, 7, v14
	v_cmp_eq_u16_e32 vcc, 0, v6
	v_cndmask_b32_e32 v2, v2, v14, vcc
	v_cndmask_b32_e32 v6, v12, v13, vcc
	v_lshlrev_b32_e32 v12, 8, v7
	v_mov_b32_e32 v13, 0x3b800000
	v_lshlrev_b32_e32 v2, 20, v2
	v_and_b32_e32 v12, 0x80000000, v12
	v_lshl_add_u32 v6, v6, 23, v13
	v_or3_b32 v2, v12, v6, v2
.LBB1_7732:
	s_or_b64 exec, exec, s[6:7]
	s_movk_i32 s4, 0xff
	v_and_b32_sdwa v6, v3, s4 dst_sel:DWORD dst_unused:UNUSED_PAD src0_sel:WORD_1 src1_sel:DWORD
	s_movk_i32 s4, 0x7f
	v_cmp_lt_i16_e32 vcc, s4, v6
	s_mov_b64 s[4:5], 0
                                        ; implicit-def: $sgpr10
	s_and_saveexec_b64 s[6:7], vcc
	s_xor_b64 s[6:7], exec, s[6:7]
	s_cbranch_execz .LBB1_7733
; %bb.43573:
	s_getpc_b64 s[14:15]
.Lpost_getpc7450:
	s_add_u32 s14, s14, (.LBB1_22069-.Lpost_getpc7450)&4294967295
	s_addc_u32 s15, s15, (.LBB1_22069-.Lpost_getpc7450)>>32
	s_setpc_b64 s[14:15]
.LBB1_7733:
	s_or_saveexec_b64 s[6:7], s[6:7]
	v_mov_b32_e32 v12, s10
	s_xor_b64 exec, exec, s[6:7]
	s_cbranch_execz .LBB1_7734
; %bb.43575:
	s_getpc_b64 s[14:15]
.Lpost_getpc7451:
	s_add_u32 s14, s14, (.LBB1_22072-.Lpost_getpc7451)&4294967295
	s_addc_u32 s15, s15, (.LBB1_22072-.Lpost_getpc7451)>>32
	s_setpc_b64 s[14:15]
.LBB1_7734:
	s_or_b64 exec, exec, s[6:7]
	s_and_saveexec_b64 s[6:7], s[4:5]
	s_cbranch_execz .LBB1_7736
.LBB1_7735:
	v_bfe_u32 v6, v3, 16, 3
	v_ffbh_u32_e32 v14, v6
	v_min_u32_e32 v14, 32, v14
	v_lshrrev_b32_e32 v12, 19, v3
	v_subrev_u32_e32 v15, 28, v14
	v_and_b32_e32 v12, 15, v12
	v_lshlrev_b32_sdwa v15, v15, v3 dst_sel:DWORD dst_unused:UNUSED_PAD src0_sel:DWORD src1_sel:WORD_1
	v_bfe_u32 v13, v3, 19, 4
	v_sub_u32_e32 v14, 29, v14
	v_and_b32_e32 v15, 7, v15
	v_cmp_eq_u16_e32 vcc, 0, v12
	v_cndmask_b32_e32 v6, v6, v15, vcc
	v_cndmask_b32_e32 v12, v13, v14, vcc
	v_lshlrev_b32_e32 v13, 8, v3
	v_mov_b32_e32 v14, 0x3b800000
	v_lshlrev_b32_e32 v6, 20, v6
	v_and_b32_e32 v13, 0x80000000, v13
	v_lshl_add_u32 v12, v12, 23, v14
	v_or3_b32 v12, v13, v12, v6
.LBB1_7736:
	s_or_b64 exec, exec, s[6:7]
	s_nop 0
	v_mfma_f32_16x16x4f32 a[0:3], v2, v12, a[0:3]
	s_movk_i32 s4, 0x7f
	v_cmp_gt_i16_sdwa s[6:7], v7, s4 src0_sel:BYTE_3 src1_sel:DWORD
	s_mov_b64 s[4:5], 0
                                        ; implicit-def: $sgpr10
	s_and_saveexec_b64 s[8:9], s[6:7]
	s_xor_b64 s[6:7], exec, s[8:9]
	s_cbranch_execz .LBB1_7737
; %bb.43577:
	s_getpc_b64 s[14:15]
.Lpost_getpc7452:
	s_add_u32 s14, s14, (.LBB1_22073-.Lpost_getpc7452)&4294967295
	s_addc_u32 s15, s15, (.LBB1_22073-.Lpost_getpc7452)>>32
	s_setpc_b64 s[14:15]
.LBB1_7737:
	s_or_saveexec_b64 s[6:7], s[6:7]
	v_mov_b32_e32 v2, s10
	s_xor_b64 exec, exec, s[6:7]
	s_cbranch_execz .LBB1_7738
; %bb.43579:
	s_getpc_b64 s[14:15]
.Lpost_getpc7453:
	s_add_u32 s14, s14, (.LBB1_22076-.Lpost_getpc7453)&4294967295
	s_addc_u32 s15, s15, (.LBB1_22076-.Lpost_getpc7453)>>32
	s_setpc_b64 s[14:15]
.LBB1_7738:
	s_or_b64 exec, exec, s[6:7]
	s_and_saveexec_b64 s[6:7], s[4:5]
	s_cbranch_execz .LBB1_7740
.LBB1_7739:
	v_bfe_u32 v2, v7, 24, 3
	v_ffbh_u32_e32 v14, v2
	v_min_u32_e32 v14, 32, v14
	v_lshrrev_b32_e32 v12, 27, v7
	v_subrev_u32_e32 v15, 28, v14
	v_and_b32_e32 v6, 0x80000000, v7
	v_and_b32_e32 v12, 15, v12
	v_bfe_u32 v13, v7, 27, 4
	v_lshlrev_b32_sdwa v7, v15, v7 dst_sel:DWORD dst_unused:UNUSED_PAD src0_sel:DWORD src1_sel:BYTE_3
	v_sub_u32_e32 v14, 29, v14
	v_and_b32_e32 v7, 7, v7
	v_cmp_eq_u16_e32 vcc, 0, v12
	v_cndmask_b32_e32 v2, v2, v7, vcc
	v_cndmask_b32_e32 v7, v13, v14, vcc
	v_mov_b32_e32 v12, 0x3b800000
	v_lshlrev_b32_e32 v2, 20, v2
	v_lshl_add_u32 v7, v7, 23, v12
	v_or3_b32 v2, v6, v7, v2
.LBB1_7740:
	s_or_b64 exec, exec, s[6:7]
	s_movk_i32 s4, 0x7f
	v_cmp_gt_i16_sdwa s[6:7], v3, s4 src0_sel:BYTE_3 src1_sel:DWORD
	s_mov_b64 s[4:5], 0
                                        ; implicit-def: $sgpr10
	s_and_saveexec_b64 s[8:9], s[6:7]
	s_xor_b64 s[6:7], exec, s[8:9]
	s_cbranch_execz .LBB1_7741
; %bb.43581:
	s_getpc_b64 s[14:15]
.Lpost_getpc7454:
	s_add_u32 s14, s14, (.LBB1_22077-.Lpost_getpc7454)&4294967295
	s_addc_u32 s15, s15, (.LBB1_22077-.Lpost_getpc7454)>>32
	s_setpc_b64 s[14:15]
.LBB1_7741:
	s_or_saveexec_b64 s[6:7], s[6:7]
	v_mov_b32_e32 v6, s10
	s_xor_b64 exec, exec, s[6:7]
	s_cbranch_execz .LBB1_7742
; %bb.43583:
	s_getpc_b64 s[14:15]
.Lpost_getpc7455:
	s_add_u32 s14, s14, (.LBB1_22080-.Lpost_getpc7455)&4294967295
	s_addc_u32 s15, s15, (.LBB1_22080-.Lpost_getpc7455)>>32
	s_setpc_b64 s[14:15]
.LBB1_7742:
	s_or_b64 exec, exec, s[6:7]
	s_and_saveexec_b64 s[6:7], s[4:5]
	s_cbranch_execz .LBB1_7744
.LBB1_7743:
	v_bfe_u32 v6, v3, 24, 3
	v_ffbh_u32_e32 v14, v6
	v_min_u32_e32 v14, 32, v14
	v_lshrrev_b32_e32 v12, 27, v3
	v_subrev_u32_e32 v15, 28, v14
	v_and_b32_e32 v7, 0x80000000, v3
	v_and_b32_e32 v12, 15, v12
	v_bfe_u32 v13, v3, 27, 4
	v_lshlrev_b32_sdwa v3, v15, v3 dst_sel:DWORD dst_unused:UNUSED_PAD src0_sel:DWORD src1_sel:BYTE_3
	v_sub_u32_e32 v14, 29, v14
	v_and_b32_e32 v3, 7, v3
	v_cmp_eq_u16_e32 vcc, 0, v12
	v_cndmask_b32_e32 v3, v6, v3, vcc
	v_cndmask_b32_e32 v6, v13, v14, vcc
	v_mov_b32_e32 v12, 0x3b800000
	v_lshlrev_b32_e32 v3, 20, v3
	v_lshl_add_u32 v6, v6, 23, v12
	v_or3_b32 v6, v7, v6, v3
.LBB1_7744:
	s_or_b64 exec, exec, s[6:7]
	s_nop 0
	v_mfma_f32_16x16x4f32 a[0:3], v2, v6, a[0:3]
	s_movk_i32 s4, 0x7f
	v_cmp_gt_i16_sdwa s[6:7], v8, s4 src0_sel:BYTE_0 src1_sel:DWORD
	s_mov_b64 s[4:5], 0
                                        ; implicit-def: $sgpr10
	s_and_saveexec_b64 s[8:9], s[6:7]
	s_xor_b64 s[6:7], exec, s[8:9]
	s_cbranch_execz .LBB1_7745
; %bb.43585:
	s_getpc_b64 s[14:15]
.Lpost_getpc7456:
	s_add_u32 s14, s14, (.LBB1_22081-.Lpost_getpc7456)&4294967295
	s_addc_u32 s15, s15, (.LBB1_22081-.Lpost_getpc7456)>>32
	s_setpc_b64 s[14:15]
.LBB1_7745:
	s_or_saveexec_b64 s[6:7], s[6:7]
	v_mov_b32_e32 v2, s10
	s_xor_b64 exec, exec, s[6:7]
	s_cbranch_execz .LBB1_7746
; %bb.43587:
	s_getpc_b64 s[14:15]
.Lpost_getpc7457:
	s_add_u32 s14, s14, (.LBB1_22084-.Lpost_getpc7457)&4294967295
	s_addc_u32 s15, s15, (.LBB1_22084-.Lpost_getpc7457)>>32
	s_setpc_b64 s[14:15]
.LBB1_7746:
	s_or_b64 exec, exec, s[6:7]
	s_and_saveexec_b64 s[6:7], s[4:5]
	s_cbranch_execz .LBB1_7748
.LBB1_7747:
	v_and_b32_e32 v2, 7, v8
	v_ffbh_u32_e32 v6, v2
	v_min_u32_e32 v6, 32, v6
	v_lshrrev_b16_e32 v3, 3, v8
	v_subrev_u32_e32 v7, 28, v6
	v_and_b32_e32 v3, 15, v3
	v_lshlrev_b32_e32 v7, v7, v8
	v_sub_u32_e32 v6, 29, v6
	v_and_b32_e32 v7, 7, v7
	v_cmp_eq_u16_e32 vcc, 0, v3
	v_cndmask_b32_e32 v2, v2, v7, vcc
	v_cndmask_b32_e32 v3, v3, v6, vcc
	v_lshlrev_b32_e32 v6, 24, v8
	v_mov_b32_e32 v7, 0x3b800000
	v_lshlrev_b32_e32 v2, 20, v2
	v_and_b32_e32 v6, 0x80000000, v6
	v_lshl_add_u32 v3, v3, 23, v7
	v_or3_b32 v2, v6, v3, v2
.LBB1_7748:
	s_or_b64 exec, exec, s[6:7]
	s_movk_i32 s4, 0x7f
	v_cmp_gt_i16_sdwa s[6:7], v4, s4 src0_sel:BYTE_0 src1_sel:DWORD
	s_mov_b64 s[4:5], 0
                                        ; implicit-def: $sgpr10
	s_and_saveexec_b64 s[8:9], s[6:7]
	s_xor_b64 s[6:7], exec, s[8:9]
	s_cbranch_execz .LBB1_7749
; %bb.43589:
	s_getpc_b64 s[14:15]
.Lpost_getpc7458:
	s_add_u32 s14, s14, (.LBB1_22085-.Lpost_getpc7458)&4294967295
	s_addc_u32 s15, s15, (.LBB1_22085-.Lpost_getpc7458)>>32
	s_setpc_b64 s[14:15]
.LBB1_7749:
	s_or_saveexec_b64 s[6:7], s[6:7]
	v_mov_b32_e32 v3, s10
	s_xor_b64 exec, exec, s[6:7]
	s_cbranch_execz .LBB1_7750
; %bb.43591:
	s_getpc_b64 s[14:15]
.Lpost_getpc7459:
	s_add_u32 s14, s14, (.LBB1_22088-.Lpost_getpc7459)&4294967295
	s_addc_u32 s15, s15, (.LBB1_22088-.Lpost_getpc7459)>>32
	s_setpc_b64 s[14:15]
.LBB1_7750:
	s_or_b64 exec, exec, s[6:7]
	s_and_saveexec_b64 s[6:7], s[4:5]
	s_cbranch_execz .LBB1_7752
.LBB1_7751:
	v_and_b32_e32 v3, 7, v4
	v_ffbh_u32_e32 v7, v3
	v_min_u32_e32 v7, 32, v7
	v_lshrrev_b16_e32 v6, 3, v4
	v_subrev_u32_e32 v12, 28, v7
	v_and_b32_e32 v6, 15, v6
	v_lshlrev_b32_e32 v12, v12, v4
	v_sub_u32_e32 v7, 29, v7
	v_and_b32_e32 v12, 7, v12
	v_cmp_eq_u16_e32 vcc, 0, v6
	v_cndmask_b32_e32 v3, v3, v12, vcc
	v_cndmask_b32_e32 v6, v6, v7, vcc
	v_lshlrev_b32_e32 v7, 24, v4
	v_mov_b32_e32 v12, 0x3b800000
	v_lshlrev_b32_e32 v3, 20, v3
	v_and_b32_e32 v7, 0x80000000, v7
	v_lshl_add_u32 v6, v6, 23, v12
	v_or3_b32 v3, v7, v6, v3
.LBB1_7752:
	s_or_b64 exec, exec, s[6:7]
	s_nop 0
	v_mfma_f32_16x16x4f32 a[0:3], v2, v3, a[0:3]
	v_lshrrev_b32_e32 v3, 8, v8
	s_movk_i32 s4, 0x7f
	v_cmp_gt_i16_sdwa s[6:7], v3, s4 src0_sel:BYTE_0 src1_sel:DWORD
	s_mov_b64 s[4:5], 0
                                        ; implicit-def: $sgpr10
	s_and_saveexec_b64 s[8:9], s[6:7]
	s_xor_b64 s[6:7], exec, s[8:9]
	s_cbranch_execz .LBB1_7753
; %bb.43593:
	s_getpc_b64 s[14:15]
.Lpost_getpc7460:
	s_add_u32 s14, s14, (.LBB1_22089-.Lpost_getpc7460)&4294967295
	s_addc_u32 s15, s15, (.LBB1_22089-.Lpost_getpc7460)>>32
	s_setpc_b64 s[14:15]
.LBB1_7753:
	s_or_saveexec_b64 s[6:7], s[6:7]
	v_mov_b32_e32 v2, s10
	s_xor_b64 exec, exec, s[6:7]
	s_cbranch_execz .LBB1_7754
; %bb.43595:
	s_getpc_b64 s[14:15]
.Lpost_getpc7461:
	s_add_u32 s14, s14, (.LBB1_22092-.Lpost_getpc7461)&4294967295
	s_addc_u32 s15, s15, (.LBB1_22092-.Lpost_getpc7461)>>32
	s_setpc_b64 s[14:15]
.LBB1_7754:
	s_or_b64 exec, exec, s[6:7]
	s_and_saveexec_b64 s[6:7], s[4:5]
	s_cbranch_execz .LBB1_7756
.LBB1_7755:
	v_bfe_u32 v2, v8, 8, 3
	v_ffbh_u32_e32 v7, v2
	v_min_u32_e32 v7, 32, v7
	v_lshrrev_b16_e32 v6, 3, v3
	v_subrev_u32_e32 v12, 28, v7
	v_and_b32_e32 v6, 15, v6
	v_lshlrev_b32_e32 v3, v12, v3
	v_sub_u32_e32 v7, 29, v7
	v_and_b32_e32 v3, 7, v3
	v_cmp_eq_u16_e32 vcc, 0, v6
	v_cndmask_b32_e32 v2, v2, v3, vcc
	v_cndmask_b32_e32 v3, v6, v7, vcc
	v_lshlrev_b32_e32 v6, 16, v8
	v_mov_b32_e32 v7, 0x3b800000
	v_lshlrev_b32_e32 v2, 20, v2
	v_and_b32_e32 v6, 0x80000000, v6
	v_lshl_add_u32 v3, v3, 23, v7
	v_or3_b32 v2, v6, v3, v2
.LBB1_7756:
	s_or_b64 exec, exec, s[6:7]
	v_lshrrev_b32_e32 v3, 8, v4
	s_movk_i32 s4, 0x7f
	v_cmp_gt_i16_sdwa s[6:7], v3, s4 src0_sel:BYTE_0 src1_sel:DWORD
	s_mov_b64 s[4:5], 0
                                        ; implicit-def: $sgpr10
	s_and_saveexec_b64 s[8:9], s[6:7]
	s_xor_b64 s[6:7], exec, s[8:9]
	s_cbranch_execz .LBB1_7757
; %bb.43597:
	s_getpc_b64 s[14:15]
.Lpost_getpc7462:
	s_add_u32 s14, s14, (.LBB1_22093-.Lpost_getpc7462)&4294967295
	s_addc_u32 s15, s15, (.LBB1_22093-.Lpost_getpc7462)>>32
	s_setpc_b64 s[14:15]
.LBB1_7757:
	s_or_saveexec_b64 s[6:7], s[6:7]
	v_mov_b32_e32 v6, s10
	s_xor_b64 exec, exec, s[6:7]
	s_cbranch_execz .LBB1_7758
; %bb.43599:
	s_getpc_b64 s[14:15]
.Lpost_getpc7463:
	s_add_u32 s14, s14, (.LBB1_22096-.Lpost_getpc7463)&4294967295
	s_addc_u32 s15, s15, (.LBB1_22096-.Lpost_getpc7463)>>32
	s_setpc_b64 s[14:15]
.LBB1_7758:
	s_or_b64 exec, exec, s[6:7]
	s_and_saveexec_b64 s[6:7], s[4:5]
	s_cbranch_execz .LBB1_7760
.LBB1_7759:
	v_bfe_u32 v6, v4, 8, 3
	v_ffbh_u32_e32 v12, v6
	v_min_u32_e32 v12, 32, v12
	v_lshrrev_b16_e32 v7, 3, v3
	v_subrev_u32_e32 v13, 28, v12
	v_and_b32_e32 v7, 15, v7
	v_lshlrev_b32_e32 v3, v13, v3
	v_sub_u32_e32 v12, 29, v12
	v_and_b32_e32 v3, 7, v3
	v_cmp_eq_u16_e32 vcc, 0, v7
	v_cndmask_b32_e32 v3, v6, v3, vcc
	v_cndmask_b32_e32 v6, v7, v12, vcc
	v_lshlrev_b32_e32 v7, 16, v4
	v_mov_b32_e32 v12, 0x3b800000
	v_lshlrev_b32_e32 v3, 20, v3
	v_and_b32_e32 v7, 0x80000000, v7
	v_lshl_add_u32 v6, v6, 23, v12
	v_or3_b32 v6, v7, v6, v3
.LBB1_7760:
	s_or_b64 exec, exec, s[6:7]
	s_nop 0
	v_mfma_f32_16x16x4f32 a[0:3], v2, v6, a[0:3]
	s_movk_i32 s4, 0xff
	v_and_b32_sdwa v3, v8, s4 dst_sel:DWORD dst_unused:UNUSED_PAD src0_sel:WORD_1 src1_sel:DWORD
	s_movk_i32 s4, 0x7f
	v_cmp_lt_i16_e32 vcc, s4, v3
	s_mov_b64 s[4:5], 0
                                        ; implicit-def: $sgpr10
	s_and_saveexec_b64 s[6:7], vcc
	s_xor_b64 s[6:7], exec, s[6:7]
	s_cbranch_execz .LBB1_7761
; %bb.43601:
	s_getpc_b64 s[14:15]
.Lpost_getpc7464:
	s_add_u32 s14, s14, (.LBB1_22097-.Lpost_getpc7464)&4294967295
	s_addc_u32 s15, s15, (.LBB1_22097-.Lpost_getpc7464)>>32
	s_setpc_b64 s[14:15]
.LBB1_7761:
	s_or_saveexec_b64 s[6:7], s[6:7]
	v_mov_b32_e32 v2, s10
	s_xor_b64 exec, exec, s[6:7]
	s_cbranch_execz .LBB1_7762
; %bb.43603:
	s_getpc_b64 s[14:15]
.Lpost_getpc7465:
	s_add_u32 s14, s14, (.LBB1_22100-.Lpost_getpc7465)&4294967295
	s_addc_u32 s15, s15, (.LBB1_22100-.Lpost_getpc7465)>>32
	s_setpc_b64 s[14:15]
.LBB1_7762:
	s_or_b64 exec, exec, s[6:7]
	s_and_saveexec_b64 s[6:7], s[4:5]
	s_cbranch_execz .LBB1_7764
.LBB1_7763:
	v_bfe_u32 v2, v8, 16, 3
	v_ffbh_u32_e32 v7, v2
	v_min_u32_e32 v7, 32, v7
	v_lshrrev_b32_e32 v3, 19, v8
	v_subrev_u32_e32 v12, 28, v7
	v_and_b32_e32 v3, 15, v3
	v_lshlrev_b32_sdwa v12, v12, v8 dst_sel:DWORD dst_unused:UNUSED_PAD src0_sel:DWORD src1_sel:WORD_1
	v_bfe_u32 v6, v8, 19, 4
	v_sub_u32_e32 v7, 29, v7
	v_and_b32_e32 v12, 7, v12
	v_cmp_eq_u16_e32 vcc, 0, v3
	v_cndmask_b32_e32 v2, v2, v12, vcc
	v_cndmask_b32_e32 v3, v6, v7, vcc
	v_lshlrev_b32_e32 v6, 8, v8
	v_mov_b32_e32 v7, 0x3b800000
	v_lshlrev_b32_e32 v2, 20, v2
	v_and_b32_e32 v6, 0x80000000, v6
	v_lshl_add_u32 v3, v3, 23, v7
	v_or3_b32 v2, v6, v3, v2
.LBB1_7764:
	s_or_b64 exec, exec, s[6:7]
	s_movk_i32 s4, 0xff
	v_and_b32_sdwa v3, v4, s4 dst_sel:DWORD dst_unused:UNUSED_PAD src0_sel:WORD_1 src1_sel:DWORD
	s_movk_i32 s4, 0x7f
	v_cmp_lt_i16_e32 vcc, s4, v3
	s_mov_b64 s[4:5], 0
                                        ; implicit-def: $sgpr10
	s_and_saveexec_b64 s[6:7], vcc
	s_xor_b64 s[6:7], exec, s[6:7]
	s_cbranch_execz .LBB1_7765
; %bb.43605:
	s_getpc_b64 s[14:15]
.Lpost_getpc7466:
	s_add_u32 s14, s14, (.LBB1_22101-.Lpost_getpc7466)&4294967295
	s_addc_u32 s15, s15, (.LBB1_22101-.Lpost_getpc7466)>>32
	s_setpc_b64 s[14:15]
.LBB1_7765:
	s_or_saveexec_b64 s[6:7], s[6:7]
	v_mov_b32_e32 v6, s10
	s_xor_b64 exec, exec, s[6:7]
	s_cbranch_execz .LBB1_7766
; %bb.43607:
	s_getpc_b64 s[14:15]
.Lpost_getpc7467:
	s_add_u32 s14, s14, (.LBB1_22104-.Lpost_getpc7467)&4294967295
	s_addc_u32 s15, s15, (.LBB1_22104-.Lpost_getpc7467)>>32
	s_setpc_b64 s[14:15]
.LBB1_7766:
	s_or_b64 exec, exec, s[6:7]
	s_and_saveexec_b64 s[6:7], s[4:5]
	s_cbranch_execz .LBB1_7768
.LBB1_7767:
	v_bfe_u32 v3, v4, 16, 3
	v_ffbh_u32_e32 v12, v3
	v_min_u32_e32 v12, 32, v12
	v_lshrrev_b32_e32 v6, 19, v4
	v_subrev_u32_e32 v13, 28, v12
	v_and_b32_e32 v6, 15, v6
	v_lshlrev_b32_sdwa v13, v13, v4 dst_sel:DWORD dst_unused:UNUSED_PAD src0_sel:DWORD src1_sel:WORD_1
	v_bfe_u32 v7, v4, 19, 4
	v_sub_u32_e32 v12, 29, v12
	v_and_b32_e32 v13, 7, v13
	v_cmp_eq_u16_e32 vcc, 0, v6
	v_cndmask_b32_e32 v3, v3, v13, vcc
	v_cndmask_b32_e32 v6, v7, v12, vcc
	v_lshlrev_b32_e32 v7, 8, v4
	v_mov_b32_e32 v12, 0x3b800000
	v_lshlrev_b32_e32 v3, 20, v3
	v_and_b32_e32 v7, 0x80000000, v7
	v_lshl_add_u32 v6, v6, 23, v12
	v_or3_b32 v6, v7, v6, v3
.LBB1_7768:
	s_or_b64 exec, exec, s[6:7]
	s_nop 0
	v_mfma_f32_16x16x4f32 a[0:3], v2, v6, a[0:3]
	s_movk_i32 s4, 0x7f
	v_cmp_gt_i16_sdwa s[6:7], v8, s4 src0_sel:BYTE_3 src1_sel:DWORD
	s_mov_b64 s[4:5], 0
                                        ; implicit-def: $sgpr10
	s_and_saveexec_b64 s[8:9], s[6:7]
	s_xor_b64 s[6:7], exec, s[8:9]
	s_cbranch_execz .LBB1_7769
; %bb.43609:
	s_getpc_b64 s[14:15]
.Lpost_getpc7468:
	s_add_u32 s14, s14, (.LBB1_22105-.Lpost_getpc7468)&4294967295
	s_addc_u32 s15, s15, (.LBB1_22105-.Lpost_getpc7468)>>32
	s_setpc_b64 s[14:15]
.LBB1_7769:
	s_or_saveexec_b64 s[6:7], s[6:7]
	v_mov_b32_e32 v2, s10
	s_xor_b64 exec, exec, s[6:7]
	s_cbranch_execz .LBB1_7770
; %bb.43611:
	s_getpc_b64 s[14:15]
.Lpost_getpc7469:
	s_add_u32 s14, s14, (.LBB1_22108-.Lpost_getpc7469)&4294967295
	s_addc_u32 s15, s15, (.LBB1_22108-.Lpost_getpc7469)>>32
	s_setpc_b64 s[14:15]
.LBB1_7770:
	s_or_b64 exec, exec, s[6:7]
	s_and_saveexec_b64 s[6:7], s[4:5]
	s_cbranch_execz .LBB1_7772
.LBB1_7771:
	v_bfe_u32 v2, v8, 24, 3
	v_ffbh_u32_e32 v12, v2
	v_min_u32_e32 v12, 32, v12
	v_lshrrev_b32_e32 v6, 27, v8
	v_subrev_u32_e32 v13, 28, v12
	v_and_b32_e32 v3, 0x80000000, v8
	v_and_b32_e32 v6, 15, v6
	v_bfe_u32 v7, v8, 27, 4
	v_lshlrev_b32_sdwa v8, v13, v8 dst_sel:DWORD dst_unused:UNUSED_PAD src0_sel:DWORD src1_sel:BYTE_3
	v_sub_u32_e32 v12, 29, v12
	v_and_b32_e32 v8, 7, v8
	v_cmp_eq_u16_e32 vcc, 0, v6
	v_cndmask_b32_e32 v2, v2, v8, vcc
	v_cndmask_b32_e32 v6, v7, v12, vcc
	v_mov_b32_e32 v7, 0x3b800000
	v_lshlrev_b32_e32 v2, 20, v2
	v_lshl_add_u32 v6, v6, 23, v7
	v_or3_b32 v2, v3, v6, v2
.LBB1_7772:
	s_or_b64 exec, exec, s[6:7]
	s_movk_i32 s4, 0x7f
	v_cmp_gt_i16_sdwa s[6:7], v4, s4 src0_sel:BYTE_3 src1_sel:DWORD
	s_mov_b64 s[4:5], 0
                                        ; implicit-def: $sgpr10
	s_and_saveexec_b64 s[8:9], s[6:7]
	s_xor_b64 s[6:7], exec, s[8:9]
	s_cbranch_execz .LBB1_7773
; %bb.43613:
	s_getpc_b64 s[14:15]
.Lpost_getpc7470:
	s_add_u32 s14, s14, (.LBB1_22109-.Lpost_getpc7470)&4294967295
	s_addc_u32 s15, s15, (.LBB1_22109-.Lpost_getpc7470)>>32
	s_setpc_b64 s[14:15]
.LBB1_7773:
	s_or_saveexec_b64 s[6:7], s[6:7]
	v_mov_b32_e32 v3, s10
	s_xor_b64 exec, exec, s[6:7]
	s_cbranch_execz .LBB1_7774
; %bb.43615:
	s_getpc_b64 s[14:15]
.Lpost_getpc7471:
	s_add_u32 s14, s14, (.LBB1_22112-.Lpost_getpc7471)&4294967295
	s_addc_u32 s15, s15, (.LBB1_22112-.Lpost_getpc7471)>>32
	s_setpc_b64 s[14:15]
.LBB1_7774:
	s_or_b64 exec, exec, s[6:7]
	s_and_saveexec_b64 s[6:7], s[4:5]
	s_cbranch_execz .LBB1_7776
.LBB1_7775:
	v_bfe_u32 v3, v4, 24, 3
	v_ffbh_u32_e32 v12, v3
	v_min_u32_e32 v12, 32, v12
	v_lshrrev_b32_e32 v7, 27, v4
	v_subrev_u32_e32 v13, 28, v12
	v_and_b32_e32 v6, 0x80000000, v4
	v_and_b32_e32 v7, 15, v7
	v_bfe_u32 v8, v4, 27, 4
	v_lshlrev_b32_sdwa v4, v13, v4 dst_sel:DWORD dst_unused:UNUSED_PAD src0_sel:DWORD src1_sel:BYTE_3
	v_sub_u32_e32 v12, 29, v12
	v_and_b32_e32 v4, 7, v4
	v_cmp_eq_u16_e32 vcc, 0, v7
	v_cndmask_b32_e32 v3, v3, v4, vcc
	v_cndmask_b32_e32 v4, v8, v12, vcc
	v_mov_b32_e32 v7, 0x3b800000
	v_lshlrev_b32_e32 v3, 20, v3
	v_lshl_add_u32 v4, v4, 23, v7
	v_or3_b32 v3, v6, v4, v3
.LBB1_7776:
	s_or_b64 exec, exec, s[6:7]
	s_nop 0
	v_mfma_f32_16x16x4f32 a[0:3], v2, v3, a[0:3]
	s_movk_i32 s4, 0x7f
	v_cmp_gt_i16_sdwa s[6:7], v9, s4 src0_sel:BYTE_0 src1_sel:DWORD
	s_mov_b64 s[4:5], 0
                                        ; implicit-def: $sgpr10
	s_and_saveexec_b64 s[8:9], s[6:7]
	s_xor_b64 s[6:7], exec, s[8:9]
	s_cbranch_execz .LBB1_7777
; %bb.43617:
	s_getpc_b64 s[14:15]
.Lpost_getpc7472:
	s_add_u32 s14, s14, (.LBB1_22113-.Lpost_getpc7472)&4294967295
	s_addc_u32 s15, s15, (.LBB1_22113-.Lpost_getpc7472)>>32
	s_setpc_b64 s[14:15]
.LBB1_7777:
	s_or_saveexec_b64 s[6:7], s[6:7]
	v_mov_b32_e32 v2, s10
	s_xor_b64 exec, exec, s[6:7]
	s_cbranch_execz .LBB1_7778
; %bb.43619:
	s_getpc_b64 s[14:15]
.Lpost_getpc7473:
	s_add_u32 s14, s14, (.LBB1_22116-.Lpost_getpc7473)&4294967295
	s_addc_u32 s15, s15, (.LBB1_22116-.Lpost_getpc7473)>>32
	s_setpc_b64 s[14:15]
.LBB1_7778:
	s_or_b64 exec, exec, s[6:7]
	s_and_saveexec_b64 s[6:7], s[4:5]
	s_cbranch_execz .LBB1_7780
.LBB1_7779:
	v_mov_b32_e32 v2, 8
	v_and_b32_e32 v3, 7, v9
	v_lshrrev_b32_sdwa v2, v2, v9 dst_sel:BYTE_1 dst_unused:UNUSED_PAD src0_sel:DWORD src1_sel:DWORD
	v_ffbh_u32_e32 v4, v3
	v_or_b32_sdwa v2, v9, v2 dst_sel:DWORD dst_unused:UNUSED_PAD src0_sel:BYTE_0 src1_sel:DWORD
	v_min_u32_e32 v4, 32, v4
	v_lshrrev_b16_e32 v2, 3, v2
	v_subrev_u32_e32 v6, 28, v4
	v_and_b32_e32 v2, 15, v2
	v_lshlrev_b32_e32 v6, v6, v9
	v_sub_u32_e32 v4, 29, v4
	v_and_b32_e32 v6, 7, v6
	v_cmp_eq_u16_e32 vcc, 0, v2
	v_cndmask_b32_e32 v3, v3, v6, vcc
	v_cndmask_b32_e32 v2, v2, v4, vcc
	v_lshlrev_b32_e32 v4, 24, v9
	v_mov_b32_e32 v6, 0x3b800000
	v_lshlrev_b32_e32 v3, 20, v3
	v_and_b32_e32 v4, 0x80000000, v4
	v_lshl_add_u32 v2, v2, 23, v6
	v_or3_b32 v2, v4, v2, v3
.LBB1_7780:
	s_or_b64 exec, exec, s[6:7]
	s_movk_i32 s4, 0x7f
	v_cmp_gt_i16_sdwa s[6:7], v5, s4 src0_sel:BYTE_0 src1_sel:DWORD
	s_mov_b64 s[4:5], 0
                                        ; implicit-def: $sgpr10
	s_and_saveexec_b64 s[8:9], s[6:7]
	s_xor_b64 s[6:7], exec, s[8:9]
	s_cbranch_execz .LBB1_7781
; %bb.43621:
	s_getpc_b64 s[14:15]
.Lpost_getpc7474:
	s_add_u32 s14, s14, (.LBB1_22117-.Lpost_getpc7474)&4294967295
	s_addc_u32 s15, s15, (.LBB1_22117-.Lpost_getpc7474)>>32
	s_setpc_b64 s[14:15]
.LBB1_7781:
	s_or_saveexec_b64 s[6:7], s[6:7]
	v_mov_b32_e32 v3, s10
	s_xor_b64 exec, exec, s[6:7]
	s_cbranch_execz .LBB1_7782
; %bb.43623:
	s_getpc_b64 s[14:15]
.Lpost_getpc7475:
	s_add_u32 s14, s14, (.LBB1_22120-.Lpost_getpc7475)&4294967295
	s_addc_u32 s15, s15, (.LBB1_22120-.Lpost_getpc7475)>>32
	s_setpc_b64 s[14:15]
.LBB1_7782:
	s_or_b64 exec, exec, s[6:7]
	s_and_saveexec_b64 s[6:7], s[4:5]
	s_cbranch_execz .LBB1_7784
.LBB1_7783:
	v_mov_b32_e32 v3, 8
	v_and_b32_e32 v4, 7, v5
	v_lshrrev_b32_sdwa v3, v3, v5 dst_sel:BYTE_1 dst_unused:UNUSED_PAD src0_sel:DWORD src1_sel:DWORD
	v_ffbh_u32_e32 v6, v4
	v_or_b32_sdwa v3, v5, v3 dst_sel:DWORD dst_unused:UNUSED_PAD src0_sel:BYTE_0 src1_sel:DWORD
	v_min_u32_e32 v6, 32, v6
	v_lshrrev_b16_e32 v3, 3, v3
	v_subrev_u32_e32 v7, 28, v6
	v_and_b32_e32 v3, 15, v3
	v_lshlrev_b32_e32 v7, v7, v5
	v_sub_u32_e32 v6, 29, v6
	v_and_b32_e32 v7, 7, v7
	v_cmp_eq_u16_e32 vcc, 0, v3
	v_cndmask_b32_e32 v4, v4, v7, vcc
	v_cndmask_b32_e32 v3, v3, v6, vcc
	v_lshlrev_b32_e32 v6, 24, v5
	v_mov_b32_e32 v7, 0x3b800000
	v_lshlrev_b32_e32 v4, 20, v4
	v_and_b32_e32 v6, 0x80000000, v6
	v_lshl_add_u32 v3, v3, 23, v7
	v_or3_b32 v3, v6, v3, v4
.LBB1_7784:
	s_or_b64 exec, exec, s[6:7]
	s_nop 0
	v_mfma_f32_16x16x4f32 a[0:3], v2, v3, a[0:3]
	v_lshrrev_b32_e32 v3, 8, v9
	s_movk_i32 s4, 0x7f
	v_cmp_gt_i16_sdwa s[6:7], v3, s4 src0_sel:BYTE_0 src1_sel:DWORD
	s_mov_b64 s[4:5], 0
                                        ; implicit-def: $sgpr10
	s_and_saveexec_b64 s[8:9], s[6:7]
	s_xor_b64 s[6:7], exec, s[8:9]
	s_cbranch_execz .LBB1_7785
; %bb.43625:
	s_getpc_b64 s[14:15]
.Lpost_getpc7476:
	s_add_u32 s14, s14, (.LBB1_22121-.Lpost_getpc7476)&4294967295
	s_addc_u32 s15, s15, (.LBB1_22121-.Lpost_getpc7476)>>32
	s_setpc_b64 s[14:15]
.LBB1_7785:
	s_or_saveexec_b64 s[6:7], s[6:7]
	v_mov_b32_e32 v2, s10
	s_xor_b64 exec, exec, s[6:7]
	s_cbranch_execz .LBB1_7786
; %bb.43627:
	s_getpc_b64 s[14:15]
.Lpost_getpc7477:
	s_add_u32 s14, s14, (.LBB1_22124-.Lpost_getpc7477)&4294967295
	s_addc_u32 s15, s15, (.LBB1_22124-.Lpost_getpc7477)>>32
	s_setpc_b64 s[14:15]
.LBB1_7786:
	s_or_b64 exec, exec, s[6:7]
	s_and_saveexec_b64 s[6:7], s[4:5]
	s_cbranch_execz .LBB1_7788
.LBB1_7787:
	v_bfe_u32 v2, v9, 8, 3
	v_ffbh_u32_e32 v6, v2
	v_min_u32_e32 v6, 32, v6
	v_lshrrev_b16_e32 v4, 3, v3
	v_subrev_u32_e32 v7, 28, v6
	v_and_b32_e32 v4, 15, v4
	v_lshlrev_b32_e32 v3, v7, v3
	v_sub_u32_e32 v6, 29, v6
	v_and_b32_e32 v3, 7, v3
	v_cmp_eq_u16_e32 vcc, 0, v4
	v_cndmask_b32_e32 v2, v2, v3, vcc
	v_cndmask_b32_e32 v3, v4, v6, vcc
	v_lshlrev_b32_e32 v4, 16, v9
	v_mov_b32_e32 v6, 0x3b800000
	v_lshlrev_b32_e32 v2, 20, v2
	v_and_b32_e32 v4, 0x80000000, v4
	v_lshl_add_u32 v3, v3, 23, v6
	v_or3_b32 v2, v4, v3, v2
.LBB1_7788:
	s_or_b64 exec, exec, s[6:7]
	v_lshrrev_b32_e32 v3, 8, v5
	s_movk_i32 s4, 0x7f
	v_cmp_gt_i16_sdwa s[6:7], v3, s4 src0_sel:BYTE_0 src1_sel:DWORD
	s_mov_b64 s[4:5], 0
                                        ; implicit-def: $sgpr10
	s_and_saveexec_b64 s[8:9], s[6:7]
	s_xor_b64 s[6:7], exec, s[8:9]
	s_cbranch_execz .LBB1_7789
; %bb.43629:
	s_getpc_b64 s[14:15]
.Lpost_getpc7478:
	s_add_u32 s14, s14, (.LBB1_22125-.Lpost_getpc7478)&4294967295
	s_addc_u32 s15, s15, (.LBB1_22125-.Lpost_getpc7478)>>32
	s_setpc_b64 s[14:15]
.LBB1_7789:
	s_or_saveexec_b64 s[6:7], s[6:7]
	v_mov_b32_e32 v4, s10
	s_xor_b64 exec, exec, s[6:7]
	s_cbranch_execz .LBB1_7790
; %bb.43631:
	s_getpc_b64 s[14:15]
.Lpost_getpc7479:
	s_add_u32 s14, s14, (.LBB1_22128-.Lpost_getpc7479)&4294967295
	s_addc_u32 s15, s15, (.LBB1_22128-.Lpost_getpc7479)>>32
	s_setpc_b64 s[14:15]
.LBB1_7790:
	s_or_b64 exec, exec, s[6:7]
	s_and_saveexec_b64 s[6:7], s[4:5]
	s_cbranch_execz .LBB1_7792
.LBB1_7791:
	v_bfe_u32 v4, v5, 8, 3
	v_ffbh_u32_e32 v7, v4
	v_min_u32_e32 v7, 32, v7
	v_lshrrev_b16_e32 v6, 3, v3
	v_subrev_u32_e32 v8, 28, v7
	v_and_b32_e32 v6, 15, v6
	v_lshlrev_b32_e32 v3, v8, v3
	v_sub_u32_e32 v7, 29, v7
	v_and_b32_e32 v3, 7, v3
	v_cmp_eq_u16_e32 vcc, 0, v6
	v_cndmask_b32_e32 v3, v4, v3, vcc
	v_cndmask_b32_e32 v4, v6, v7, vcc
	v_lshlrev_b32_e32 v6, 16, v5
	v_mov_b32_e32 v7, 0x3b800000
	v_lshlrev_b32_e32 v3, 20, v3
	v_and_b32_e32 v6, 0x80000000, v6
	v_lshl_add_u32 v4, v4, 23, v7
	v_or3_b32 v4, v6, v4, v3
.LBB1_7792:
	s_or_b64 exec, exec, s[6:7]
	s_nop 0
	v_mfma_f32_16x16x4f32 a[0:3], v2, v4, a[0:3]
	s_movk_i32 s4, 0xff
	v_and_b32_sdwa v3, v9, s4 dst_sel:DWORD dst_unused:UNUSED_PAD src0_sel:WORD_1 src1_sel:DWORD
	s_movk_i32 s4, 0x7f
	v_cmp_lt_i16_e32 vcc, s4, v3
	s_mov_b64 s[4:5], 0
                                        ; implicit-def: $sgpr10
	s_and_saveexec_b64 s[6:7], vcc
	s_xor_b64 s[6:7], exec, s[6:7]
	s_cbranch_execz .LBB1_7793
; %bb.43633:
	s_getpc_b64 s[14:15]
.Lpost_getpc7480:
	s_add_u32 s14, s14, (.LBB1_22129-.Lpost_getpc7480)&4294967295
	s_addc_u32 s15, s15, (.LBB1_22129-.Lpost_getpc7480)>>32
	s_setpc_b64 s[14:15]
.LBB1_7793:
	s_or_saveexec_b64 s[6:7], s[6:7]
	v_mov_b32_e32 v2, s10
	s_xor_b64 exec, exec, s[6:7]
	s_cbranch_execz .LBB1_7794
; %bb.43635:
	s_getpc_b64 s[14:15]
.Lpost_getpc7481:
	s_add_u32 s14, s14, (.LBB1_22132-.Lpost_getpc7481)&4294967295
	s_addc_u32 s15, s15, (.LBB1_22132-.Lpost_getpc7481)>>32
	s_setpc_b64 s[14:15]
.LBB1_7794:
	s_or_b64 exec, exec, s[6:7]
	s_and_saveexec_b64 s[6:7], s[4:5]
	s_cbranch_execz .LBB1_7796
.LBB1_7795:
	v_bfe_u32 v2, v9, 16, 3
	v_ffbh_u32_e32 v6, v2
	v_min_u32_e32 v6, 32, v6
	v_lshrrev_b32_e32 v3, 19, v9
	v_subrev_u32_e32 v7, 28, v6
	v_and_b32_e32 v3, 15, v3
	v_lshlrev_b32_sdwa v7, v7, v9 dst_sel:DWORD dst_unused:UNUSED_PAD src0_sel:DWORD src1_sel:WORD_1
	v_bfe_u32 v4, v9, 19, 4
	v_sub_u32_e32 v6, 29, v6
	v_and_b32_e32 v7, 7, v7
	v_cmp_eq_u16_e32 vcc, 0, v3
	v_cndmask_b32_e32 v2, v2, v7, vcc
	v_cndmask_b32_e32 v3, v4, v6, vcc
	v_lshlrev_b32_e32 v4, 8, v9
	v_mov_b32_e32 v6, 0x3b800000
	v_lshlrev_b32_e32 v2, 20, v2
	v_and_b32_e32 v4, 0x80000000, v4
	v_lshl_add_u32 v3, v3, 23, v6
	v_or3_b32 v2, v4, v3, v2
.LBB1_7796:
	s_or_b64 exec, exec, s[6:7]
	s_movk_i32 s4, 0xff
	v_and_b32_sdwa v3, v5, s4 dst_sel:DWORD dst_unused:UNUSED_PAD src0_sel:WORD_1 src1_sel:DWORD
	s_movk_i32 s4, 0x7f
	v_cmp_lt_i16_e32 vcc, s4, v3
	s_mov_b64 s[4:5], 0
                                        ; implicit-def: $sgpr10
	s_and_saveexec_b64 s[6:7], vcc
	s_xor_b64 s[6:7], exec, s[6:7]
	s_cbranch_execz .LBB1_7797
; %bb.43637:
	s_getpc_b64 s[14:15]
.Lpost_getpc7482:
	s_add_u32 s14, s14, (.LBB1_22133-.Lpost_getpc7482)&4294967295
	s_addc_u32 s15, s15, (.LBB1_22133-.Lpost_getpc7482)>>32
	s_setpc_b64 s[14:15]
.LBB1_7797:
	s_or_saveexec_b64 s[6:7], s[6:7]
	v_mov_b32_e32 v4, s10
	s_xor_b64 exec, exec, s[6:7]
	s_cbranch_execz .LBB1_7798
; %bb.43639:
	s_getpc_b64 s[14:15]
.Lpost_getpc7483:
	s_add_u32 s14, s14, (.LBB1_22136-.Lpost_getpc7483)&4294967295
	s_addc_u32 s15, s15, (.LBB1_22136-.Lpost_getpc7483)>>32
	s_setpc_b64 s[14:15]
.LBB1_7798:
	s_or_b64 exec, exec, s[6:7]
	s_and_saveexec_b64 s[6:7], s[4:5]
	s_cbranch_execz .LBB1_7800
.LBB1_7799:
	v_bfe_u32 v3, v5, 16, 3
	v_ffbh_u32_e32 v7, v3
	v_min_u32_e32 v7, 32, v7
	v_lshrrev_b32_e32 v4, 19, v5
	v_subrev_u32_e32 v8, 28, v7
	v_and_b32_e32 v4, 15, v4
	v_lshlrev_b32_sdwa v8, v8, v5 dst_sel:DWORD dst_unused:UNUSED_PAD src0_sel:DWORD src1_sel:WORD_1
	v_bfe_u32 v6, v5, 19, 4
	v_sub_u32_e32 v7, 29, v7
	v_and_b32_e32 v8, 7, v8
	v_cmp_eq_u16_e32 vcc, 0, v4
	v_cndmask_b32_e32 v3, v3, v8, vcc
	v_cndmask_b32_e32 v4, v6, v7, vcc
	v_lshlrev_b32_e32 v6, 8, v5
	v_mov_b32_e32 v7, 0x3b800000
	v_lshlrev_b32_e32 v3, 20, v3
	v_and_b32_e32 v6, 0x80000000, v6
	v_lshl_add_u32 v4, v4, 23, v7
	v_or3_b32 v4, v6, v4, v3
.LBB1_7800:
	s_or_b64 exec, exec, s[6:7]
	s_nop 0
	v_mfma_f32_16x16x4f32 a[0:3], v2, v4, a[0:3]
	s_movk_i32 s4, 0x7f
	v_cmp_gt_i16_sdwa s[6:7], v9, s4 src0_sel:BYTE_3 src1_sel:DWORD
	s_mov_b64 s[4:5], 0
                                        ; implicit-def: $sgpr10
	s_and_saveexec_b64 s[8:9], s[6:7]
	s_xor_b64 s[6:7], exec, s[8:9]
	s_cbranch_execz .LBB1_7801
; %bb.43641:
	s_getpc_b64 s[14:15]
.Lpost_getpc7484:
	s_add_u32 s14, s14, (.LBB1_22137-.Lpost_getpc7484)&4294967295
	s_addc_u32 s15, s15, (.LBB1_22137-.Lpost_getpc7484)>>32
	s_setpc_b64 s[14:15]
.LBB1_7801:
	s_or_saveexec_b64 s[6:7], s[6:7]
	v_mov_b32_e32 v2, s10
	s_xor_b64 exec, exec, s[6:7]
	s_cbranch_execz .LBB1_7802
; %bb.43643:
	s_getpc_b64 s[14:15]
.Lpost_getpc7485:
	s_add_u32 s14, s14, (.LBB1_22140-.Lpost_getpc7485)&4294967295
	s_addc_u32 s15, s15, (.LBB1_22140-.Lpost_getpc7485)>>32
	s_setpc_b64 s[14:15]
.LBB1_7802:
	s_or_b64 exec, exec, s[6:7]
	s_and_saveexec_b64 s[6:7], s[4:5]
	s_cbranch_execz .LBB1_7804
.LBB1_7803:
	v_bfe_u32 v2, v9, 24, 3
	v_ffbh_u32_e32 v7, v2
	v_min_u32_e32 v7, 32, v7
	v_lshrrev_b32_e32 v4, 27, v9
	v_subrev_u32_e32 v8, 28, v7
	v_and_b32_e32 v4, 15, v4
	v_lshlrev_b32_sdwa v8, v8, v9 dst_sel:DWORD dst_unused:UNUSED_PAD src0_sel:DWORD src1_sel:BYTE_3
	v_bfe_u32 v6, v9, 27, 4
	v_sub_u32_e32 v7, 29, v7
	v_and_b32_e32 v8, 7, v8
	v_cmp_eq_u16_e32 vcc, 0, v4
	v_cndmask_b32_e32 v2, v2, v8, vcc
	v_cndmask_b32_e32 v4, v6, v7, vcc
	v_mov_b32_e32 v6, 0x3b800000
	v_and_b32_e32 v3, 0x80000000, v9
	v_lshlrev_b32_e32 v2, 20, v2
	v_lshl_add_u32 v4, v4, 23, v6
	v_or3_b32 v2, v3, v4, v2
.LBB1_7804:
	s_or_b64 exec, exec, s[6:7]
	s_movk_i32 s4, 0x7f
	v_cmp_gt_i16_sdwa s[6:7], v5, s4 src0_sel:BYTE_3 src1_sel:DWORD
	s_mov_b64 s[4:5], 0
                                        ; implicit-def: $sgpr10
	s_and_saveexec_b64 s[8:9], s[6:7]
	s_xor_b64 s[6:7], exec, s[8:9]
	s_cbranch_execz .LBB1_7805
; %bb.43645:
	s_getpc_b64 s[14:15]
.Lpost_getpc7486:
	s_add_u32 s14, s14, (.LBB1_22141-.Lpost_getpc7486)&4294967295
	s_addc_u32 s15, s15, (.LBB1_22141-.Lpost_getpc7486)>>32
	s_setpc_b64 s[14:15]
.LBB1_7805:
	s_or_saveexec_b64 s[6:7], s[6:7]
	v_mov_b32_e32 v3, s10
	s_xor_b64 exec, exec, s[6:7]
	s_cbranch_execz .LBB1_7806
; %bb.43647:
	s_getpc_b64 s[14:15]
.Lpost_getpc7487:
	s_add_u32 s14, s14, (.LBB1_22144-.Lpost_getpc7487)&4294967295
	s_addc_u32 s15, s15, (.LBB1_22144-.Lpost_getpc7487)>>32
	s_setpc_b64 s[14:15]
.LBB1_7806:
	s_or_b64 exec, exec, s[6:7]
	s_and_saveexec_b64 s[6:7], s[4:5]
	s_cbranch_execz .LBB1_7808
.LBB1_7807:
	v_bfe_u32 v3, v5, 24, 3
	v_ffbh_u32_e32 v8, v3
	v_min_u32_e32 v8, 32, v8
	v_lshrrev_b32_e32 v6, 27, v5
	v_subrev_u32_e32 v9, 28, v8
	v_and_b32_e32 v4, 0x80000000, v5
	v_and_b32_e32 v6, 15, v6
	v_bfe_u32 v7, v5, 27, 4
	v_lshlrev_b32_sdwa v5, v9, v5 dst_sel:DWORD dst_unused:UNUSED_PAD src0_sel:DWORD src1_sel:BYTE_3
	v_sub_u32_e32 v8, 29, v8
	v_and_b32_e32 v5, 7, v5
	v_cmp_eq_u16_e32 vcc, 0, v6
	v_cndmask_b32_e32 v3, v3, v5, vcc
	v_cndmask_b32_e32 v5, v7, v8, vcc
	v_mov_b32_e32 v6, 0x3b800000
	v_lshlrev_b32_e32 v3, 20, v3
	v_lshl_add_u32 v5, v5, 23, v6
	v_or3_b32 v3, v4, v5, v3
.LBB1_7808:
	s_or_b64 exec, exec, s[6:7]
	s_nop 0
	v_mfma_f32_16x16x4f32 a[0:3], v2, v3, a[0:3]
	s_movk_i32 s4, 0x7f
                                        ; implicit-def: $sgpr10
	s_nop 7
	s_nop 1
	flat_store_dwordx4 v[10:11], a[0:3] offset:64
	flat_load_dwordx4 v[12:15], v[0:1]
	s_nop 0
	flat_load_dwordx2 v[10:11], v[0:1] offset:16
	s_waitcnt vmcnt(0) lgkmcnt(0)
	flat_load_dwordx4 v[6:9], v[12:13] offset:112
	flat_load_dwordx4 v[2:5], v[14:15] offset:208
	s_waitcnt vmcnt(0) lgkmcnt(0)
	v_cmp_gt_i16_sdwa s[6:7], v6, s4 src0_sel:BYTE_0 src1_sel:DWORD
	s_mov_b64 s[4:5], 0
	s_and_saveexec_b64 s[8:9], s[6:7]
	s_xor_b64 s[6:7], exec, s[8:9]
	s_cbranch_execz .LBB1_7809
; %bb.43649:
	s_getpc_b64 s[14:15]
.Lpost_getpc7488:
	s_add_u32 s14, s14, (.LBB1_22145-.Lpost_getpc7488)&4294967295
	s_addc_u32 s15, s15, (.LBB1_22145-.Lpost_getpc7488)>>32
	s_setpc_b64 s[14:15]
.LBB1_7809:
	s_or_saveexec_b64 s[6:7], s[6:7]
	v_mov_b32_e32 v12, s10
	s_xor_b64 exec, exec, s[6:7]
	s_cbranch_execz .LBB1_7810
; %bb.43651:
	s_getpc_b64 s[14:15]
.Lpost_getpc7489:
	s_add_u32 s14, s14, (.LBB1_22148-.Lpost_getpc7489)&4294967295
	s_addc_u32 s15, s15, (.LBB1_22148-.Lpost_getpc7489)>>32
	s_setpc_b64 s[14:15]
.LBB1_7810:
	s_or_b64 exec, exec, s[6:7]
	s_and_saveexec_b64 s[6:7], s[4:5]
	s_cbranch_execz .LBB1_7812
.LBB1_7811:
	v_and_b32_e32 v12, 7, v6
	v_ffbh_u32_e32 v14, v12
	v_min_u32_e32 v14, 32, v14
	v_lshrrev_b16_e32 v13, 3, v6
	v_subrev_u32_e32 v15, 28, v14
	v_and_b32_e32 v13, 15, v13
	v_lshlrev_b32_e32 v15, v15, v6
	v_sub_u32_e32 v14, 29, v14
	v_and_b32_e32 v15, 7, v15
	v_cmp_eq_u16_e32 vcc, 0, v13
	v_cndmask_b32_e32 v12, v12, v15, vcc
	v_cndmask_b32_e32 v13, v13, v14, vcc
	v_lshlrev_b32_e32 v14, 24, v6
	v_mov_b32_e32 v15, 0x3b800000
	v_lshlrev_b32_e32 v12, 20, v12
	v_and_b32_e32 v14, 0x80000000, v14
	v_lshl_add_u32 v13, v13, 23, v15
	v_or3_b32 v12, v14, v13, v12
.LBB1_7812:
	s_or_b64 exec, exec, s[6:7]
	s_movk_i32 s4, 0x7f
	v_cmp_gt_i16_sdwa s[6:7], v2, s4 src0_sel:BYTE_0 src1_sel:DWORD
	s_mov_b64 s[4:5], 0
                                        ; implicit-def: $sgpr10
	s_and_saveexec_b64 s[8:9], s[6:7]
	s_xor_b64 s[6:7], exec, s[8:9]
	s_cbranch_execz .LBB1_7813
; %bb.43653:
	s_getpc_b64 s[14:15]
.Lpost_getpc7490:
	s_add_u32 s14, s14, (.LBB1_22149-.Lpost_getpc7490)&4294967295
	s_addc_u32 s15, s15, (.LBB1_22149-.Lpost_getpc7490)>>32
	s_setpc_b64 s[14:15]
.LBB1_7813:
	s_or_saveexec_b64 s[6:7], s[6:7]
	v_mov_b32_e32 v13, s10
	s_xor_b64 exec, exec, s[6:7]
	s_cbranch_execz .LBB1_7814
; %bb.43655:
	s_getpc_b64 s[14:15]
.Lpost_getpc7491:
	s_add_u32 s14, s14, (.LBB1_22152-.Lpost_getpc7491)&4294967295
	s_addc_u32 s15, s15, (.LBB1_22152-.Lpost_getpc7491)>>32
	s_setpc_b64 s[14:15]
.LBB1_7814:
	s_or_b64 exec, exec, s[6:7]
	s_and_saveexec_b64 s[6:7], s[4:5]
	s_cbranch_execz .LBB1_7816
.LBB1_7815:
	v_and_b32_e32 v13, 7, v2
	v_ffbh_u32_e32 v15, v13
	v_min_u32_e32 v15, 32, v15
	v_lshrrev_b16_e32 v14, 3, v2
	v_subrev_u32_e32 v16, 28, v15
	v_and_b32_e32 v14, 15, v14
	v_lshlrev_b32_e32 v16, v16, v2
	v_sub_u32_e32 v15, 29, v15
	v_and_b32_e32 v16, 7, v16
	v_cmp_eq_u16_e32 vcc, 0, v14
	v_cndmask_b32_e32 v13, v13, v16, vcc
	v_cndmask_b32_e32 v14, v14, v15, vcc
	v_lshlrev_b32_e32 v15, 24, v2
	v_mov_b32_e32 v16, 0x3b800000
	v_lshlrev_b32_e32 v13, 20, v13
	v_and_b32_e32 v15, 0x80000000, v15
	v_lshl_add_u32 v14, v14, 23, v16
	v_or3_b32 v13, v15, v14, v13
.LBB1_7816:
	s_or_b64 exec, exec, s[6:7]
	flat_load_dwordx4 a[0:3], v[10:11] offset:80
	s_movk_i32 s4, 0x7f
                                        ; implicit-def: $sgpr10
	s_waitcnt vmcnt(0) lgkmcnt(0)
	v_mfma_f32_16x16x4f32 a[0:3], v12, v13, a[0:3]
	v_lshrrev_b32_e32 v13, 8, v6
	v_cmp_gt_i16_sdwa s[6:7], v13, s4 src0_sel:BYTE_0 src1_sel:DWORD
	s_mov_b64 s[4:5], 0
	s_and_saveexec_b64 s[8:9], s[6:7]
	s_xor_b64 s[6:7], exec, s[8:9]
	s_cbranch_execz .LBB1_7817
; %bb.43657:
	s_getpc_b64 s[14:15]
.Lpost_getpc7492:
	s_add_u32 s14, s14, (.LBB1_22153-.Lpost_getpc7492)&4294967295
	s_addc_u32 s15, s15, (.LBB1_22153-.Lpost_getpc7492)>>32
	s_setpc_b64 s[14:15]
.LBB1_7817:
	s_or_saveexec_b64 s[6:7], s[6:7]
	v_mov_b32_e32 v12, s10
	s_xor_b64 exec, exec, s[6:7]
	s_cbranch_execz .LBB1_7818
; %bb.43659:
	s_getpc_b64 s[14:15]
.Lpost_getpc7493:
	s_add_u32 s14, s14, (.LBB1_22156-.Lpost_getpc7493)&4294967295
	s_addc_u32 s15, s15, (.LBB1_22156-.Lpost_getpc7493)>>32
	s_setpc_b64 s[14:15]
.LBB1_7818:
	s_or_b64 exec, exec, s[6:7]
	s_and_saveexec_b64 s[6:7], s[4:5]
	s_cbranch_execz .LBB1_7820
.LBB1_7819:
	v_bfe_u32 v12, v6, 8, 3
	v_ffbh_u32_e32 v15, v12
	v_min_u32_e32 v15, 32, v15
	v_lshrrev_b16_e32 v14, 3, v13
	v_subrev_u32_e32 v16, 28, v15
	v_and_b32_e32 v14, 15, v14
	v_lshlrev_b32_e32 v13, v16, v13
	v_sub_u32_e32 v15, 29, v15
	v_and_b32_e32 v13, 7, v13
	v_cmp_eq_u16_e32 vcc, 0, v14
	v_cndmask_b32_e32 v12, v12, v13, vcc
	v_cndmask_b32_e32 v13, v14, v15, vcc
	v_lshlrev_b32_e32 v14, 16, v6
	v_mov_b32_e32 v15, 0x3b800000
	v_lshlrev_b32_e32 v12, 20, v12
	v_and_b32_e32 v14, 0x80000000, v14
	v_lshl_add_u32 v13, v13, 23, v15
	v_or3_b32 v12, v14, v13, v12
.LBB1_7820:
	s_or_b64 exec, exec, s[6:7]
	v_lshrrev_b32_e32 v13, 8, v2
	s_movk_i32 s4, 0x7f
	v_cmp_gt_i16_sdwa s[6:7], v13, s4 src0_sel:BYTE_0 src1_sel:DWORD
	s_mov_b64 s[4:5], 0
                                        ; implicit-def: $sgpr10
	s_and_saveexec_b64 s[8:9], s[6:7]
	s_xor_b64 s[6:7], exec, s[8:9]
	s_cbranch_execz .LBB1_7821
; %bb.43661:
	s_getpc_b64 s[14:15]
.Lpost_getpc7494:
	s_add_u32 s14, s14, (.LBB1_22157-.Lpost_getpc7494)&4294967295
	s_addc_u32 s15, s15, (.LBB1_22157-.Lpost_getpc7494)>>32
	s_setpc_b64 s[14:15]
.LBB1_7821:
	s_or_saveexec_b64 s[6:7], s[6:7]
	v_mov_b32_e32 v14, s10
	s_xor_b64 exec, exec, s[6:7]
	s_cbranch_execz .LBB1_7822
; %bb.43663:
	s_getpc_b64 s[14:15]
.Lpost_getpc7495:
	s_add_u32 s14, s14, (.LBB1_22160-.Lpost_getpc7495)&4294967295
	s_addc_u32 s15, s15, (.LBB1_22160-.Lpost_getpc7495)>>32
	s_setpc_b64 s[14:15]
.LBB1_7822:
	s_or_b64 exec, exec, s[6:7]
	s_and_saveexec_b64 s[6:7], s[4:5]
	s_cbranch_execz .LBB1_7824
.LBB1_7823:
	v_bfe_u32 v14, v2, 8, 3
	v_ffbh_u32_e32 v16, v14
	v_min_u32_e32 v16, 32, v16
	v_lshrrev_b16_e32 v15, 3, v13
	v_subrev_u32_e32 v17, 28, v16
	v_and_b32_e32 v15, 15, v15
	v_lshlrev_b32_e32 v13, v17, v13
	v_sub_u32_e32 v16, 29, v16
	v_and_b32_e32 v13, 7, v13
	v_cmp_eq_u16_e32 vcc, 0, v15
	v_cndmask_b32_e32 v13, v14, v13, vcc
	v_cndmask_b32_e32 v14, v15, v16, vcc
	v_lshlrev_b32_e32 v15, 16, v2
	v_mov_b32_e32 v16, 0x3b800000
	v_lshlrev_b32_e32 v13, 20, v13
	v_and_b32_e32 v15, 0x80000000, v15
	v_lshl_add_u32 v14, v14, 23, v16
	v_or3_b32 v14, v15, v14, v13
.LBB1_7824:
	s_or_b64 exec, exec, s[6:7]
	s_nop 0
	v_mfma_f32_16x16x4f32 a[0:3], v12, v14, a[0:3]
	s_movk_i32 s4, 0xff
	v_and_b32_sdwa v13, v6, s4 dst_sel:DWORD dst_unused:UNUSED_PAD src0_sel:WORD_1 src1_sel:DWORD
	s_movk_i32 s4, 0x7f
	v_cmp_lt_i16_e32 vcc, s4, v13
	s_mov_b64 s[4:5], 0
                                        ; implicit-def: $sgpr10
	s_and_saveexec_b64 s[6:7], vcc
	s_xor_b64 s[6:7], exec, s[6:7]
	s_cbranch_execz .LBB1_7825
; %bb.43665:
	s_getpc_b64 s[14:15]
.Lpost_getpc7496:
	s_add_u32 s14, s14, (.LBB1_22161-.Lpost_getpc7496)&4294967295
	s_addc_u32 s15, s15, (.LBB1_22161-.Lpost_getpc7496)>>32
	s_setpc_b64 s[14:15]
.LBB1_7825:
	s_or_saveexec_b64 s[6:7], s[6:7]
	v_mov_b32_e32 v12, s10
	s_xor_b64 exec, exec, s[6:7]
	s_cbranch_execz .LBB1_7826
; %bb.43667:
	s_getpc_b64 s[14:15]
.Lpost_getpc7497:
	s_add_u32 s14, s14, (.LBB1_22164-.Lpost_getpc7497)&4294967295
	s_addc_u32 s15, s15, (.LBB1_22164-.Lpost_getpc7497)>>32
	s_setpc_b64 s[14:15]
.LBB1_7826:
	s_or_b64 exec, exec, s[6:7]
	s_and_saveexec_b64 s[6:7], s[4:5]
	s_cbranch_execz .LBB1_7828
.LBB1_7827:
	v_bfe_u32 v12, v6, 16, 3
	v_ffbh_u32_e32 v15, v12
	v_min_u32_e32 v15, 32, v15
	v_lshrrev_b32_e32 v13, 19, v6
	v_subrev_u32_e32 v16, 28, v15
	v_and_b32_e32 v13, 15, v13
	v_lshlrev_b32_sdwa v16, v16, v6 dst_sel:DWORD dst_unused:UNUSED_PAD src0_sel:DWORD src1_sel:WORD_1
	v_bfe_u32 v14, v6, 19, 4
	v_sub_u32_e32 v15, 29, v15
	v_and_b32_e32 v16, 7, v16
	v_cmp_eq_u16_e32 vcc, 0, v13
	v_cndmask_b32_e32 v12, v12, v16, vcc
	v_cndmask_b32_e32 v13, v14, v15, vcc
	v_lshlrev_b32_e32 v14, 8, v6
	v_mov_b32_e32 v15, 0x3b800000
	v_lshlrev_b32_e32 v12, 20, v12
	v_and_b32_e32 v14, 0x80000000, v14
	v_lshl_add_u32 v13, v13, 23, v15
	v_or3_b32 v12, v14, v13, v12
.LBB1_7828:
	s_or_b64 exec, exec, s[6:7]
	s_movk_i32 s4, 0xff
	v_and_b32_sdwa v13, v2, s4 dst_sel:DWORD dst_unused:UNUSED_PAD src0_sel:WORD_1 src1_sel:DWORD
	s_movk_i32 s4, 0x7f
	v_cmp_lt_i16_e32 vcc, s4, v13
	s_mov_b64 s[4:5], 0
                                        ; implicit-def: $sgpr10
	s_and_saveexec_b64 s[6:7], vcc
	s_xor_b64 s[6:7], exec, s[6:7]
	s_cbranch_execz .LBB1_7829
; %bb.43669:
	s_getpc_b64 s[14:15]
.Lpost_getpc7498:
	s_add_u32 s14, s14, (.LBB1_22165-.Lpost_getpc7498)&4294967295
	s_addc_u32 s15, s15, (.LBB1_22165-.Lpost_getpc7498)>>32
	s_setpc_b64 s[14:15]
.LBB1_7829:
	s_or_saveexec_b64 s[6:7], s[6:7]
	v_mov_b32_e32 v14, s10
	s_xor_b64 exec, exec, s[6:7]
	s_cbranch_execz .LBB1_7830
; %bb.43671:
	s_getpc_b64 s[14:15]
.Lpost_getpc7499:
	s_add_u32 s14, s14, (.LBB1_22168-.Lpost_getpc7499)&4294967295
	s_addc_u32 s15, s15, (.LBB1_22168-.Lpost_getpc7499)>>32
	s_setpc_b64 s[14:15]
.LBB1_7830:
	s_or_b64 exec, exec, s[6:7]
	s_and_saveexec_b64 s[6:7], s[4:5]
	s_cbranch_execz .LBB1_7832
.LBB1_7831:
	v_bfe_u32 v13, v2, 16, 3
	v_ffbh_u32_e32 v16, v13
	v_min_u32_e32 v16, 32, v16
	v_lshrrev_b32_e32 v14, 19, v2
	v_subrev_u32_e32 v17, 28, v16
	v_and_b32_e32 v14, 15, v14
	v_lshlrev_b32_sdwa v17, v17, v2 dst_sel:DWORD dst_unused:UNUSED_PAD src0_sel:DWORD src1_sel:WORD_1
	v_bfe_u32 v15, v2, 19, 4
	v_sub_u32_e32 v16, 29, v16
	v_and_b32_e32 v17, 7, v17
	v_cmp_eq_u16_e32 vcc, 0, v14
	v_cndmask_b32_e32 v13, v13, v17, vcc
	v_cndmask_b32_e32 v14, v15, v16, vcc
	v_lshlrev_b32_e32 v15, 8, v2
	v_mov_b32_e32 v16, 0x3b800000
	v_lshlrev_b32_e32 v13, 20, v13
	v_and_b32_e32 v15, 0x80000000, v15
	v_lshl_add_u32 v14, v14, 23, v16
	v_or3_b32 v14, v15, v14, v13
.LBB1_7832:
	s_or_b64 exec, exec, s[6:7]
	s_nop 0
	v_mfma_f32_16x16x4f32 a[0:3], v12, v14, a[0:3]
	s_movk_i32 s4, 0x7f
	v_cmp_gt_i16_sdwa s[6:7], v6, s4 src0_sel:BYTE_3 src1_sel:DWORD
	s_mov_b64 s[4:5], 0
                                        ; implicit-def: $sgpr10
	s_and_saveexec_b64 s[8:9], s[6:7]
	s_xor_b64 s[6:7], exec, s[8:9]
	s_cbranch_execz .LBB1_7833
; %bb.43673:
	s_getpc_b64 s[14:15]
.Lpost_getpc7500:
	s_add_u32 s14, s14, (.LBB1_22169-.Lpost_getpc7500)&4294967295
	s_addc_u32 s15, s15, (.LBB1_22169-.Lpost_getpc7500)>>32
	s_setpc_b64 s[14:15]
.LBB1_7833:
	s_or_saveexec_b64 s[6:7], s[6:7]
	v_mov_b32_e32 v12, s10
	s_xor_b64 exec, exec, s[6:7]
	s_cbranch_execz .LBB1_7834
; %bb.43675:
	s_getpc_b64 s[14:15]
.Lpost_getpc7501:
	s_add_u32 s14, s14, (.LBB1_22172-.Lpost_getpc7501)&4294967295
	s_addc_u32 s15, s15, (.LBB1_22172-.Lpost_getpc7501)>>32
	s_setpc_b64 s[14:15]
.LBB1_7834:
	s_or_b64 exec, exec, s[6:7]
	s_and_saveexec_b64 s[6:7], s[4:5]
	s_cbranch_execz .LBB1_7836
.LBB1_7835:
	v_bfe_u32 v12, v6, 24, 3
	v_ffbh_u32_e32 v16, v12
	v_min_u32_e32 v16, 32, v16
	v_lshrrev_b32_e32 v14, 27, v6
	v_subrev_u32_e32 v17, 28, v16
	v_and_b32_e32 v13, 0x80000000, v6
	v_and_b32_e32 v14, 15, v14
	v_bfe_u32 v15, v6, 27, 4
	v_lshlrev_b32_sdwa v6, v17, v6 dst_sel:DWORD dst_unused:UNUSED_PAD src0_sel:DWORD src1_sel:BYTE_3
	v_sub_u32_e32 v16, 29, v16
	v_and_b32_e32 v6, 7, v6
	v_cmp_eq_u16_e32 vcc, 0, v14
	v_cndmask_b32_e32 v6, v12, v6, vcc
	v_cndmask_b32_e32 v12, v15, v16, vcc
	v_mov_b32_e32 v14, 0x3b800000
	v_lshlrev_b32_e32 v6, 20, v6
	v_lshl_add_u32 v12, v12, 23, v14
	v_or3_b32 v12, v13, v12, v6
.LBB1_7836:
	s_or_b64 exec, exec, s[6:7]
	s_movk_i32 s4, 0x7f
	v_cmp_gt_i16_sdwa s[6:7], v2, s4 src0_sel:BYTE_3 src1_sel:DWORD
	s_mov_b64 s[4:5], 0
                                        ; implicit-def: $sgpr10
	s_and_saveexec_b64 s[8:9], s[6:7]
	s_xor_b64 s[6:7], exec, s[8:9]
	s_cbranch_execz .LBB1_7837
; %bb.43677:
	s_getpc_b64 s[14:15]
.Lpost_getpc7502:
	s_add_u32 s14, s14, (.LBB1_22173-.Lpost_getpc7502)&4294967295
	s_addc_u32 s15, s15, (.LBB1_22173-.Lpost_getpc7502)>>32
	s_setpc_b64 s[14:15]
.LBB1_7837:
	s_or_saveexec_b64 s[6:7], s[6:7]
	v_mov_b32_e32 v6, s10
	s_xor_b64 exec, exec, s[6:7]
	s_cbranch_execz .LBB1_7838
; %bb.43679:
	s_getpc_b64 s[14:15]
.Lpost_getpc7503:
	s_add_u32 s14, s14, (.LBB1_22176-.Lpost_getpc7503)&4294967295
	s_addc_u32 s15, s15, (.LBB1_22176-.Lpost_getpc7503)>>32
	s_setpc_b64 s[14:15]
.LBB1_7838:
	s_or_b64 exec, exec, s[6:7]
	s_and_saveexec_b64 s[6:7], s[4:5]
	s_cbranch_execz .LBB1_7840
.LBB1_7839:
	v_bfe_u32 v6, v2, 24, 3
	v_ffbh_u32_e32 v16, v6
	v_min_u32_e32 v16, 32, v16
	v_lshrrev_b32_e32 v14, 27, v2
	v_subrev_u32_e32 v17, 28, v16
	v_and_b32_e32 v13, 0x80000000, v2
	v_and_b32_e32 v14, 15, v14
	v_bfe_u32 v15, v2, 27, 4
	v_lshlrev_b32_sdwa v2, v17, v2 dst_sel:DWORD dst_unused:UNUSED_PAD src0_sel:DWORD src1_sel:BYTE_3
	v_sub_u32_e32 v16, 29, v16
	v_and_b32_e32 v2, 7, v2
	v_cmp_eq_u16_e32 vcc, 0, v14
	v_cndmask_b32_e32 v2, v6, v2, vcc
	v_cndmask_b32_e32 v6, v15, v16, vcc
	v_mov_b32_e32 v14, 0x3b800000
	v_lshlrev_b32_e32 v2, 20, v2
	v_lshl_add_u32 v6, v6, 23, v14
	v_or3_b32 v6, v13, v6, v2
.LBB1_7840:
	s_or_b64 exec, exec, s[6:7]
	s_nop 0
	v_mfma_f32_16x16x4f32 a[0:3], v12, v6, a[0:3]
	s_movk_i32 s4, 0x7f
	v_cmp_gt_i16_sdwa s[6:7], v7, s4 src0_sel:BYTE_0 src1_sel:DWORD
	s_mov_b64 s[4:5], 0
                                        ; implicit-def: $sgpr10
	s_and_saveexec_b64 s[8:9], s[6:7]
	s_xor_b64 s[6:7], exec, s[8:9]
	s_cbranch_execz .LBB1_7841
; %bb.43681:
	s_getpc_b64 s[14:15]
.Lpost_getpc7504:
	s_add_u32 s14, s14, (.LBB1_22177-.Lpost_getpc7504)&4294967295
	s_addc_u32 s15, s15, (.LBB1_22177-.Lpost_getpc7504)>>32
	s_setpc_b64 s[14:15]
.LBB1_7841:
	s_or_saveexec_b64 s[6:7], s[6:7]
	v_mov_b32_e32 v2, s10
	s_xor_b64 exec, exec, s[6:7]
	s_cbranch_execz .LBB1_7842
; %bb.43683:
	s_getpc_b64 s[14:15]
.Lpost_getpc7505:
	s_add_u32 s14, s14, (.LBB1_22180-.Lpost_getpc7505)&4294967295
	s_addc_u32 s15, s15, (.LBB1_22180-.Lpost_getpc7505)>>32
	s_setpc_b64 s[14:15]
.LBB1_7842:
	s_or_b64 exec, exec, s[6:7]
	s_and_saveexec_b64 s[6:7], s[4:5]
	s_cbranch_execz .LBB1_7844
.LBB1_7843:
	v_and_b32_e32 v2, 7, v7
	v_ffbh_u32_e32 v12, v2
	v_min_u32_e32 v12, 32, v12
	v_lshrrev_b16_e32 v6, 3, v7
	v_subrev_u32_e32 v13, 28, v12
	v_and_b32_e32 v6, 15, v6
	v_lshlrev_b32_e32 v13, v13, v7
	v_sub_u32_e32 v12, 29, v12
	v_and_b32_e32 v13, 7, v13
	v_cmp_eq_u16_e32 vcc, 0, v6
	v_cndmask_b32_e32 v2, v2, v13, vcc
	v_cndmask_b32_e32 v6, v6, v12, vcc
	v_lshlrev_b32_e32 v12, 24, v7
	v_mov_b32_e32 v13, 0x3b800000
	v_lshlrev_b32_e32 v2, 20, v2
	v_and_b32_e32 v12, 0x80000000, v12
	v_lshl_add_u32 v6, v6, 23, v13
	v_or3_b32 v2, v12, v6, v2
.LBB1_7844:
	s_or_b64 exec, exec, s[6:7]
	s_movk_i32 s4, 0x7f
	v_cmp_gt_i16_sdwa s[6:7], v3, s4 src0_sel:BYTE_0 src1_sel:DWORD
	s_mov_b64 s[4:5], 0
                                        ; implicit-def: $sgpr10
	s_and_saveexec_b64 s[8:9], s[6:7]
	s_xor_b64 s[6:7], exec, s[8:9]
	s_cbranch_execz .LBB1_7845
; %bb.43685:
	s_getpc_b64 s[14:15]
.Lpost_getpc7506:
	s_add_u32 s14, s14, (.LBB1_22181-.Lpost_getpc7506)&4294967295
	s_addc_u32 s15, s15, (.LBB1_22181-.Lpost_getpc7506)>>32
	s_setpc_b64 s[14:15]
.LBB1_7845:
	s_or_saveexec_b64 s[6:7], s[6:7]
	v_mov_b32_e32 v6, s10
	s_xor_b64 exec, exec, s[6:7]
	s_cbranch_execz .LBB1_7846
; %bb.43687:
	s_getpc_b64 s[14:15]
.Lpost_getpc7507:
	s_add_u32 s14, s14, (.LBB1_22184-.Lpost_getpc7507)&4294967295
	s_addc_u32 s15, s15, (.LBB1_22184-.Lpost_getpc7507)>>32
	s_setpc_b64 s[14:15]
.LBB1_7846:
	s_or_b64 exec, exec, s[6:7]
	s_and_saveexec_b64 s[6:7], s[4:5]
	s_cbranch_execz .LBB1_7848
.LBB1_7847:
	v_and_b32_e32 v6, 7, v3
	v_ffbh_u32_e32 v13, v6
	v_min_u32_e32 v13, 32, v13
	v_lshrrev_b16_e32 v12, 3, v3
	v_subrev_u32_e32 v14, 28, v13
	v_and_b32_e32 v12, 15, v12
	v_lshlrev_b32_e32 v14, v14, v3
	v_sub_u32_e32 v13, 29, v13
	v_and_b32_e32 v14, 7, v14
	v_cmp_eq_u16_e32 vcc, 0, v12
	v_cndmask_b32_e32 v6, v6, v14, vcc
	v_cndmask_b32_e32 v12, v12, v13, vcc
	v_lshlrev_b32_e32 v13, 24, v3
	v_mov_b32_e32 v14, 0x3b800000
	v_lshlrev_b32_e32 v6, 20, v6
	v_and_b32_e32 v13, 0x80000000, v13
	v_lshl_add_u32 v12, v12, 23, v14
	v_or3_b32 v6, v13, v12, v6
.LBB1_7848:
	s_or_b64 exec, exec, s[6:7]
	s_nop 0
	v_mfma_f32_16x16x4f32 a[0:3], v2, v6, a[0:3]
	v_lshrrev_b32_e32 v6, 8, v7
	s_movk_i32 s4, 0x7f
	v_cmp_gt_i16_sdwa s[6:7], v6, s4 src0_sel:BYTE_0 src1_sel:DWORD
	s_mov_b64 s[4:5], 0
                                        ; implicit-def: $sgpr10
	s_and_saveexec_b64 s[8:9], s[6:7]
	s_xor_b64 s[6:7], exec, s[8:9]
	s_cbranch_execz .LBB1_7849
; %bb.43689:
	s_getpc_b64 s[14:15]
.Lpost_getpc7508:
	s_add_u32 s14, s14, (.LBB1_22185-.Lpost_getpc7508)&4294967295
	s_addc_u32 s15, s15, (.LBB1_22185-.Lpost_getpc7508)>>32
	s_setpc_b64 s[14:15]
.LBB1_7849:
	s_or_saveexec_b64 s[6:7], s[6:7]
	v_mov_b32_e32 v2, s10
	s_xor_b64 exec, exec, s[6:7]
	s_cbranch_execz .LBB1_7850
; %bb.43691:
	s_getpc_b64 s[14:15]
.Lpost_getpc7509:
	s_add_u32 s14, s14, (.LBB1_22188-.Lpost_getpc7509)&4294967295
	s_addc_u32 s15, s15, (.LBB1_22188-.Lpost_getpc7509)>>32
	s_setpc_b64 s[14:15]
.LBB1_7850:
	s_or_b64 exec, exec, s[6:7]
	s_and_saveexec_b64 s[6:7], s[4:5]
	s_cbranch_execz .LBB1_7852
.LBB1_7851:
	v_bfe_u32 v2, v7, 8, 3
	v_ffbh_u32_e32 v13, v2
	v_min_u32_e32 v13, 32, v13
	v_lshrrev_b16_e32 v12, 3, v6
	v_subrev_u32_e32 v14, 28, v13
	v_and_b32_e32 v12, 15, v12
	v_lshlrev_b32_e32 v6, v14, v6
	v_sub_u32_e32 v13, 29, v13
	v_and_b32_e32 v6, 7, v6
	v_cmp_eq_u16_e32 vcc, 0, v12
	v_cndmask_b32_e32 v2, v2, v6, vcc
	v_cndmask_b32_e32 v6, v12, v13, vcc
	v_lshlrev_b32_e32 v12, 16, v7
	v_mov_b32_e32 v13, 0x3b800000
	v_lshlrev_b32_e32 v2, 20, v2
	v_and_b32_e32 v12, 0x80000000, v12
	v_lshl_add_u32 v6, v6, 23, v13
	v_or3_b32 v2, v12, v6, v2
.LBB1_7852:
	s_or_b64 exec, exec, s[6:7]
	v_lshrrev_b32_e32 v6, 8, v3
	s_movk_i32 s4, 0x7f
	v_cmp_gt_i16_sdwa s[6:7], v6, s4 src0_sel:BYTE_0 src1_sel:DWORD
	s_mov_b64 s[4:5], 0
                                        ; implicit-def: $sgpr10
	s_and_saveexec_b64 s[8:9], s[6:7]
	s_xor_b64 s[6:7], exec, s[8:9]
	s_cbranch_execz .LBB1_7853
; %bb.43693:
	s_getpc_b64 s[14:15]
.Lpost_getpc7510:
	s_add_u32 s14, s14, (.LBB1_22189-.Lpost_getpc7510)&4294967295
	s_addc_u32 s15, s15, (.LBB1_22189-.Lpost_getpc7510)>>32
	s_setpc_b64 s[14:15]
.LBB1_7853:
	s_or_saveexec_b64 s[6:7], s[6:7]
	v_mov_b32_e32 v12, s10
	s_xor_b64 exec, exec, s[6:7]
	s_cbranch_execz .LBB1_7854
; %bb.43695:
	s_getpc_b64 s[14:15]
.Lpost_getpc7511:
	s_add_u32 s14, s14, (.LBB1_22192-.Lpost_getpc7511)&4294967295
	s_addc_u32 s15, s15, (.LBB1_22192-.Lpost_getpc7511)>>32
	s_setpc_b64 s[14:15]
.LBB1_7854:
	s_or_b64 exec, exec, s[6:7]
	s_and_saveexec_b64 s[6:7], s[4:5]
	s_cbranch_execz .LBB1_7856
.LBB1_7855:
	v_bfe_u32 v12, v3, 8, 3
	v_ffbh_u32_e32 v14, v12
	v_min_u32_e32 v14, 32, v14
	v_lshrrev_b16_e32 v13, 3, v6
	v_subrev_u32_e32 v15, 28, v14
	v_and_b32_e32 v13, 15, v13
	v_lshlrev_b32_e32 v6, v15, v6
	v_sub_u32_e32 v14, 29, v14
	v_and_b32_e32 v6, 7, v6
	v_cmp_eq_u16_e32 vcc, 0, v13
	v_cndmask_b32_e32 v6, v12, v6, vcc
	v_cndmask_b32_e32 v12, v13, v14, vcc
	v_lshlrev_b32_e32 v13, 16, v3
	v_mov_b32_e32 v14, 0x3b800000
	v_lshlrev_b32_e32 v6, 20, v6
	v_and_b32_e32 v13, 0x80000000, v13
	v_lshl_add_u32 v12, v12, 23, v14
	v_or3_b32 v12, v13, v12, v6
.LBB1_7856:
	s_or_b64 exec, exec, s[6:7]
	s_nop 0
	v_mfma_f32_16x16x4f32 a[0:3], v2, v12, a[0:3]
	s_movk_i32 s4, 0xff
	v_and_b32_sdwa v6, v7, s4 dst_sel:DWORD dst_unused:UNUSED_PAD src0_sel:WORD_1 src1_sel:DWORD
	s_movk_i32 s4, 0x7f
	v_cmp_lt_i16_e32 vcc, s4, v6
	s_mov_b64 s[4:5], 0
                                        ; implicit-def: $sgpr10
	s_and_saveexec_b64 s[6:7], vcc
	s_xor_b64 s[6:7], exec, s[6:7]
	s_cbranch_execz .LBB1_7857
; %bb.43697:
	s_getpc_b64 s[14:15]
.Lpost_getpc7512:
	s_add_u32 s14, s14, (.LBB1_22193-.Lpost_getpc7512)&4294967295
	s_addc_u32 s15, s15, (.LBB1_22193-.Lpost_getpc7512)>>32
	s_setpc_b64 s[14:15]
.LBB1_7857:
	s_or_saveexec_b64 s[6:7], s[6:7]
	v_mov_b32_e32 v2, s10
	s_xor_b64 exec, exec, s[6:7]
	s_cbranch_execz .LBB1_7858
; %bb.43699:
	s_getpc_b64 s[14:15]
.Lpost_getpc7513:
	s_add_u32 s14, s14, (.LBB1_22196-.Lpost_getpc7513)&4294967295
	s_addc_u32 s15, s15, (.LBB1_22196-.Lpost_getpc7513)>>32
	s_setpc_b64 s[14:15]
.LBB1_7858:
	s_or_b64 exec, exec, s[6:7]
	s_and_saveexec_b64 s[6:7], s[4:5]
	s_cbranch_execz .LBB1_7860
.LBB1_7859:
	v_bfe_u32 v2, v7, 16, 3
	v_ffbh_u32_e32 v13, v2
	v_min_u32_e32 v13, 32, v13
	v_lshrrev_b32_e32 v6, 19, v7
	v_subrev_u32_e32 v14, 28, v13
	v_and_b32_e32 v6, 15, v6
	v_lshlrev_b32_sdwa v14, v14, v7 dst_sel:DWORD dst_unused:UNUSED_PAD src0_sel:DWORD src1_sel:WORD_1
	v_bfe_u32 v12, v7, 19, 4
	v_sub_u32_e32 v13, 29, v13
	v_and_b32_e32 v14, 7, v14
	v_cmp_eq_u16_e32 vcc, 0, v6
	v_cndmask_b32_e32 v2, v2, v14, vcc
	v_cndmask_b32_e32 v6, v12, v13, vcc
	v_lshlrev_b32_e32 v12, 8, v7
	v_mov_b32_e32 v13, 0x3b800000
	v_lshlrev_b32_e32 v2, 20, v2
	v_and_b32_e32 v12, 0x80000000, v12
	v_lshl_add_u32 v6, v6, 23, v13
	v_or3_b32 v2, v12, v6, v2
.LBB1_7860:
	s_or_b64 exec, exec, s[6:7]
	s_movk_i32 s4, 0xff
	v_and_b32_sdwa v6, v3, s4 dst_sel:DWORD dst_unused:UNUSED_PAD src0_sel:WORD_1 src1_sel:DWORD
	s_movk_i32 s4, 0x7f
	v_cmp_lt_i16_e32 vcc, s4, v6
	s_mov_b64 s[4:5], 0
                                        ; implicit-def: $sgpr10
	s_and_saveexec_b64 s[6:7], vcc
	s_xor_b64 s[6:7], exec, s[6:7]
	s_cbranch_execz .LBB1_7861
; %bb.43701:
	s_getpc_b64 s[14:15]
.Lpost_getpc7514:
	s_add_u32 s14, s14, (.LBB1_22197-.Lpost_getpc7514)&4294967295
	s_addc_u32 s15, s15, (.LBB1_22197-.Lpost_getpc7514)>>32
	s_setpc_b64 s[14:15]
.LBB1_7861:
	s_or_saveexec_b64 s[6:7], s[6:7]
	v_mov_b32_e32 v12, s10
	s_xor_b64 exec, exec, s[6:7]
	s_cbranch_execz .LBB1_7862
; %bb.43703:
	s_getpc_b64 s[14:15]
.Lpost_getpc7515:
	s_add_u32 s14, s14, (.LBB1_22200-.Lpost_getpc7515)&4294967295
	s_addc_u32 s15, s15, (.LBB1_22200-.Lpost_getpc7515)>>32
	s_setpc_b64 s[14:15]
.LBB1_7862:
	s_or_b64 exec, exec, s[6:7]
	s_and_saveexec_b64 s[6:7], s[4:5]
	s_cbranch_execz .LBB1_7864
.LBB1_7863:
	v_bfe_u32 v6, v3, 16, 3
	v_ffbh_u32_e32 v14, v6
	v_min_u32_e32 v14, 32, v14
	v_lshrrev_b32_e32 v12, 19, v3
	v_subrev_u32_e32 v15, 28, v14
	v_and_b32_e32 v12, 15, v12
	v_lshlrev_b32_sdwa v15, v15, v3 dst_sel:DWORD dst_unused:UNUSED_PAD src0_sel:DWORD src1_sel:WORD_1
	v_bfe_u32 v13, v3, 19, 4
	v_sub_u32_e32 v14, 29, v14
	v_and_b32_e32 v15, 7, v15
	v_cmp_eq_u16_e32 vcc, 0, v12
	v_cndmask_b32_e32 v6, v6, v15, vcc
	v_cndmask_b32_e32 v12, v13, v14, vcc
	v_lshlrev_b32_e32 v13, 8, v3
	v_mov_b32_e32 v14, 0x3b800000
	v_lshlrev_b32_e32 v6, 20, v6
	v_and_b32_e32 v13, 0x80000000, v13
	v_lshl_add_u32 v12, v12, 23, v14
	v_or3_b32 v12, v13, v12, v6
.LBB1_7864:
	s_or_b64 exec, exec, s[6:7]
	s_nop 0
	v_mfma_f32_16x16x4f32 a[0:3], v2, v12, a[0:3]
	s_movk_i32 s4, 0x7f
	v_cmp_gt_i16_sdwa s[6:7], v7, s4 src0_sel:BYTE_3 src1_sel:DWORD
	s_mov_b64 s[4:5], 0
                                        ; implicit-def: $sgpr10
	s_and_saveexec_b64 s[8:9], s[6:7]
	s_xor_b64 s[6:7], exec, s[8:9]
	s_cbranch_execz .LBB1_7865
; %bb.43705:
	s_getpc_b64 s[14:15]
.Lpost_getpc7516:
	s_add_u32 s14, s14, (.LBB1_22201-.Lpost_getpc7516)&4294967295
	s_addc_u32 s15, s15, (.LBB1_22201-.Lpost_getpc7516)>>32
	s_setpc_b64 s[14:15]
.LBB1_7865:
	s_or_saveexec_b64 s[6:7], s[6:7]
	v_mov_b32_e32 v2, s10
	s_xor_b64 exec, exec, s[6:7]
	s_cbranch_execz .LBB1_7866
; %bb.43707:
	s_getpc_b64 s[14:15]
.Lpost_getpc7517:
	s_add_u32 s14, s14, (.LBB1_22204-.Lpost_getpc7517)&4294967295
	s_addc_u32 s15, s15, (.LBB1_22204-.Lpost_getpc7517)>>32
	s_setpc_b64 s[14:15]
.LBB1_7866:
	s_or_b64 exec, exec, s[6:7]
	s_and_saveexec_b64 s[6:7], s[4:5]
	s_cbranch_execz .LBB1_7868
.LBB1_7867:
	v_bfe_u32 v2, v7, 24, 3
	v_ffbh_u32_e32 v14, v2
	v_min_u32_e32 v14, 32, v14
	v_lshrrev_b32_e32 v12, 27, v7
	v_subrev_u32_e32 v15, 28, v14
	v_and_b32_e32 v6, 0x80000000, v7
	v_and_b32_e32 v12, 15, v12
	v_bfe_u32 v13, v7, 27, 4
	v_lshlrev_b32_sdwa v7, v15, v7 dst_sel:DWORD dst_unused:UNUSED_PAD src0_sel:DWORD src1_sel:BYTE_3
	v_sub_u32_e32 v14, 29, v14
	v_and_b32_e32 v7, 7, v7
	v_cmp_eq_u16_e32 vcc, 0, v12
	v_cndmask_b32_e32 v2, v2, v7, vcc
	v_cndmask_b32_e32 v7, v13, v14, vcc
	v_mov_b32_e32 v12, 0x3b800000
	v_lshlrev_b32_e32 v2, 20, v2
	v_lshl_add_u32 v7, v7, 23, v12
	v_or3_b32 v2, v6, v7, v2
.LBB1_7868:
	s_or_b64 exec, exec, s[6:7]
	s_movk_i32 s4, 0x7f
	v_cmp_gt_i16_sdwa s[6:7], v3, s4 src0_sel:BYTE_3 src1_sel:DWORD
	s_mov_b64 s[4:5], 0
                                        ; implicit-def: $sgpr10
	s_and_saveexec_b64 s[8:9], s[6:7]
	s_xor_b64 s[6:7], exec, s[8:9]
	s_cbranch_execz .LBB1_7869
; %bb.43709:
	s_getpc_b64 s[14:15]
.Lpost_getpc7518:
	s_add_u32 s14, s14, (.LBB1_22205-.Lpost_getpc7518)&4294967295
	s_addc_u32 s15, s15, (.LBB1_22205-.Lpost_getpc7518)>>32
	s_setpc_b64 s[14:15]
.LBB1_7869:
	s_or_saveexec_b64 s[6:7], s[6:7]
	v_mov_b32_e32 v6, s10
	s_xor_b64 exec, exec, s[6:7]
	s_cbranch_execz .LBB1_7870
; %bb.43711:
	s_getpc_b64 s[14:15]
.Lpost_getpc7519:
	s_add_u32 s14, s14, (.LBB1_22208-.Lpost_getpc7519)&4294967295
	s_addc_u32 s15, s15, (.LBB1_22208-.Lpost_getpc7519)>>32
	s_setpc_b64 s[14:15]
.LBB1_7870:
	s_or_b64 exec, exec, s[6:7]
	s_and_saveexec_b64 s[6:7], s[4:5]
	s_cbranch_execz .LBB1_7872
.LBB1_7871:
	v_bfe_u32 v6, v3, 24, 3
	v_ffbh_u32_e32 v14, v6
	v_min_u32_e32 v14, 32, v14
	v_lshrrev_b32_e32 v12, 27, v3
	v_subrev_u32_e32 v15, 28, v14
	v_and_b32_e32 v7, 0x80000000, v3
	v_and_b32_e32 v12, 15, v12
	v_bfe_u32 v13, v3, 27, 4
	v_lshlrev_b32_sdwa v3, v15, v3 dst_sel:DWORD dst_unused:UNUSED_PAD src0_sel:DWORD src1_sel:BYTE_3
	v_sub_u32_e32 v14, 29, v14
	v_and_b32_e32 v3, 7, v3
	v_cmp_eq_u16_e32 vcc, 0, v12
	v_cndmask_b32_e32 v3, v6, v3, vcc
	v_cndmask_b32_e32 v6, v13, v14, vcc
	v_mov_b32_e32 v12, 0x3b800000
	v_lshlrev_b32_e32 v3, 20, v3
	v_lshl_add_u32 v6, v6, 23, v12
	v_or3_b32 v6, v7, v6, v3
.LBB1_7872:
	s_or_b64 exec, exec, s[6:7]
	s_nop 0
	v_mfma_f32_16x16x4f32 a[0:3], v2, v6, a[0:3]
	s_movk_i32 s4, 0x7f
	v_cmp_gt_i16_sdwa s[6:7], v8, s4 src0_sel:BYTE_0 src1_sel:DWORD
	s_mov_b64 s[4:5], 0
                                        ; implicit-def: $sgpr10
	s_and_saveexec_b64 s[8:9], s[6:7]
	s_xor_b64 s[6:7], exec, s[8:9]
	s_cbranch_execz .LBB1_7873
; %bb.43713:
	s_getpc_b64 s[14:15]
.Lpost_getpc7520:
	s_add_u32 s14, s14, (.LBB1_22209-.Lpost_getpc7520)&4294967295
	s_addc_u32 s15, s15, (.LBB1_22209-.Lpost_getpc7520)>>32
	s_setpc_b64 s[14:15]
.LBB1_7873:
	s_or_saveexec_b64 s[6:7], s[6:7]
	v_mov_b32_e32 v2, s10
	s_xor_b64 exec, exec, s[6:7]
	s_cbranch_execz .LBB1_7874
; %bb.43715:
	s_getpc_b64 s[14:15]
.Lpost_getpc7521:
	s_add_u32 s14, s14, (.LBB1_22212-.Lpost_getpc7521)&4294967295
	s_addc_u32 s15, s15, (.LBB1_22212-.Lpost_getpc7521)>>32
	s_setpc_b64 s[14:15]
.LBB1_7874:
	s_or_b64 exec, exec, s[6:7]
	s_and_saveexec_b64 s[6:7], s[4:5]
	s_cbranch_execz .LBB1_7876
.LBB1_7875:
	v_and_b32_e32 v2, 7, v8
	v_ffbh_u32_e32 v6, v2
	v_min_u32_e32 v6, 32, v6
	v_lshrrev_b16_e32 v3, 3, v8
	v_subrev_u32_e32 v7, 28, v6
	v_and_b32_e32 v3, 15, v3
	v_lshlrev_b32_e32 v7, v7, v8
	v_sub_u32_e32 v6, 29, v6
	v_and_b32_e32 v7, 7, v7
	v_cmp_eq_u16_e32 vcc, 0, v3
	v_cndmask_b32_e32 v2, v2, v7, vcc
	v_cndmask_b32_e32 v3, v3, v6, vcc
	v_lshlrev_b32_e32 v6, 24, v8
	v_mov_b32_e32 v7, 0x3b800000
	v_lshlrev_b32_e32 v2, 20, v2
	v_and_b32_e32 v6, 0x80000000, v6
	v_lshl_add_u32 v3, v3, 23, v7
	v_or3_b32 v2, v6, v3, v2
.LBB1_7876:
	s_or_b64 exec, exec, s[6:7]
	s_movk_i32 s4, 0x7f
	v_cmp_gt_i16_sdwa s[6:7], v4, s4 src0_sel:BYTE_0 src1_sel:DWORD
	s_mov_b64 s[4:5], 0
                                        ; implicit-def: $sgpr10
	s_and_saveexec_b64 s[8:9], s[6:7]
	s_xor_b64 s[6:7], exec, s[8:9]
	s_cbranch_execz .LBB1_7877
; %bb.43717:
	s_getpc_b64 s[14:15]
.Lpost_getpc7522:
	s_add_u32 s14, s14, (.LBB1_22213-.Lpost_getpc7522)&4294967295
	s_addc_u32 s15, s15, (.LBB1_22213-.Lpost_getpc7522)>>32
	s_setpc_b64 s[14:15]
.LBB1_7877:
	s_or_saveexec_b64 s[6:7], s[6:7]
	v_mov_b32_e32 v3, s10
	s_xor_b64 exec, exec, s[6:7]
	s_cbranch_execz .LBB1_7878
; %bb.43719:
	s_getpc_b64 s[14:15]
.Lpost_getpc7523:
	s_add_u32 s14, s14, (.LBB1_22216-.Lpost_getpc7523)&4294967295
	s_addc_u32 s15, s15, (.LBB1_22216-.Lpost_getpc7523)>>32
	s_setpc_b64 s[14:15]
.LBB1_7878:
	s_or_b64 exec, exec, s[6:7]
	s_and_saveexec_b64 s[6:7], s[4:5]
	s_cbranch_execz .LBB1_7880
.LBB1_7879:
	v_and_b32_e32 v3, 7, v4
	v_ffbh_u32_e32 v7, v3
	v_min_u32_e32 v7, 32, v7
	v_lshrrev_b16_e32 v6, 3, v4
	v_subrev_u32_e32 v12, 28, v7
	v_and_b32_e32 v6, 15, v6
	v_lshlrev_b32_e32 v12, v12, v4
	v_sub_u32_e32 v7, 29, v7
	v_and_b32_e32 v12, 7, v12
	v_cmp_eq_u16_e32 vcc, 0, v6
	v_cndmask_b32_e32 v3, v3, v12, vcc
	v_cndmask_b32_e32 v6, v6, v7, vcc
	v_lshlrev_b32_e32 v7, 24, v4
	v_mov_b32_e32 v12, 0x3b800000
	v_lshlrev_b32_e32 v3, 20, v3
	v_and_b32_e32 v7, 0x80000000, v7
	v_lshl_add_u32 v6, v6, 23, v12
	v_or3_b32 v3, v7, v6, v3
.LBB1_7880:
	s_or_b64 exec, exec, s[6:7]
	s_nop 0
	v_mfma_f32_16x16x4f32 a[0:3], v2, v3, a[0:3]
	v_lshrrev_b32_e32 v3, 8, v8
	s_movk_i32 s4, 0x7f
	v_cmp_gt_i16_sdwa s[6:7], v3, s4 src0_sel:BYTE_0 src1_sel:DWORD
	s_mov_b64 s[4:5], 0
                                        ; implicit-def: $sgpr10
	s_and_saveexec_b64 s[8:9], s[6:7]
	s_xor_b64 s[6:7], exec, s[8:9]
	s_cbranch_execz .LBB1_7881
; %bb.43721:
	s_getpc_b64 s[14:15]
.Lpost_getpc7524:
	s_add_u32 s14, s14, (.LBB1_22217-.Lpost_getpc7524)&4294967295
	s_addc_u32 s15, s15, (.LBB1_22217-.Lpost_getpc7524)>>32
	s_setpc_b64 s[14:15]
.LBB1_7881:
	s_or_saveexec_b64 s[6:7], s[6:7]
	v_mov_b32_e32 v2, s10
	s_xor_b64 exec, exec, s[6:7]
	s_cbranch_execz .LBB1_7882
; %bb.43723:
	s_getpc_b64 s[14:15]
.Lpost_getpc7525:
	s_add_u32 s14, s14, (.LBB1_22220-.Lpost_getpc7525)&4294967295
	s_addc_u32 s15, s15, (.LBB1_22220-.Lpost_getpc7525)>>32
	s_setpc_b64 s[14:15]
.LBB1_7882:
	s_or_b64 exec, exec, s[6:7]
	s_and_saveexec_b64 s[6:7], s[4:5]
	s_cbranch_execz .LBB1_7884
.LBB1_7883:
	v_bfe_u32 v2, v8, 8, 3
	v_ffbh_u32_e32 v7, v2
	v_min_u32_e32 v7, 32, v7
	v_lshrrev_b16_e32 v6, 3, v3
	v_subrev_u32_e32 v12, 28, v7
	v_and_b32_e32 v6, 15, v6
	v_lshlrev_b32_e32 v3, v12, v3
	v_sub_u32_e32 v7, 29, v7
	v_and_b32_e32 v3, 7, v3
	v_cmp_eq_u16_e32 vcc, 0, v6
	v_cndmask_b32_e32 v2, v2, v3, vcc
	v_cndmask_b32_e32 v3, v6, v7, vcc
	v_lshlrev_b32_e32 v6, 16, v8
	v_mov_b32_e32 v7, 0x3b800000
	v_lshlrev_b32_e32 v2, 20, v2
	v_and_b32_e32 v6, 0x80000000, v6
	v_lshl_add_u32 v3, v3, 23, v7
	v_or3_b32 v2, v6, v3, v2
.LBB1_7884:
	s_or_b64 exec, exec, s[6:7]
	v_lshrrev_b32_e32 v3, 8, v4
	s_movk_i32 s4, 0x7f
	v_cmp_gt_i16_sdwa s[6:7], v3, s4 src0_sel:BYTE_0 src1_sel:DWORD
	s_mov_b64 s[4:5], 0
                                        ; implicit-def: $sgpr10
	s_and_saveexec_b64 s[8:9], s[6:7]
	s_xor_b64 s[6:7], exec, s[8:9]
	s_cbranch_execz .LBB1_7885
; %bb.43725:
	s_getpc_b64 s[14:15]
.Lpost_getpc7526:
	s_add_u32 s14, s14, (.LBB1_22221-.Lpost_getpc7526)&4294967295
	s_addc_u32 s15, s15, (.LBB1_22221-.Lpost_getpc7526)>>32
	s_setpc_b64 s[14:15]
.LBB1_7885:
	s_or_saveexec_b64 s[6:7], s[6:7]
	v_mov_b32_e32 v6, s10
	s_xor_b64 exec, exec, s[6:7]
	s_cbranch_execz .LBB1_7886
; %bb.43727:
	s_getpc_b64 s[14:15]
.Lpost_getpc7527:
	s_add_u32 s14, s14, (.LBB1_22224-.Lpost_getpc7527)&4294967295
	s_addc_u32 s15, s15, (.LBB1_22224-.Lpost_getpc7527)>>32
	s_setpc_b64 s[14:15]
.LBB1_7886:
	s_or_b64 exec, exec, s[6:7]
	s_and_saveexec_b64 s[6:7], s[4:5]
	s_cbranch_execz .LBB1_7888
.LBB1_7887:
	v_bfe_u32 v6, v4, 8, 3
	v_ffbh_u32_e32 v12, v6
	v_min_u32_e32 v12, 32, v12
	v_lshrrev_b16_e32 v7, 3, v3
	v_subrev_u32_e32 v13, 28, v12
	v_and_b32_e32 v7, 15, v7
	v_lshlrev_b32_e32 v3, v13, v3
	v_sub_u32_e32 v12, 29, v12
	v_and_b32_e32 v3, 7, v3
	v_cmp_eq_u16_e32 vcc, 0, v7
	v_cndmask_b32_e32 v3, v6, v3, vcc
	v_cndmask_b32_e32 v6, v7, v12, vcc
	v_lshlrev_b32_e32 v7, 16, v4
	v_mov_b32_e32 v12, 0x3b800000
	v_lshlrev_b32_e32 v3, 20, v3
	v_and_b32_e32 v7, 0x80000000, v7
	v_lshl_add_u32 v6, v6, 23, v12
	v_or3_b32 v6, v7, v6, v3
.LBB1_7888:
	s_or_b64 exec, exec, s[6:7]
	s_nop 0
	v_mfma_f32_16x16x4f32 a[0:3], v2, v6, a[0:3]
	s_movk_i32 s4, 0xff
	v_and_b32_sdwa v3, v8, s4 dst_sel:DWORD dst_unused:UNUSED_PAD src0_sel:WORD_1 src1_sel:DWORD
	s_movk_i32 s4, 0x7f
	v_cmp_lt_i16_e32 vcc, s4, v3
	s_mov_b64 s[4:5], 0
                                        ; implicit-def: $sgpr10
	s_and_saveexec_b64 s[6:7], vcc
	s_xor_b64 s[6:7], exec, s[6:7]
	s_cbranch_execz .LBB1_7889
; %bb.43729:
	s_getpc_b64 s[14:15]
.Lpost_getpc7528:
	s_add_u32 s14, s14, (.LBB1_22225-.Lpost_getpc7528)&4294967295
	s_addc_u32 s15, s15, (.LBB1_22225-.Lpost_getpc7528)>>32
	s_setpc_b64 s[14:15]
.LBB1_7889:
	s_or_saveexec_b64 s[6:7], s[6:7]
	v_mov_b32_e32 v2, s10
	s_xor_b64 exec, exec, s[6:7]
	s_cbranch_execz .LBB1_7890
; %bb.43731:
	s_getpc_b64 s[14:15]
.Lpost_getpc7529:
	s_add_u32 s14, s14, (.LBB1_22228-.Lpost_getpc7529)&4294967295
	s_addc_u32 s15, s15, (.LBB1_22228-.Lpost_getpc7529)>>32
	s_setpc_b64 s[14:15]
.LBB1_7890:
	s_or_b64 exec, exec, s[6:7]
	s_and_saveexec_b64 s[6:7], s[4:5]
	s_cbranch_execz .LBB1_7892
.LBB1_7891:
	v_bfe_u32 v2, v8, 16, 3
	v_ffbh_u32_e32 v7, v2
	v_min_u32_e32 v7, 32, v7
	v_lshrrev_b32_e32 v3, 19, v8
	v_subrev_u32_e32 v12, 28, v7
	v_and_b32_e32 v3, 15, v3
	v_lshlrev_b32_sdwa v12, v12, v8 dst_sel:DWORD dst_unused:UNUSED_PAD src0_sel:DWORD src1_sel:WORD_1
	v_bfe_u32 v6, v8, 19, 4
	v_sub_u32_e32 v7, 29, v7
	v_and_b32_e32 v12, 7, v12
	v_cmp_eq_u16_e32 vcc, 0, v3
	v_cndmask_b32_e32 v2, v2, v12, vcc
	v_cndmask_b32_e32 v3, v6, v7, vcc
	v_lshlrev_b32_e32 v6, 8, v8
	v_mov_b32_e32 v7, 0x3b800000
	v_lshlrev_b32_e32 v2, 20, v2
	v_and_b32_e32 v6, 0x80000000, v6
	v_lshl_add_u32 v3, v3, 23, v7
	v_or3_b32 v2, v6, v3, v2
.LBB1_7892:
	s_or_b64 exec, exec, s[6:7]
	s_movk_i32 s4, 0xff
	v_and_b32_sdwa v3, v4, s4 dst_sel:DWORD dst_unused:UNUSED_PAD src0_sel:WORD_1 src1_sel:DWORD
	s_movk_i32 s4, 0x7f
	v_cmp_lt_i16_e32 vcc, s4, v3
	s_mov_b64 s[4:5], 0
                                        ; implicit-def: $sgpr10
	s_and_saveexec_b64 s[6:7], vcc
	s_xor_b64 s[6:7], exec, s[6:7]
	s_cbranch_execz .LBB1_7893
; %bb.43733:
	s_getpc_b64 s[14:15]
.Lpost_getpc7530:
	s_add_u32 s14, s14, (.LBB1_22229-.Lpost_getpc7530)&4294967295
	s_addc_u32 s15, s15, (.LBB1_22229-.Lpost_getpc7530)>>32
	s_setpc_b64 s[14:15]
.LBB1_7893:
	s_or_saveexec_b64 s[6:7], s[6:7]
	v_mov_b32_e32 v6, s10
	s_xor_b64 exec, exec, s[6:7]
	s_cbranch_execz .LBB1_7894
; %bb.43735:
	s_getpc_b64 s[14:15]
.Lpost_getpc7531:
	s_add_u32 s14, s14, (.LBB1_22232-.Lpost_getpc7531)&4294967295
	s_addc_u32 s15, s15, (.LBB1_22232-.Lpost_getpc7531)>>32
	s_setpc_b64 s[14:15]
.LBB1_7894:
	s_or_b64 exec, exec, s[6:7]
	s_and_saveexec_b64 s[6:7], s[4:5]
	s_cbranch_execz .LBB1_7896
.LBB1_7895:
	v_bfe_u32 v3, v4, 16, 3
	v_ffbh_u32_e32 v12, v3
	v_min_u32_e32 v12, 32, v12
	v_lshrrev_b32_e32 v6, 19, v4
	v_subrev_u32_e32 v13, 28, v12
	v_and_b32_e32 v6, 15, v6
	v_lshlrev_b32_sdwa v13, v13, v4 dst_sel:DWORD dst_unused:UNUSED_PAD src0_sel:DWORD src1_sel:WORD_1
	v_bfe_u32 v7, v4, 19, 4
	v_sub_u32_e32 v12, 29, v12
	v_and_b32_e32 v13, 7, v13
	v_cmp_eq_u16_e32 vcc, 0, v6
	v_cndmask_b32_e32 v3, v3, v13, vcc
	v_cndmask_b32_e32 v6, v7, v12, vcc
	v_lshlrev_b32_e32 v7, 8, v4
	v_mov_b32_e32 v12, 0x3b800000
	v_lshlrev_b32_e32 v3, 20, v3
	v_and_b32_e32 v7, 0x80000000, v7
	v_lshl_add_u32 v6, v6, 23, v12
	v_or3_b32 v6, v7, v6, v3
.LBB1_7896:
	s_or_b64 exec, exec, s[6:7]
	s_nop 0
	v_mfma_f32_16x16x4f32 a[0:3], v2, v6, a[0:3]
	s_movk_i32 s4, 0x7f
	v_cmp_gt_i16_sdwa s[6:7], v8, s4 src0_sel:BYTE_3 src1_sel:DWORD
	s_mov_b64 s[4:5], 0
                                        ; implicit-def: $sgpr10
	s_and_saveexec_b64 s[8:9], s[6:7]
	s_xor_b64 s[6:7], exec, s[8:9]
	s_cbranch_execz .LBB1_7897
; %bb.43737:
	s_getpc_b64 s[14:15]
.Lpost_getpc7532:
	s_add_u32 s14, s14, (.LBB1_22233-.Lpost_getpc7532)&4294967295
	s_addc_u32 s15, s15, (.LBB1_22233-.Lpost_getpc7532)>>32
	s_setpc_b64 s[14:15]
.LBB1_7897:
	s_or_saveexec_b64 s[6:7], s[6:7]
	v_mov_b32_e32 v2, s10
	s_xor_b64 exec, exec, s[6:7]
	s_cbranch_execz .LBB1_7898
; %bb.43739:
	s_getpc_b64 s[14:15]
.Lpost_getpc7533:
	s_add_u32 s14, s14, (.LBB1_22236-.Lpost_getpc7533)&4294967295
	s_addc_u32 s15, s15, (.LBB1_22236-.Lpost_getpc7533)>>32
	s_setpc_b64 s[14:15]
.LBB1_7898:
	s_or_b64 exec, exec, s[6:7]
	s_and_saveexec_b64 s[6:7], s[4:5]
	s_cbranch_execz .LBB1_7900
.LBB1_7899:
	v_bfe_u32 v2, v8, 24, 3
	v_ffbh_u32_e32 v12, v2
	v_min_u32_e32 v12, 32, v12
	v_lshrrev_b32_e32 v6, 27, v8
	v_subrev_u32_e32 v13, 28, v12
	v_and_b32_e32 v3, 0x80000000, v8
	v_and_b32_e32 v6, 15, v6
	v_bfe_u32 v7, v8, 27, 4
	v_lshlrev_b32_sdwa v8, v13, v8 dst_sel:DWORD dst_unused:UNUSED_PAD src0_sel:DWORD src1_sel:BYTE_3
	v_sub_u32_e32 v12, 29, v12
	v_and_b32_e32 v8, 7, v8
	v_cmp_eq_u16_e32 vcc, 0, v6
	v_cndmask_b32_e32 v2, v2, v8, vcc
	v_cndmask_b32_e32 v6, v7, v12, vcc
	v_mov_b32_e32 v7, 0x3b800000
	v_lshlrev_b32_e32 v2, 20, v2
	v_lshl_add_u32 v6, v6, 23, v7
	v_or3_b32 v2, v3, v6, v2
.LBB1_7900:
	s_or_b64 exec, exec, s[6:7]
	s_movk_i32 s4, 0x7f
	v_cmp_gt_i16_sdwa s[6:7], v4, s4 src0_sel:BYTE_3 src1_sel:DWORD
	s_mov_b64 s[4:5], 0
                                        ; implicit-def: $sgpr10
	s_and_saveexec_b64 s[8:9], s[6:7]
	s_xor_b64 s[6:7], exec, s[8:9]
	s_cbranch_execz .LBB1_7901
; %bb.43741:
	s_getpc_b64 s[14:15]
.Lpost_getpc7534:
	s_add_u32 s14, s14, (.LBB1_22237-.Lpost_getpc7534)&4294967295
	s_addc_u32 s15, s15, (.LBB1_22237-.Lpost_getpc7534)>>32
	s_setpc_b64 s[14:15]
.LBB1_7901:
	s_or_saveexec_b64 s[6:7], s[6:7]
	v_mov_b32_e32 v3, s10
	s_xor_b64 exec, exec, s[6:7]
	s_cbranch_execz .LBB1_7902
; %bb.43743:
	s_getpc_b64 s[14:15]
.Lpost_getpc7535:
	s_add_u32 s14, s14, (.LBB1_22240-.Lpost_getpc7535)&4294967295
	s_addc_u32 s15, s15, (.LBB1_22240-.Lpost_getpc7535)>>32
	s_setpc_b64 s[14:15]
.LBB1_7902:
	s_or_b64 exec, exec, s[6:7]
	s_and_saveexec_b64 s[6:7], s[4:5]
	s_cbranch_execz .LBB1_7904
.LBB1_7903:
	v_bfe_u32 v3, v4, 24, 3
	v_ffbh_u32_e32 v12, v3
	v_min_u32_e32 v12, 32, v12
	v_lshrrev_b32_e32 v7, 27, v4
	v_subrev_u32_e32 v13, 28, v12
	v_and_b32_e32 v6, 0x80000000, v4
	v_and_b32_e32 v7, 15, v7
	v_bfe_u32 v8, v4, 27, 4
	v_lshlrev_b32_sdwa v4, v13, v4 dst_sel:DWORD dst_unused:UNUSED_PAD src0_sel:DWORD src1_sel:BYTE_3
	v_sub_u32_e32 v12, 29, v12
	v_and_b32_e32 v4, 7, v4
	v_cmp_eq_u16_e32 vcc, 0, v7
	v_cndmask_b32_e32 v3, v3, v4, vcc
	v_cndmask_b32_e32 v4, v8, v12, vcc
	v_mov_b32_e32 v7, 0x3b800000
	v_lshlrev_b32_e32 v3, 20, v3
	v_lshl_add_u32 v4, v4, 23, v7
	v_or3_b32 v3, v6, v4, v3
.LBB1_7904:
	s_or_b64 exec, exec, s[6:7]
	s_nop 0
	v_mfma_f32_16x16x4f32 a[0:3], v2, v3, a[0:3]
	s_movk_i32 s4, 0x7f
	v_cmp_gt_i16_sdwa s[6:7], v9, s4 src0_sel:BYTE_0 src1_sel:DWORD
	s_mov_b64 s[4:5], 0
                                        ; implicit-def: $sgpr10
	s_and_saveexec_b64 s[8:9], s[6:7]
	s_xor_b64 s[6:7], exec, s[8:9]
	s_cbranch_execz .LBB1_7905
; %bb.43745:
	s_getpc_b64 s[14:15]
.Lpost_getpc7536:
	s_add_u32 s14, s14, (.LBB1_22241-.Lpost_getpc7536)&4294967295
	s_addc_u32 s15, s15, (.LBB1_22241-.Lpost_getpc7536)>>32
	s_setpc_b64 s[14:15]
.LBB1_7905:
	s_or_saveexec_b64 s[6:7], s[6:7]
	v_mov_b32_e32 v2, s10
	s_xor_b64 exec, exec, s[6:7]
	s_cbranch_execz .LBB1_7906
; %bb.43747:
	s_getpc_b64 s[14:15]
.Lpost_getpc7537:
	s_add_u32 s14, s14, (.LBB1_22244-.Lpost_getpc7537)&4294967295
	s_addc_u32 s15, s15, (.LBB1_22244-.Lpost_getpc7537)>>32
	s_setpc_b64 s[14:15]
.LBB1_7906:
	s_or_b64 exec, exec, s[6:7]
	s_and_saveexec_b64 s[6:7], s[4:5]
	s_cbranch_execz .LBB1_7908
.LBB1_7907:
	v_mov_b32_e32 v2, 8
	v_and_b32_e32 v3, 7, v9
	v_lshrrev_b32_sdwa v2, v2, v9 dst_sel:BYTE_1 dst_unused:UNUSED_PAD src0_sel:DWORD src1_sel:DWORD
	v_ffbh_u32_e32 v4, v3
	v_or_b32_sdwa v2, v9, v2 dst_sel:DWORD dst_unused:UNUSED_PAD src0_sel:BYTE_0 src1_sel:DWORD
	v_min_u32_e32 v4, 32, v4
	v_lshrrev_b16_e32 v2, 3, v2
	v_subrev_u32_e32 v6, 28, v4
	v_and_b32_e32 v2, 15, v2
	v_lshlrev_b32_e32 v6, v6, v9
	v_sub_u32_e32 v4, 29, v4
	v_and_b32_e32 v6, 7, v6
	v_cmp_eq_u16_e32 vcc, 0, v2
	v_cndmask_b32_e32 v3, v3, v6, vcc
	v_cndmask_b32_e32 v2, v2, v4, vcc
	v_lshlrev_b32_e32 v4, 24, v9
	v_mov_b32_e32 v6, 0x3b800000
	v_lshlrev_b32_e32 v3, 20, v3
	v_and_b32_e32 v4, 0x80000000, v4
	v_lshl_add_u32 v2, v2, 23, v6
	v_or3_b32 v2, v4, v2, v3
.LBB1_7908:
	s_or_b64 exec, exec, s[6:7]
	s_movk_i32 s4, 0x7f
	v_cmp_gt_i16_sdwa s[6:7], v5, s4 src0_sel:BYTE_0 src1_sel:DWORD
	s_mov_b64 s[4:5], 0
                                        ; implicit-def: $sgpr10
	s_and_saveexec_b64 s[8:9], s[6:7]
	s_xor_b64 s[6:7], exec, s[8:9]
	s_cbranch_execz .LBB1_7909
; %bb.43749:
	s_getpc_b64 s[14:15]
.Lpost_getpc7538:
	s_add_u32 s14, s14, (.LBB1_22245-.Lpost_getpc7538)&4294967295
	s_addc_u32 s15, s15, (.LBB1_22245-.Lpost_getpc7538)>>32
	s_setpc_b64 s[14:15]
.LBB1_7909:
	s_or_saveexec_b64 s[6:7], s[6:7]
	v_mov_b32_e32 v3, s10
	s_xor_b64 exec, exec, s[6:7]
	s_cbranch_execz .LBB1_7910
; %bb.43751:
	s_getpc_b64 s[14:15]
.Lpost_getpc7539:
	s_add_u32 s14, s14, (.LBB1_22248-.Lpost_getpc7539)&4294967295
	s_addc_u32 s15, s15, (.LBB1_22248-.Lpost_getpc7539)>>32
	s_setpc_b64 s[14:15]
.LBB1_7910:
	s_or_b64 exec, exec, s[6:7]
	s_and_saveexec_b64 s[6:7], s[4:5]
	s_cbranch_execz .LBB1_7912
.LBB1_7911:
	v_mov_b32_e32 v3, 8
	v_and_b32_e32 v4, 7, v5
	v_lshrrev_b32_sdwa v3, v3, v5 dst_sel:BYTE_1 dst_unused:UNUSED_PAD src0_sel:DWORD src1_sel:DWORD
	v_ffbh_u32_e32 v6, v4
	v_or_b32_sdwa v3, v5, v3 dst_sel:DWORD dst_unused:UNUSED_PAD src0_sel:BYTE_0 src1_sel:DWORD
	v_min_u32_e32 v6, 32, v6
	v_lshrrev_b16_e32 v3, 3, v3
	v_subrev_u32_e32 v7, 28, v6
	v_and_b32_e32 v3, 15, v3
	v_lshlrev_b32_e32 v7, v7, v5
	v_sub_u32_e32 v6, 29, v6
	v_and_b32_e32 v7, 7, v7
	v_cmp_eq_u16_e32 vcc, 0, v3
	v_cndmask_b32_e32 v4, v4, v7, vcc
	v_cndmask_b32_e32 v3, v3, v6, vcc
	v_lshlrev_b32_e32 v6, 24, v5
	v_mov_b32_e32 v7, 0x3b800000
	v_lshlrev_b32_e32 v4, 20, v4
	v_and_b32_e32 v6, 0x80000000, v6
	v_lshl_add_u32 v3, v3, 23, v7
	v_or3_b32 v3, v6, v3, v4
.LBB1_7912:
	s_or_b64 exec, exec, s[6:7]
	s_nop 0
	v_mfma_f32_16x16x4f32 a[0:3], v2, v3, a[0:3]
	v_lshrrev_b32_e32 v3, 8, v9
	s_movk_i32 s4, 0x7f
	v_cmp_gt_i16_sdwa s[6:7], v3, s4 src0_sel:BYTE_0 src1_sel:DWORD
	s_mov_b64 s[4:5], 0
                                        ; implicit-def: $sgpr10
	s_and_saveexec_b64 s[8:9], s[6:7]
	s_xor_b64 s[6:7], exec, s[8:9]
	s_cbranch_execz .LBB1_7913
; %bb.43753:
	s_getpc_b64 s[14:15]
.Lpost_getpc7540:
	s_add_u32 s14, s14, (.LBB1_22249-.Lpost_getpc7540)&4294967295
	s_addc_u32 s15, s15, (.LBB1_22249-.Lpost_getpc7540)>>32
	s_setpc_b64 s[14:15]
.LBB1_7913:
	s_or_saveexec_b64 s[6:7], s[6:7]
	v_mov_b32_e32 v2, s10
	s_xor_b64 exec, exec, s[6:7]
	s_cbranch_execz .LBB1_7914
; %bb.43755:
	s_getpc_b64 s[14:15]
.Lpost_getpc7541:
	s_add_u32 s14, s14, (.LBB1_22252-.Lpost_getpc7541)&4294967295
	s_addc_u32 s15, s15, (.LBB1_22252-.Lpost_getpc7541)>>32
	s_setpc_b64 s[14:15]
.LBB1_7914:
	s_or_b64 exec, exec, s[6:7]
	s_and_saveexec_b64 s[6:7], s[4:5]
	s_cbranch_execz .LBB1_7916
.LBB1_7915:
	v_bfe_u32 v2, v9, 8, 3
	v_ffbh_u32_e32 v6, v2
	v_min_u32_e32 v6, 32, v6
	v_lshrrev_b16_e32 v4, 3, v3
	v_subrev_u32_e32 v7, 28, v6
	v_and_b32_e32 v4, 15, v4
	v_lshlrev_b32_e32 v3, v7, v3
	v_sub_u32_e32 v6, 29, v6
	v_and_b32_e32 v3, 7, v3
	v_cmp_eq_u16_e32 vcc, 0, v4
	v_cndmask_b32_e32 v2, v2, v3, vcc
	v_cndmask_b32_e32 v3, v4, v6, vcc
	v_lshlrev_b32_e32 v4, 16, v9
	v_mov_b32_e32 v6, 0x3b800000
	v_lshlrev_b32_e32 v2, 20, v2
	v_and_b32_e32 v4, 0x80000000, v4
	v_lshl_add_u32 v3, v3, 23, v6
	v_or3_b32 v2, v4, v3, v2
.LBB1_7916:
	s_or_b64 exec, exec, s[6:7]
	v_lshrrev_b32_e32 v3, 8, v5
	s_movk_i32 s4, 0x7f
	v_cmp_gt_i16_sdwa s[6:7], v3, s4 src0_sel:BYTE_0 src1_sel:DWORD
	s_mov_b64 s[4:5], 0
                                        ; implicit-def: $sgpr10
	s_and_saveexec_b64 s[8:9], s[6:7]
	s_xor_b64 s[6:7], exec, s[8:9]
	s_cbranch_execz .LBB1_7917
; %bb.43757:
	s_getpc_b64 s[14:15]
.Lpost_getpc7542:
	s_add_u32 s14, s14, (.LBB1_22253-.Lpost_getpc7542)&4294967295
	s_addc_u32 s15, s15, (.LBB1_22253-.Lpost_getpc7542)>>32
	s_setpc_b64 s[14:15]
.LBB1_7917:
	s_or_saveexec_b64 s[6:7], s[6:7]
	v_mov_b32_e32 v4, s10
	s_xor_b64 exec, exec, s[6:7]
	s_cbranch_execz .LBB1_7918
; %bb.43759:
	s_getpc_b64 s[14:15]
.Lpost_getpc7543:
	s_add_u32 s14, s14, (.LBB1_22256-.Lpost_getpc7543)&4294967295
	s_addc_u32 s15, s15, (.LBB1_22256-.Lpost_getpc7543)>>32
	s_setpc_b64 s[14:15]
.LBB1_7918:
	s_or_b64 exec, exec, s[6:7]
	s_and_saveexec_b64 s[6:7], s[4:5]
	s_cbranch_execz .LBB1_7920
.LBB1_7919:
	v_bfe_u32 v4, v5, 8, 3
	v_ffbh_u32_e32 v7, v4
	v_min_u32_e32 v7, 32, v7
	v_lshrrev_b16_e32 v6, 3, v3
	v_subrev_u32_e32 v8, 28, v7
	v_and_b32_e32 v6, 15, v6
	v_lshlrev_b32_e32 v3, v8, v3
	v_sub_u32_e32 v7, 29, v7
	v_and_b32_e32 v3, 7, v3
	v_cmp_eq_u16_e32 vcc, 0, v6
	v_cndmask_b32_e32 v3, v4, v3, vcc
	v_cndmask_b32_e32 v4, v6, v7, vcc
	v_lshlrev_b32_e32 v6, 16, v5
	v_mov_b32_e32 v7, 0x3b800000
	v_lshlrev_b32_e32 v3, 20, v3
	v_and_b32_e32 v6, 0x80000000, v6
	v_lshl_add_u32 v4, v4, 23, v7
	v_or3_b32 v4, v6, v4, v3
.LBB1_7920:
	s_or_b64 exec, exec, s[6:7]
	s_nop 0
	v_mfma_f32_16x16x4f32 a[0:3], v2, v4, a[0:3]
	s_movk_i32 s4, 0xff
	v_and_b32_sdwa v3, v9, s4 dst_sel:DWORD dst_unused:UNUSED_PAD src0_sel:WORD_1 src1_sel:DWORD
	s_movk_i32 s4, 0x7f
	v_cmp_lt_i16_e32 vcc, s4, v3
	s_mov_b64 s[4:5], 0
                                        ; implicit-def: $sgpr10
	s_and_saveexec_b64 s[6:7], vcc
	s_xor_b64 s[6:7], exec, s[6:7]
	s_cbranch_execz .LBB1_7921
; %bb.43761:
	s_getpc_b64 s[14:15]
.Lpost_getpc7544:
	s_add_u32 s14, s14, (.LBB1_22257-.Lpost_getpc7544)&4294967295
	s_addc_u32 s15, s15, (.LBB1_22257-.Lpost_getpc7544)>>32
	s_setpc_b64 s[14:15]
.LBB1_7921:
	s_or_saveexec_b64 s[6:7], s[6:7]
	v_mov_b32_e32 v2, s10
	s_xor_b64 exec, exec, s[6:7]
	s_cbranch_execz .LBB1_7922
; %bb.43763:
	s_getpc_b64 s[14:15]
.Lpost_getpc7545:
	s_add_u32 s14, s14, (.LBB1_22260-.Lpost_getpc7545)&4294967295
	s_addc_u32 s15, s15, (.LBB1_22260-.Lpost_getpc7545)>>32
	s_setpc_b64 s[14:15]
.LBB1_7922:
	s_or_b64 exec, exec, s[6:7]
	s_and_saveexec_b64 s[6:7], s[4:5]
	s_cbranch_execz .LBB1_7924
.LBB1_7923:
	v_bfe_u32 v2, v9, 16, 3
	v_ffbh_u32_e32 v6, v2
	v_min_u32_e32 v6, 32, v6
	v_lshrrev_b32_e32 v3, 19, v9
	v_subrev_u32_e32 v7, 28, v6
	v_and_b32_e32 v3, 15, v3
	v_lshlrev_b32_sdwa v7, v7, v9 dst_sel:DWORD dst_unused:UNUSED_PAD src0_sel:DWORD src1_sel:WORD_1
	v_bfe_u32 v4, v9, 19, 4
	v_sub_u32_e32 v6, 29, v6
	v_and_b32_e32 v7, 7, v7
	v_cmp_eq_u16_e32 vcc, 0, v3
	v_cndmask_b32_e32 v2, v2, v7, vcc
	v_cndmask_b32_e32 v3, v4, v6, vcc
	v_lshlrev_b32_e32 v4, 8, v9
	v_mov_b32_e32 v6, 0x3b800000
	v_lshlrev_b32_e32 v2, 20, v2
	v_and_b32_e32 v4, 0x80000000, v4
	v_lshl_add_u32 v3, v3, 23, v6
	v_or3_b32 v2, v4, v3, v2
.LBB1_7924:
	s_or_b64 exec, exec, s[6:7]
	s_movk_i32 s4, 0xff
	v_and_b32_sdwa v3, v5, s4 dst_sel:DWORD dst_unused:UNUSED_PAD src0_sel:WORD_1 src1_sel:DWORD
	s_movk_i32 s4, 0x7f
	v_cmp_lt_i16_e32 vcc, s4, v3
	s_mov_b64 s[4:5], 0
                                        ; implicit-def: $sgpr10
	s_and_saveexec_b64 s[6:7], vcc
	s_xor_b64 s[6:7], exec, s[6:7]
	s_cbranch_execz .LBB1_7925
; %bb.43765:
	s_getpc_b64 s[14:15]
.Lpost_getpc7546:
	s_add_u32 s14, s14, (.LBB1_22261-.Lpost_getpc7546)&4294967295
	s_addc_u32 s15, s15, (.LBB1_22261-.Lpost_getpc7546)>>32
	s_setpc_b64 s[14:15]
.LBB1_7925:
	s_or_saveexec_b64 s[6:7], s[6:7]
	v_mov_b32_e32 v4, s10
	s_xor_b64 exec, exec, s[6:7]
	s_cbranch_execz .LBB1_7926
; %bb.43767:
	s_getpc_b64 s[14:15]
.Lpost_getpc7547:
	s_add_u32 s14, s14, (.LBB1_22264-.Lpost_getpc7547)&4294967295
	s_addc_u32 s15, s15, (.LBB1_22264-.Lpost_getpc7547)>>32
	s_setpc_b64 s[14:15]
.LBB1_7926:
	s_or_b64 exec, exec, s[6:7]
	s_and_saveexec_b64 s[6:7], s[4:5]
	s_cbranch_execz .LBB1_7928
.LBB1_7927:
	v_bfe_u32 v3, v5, 16, 3
	v_ffbh_u32_e32 v7, v3
	v_min_u32_e32 v7, 32, v7
	v_lshrrev_b32_e32 v4, 19, v5
	v_subrev_u32_e32 v8, 28, v7
	v_and_b32_e32 v4, 15, v4
	v_lshlrev_b32_sdwa v8, v8, v5 dst_sel:DWORD dst_unused:UNUSED_PAD src0_sel:DWORD src1_sel:WORD_1
	v_bfe_u32 v6, v5, 19, 4
	v_sub_u32_e32 v7, 29, v7
	v_and_b32_e32 v8, 7, v8
	v_cmp_eq_u16_e32 vcc, 0, v4
	v_cndmask_b32_e32 v3, v3, v8, vcc
	v_cndmask_b32_e32 v4, v6, v7, vcc
	v_lshlrev_b32_e32 v6, 8, v5
	v_mov_b32_e32 v7, 0x3b800000
	v_lshlrev_b32_e32 v3, 20, v3
	v_and_b32_e32 v6, 0x80000000, v6
	v_lshl_add_u32 v4, v4, 23, v7
	v_or3_b32 v4, v6, v4, v3
.LBB1_7928:
	s_or_b64 exec, exec, s[6:7]
	s_nop 0
	v_mfma_f32_16x16x4f32 a[0:3], v2, v4, a[0:3]
	s_movk_i32 s4, 0x7f
	v_cmp_gt_i16_sdwa s[6:7], v9, s4 src0_sel:BYTE_3 src1_sel:DWORD
	s_mov_b64 s[4:5], 0
                                        ; implicit-def: $sgpr10
	s_and_saveexec_b64 s[8:9], s[6:7]
	s_xor_b64 s[6:7], exec, s[8:9]
	s_cbranch_execz .LBB1_7929
; %bb.43769:
	s_getpc_b64 s[14:15]
.Lpost_getpc7548:
	s_add_u32 s14, s14, (.LBB1_22265-.Lpost_getpc7548)&4294967295
	s_addc_u32 s15, s15, (.LBB1_22265-.Lpost_getpc7548)>>32
	s_setpc_b64 s[14:15]
.LBB1_7929:
	s_or_saveexec_b64 s[6:7], s[6:7]
	v_mov_b32_e32 v2, s10
	s_xor_b64 exec, exec, s[6:7]
	s_cbranch_execz .LBB1_7930
; %bb.43771:
	s_getpc_b64 s[14:15]
.Lpost_getpc7549:
	s_add_u32 s14, s14, (.LBB1_22268-.Lpost_getpc7549)&4294967295
	s_addc_u32 s15, s15, (.LBB1_22268-.Lpost_getpc7549)>>32
	s_setpc_b64 s[14:15]
.LBB1_7930:
	s_or_b64 exec, exec, s[6:7]
	s_and_saveexec_b64 s[6:7], s[4:5]
	s_cbranch_execz .LBB1_7932
.LBB1_7931:
	v_bfe_u32 v2, v9, 24, 3
	v_ffbh_u32_e32 v7, v2
	v_min_u32_e32 v7, 32, v7
	v_lshrrev_b32_e32 v4, 27, v9
	v_subrev_u32_e32 v8, 28, v7
	v_and_b32_e32 v4, 15, v4
	v_lshlrev_b32_sdwa v8, v8, v9 dst_sel:DWORD dst_unused:UNUSED_PAD src0_sel:DWORD src1_sel:BYTE_3
	v_bfe_u32 v6, v9, 27, 4
	v_sub_u32_e32 v7, 29, v7
	v_and_b32_e32 v8, 7, v8
	v_cmp_eq_u16_e32 vcc, 0, v4
	v_cndmask_b32_e32 v2, v2, v8, vcc
	v_cndmask_b32_e32 v4, v6, v7, vcc
	v_mov_b32_e32 v6, 0x3b800000
	v_and_b32_e32 v3, 0x80000000, v9
	v_lshlrev_b32_e32 v2, 20, v2
	v_lshl_add_u32 v4, v4, 23, v6
	v_or3_b32 v2, v3, v4, v2
.LBB1_7932:
	s_or_b64 exec, exec, s[6:7]
	s_movk_i32 s4, 0x7f
	v_cmp_gt_i16_sdwa s[6:7], v5, s4 src0_sel:BYTE_3 src1_sel:DWORD
	s_mov_b64 s[4:5], 0
                                        ; implicit-def: $sgpr10
	s_and_saveexec_b64 s[8:9], s[6:7]
	s_xor_b64 s[6:7], exec, s[8:9]
	s_cbranch_execz .LBB1_7933
; %bb.43773:
	s_getpc_b64 s[14:15]
.Lpost_getpc7550:
	s_add_u32 s14, s14, (.LBB1_22269-.Lpost_getpc7550)&4294967295
	s_addc_u32 s15, s15, (.LBB1_22269-.Lpost_getpc7550)>>32
	s_setpc_b64 s[14:15]
.LBB1_7933:
	s_or_saveexec_b64 s[6:7], s[6:7]
	v_mov_b32_e32 v3, s10
	s_xor_b64 exec, exec, s[6:7]
	s_cbranch_execz .LBB1_7934
; %bb.43775:
	s_getpc_b64 s[14:15]
.Lpost_getpc7551:
	s_add_u32 s14, s14, (.LBB1_22272-.Lpost_getpc7551)&4294967295
	s_addc_u32 s15, s15, (.LBB1_22272-.Lpost_getpc7551)>>32
	s_setpc_b64 s[14:15]
.LBB1_7934:
	s_or_b64 exec, exec, s[6:7]
	s_and_saveexec_b64 s[6:7], s[4:5]
	s_cbranch_execz .LBB1_7936
.LBB1_7935:
	v_bfe_u32 v3, v5, 24, 3
	v_ffbh_u32_e32 v8, v3
	v_min_u32_e32 v8, 32, v8
	v_lshrrev_b32_e32 v6, 27, v5
	v_subrev_u32_e32 v9, 28, v8
	v_and_b32_e32 v4, 0x80000000, v5
	v_and_b32_e32 v6, 15, v6
	v_bfe_u32 v7, v5, 27, 4
	v_lshlrev_b32_sdwa v5, v9, v5 dst_sel:DWORD dst_unused:UNUSED_PAD src0_sel:DWORD src1_sel:BYTE_3
	v_sub_u32_e32 v8, 29, v8
	v_and_b32_e32 v5, 7, v5
	v_cmp_eq_u16_e32 vcc, 0, v6
	v_cndmask_b32_e32 v3, v3, v5, vcc
	v_cndmask_b32_e32 v5, v7, v8, vcc
	v_mov_b32_e32 v6, 0x3b800000
	v_lshlrev_b32_e32 v3, 20, v3
	v_lshl_add_u32 v5, v5, 23, v6
	v_or3_b32 v3, v4, v5, v3
.LBB1_7936:
	s_or_b64 exec, exec, s[6:7]
	s_nop 0
	v_mfma_f32_16x16x4f32 a[0:3], v2, v3, a[0:3]
	s_movk_i32 s4, 0x7f
                                        ; implicit-def: $sgpr10
	s_nop 7
	s_nop 1
	flat_store_dwordx4 v[10:11], a[0:3] offset:80
	flat_load_dwordx4 v[12:15], v[0:1]
	s_nop 0
	flat_load_dwordx2 v[10:11], v[0:1] offset:16
	s_waitcnt vmcnt(0) lgkmcnt(0)
	flat_load_dwordx4 v[6:9], v[12:13] offset:112
	flat_load_dwordx4 v[2:5], v[14:15] offset:224
	s_waitcnt vmcnt(0) lgkmcnt(0)
	v_cmp_gt_i16_sdwa s[6:7], v6, s4 src0_sel:BYTE_0 src1_sel:DWORD
	s_mov_b64 s[4:5], 0
	s_and_saveexec_b64 s[8:9], s[6:7]
	s_xor_b64 s[6:7], exec, s[8:9]
	s_cbranch_execz .LBB1_7937
; %bb.43777:
	s_getpc_b64 s[14:15]
.Lpost_getpc7552:
	s_add_u32 s14, s14, (.LBB1_22273-.Lpost_getpc7552)&4294967295
	s_addc_u32 s15, s15, (.LBB1_22273-.Lpost_getpc7552)>>32
	s_setpc_b64 s[14:15]
.LBB1_7937:
	s_or_saveexec_b64 s[6:7], s[6:7]
	v_mov_b32_e32 v12, s10
	s_xor_b64 exec, exec, s[6:7]
	s_cbranch_execz .LBB1_7938
; %bb.43779:
	s_getpc_b64 s[14:15]
.Lpost_getpc7553:
	s_add_u32 s14, s14, (.LBB1_22276-.Lpost_getpc7553)&4294967295
	s_addc_u32 s15, s15, (.LBB1_22276-.Lpost_getpc7553)>>32
	s_setpc_b64 s[14:15]
.LBB1_7938:
	s_or_b64 exec, exec, s[6:7]
	s_and_saveexec_b64 s[6:7], s[4:5]
	s_cbranch_execz .LBB1_7940
.LBB1_7939:
	v_and_b32_e32 v12, 7, v6
	v_ffbh_u32_e32 v14, v12
	v_min_u32_e32 v14, 32, v14
	v_lshrrev_b16_e32 v13, 3, v6
	v_subrev_u32_e32 v15, 28, v14
	v_and_b32_e32 v13, 15, v13
	v_lshlrev_b32_e32 v15, v15, v6
	v_sub_u32_e32 v14, 29, v14
	v_and_b32_e32 v15, 7, v15
	v_cmp_eq_u16_e32 vcc, 0, v13
	v_cndmask_b32_e32 v12, v12, v15, vcc
	v_cndmask_b32_e32 v13, v13, v14, vcc
	v_lshlrev_b32_e32 v14, 24, v6
	v_mov_b32_e32 v15, 0x3b800000
	v_lshlrev_b32_e32 v12, 20, v12
	v_and_b32_e32 v14, 0x80000000, v14
	v_lshl_add_u32 v13, v13, 23, v15
	v_or3_b32 v12, v14, v13, v12
.LBB1_7940:
	s_or_b64 exec, exec, s[6:7]
	s_movk_i32 s4, 0x7f
	v_cmp_gt_i16_sdwa s[6:7], v2, s4 src0_sel:BYTE_0 src1_sel:DWORD
	s_mov_b64 s[4:5], 0
                                        ; implicit-def: $sgpr10
	s_and_saveexec_b64 s[8:9], s[6:7]
	s_xor_b64 s[6:7], exec, s[8:9]
	s_cbranch_execz .LBB1_7941
; %bb.43781:
	s_getpc_b64 s[14:15]
.Lpost_getpc7554:
	s_add_u32 s14, s14, (.LBB1_22277-.Lpost_getpc7554)&4294967295
	s_addc_u32 s15, s15, (.LBB1_22277-.Lpost_getpc7554)>>32
	s_setpc_b64 s[14:15]
.LBB1_7941:
	s_or_saveexec_b64 s[6:7], s[6:7]
	v_mov_b32_e32 v13, s10
	s_xor_b64 exec, exec, s[6:7]
	s_cbranch_execz .LBB1_7942
; %bb.43783:
	s_getpc_b64 s[14:15]
.Lpost_getpc7555:
	s_add_u32 s14, s14, (.LBB1_22280-.Lpost_getpc7555)&4294967295
	s_addc_u32 s15, s15, (.LBB1_22280-.Lpost_getpc7555)>>32
	s_setpc_b64 s[14:15]
.LBB1_7942:
	s_or_b64 exec, exec, s[6:7]
	s_and_saveexec_b64 s[6:7], s[4:5]
	s_cbranch_execz .LBB1_7944
.LBB1_7943:
	v_and_b32_e32 v13, 7, v2
	v_ffbh_u32_e32 v15, v13
	v_min_u32_e32 v15, 32, v15
	v_lshrrev_b16_e32 v14, 3, v2
	v_subrev_u32_e32 v16, 28, v15
	v_and_b32_e32 v14, 15, v14
	v_lshlrev_b32_e32 v16, v16, v2
	v_sub_u32_e32 v15, 29, v15
	v_and_b32_e32 v16, 7, v16
	v_cmp_eq_u16_e32 vcc, 0, v14
	v_cndmask_b32_e32 v13, v13, v16, vcc
	v_cndmask_b32_e32 v14, v14, v15, vcc
	v_lshlrev_b32_e32 v15, 24, v2
	v_mov_b32_e32 v16, 0x3b800000
	v_lshlrev_b32_e32 v13, 20, v13
	v_and_b32_e32 v15, 0x80000000, v15
	v_lshl_add_u32 v14, v14, 23, v16
	v_or3_b32 v13, v15, v14, v13
.LBB1_7944:
	s_or_b64 exec, exec, s[6:7]
	flat_load_dwordx4 a[0:3], v[10:11] offset:96
	s_movk_i32 s4, 0x7f
                                        ; implicit-def: $sgpr10
	s_waitcnt vmcnt(0) lgkmcnt(0)
	v_mfma_f32_16x16x4f32 a[0:3], v12, v13, a[0:3]
	v_lshrrev_b32_e32 v13, 8, v6
	v_cmp_gt_i16_sdwa s[6:7], v13, s4 src0_sel:BYTE_0 src1_sel:DWORD
	s_mov_b64 s[4:5], 0
	s_and_saveexec_b64 s[8:9], s[6:7]
	s_xor_b64 s[6:7], exec, s[8:9]
	s_cbranch_execz .LBB1_7945
; %bb.43785:
	s_getpc_b64 s[14:15]
.Lpost_getpc7556:
	s_add_u32 s14, s14, (.LBB1_22281-.Lpost_getpc7556)&4294967295
	s_addc_u32 s15, s15, (.LBB1_22281-.Lpost_getpc7556)>>32
	s_setpc_b64 s[14:15]
.LBB1_7945:
	s_or_saveexec_b64 s[6:7], s[6:7]
	v_mov_b32_e32 v12, s10
	s_xor_b64 exec, exec, s[6:7]
	s_cbranch_execz .LBB1_7946
; %bb.43787:
	s_getpc_b64 s[14:15]
.Lpost_getpc7557:
	s_add_u32 s14, s14, (.LBB1_22284-.Lpost_getpc7557)&4294967295
	s_addc_u32 s15, s15, (.LBB1_22284-.Lpost_getpc7557)>>32
	s_setpc_b64 s[14:15]
.LBB1_7946:
	s_or_b64 exec, exec, s[6:7]
	s_and_saveexec_b64 s[6:7], s[4:5]
	s_cbranch_execz .LBB1_7948
.LBB1_7947:
	v_bfe_u32 v12, v6, 8, 3
	v_ffbh_u32_e32 v15, v12
	v_min_u32_e32 v15, 32, v15
	v_lshrrev_b16_e32 v14, 3, v13
	v_subrev_u32_e32 v16, 28, v15
	v_and_b32_e32 v14, 15, v14
	v_lshlrev_b32_e32 v13, v16, v13
	v_sub_u32_e32 v15, 29, v15
	v_and_b32_e32 v13, 7, v13
	v_cmp_eq_u16_e32 vcc, 0, v14
	v_cndmask_b32_e32 v12, v12, v13, vcc
	v_cndmask_b32_e32 v13, v14, v15, vcc
	v_lshlrev_b32_e32 v14, 16, v6
	v_mov_b32_e32 v15, 0x3b800000
	v_lshlrev_b32_e32 v12, 20, v12
	v_and_b32_e32 v14, 0x80000000, v14
	v_lshl_add_u32 v13, v13, 23, v15
	v_or3_b32 v12, v14, v13, v12
.LBB1_7948:
	s_or_b64 exec, exec, s[6:7]
	v_lshrrev_b32_e32 v13, 8, v2
	s_movk_i32 s4, 0x7f
	v_cmp_gt_i16_sdwa s[6:7], v13, s4 src0_sel:BYTE_0 src1_sel:DWORD
	s_mov_b64 s[4:5], 0
                                        ; implicit-def: $sgpr10
	s_and_saveexec_b64 s[8:9], s[6:7]
	s_xor_b64 s[6:7], exec, s[8:9]
	s_cbranch_execz .LBB1_7949
; %bb.43789:
	s_getpc_b64 s[14:15]
.Lpost_getpc7558:
	s_add_u32 s14, s14, (.LBB1_22285-.Lpost_getpc7558)&4294967295
	s_addc_u32 s15, s15, (.LBB1_22285-.Lpost_getpc7558)>>32
	s_setpc_b64 s[14:15]
.LBB1_7949:
	s_or_saveexec_b64 s[6:7], s[6:7]
	v_mov_b32_e32 v14, s10
	s_xor_b64 exec, exec, s[6:7]
	s_cbranch_execz .LBB1_7950
; %bb.43791:
	s_getpc_b64 s[14:15]
.Lpost_getpc7559:
	s_add_u32 s14, s14, (.LBB1_22288-.Lpost_getpc7559)&4294967295
	s_addc_u32 s15, s15, (.LBB1_22288-.Lpost_getpc7559)>>32
	s_setpc_b64 s[14:15]
.LBB1_7950:
	s_or_b64 exec, exec, s[6:7]
	s_and_saveexec_b64 s[6:7], s[4:5]
	s_cbranch_execz .LBB1_7952
.LBB1_7951:
	v_bfe_u32 v14, v2, 8, 3
	v_ffbh_u32_e32 v16, v14
	v_min_u32_e32 v16, 32, v16
	v_lshrrev_b16_e32 v15, 3, v13
	v_subrev_u32_e32 v17, 28, v16
	v_and_b32_e32 v15, 15, v15
	v_lshlrev_b32_e32 v13, v17, v13
	v_sub_u32_e32 v16, 29, v16
	v_and_b32_e32 v13, 7, v13
	v_cmp_eq_u16_e32 vcc, 0, v15
	v_cndmask_b32_e32 v13, v14, v13, vcc
	v_cndmask_b32_e32 v14, v15, v16, vcc
	v_lshlrev_b32_e32 v15, 16, v2
	v_mov_b32_e32 v16, 0x3b800000
	v_lshlrev_b32_e32 v13, 20, v13
	v_and_b32_e32 v15, 0x80000000, v15
	v_lshl_add_u32 v14, v14, 23, v16
	v_or3_b32 v14, v15, v14, v13
.LBB1_7952:
	s_or_b64 exec, exec, s[6:7]
	s_nop 0
	v_mfma_f32_16x16x4f32 a[0:3], v12, v14, a[0:3]
	s_movk_i32 s4, 0xff
	v_and_b32_sdwa v13, v6, s4 dst_sel:DWORD dst_unused:UNUSED_PAD src0_sel:WORD_1 src1_sel:DWORD
	s_movk_i32 s4, 0x7f
	v_cmp_lt_i16_e32 vcc, s4, v13
	s_mov_b64 s[4:5], 0
                                        ; implicit-def: $sgpr10
	s_and_saveexec_b64 s[6:7], vcc
	s_xor_b64 s[6:7], exec, s[6:7]
	s_cbranch_execz .LBB1_7953
; %bb.43793:
	s_getpc_b64 s[14:15]
.Lpost_getpc7560:
	s_add_u32 s14, s14, (.LBB1_22289-.Lpost_getpc7560)&4294967295
	s_addc_u32 s15, s15, (.LBB1_22289-.Lpost_getpc7560)>>32
	s_setpc_b64 s[14:15]
.LBB1_7953:
	s_or_saveexec_b64 s[6:7], s[6:7]
	v_mov_b32_e32 v12, s10
	s_xor_b64 exec, exec, s[6:7]
	s_cbranch_execz .LBB1_7954
; %bb.43795:
	s_getpc_b64 s[14:15]
.Lpost_getpc7561:
	s_add_u32 s14, s14, (.LBB1_22292-.Lpost_getpc7561)&4294967295
	s_addc_u32 s15, s15, (.LBB1_22292-.Lpost_getpc7561)>>32
	s_setpc_b64 s[14:15]
.LBB1_7954:
	s_or_b64 exec, exec, s[6:7]
	s_and_saveexec_b64 s[6:7], s[4:5]
	s_cbranch_execz .LBB1_7956
.LBB1_7955:
	v_bfe_u32 v12, v6, 16, 3
	v_ffbh_u32_e32 v15, v12
	v_min_u32_e32 v15, 32, v15
	v_lshrrev_b32_e32 v13, 19, v6
	v_subrev_u32_e32 v16, 28, v15
	v_and_b32_e32 v13, 15, v13
	v_lshlrev_b32_sdwa v16, v16, v6 dst_sel:DWORD dst_unused:UNUSED_PAD src0_sel:DWORD src1_sel:WORD_1
	v_bfe_u32 v14, v6, 19, 4
	v_sub_u32_e32 v15, 29, v15
	v_and_b32_e32 v16, 7, v16
	v_cmp_eq_u16_e32 vcc, 0, v13
	v_cndmask_b32_e32 v12, v12, v16, vcc
	v_cndmask_b32_e32 v13, v14, v15, vcc
	v_lshlrev_b32_e32 v14, 8, v6
	v_mov_b32_e32 v15, 0x3b800000
	v_lshlrev_b32_e32 v12, 20, v12
	v_and_b32_e32 v14, 0x80000000, v14
	v_lshl_add_u32 v13, v13, 23, v15
	v_or3_b32 v12, v14, v13, v12
.LBB1_7956:
	s_or_b64 exec, exec, s[6:7]
	s_movk_i32 s4, 0xff
	v_and_b32_sdwa v13, v2, s4 dst_sel:DWORD dst_unused:UNUSED_PAD src0_sel:WORD_1 src1_sel:DWORD
	s_movk_i32 s4, 0x7f
	v_cmp_lt_i16_e32 vcc, s4, v13
	s_mov_b64 s[4:5], 0
                                        ; implicit-def: $sgpr10
	s_and_saveexec_b64 s[6:7], vcc
	s_xor_b64 s[6:7], exec, s[6:7]
	s_cbranch_execz .LBB1_7957
; %bb.43797:
	s_getpc_b64 s[14:15]
.Lpost_getpc7562:
	s_add_u32 s14, s14, (.LBB1_22293-.Lpost_getpc7562)&4294967295
	s_addc_u32 s15, s15, (.LBB1_22293-.Lpost_getpc7562)>>32
	s_setpc_b64 s[14:15]
.LBB1_7957:
	s_or_saveexec_b64 s[6:7], s[6:7]
	v_mov_b32_e32 v14, s10
	s_xor_b64 exec, exec, s[6:7]
	s_cbranch_execz .LBB1_7958
; %bb.43799:
	s_getpc_b64 s[14:15]
.Lpost_getpc7563:
	s_add_u32 s14, s14, (.LBB1_22296-.Lpost_getpc7563)&4294967295
	s_addc_u32 s15, s15, (.LBB1_22296-.Lpost_getpc7563)>>32
	s_setpc_b64 s[14:15]
.LBB1_7958:
	s_or_b64 exec, exec, s[6:7]
	s_and_saveexec_b64 s[6:7], s[4:5]
	s_cbranch_execz .LBB1_7960
.LBB1_7959:
	v_bfe_u32 v13, v2, 16, 3
	v_ffbh_u32_e32 v16, v13
	v_min_u32_e32 v16, 32, v16
	v_lshrrev_b32_e32 v14, 19, v2
	v_subrev_u32_e32 v17, 28, v16
	v_and_b32_e32 v14, 15, v14
	v_lshlrev_b32_sdwa v17, v17, v2 dst_sel:DWORD dst_unused:UNUSED_PAD src0_sel:DWORD src1_sel:WORD_1
	v_bfe_u32 v15, v2, 19, 4
	v_sub_u32_e32 v16, 29, v16
	v_and_b32_e32 v17, 7, v17
	v_cmp_eq_u16_e32 vcc, 0, v14
	v_cndmask_b32_e32 v13, v13, v17, vcc
	v_cndmask_b32_e32 v14, v15, v16, vcc
	v_lshlrev_b32_e32 v15, 8, v2
	v_mov_b32_e32 v16, 0x3b800000
	v_lshlrev_b32_e32 v13, 20, v13
	v_and_b32_e32 v15, 0x80000000, v15
	v_lshl_add_u32 v14, v14, 23, v16
	v_or3_b32 v14, v15, v14, v13
.LBB1_7960:
	s_or_b64 exec, exec, s[6:7]
	s_nop 0
	v_mfma_f32_16x16x4f32 a[0:3], v12, v14, a[0:3]
	s_movk_i32 s4, 0x7f
	v_cmp_gt_i16_sdwa s[6:7], v6, s4 src0_sel:BYTE_3 src1_sel:DWORD
	s_mov_b64 s[4:5], 0
                                        ; implicit-def: $sgpr10
	s_and_saveexec_b64 s[8:9], s[6:7]
	s_xor_b64 s[6:7], exec, s[8:9]
	s_cbranch_execz .LBB1_7961
; %bb.43801:
	s_getpc_b64 s[14:15]
.Lpost_getpc7564:
	s_add_u32 s14, s14, (.LBB1_22297-.Lpost_getpc7564)&4294967295
	s_addc_u32 s15, s15, (.LBB1_22297-.Lpost_getpc7564)>>32
	s_setpc_b64 s[14:15]
.LBB1_7961:
	s_or_saveexec_b64 s[6:7], s[6:7]
	v_mov_b32_e32 v12, s10
	s_xor_b64 exec, exec, s[6:7]
	s_cbranch_execz .LBB1_7962
; %bb.43803:
	s_getpc_b64 s[14:15]
.Lpost_getpc7565:
	s_add_u32 s14, s14, (.LBB1_22300-.Lpost_getpc7565)&4294967295
	s_addc_u32 s15, s15, (.LBB1_22300-.Lpost_getpc7565)>>32
	s_setpc_b64 s[14:15]
.LBB1_7962:
	s_or_b64 exec, exec, s[6:7]
	s_and_saveexec_b64 s[6:7], s[4:5]
	s_cbranch_execz .LBB1_7964
.LBB1_7963:
	v_bfe_u32 v12, v6, 24, 3
	v_ffbh_u32_e32 v16, v12
	v_min_u32_e32 v16, 32, v16
	v_lshrrev_b32_e32 v14, 27, v6
	v_subrev_u32_e32 v17, 28, v16
	v_and_b32_e32 v13, 0x80000000, v6
	v_and_b32_e32 v14, 15, v14
	v_bfe_u32 v15, v6, 27, 4
	v_lshlrev_b32_sdwa v6, v17, v6 dst_sel:DWORD dst_unused:UNUSED_PAD src0_sel:DWORD src1_sel:BYTE_3
	v_sub_u32_e32 v16, 29, v16
	v_and_b32_e32 v6, 7, v6
	v_cmp_eq_u16_e32 vcc, 0, v14
	v_cndmask_b32_e32 v6, v12, v6, vcc
	v_cndmask_b32_e32 v12, v15, v16, vcc
	v_mov_b32_e32 v14, 0x3b800000
	v_lshlrev_b32_e32 v6, 20, v6
	v_lshl_add_u32 v12, v12, 23, v14
	v_or3_b32 v12, v13, v12, v6
.LBB1_7964:
	s_or_b64 exec, exec, s[6:7]
	s_movk_i32 s4, 0x7f
	v_cmp_gt_i16_sdwa s[6:7], v2, s4 src0_sel:BYTE_3 src1_sel:DWORD
	s_mov_b64 s[4:5], 0
                                        ; implicit-def: $sgpr10
	s_and_saveexec_b64 s[8:9], s[6:7]
	s_xor_b64 s[6:7], exec, s[8:9]
	s_cbranch_execz .LBB1_7965
; %bb.43805:
	s_getpc_b64 s[14:15]
.Lpost_getpc7566:
	s_add_u32 s14, s14, (.LBB1_22301-.Lpost_getpc7566)&4294967295
	s_addc_u32 s15, s15, (.LBB1_22301-.Lpost_getpc7566)>>32
	s_setpc_b64 s[14:15]
.LBB1_7965:
	s_or_saveexec_b64 s[6:7], s[6:7]
	v_mov_b32_e32 v6, s10
	s_xor_b64 exec, exec, s[6:7]
	s_cbranch_execz .LBB1_7966
; %bb.43807:
	s_getpc_b64 s[14:15]
.Lpost_getpc7567:
	s_add_u32 s14, s14, (.LBB1_22304-.Lpost_getpc7567)&4294967295
	s_addc_u32 s15, s15, (.LBB1_22304-.Lpost_getpc7567)>>32
	s_setpc_b64 s[14:15]
.LBB1_7966:
	s_or_b64 exec, exec, s[6:7]
	s_and_saveexec_b64 s[6:7], s[4:5]
	s_cbranch_execz .LBB1_7968
.LBB1_7967:
	v_bfe_u32 v6, v2, 24, 3
	v_ffbh_u32_e32 v16, v6
	v_min_u32_e32 v16, 32, v16
	v_lshrrev_b32_e32 v14, 27, v2
	v_subrev_u32_e32 v17, 28, v16
	v_and_b32_e32 v13, 0x80000000, v2
	v_and_b32_e32 v14, 15, v14
	v_bfe_u32 v15, v2, 27, 4
	v_lshlrev_b32_sdwa v2, v17, v2 dst_sel:DWORD dst_unused:UNUSED_PAD src0_sel:DWORD src1_sel:BYTE_3
	v_sub_u32_e32 v16, 29, v16
	v_and_b32_e32 v2, 7, v2
	v_cmp_eq_u16_e32 vcc, 0, v14
	v_cndmask_b32_e32 v2, v6, v2, vcc
	v_cndmask_b32_e32 v6, v15, v16, vcc
	v_mov_b32_e32 v14, 0x3b800000
	v_lshlrev_b32_e32 v2, 20, v2
	v_lshl_add_u32 v6, v6, 23, v14
	v_or3_b32 v6, v13, v6, v2
.LBB1_7968:
	s_or_b64 exec, exec, s[6:7]
	s_nop 0
	v_mfma_f32_16x16x4f32 a[0:3], v12, v6, a[0:3]
	s_movk_i32 s4, 0x7f
	v_cmp_gt_i16_sdwa s[6:7], v7, s4 src0_sel:BYTE_0 src1_sel:DWORD
	s_mov_b64 s[4:5], 0
                                        ; implicit-def: $sgpr10
	s_and_saveexec_b64 s[8:9], s[6:7]
	s_xor_b64 s[6:7], exec, s[8:9]
	s_cbranch_execz .LBB1_7969
; %bb.43809:
	s_getpc_b64 s[14:15]
.Lpost_getpc7568:
	s_add_u32 s14, s14, (.LBB1_22305-.Lpost_getpc7568)&4294967295
	s_addc_u32 s15, s15, (.LBB1_22305-.Lpost_getpc7568)>>32
	s_setpc_b64 s[14:15]
.LBB1_7969:
	s_or_saveexec_b64 s[6:7], s[6:7]
	v_mov_b32_e32 v2, s10
	s_xor_b64 exec, exec, s[6:7]
	s_cbranch_execz .LBB1_7970
; %bb.43811:
	s_getpc_b64 s[14:15]
.Lpost_getpc7569:
	s_add_u32 s14, s14, (.LBB1_22308-.Lpost_getpc7569)&4294967295
	s_addc_u32 s15, s15, (.LBB1_22308-.Lpost_getpc7569)>>32
	s_setpc_b64 s[14:15]
.LBB1_7970:
	s_or_b64 exec, exec, s[6:7]
	s_and_saveexec_b64 s[6:7], s[4:5]
	s_cbranch_execz .LBB1_7972
.LBB1_7971:
	v_and_b32_e32 v2, 7, v7
	v_ffbh_u32_e32 v12, v2
	v_min_u32_e32 v12, 32, v12
	v_lshrrev_b16_e32 v6, 3, v7
	v_subrev_u32_e32 v13, 28, v12
	v_and_b32_e32 v6, 15, v6
	v_lshlrev_b32_e32 v13, v13, v7
	v_sub_u32_e32 v12, 29, v12
	v_and_b32_e32 v13, 7, v13
	v_cmp_eq_u16_e32 vcc, 0, v6
	v_cndmask_b32_e32 v2, v2, v13, vcc
	v_cndmask_b32_e32 v6, v6, v12, vcc
	v_lshlrev_b32_e32 v12, 24, v7
	v_mov_b32_e32 v13, 0x3b800000
	v_lshlrev_b32_e32 v2, 20, v2
	v_and_b32_e32 v12, 0x80000000, v12
	v_lshl_add_u32 v6, v6, 23, v13
	v_or3_b32 v2, v12, v6, v2
.LBB1_7972:
	s_or_b64 exec, exec, s[6:7]
	s_movk_i32 s4, 0x7f
	v_cmp_gt_i16_sdwa s[6:7], v3, s4 src0_sel:BYTE_0 src1_sel:DWORD
	s_mov_b64 s[4:5], 0
                                        ; implicit-def: $sgpr10
	s_and_saveexec_b64 s[8:9], s[6:7]
	s_xor_b64 s[6:7], exec, s[8:9]
	s_cbranch_execz .LBB1_7973
; %bb.43813:
	s_getpc_b64 s[14:15]
.Lpost_getpc7570:
	s_add_u32 s14, s14, (.LBB1_22309-.Lpost_getpc7570)&4294967295
	s_addc_u32 s15, s15, (.LBB1_22309-.Lpost_getpc7570)>>32
	s_setpc_b64 s[14:15]
.LBB1_7973:
	s_or_saveexec_b64 s[6:7], s[6:7]
	v_mov_b32_e32 v6, s10
	s_xor_b64 exec, exec, s[6:7]
	s_cbranch_execz .LBB1_7974
; %bb.43815:
	s_getpc_b64 s[14:15]
.Lpost_getpc7571:
	s_add_u32 s14, s14, (.LBB1_22312-.Lpost_getpc7571)&4294967295
	s_addc_u32 s15, s15, (.LBB1_22312-.Lpost_getpc7571)>>32
	s_setpc_b64 s[14:15]
.LBB1_7974:
	s_or_b64 exec, exec, s[6:7]
	s_and_saveexec_b64 s[6:7], s[4:5]
	s_cbranch_execz .LBB1_7976
.LBB1_7975:
	v_and_b32_e32 v6, 7, v3
	v_ffbh_u32_e32 v13, v6
	v_min_u32_e32 v13, 32, v13
	v_lshrrev_b16_e32 v12, 3, v3
	v_subrev_u32_e32 v14, 28, v13
	v_and_b32_e32 v12, 15, v12
	v_lshlrev_b32_e32 v14, v14, v3
	v_sub_u32_e32 v13, 29, v13
	v_and_b32_e32 v14, 7, v14
	v_cmp_eq_u16_e32 vcc, 0, v12
	v_cndmask_b32_e32 v6, v6, v14, vcc
	v_cndmask_b32_e32 v12, v12, v13, vcc
	v_lshlrev_b32_e32 v13, 24, v3
	v_mov_b32_e32 v14, 0x3b800000
	v_lshlrev_b32_e32 v6, 20, v6
	v_and_b32_e32 v13, 0x80000000, v13
	v_lshl_add_u32 v12, v12, 23, v14
	v_or3_b32 v6, v13, v12, v6
.LBB1_7976:
	s_or_b64 exec, exec, s[6:7]
	s_nop 0
	v_mfma_f32_16x16x4f32 a[0:3], v2, v6, a[0:3]
	v_lshrrev_b32_e32 v6, 8, v7
	s_movk_i32 s4, 0x7f
	v_cmp_gt_i16_sdwa s[6:7], v6, s4 src0_sel:BYTE_0 src1_sel:DWORD
	s_mov_b64 s[4:5], 0
                                        ; implicit-def: $sgpr10
	s_and_saveexec_b64 s[8:9], s[6:7]
	s_xor_b64 s[6:7], exec, s[8:9]
	s_cbranch_execz .LBB1_7977
; %bb.43817:
	s_getpc_b64 s[14:15]
.Lpost_getpc7572:
	s_add_u32 s14, s14, (.LBB1_22313-.Lpost_getpc7572)&4294967295
	s_addc_u32 s15, s15, (.LBB1_22313-.Lpost_getpc7572)>>32
	s_setpc_b64 s[14:15]
.LBB1_7977:
	s_or_saveexec_b64 s[6:7], s[6:7]
	v_mov_b32_e32 v2, s10
	s_xor_b64 exec, exec, s[6:7]
	s_cbranch_execz .LBB1_7978
; %bb.43819:
	s_getpc_b64 s[14:15]
.Lpost_getpc7573:
	s_add_u32 s14, s14, (.LBB1_22316-.Lpost_getpc7573)&4294967295
	s_addc_u32 s15, s15, (.LBB1_22316-.Lpost_getpc7573)>>32
	s_setpc_b64 s[14:15]
.LBB1_7978:
	s_or_b64 exec, exec, s[6:7]
	s_and_saveexec_b64 s[6:7], s[4:5]
	s_cbranch_execz .LBB1_7980
.LBB1_7979:
	v_bfe_u32 v2, v7, 8, 3
	v_ffbh_u32_e32 v13, v2
	v_min_u32_e32 v13, 32, v13
	v_lshrrev_b16_e32 v12, 3, v6
	v_subrev_u32_e32 v14, 28, v13
	v_and_b32_e32 v12, 15, v12
	v_lshlrev_b32_e32 v6, v14, v6
	v_sub_u32_e32 v13, 29, v13
	v_and_b32_e32 v6, 7, v6
	v_cmp_eq_u16_e32 vcc, 0, v12
	v_cndmask_b32_e32 v2, v2, v6, vcc
	v_cndmask_b32_e32 v6, v12, v13, vcc
	v_lshlrev_b32_e32 v12, 16, v7
	v_mov_b32_e32 v13, 0x3b800000
	v_lshlrev_b32_e32 v2, 20, v2
	v_and_b32_e32 v12, 0x80000000, v12
	v_lshl_add_u32 v6, v6, 23, v13
	v_or3_b32 v2, v12, v6, v2
.LBB1_7980:
	s_or_b64 exec, exec, s[6:7]
	v_lshrrev_b32_e32 v6, 8, v3
	s_movk_i32 s4, 0x7f
	v_cmp_gt_i16_sdwa s[6:7], v6, s4 src0_sel:BYTE_0 src1_sel:DWORD
	s_mov_b64 s[4:5], 0
                                        ; implicit-def: $sgpr10
	s_and_saveexec_b64 s[8:9], s[6:7]
	s_xor_b64 s[6:7], exec, s[8:9]
	s_cbranch_execz .LBB1_7981
; %bb.43821:
	s_getpc_b64 s[14:15]
.Lpost_getpc7574:
	s_add_u32 s14, s14, (.LBB1_22317-.Lpost_getpc7574)&4294967295
	s_addc_u32 s15, s15, (.LBB1_22317-.Lpost_getpc7574)>>32
	s_setpc_b64 s[14:15]
.LBB1_7981:
	s_or_saveexec_b64 s[6:7], s[6:7]
	v_mov_b32_e32 v12, s10
	s_xor_b64 exec, exec, s[6:7]
	s_cbranch_execz .LBB1_7982
; %bb.43823:
	s_getpc_b64 s[14:15]
.Lpost_getpc7575:
	s_add_u32 s14, s14, (.LBB1_22320-.Lpost_getpc7575)&4294967295
	s_addc_u32 s15, s15, (.LBB1_22320-.Lpost_getpc7575)>>32
	s_setpc_b64 s[14:15]
.LBB1_7982:
	s_or_b64 exec, exec, s[6:7]
	s_and_saveexec_b64 s[6:7], s[4:5]
	s_cbranch_execz .LBB1_7984
.LBB1_7983:
	v_bfe_u32 v12, v3, 8, 3
	v_ffbh_u32_e32 v14, v12
	v_min_u32_e32 v14, 32, v14
	v_lshrrev_b16_e32 v13, 3, v6
	v_subrev_u32_e32 v15, 28, v14
	v_and_b32_e32 v13, 15, v13
	v_lshlrev_b32_e32 v6, v15, v6
	v_sub_u32_e32 v14, 29, v14
	v_and_b32_e32 v6, 7, v6
	v_cmp_eq_u16_e32 vcc, 0, v13
	v_cndmask_b32_e32 v6, v12, v6, vcc
	v_cndmask_b32_e32 v12, v13, v14, vcc
	v_lshlrev_b32_e32 v13, 16, v3
	v_mov_b32_e32 v14, 0x3b800000
	v_lshlrev_b32_e32 v6, 20, v6
	v_and_b32_e32 v13, 0x80000000, v13
	v_lshl_add_u32 v12, v12, 23, v14
	v_or3_b32 v12, v13, v12, v6
.LBB1_7984:
	s_or_b64 exec, exec, s[6:7]
	s_nop 0
	v_mfma_f32_16x16x4f32 a[0:3], v2, v12, a[0:3]
	s_movk_i32 s4, 0xff
	v_and_b32_sdwa v6, v7, s4 dst_sel:DWORD dst_unused:UNUSED_PAD src0_sel:WORD_1 src1_sel:DWORD
	s_movk_i32 s4, 0x7f
	v_cmp_lt_i16_e32 vcc, s4, v6
	s_mov_b64 s[4:5], 0
                                        ; implicit-def: $sgpr10
	s_and_saveexec_b64 s[6:7], vcc
	s_xor_b64 s[6:7], exec, s[6:7]
	s_cbranch_execz .LBB1_7985
; %bb.43825:
	s_getpc_b64 s[14:15]
.Lpost_getpc7576:
	s_add_u32 s14, s14, (.LBB1_22321-.Lpost_getpc7576)&4294967295
	s_addc_u32 s15, s15, (.LBB1_22321-.Lpost_getpc7576)>>32
	s_setpc_b64 s[14:15]
.LBB1_7985:
	s_or_saveexec_b64 s[6:7], s[6:7]
	v_mov_b32_e32 v2, s10
	s_xor_b64 exec, exec, s[6:7]
	s_cbranch_execz .LBB1_7986
; %bb.43827:
	s_getpc_b64 s[14:15]
.Lpost_getpc7577:
	s_add_u32 s14, s14, (.LBB1_22324-.Lpost_getpc7577)&4294967295
	s_addc_u32 s15, s15, (.LBB1_22324-.Lpost_getpc7577)>>32
	s_setpc_b64 s[14:15]
.LBB1_7986:
	s_or_b64 exec, exec, s[6:7]
	s_and_saveexec_b64 s[6:7], s[4:5]
	s_cbranch_execz .LBB1_7988
.LBB1_7987:
	v_bfe_u32 v2, v7, 16, 3
	v_ffbh_u32_e32 v13, v2
	v_min_u32_e32 v13, 32, v13
	v_lshrrev_b32_e32 v6, 19, v7
	v_subrev_u32_e32 v14, 28, v13
	v_and_b32_e32 v6, 15, v6
	v_lshlrev_b32_sdwa v14, v14, v7 dst_sel:DWORD dst_unused:UNUSED_PAD src0_sel:DWORD src1_sel:WORD_1
	v_bfe_u32 v12, v7, 19, 4
	v_sub_u32_e32 v13, 29, v13
	v_and_b32_e32 v14, 7, v14
	v_cmp_eq_u16_e32 vcc, 0, v6
	v_cndmask_b32_e32 v2, v2, v14, vcc
	v_cndmask_b32_e32 v6, v12, v13, vcc
	v_lshlrev_b32_e32 v12, 8, v7
	v_mov_b32_e32 v13, 0x3b800000
	v_lshlrev_b32_e32 v2, 20, v2
	v_and_b32_e32 v12, 0x80000000, v12
	v_lshl_add_u32 v6, v6, 23, v13
	v_or3_b32 v2, v12, v6, v2
.LBB1_7988:
	s_or_b64 exec, exec, s[6:7]
	s_movk_i32 s4, 0xff
	v_and_b32_sdwa v6, v3, s4 dst_sel:DWORD dst_unused:UNUSED_PAD src0_sel:WORD_1 src1_sel:DWORD
	s_movk_i32 s4, 0x7f
	v_cmp_lt_i16_e32 vcc, s4, v6
	s_mov_b64 s[4:5], 0
                                        ; implicit-def: $sgpr10
	s_and_saveexec_b64 s[6:7], vcc
	s_xor_b64 s[6:7], exec, s[6:7]
	s_cbranch_execz .LBB1_7989
; %bb.43829:
	s_getpc_b64 s[14:15]
.Lpost_getpc7578:
	s_add_u32 s14, s14, (.LBB1_22325-.Lpost_getpc7578)&4294967295
	s_addc_u32 s15, s15, (.LBB1_22325-.Lpost_getpc7578)>>32
	s_setpc_b64 s[14:15]
.LBB1_7989:
	s_or_saveexec_b64 s[6:7], s[6:7]
	v_mov_b32_e32 v12, s10
	s_xor_b64 exec, exec, s[6:7]
	s_cbranch_execz .LBB1_7990
; %bb.43831:
	s_getpc_b64 s[14:15]
.Lpost_getpc7579:
	s_add_u32 s14, s14, (.LBB1_22328-.Lpost_getpc7579)&4294967295
	s_addc_u32 s15, s15, (.LBB1_22328-.Lpost_getpc7579)>>32
	s_setpc_b64 s[14:15]
.LBB1_7990:
	s_or_b64 exec, exec, s[6:7]
	s_and_saveexec_b64 s[6:7], s[4:5]
	s_cbranch_execz .LBB1_7992
.LBB1_7991:
	v_bfe_u32 v6, v3, 16, 3
	v_ffbh_u32_e32 v14, v6
	v_min_u32_e32 v14, 32, v14
	v_lshrrev_b32_e32 v12, 19, v3
	v_subrev_u32_e32 v15, 28, v14
	v_and_b32_e32 v12, 15, v12
	v_lshlrev_b32_sdwa v15, v15, v3 dst_sel:DWORD dst_unused:UNUSED_PAD src0_sel:DWORD src1_sel:WORD_1
	v_bfe_u32 v13, v3, 19, 4
	v_sub_u32_e32 v14, 29, v14
	v_and_b32_e32 v15, 7, v15
	v_cmp_eq_u16_e32 vcc, 0, v12
	v_cndmask_b32_e32 v6, v6, v15, vcc
	v_cndmask_b32_e32 v12, v13, v14, vcc
	v_lshlrev_b32_e32 v13, 8, v3
	v_mov_b32_e32 v14, 0x3b800000
	v_lshlrev_b32_e32 v6, 20, v6
	v_and_b32_e32 v13, 0x80000000, v13
	v_lshl_add_u32 v12, v12, 23, v14
	v_or3_b32 v12, v13, v12, v6
.LBB1_7992:
	s_or_b64 exec, exec, s[6:7]
	s_nop 0
	v_mfma_f32_16x16x4f32 a[0:3], v2, v12, a[0:3]
	s_movk_i32 s4, 0x7f
	v_cmp_gt_i16_sdwa s[6:7], v7, s4 src0_sel:BYTE_3 src1_sel:DWORD
	s_mov_b64 s[4:5], 0
                                        ; implicit-def: $sgpr10
	s_and_saveexec_b64 s[8:9], s[6:7]
	s_xor_b64 s[6:7], exec, s[8:9]
	s_cbranch_execz .LBB1_7993
; %bb.43833:
	s_getpc_b64 s[14:15]
.Lpost_getpc7580:
	s_add_u32 s14, s14, (.LBB1_22329-.Lpost_getpc7580)&4294967295
	s_addc_u32 s15, s15, (.LBB1_22329-.Lpost_getpc7580)>>32
	s_setpc_b64 s[14:15]
.LBB1_7993:
	s_or_saveexec_b64 s[6:7], s[6:7]
	v_mov_b32_e32 v2, s10
	s_xor_b64 exec, exec, s[6:7]
	s_cbranch_execz .LBB1_7994
; %bb.43835:
	s_getpc_b64 s[14:15]
.Lpost_getpc7581:
	s_add_u32 s14, s14, (.LBB1_22332-.Lpost_getpc7581)&4294967295
	s_addc_u32 s15, s15, (.LBB1_22332-.Lpost_getpc7581)>>32
	s_setpc_b64 s[14:15]
.LBB1_7994:
	s_or_b64 exec, exec, s[6:7]
	s_and_saveexec_b64 s[6:7], s[4:5]
	s_cbranch_execz .LBB1_7996
.LBB1_7995:
	v_bfe_u32 v2, v7, 24, 3
	v_ffbh_u32_e32 v14, v2
	v_min_u32_e32 v14, 32, v14
	v_lshrrev_b32_e32 v12, 27, v7
	v_subrev_u32_e32 v15, 28, v14
	v_and_b32_e32 v6, 0x80000000, v7
	v_and_b32_e32 v12, 15, v12
	v_bfe_u32 v13, v7, 27, 4
	v_lshlrev_b32_sdwa v7, v15, v7 dst_sel:DWORD dst_unused:UNUSED_PAD src0_sel:DWORD src1_sel:BYTE_3
	v_sub_u32_e32 v14, 29, v14
	v_and_b32_e32 v7, 7, v7
	v_cmp_eq_u16_e32 vcc, 0, v12
	v_cndmask_b32_e32 v2, v2, v7, vcc
	v_cndmask_b32_e32 v7, v13, v14, vcc
	v_mov_b32_e32 v12, 0x3b800000
	v_lshlrev_b32_e32 v2, 20, v2
	v_lshl_add_u32 v7, v7, 23, v12
	v_or3_b32 v2, v6, v7, v2
.LBB1_7996:
	s_or_b64 exec, exec, s[6:7]
	s_movk_i32 s4, 0x7f
	v_cmp_gt_i16_sdwa s[6:7], v3, s4 src0_sel:BYTE_3 src1_sel:DWORD
	s_mov_b64 s[4:5], 0
                                        ; implicit-def: $sgpr10
	s_and_saveexec_b64 s[8:9], s[6:7]
	s_xor_b64 s[6:7], exec, s[8:9]
	s_cbranch_execz .LBB1_7997
; %bb.43837:
	s_getpc_b64 s[14:15]
.Lpost_getpc7582:
	s_add_u32 s14, s14, (.LBB1_22333-.Lpost_getpc7582)&4294967295
	s_addc_u32 s15, s15, (.LBB1_22333-.Lpost_getpc7582)>>32
	s_setpc_b64 s[14:15]
.LBB1_7997:
	s_or_saveexec_b64 s[6:7], s[6:7]
	v_mov_b32_e32 v6, s10
	s_xor_b64 exec, exec, s[6:7]
	s_cbranch_execz .LBB1_7998
; %bb.43839:
	s_getpc_b64 s[14:15]
.Lpost_getpc7583:
	s_add_u32 s14, s14, (.LBB1_22336-.Lpost_getpc7583)&4294967295
	s_addc_u32 s15, s15, (.LBB1_22336-.Lpost_getpc7583)>>32
	s_setpc_b64 s[14:15]
.LBB1_7998:
	s_or_b64 exec, exec, s[6:7]
	s_and_saveexec_b64 s[6:7], s[4:5]
	s_cbranch_execz .LBB1_8000
.LBB1_7999:
	v_bfe_u32 v6, v3, 24, 3
	v_ffbh_u32_e32 v14, v6
	v_min_u32_e32 v14, 32, v14
	v_lshrrev_b32_e32 v12, 27, v3
	v_subrev_u32_e32 v15, 28, v14
	v_and_b32_e32 v7, 0x80000000, v3
	v_and_b32_e32 v12, 15, v12
	v_bfe_u32 v13, v3, 27, 4
	v_lshlrev_b32_sdwa v3, v15, v3 dst_sel:DWORD dst_unused:UNUSED_PAD src0_sel:DWORD src1_sel:BYTE_3
	v_sub_u32_e32 v14, 29, v14
	v_and_b32_e32 v3, 7, v3
	v_cmp_eq_u16_e32 vcc, 0, v12
	v_cndmask_b32_e32 v3, v6, v3, vcc
	v_cndmask_b32_e32 v6, v13, v14, vcc
	v_mov_b32_e32 v12, 0x3b800000
	v_lshlrev_b32_e32 v3, 20, v3
	v_lshl_add_u32 v6, v6, 23, v12
	v_or3_b32 v6, v7, v6, v3
.LBB1_8000:
	s_or_b64 exec, exec, s[6:7]
	s_nop 0
	v_mfma_f32_16x16x4f32 a[0:3], v2, v6, a[0:3]
	s_movk_i32 s4, 0x7f
	v_cmp_gt_i16_sdwa s[6:7], v8, s4 src0_sel:BYTE_0 src1_sel:DWORD
	s_mov_b64 s[4:5], 0
                                        ; implicit-def: $sgpr10
	s_and_saveexec_b64 s[8:9], s[6:7]
	s_xor_b64 s[6:7], exec, s[8:9]
	s_cbranch_execz .LBB1_8001
; %bb.43841:
	s_getpc_b64 s[14:15]
.Lpost_getpc7584:
	s_add_u32 s14, s14, (.LBB1_22337-.Lpost_getpc7584)&4294967295
	s_addc_u32 s15, s15, (.LBB1_22337-.Lpost_getpc7584)>>32
	s_setpc_b64 s[14:15]
.LBB1_8001:
	s_or_saveexec_b64 s[6:7], s[6:7]
	v_mov_b32_e32 v2, s10
	s_xor_b64 exec, exec, s[6:7]
	s_cbranch_execz .LBB1_8002
; %bb.43843:
	s_getpc_b64 s[14:15]
.Lpost_getpc7585:
	s_add_u32 s14, s14, (.LBB1_22340-.Lpost_getpc7585)&4294967295
	s_addc_u32 s15, s15, (.LBB1_22340-.Lpost_getpc7585)>>32
	s_setpc_b64 s[14:15]
.LBB1_8002:
	s_or_b64 exec, exec, s[6:7]
	s_and_saveexec_b64 s[6:7], s[4:5]
	s_cbranch_execz .LBB1_8004
.LBB1_8003:
	v_and_b32_e32 v2, 7, v8
	v_ffbh_u32_e32 v6, v2
	v_min_u32_e32 v6, 32, v6
	v_lshrrev_b16_e32 v3, 3, v8
	v_subrev_u32_e32 v7, 28, v6
	v_and_b32_e32 v3, 15, v3
	v_lshlrev_b32_e32 v7, v7, v8
	v_sub_u32_e32 v6, 29, v6
	v_and_b32_e32 v7, 7, v7
	v_cmp_eq_u16_e32 vcc, 0, v3
	v_cndmask_b32_e32 v2, v2, v7, vcc
	v_cndmask_b32_e32 v3, v3, v6, vcc
	v_lshlrev_b32_e32 v6, 24, v8
	v_mov_b32_e32 v7, 0x3b800000
	v_lshlrev_b32_e32 v2, 20, v2
	v_and_b32_e32 v6, 0x80000000, v6
	v_lshl_add_u32 v3, v3, 23, v7
	v_or3_b32 v2, v6, v3, v2
.LBB1_8004:
	s_or_b64 exec, exec, s[6:7]
	s_movk_i32 s4, 0x7f
	v_cmp_gt_i16_sdwa s[6:7], v4, s4 src0_sel:BYTE_0 src1_sel:DWORD
	s_mov_b64 s[4:5], 0
                                        ; implicit-def: $sgpr10
	s_and_saveexec_b64 s[8:9], s[6:7]
	s_xor_b64 s[6:7], exec, s[8:9]
	s_cbranch_execz .LBB1_8005
; %bb.43845:
	s_getpc_b64 s[14:15]
.Lpost_getpc7586:
	s_add_u32 s14, s14, (.LBB1_22341-.Lpost_getpc7586)&4294967295
	s_addc_u32 s15, s15, (.LBB1_22341-.Lpost_getpc7586)>>32
	s_setpc_b64 s[14:15]
.LBB1_8005:
	s_or_saveexec_b64 s[6:7], s[6:7]
	v_mov_b32_e32 v3, s10
	s_xor_b64 exec, exec, s[6:7]
	s_cbranch_execz .LBB1_8006
; %bb.43847:
	s_getpc_b64 s[14:15]
.Lpost_getpc7587:
	s_add_u32 s14, s14, (.LBB1_22344-.Lpost_getpc7587)&4294967295
	s_addc_u32 s15, s15, (.LBB1_22344-.Lpost_getpc7587)>>32
	s_setpc_b64 s[14:15]
.LBB1_8006:
	s_or_b64 exec, exec, s[6:7]
	s_and_saveexec_b64 s[6:7], s[4:5]
	s_cbranch_execz .LBB1_8008
.LBB1_8007:
	v_and_b32_e32 v3, 7, v4
	v_ffbh_u32_e32 v7, v3
	v_min_u32_e32 v7, 32, v7
	v_lshrrev_b16_e32 v6, 3, v4
	v_subrev_u32_e32 v12, 28, v7
	v_and_b32_e32 v6, 15, v6
	v_lshlrev_b32_e32 v12, v12, v4
	v_sub_u32_e32 v7, 29, v7
	v_and_b32_e32 v12, 7, v12
	v_cmp_eq_u16_e32 vcc, 0, v6
	v_cndmask_b32_e32 v3, v3, v12, vcc
	v_cndmask_b32_e32 v6, v6, v7, vcc
	v_lshlrev_b32_e32 v7, 24, v4
	v_mov_b32_e32 v12, 0x3b800000
	v_lshlrev_b32_e32 v3, 20, v3
	v_and_b32_e32 v7, 0x80000000, v7
	v_lshl_add_u32 v6, v6, 23, v12
	v_or3_b32 v3, v7, v6, v3
.LBB1_8008:
	s_or_b64 exec, exec, s[6:7]
	s_nop 0
	v_mfma_f32_16x16x4f32 a[0:3], v2, v3, a[0:3]
	v_lshrrev_b32_e32 v3, 8, v8
	s_movk_i32 s4, 0x7f
	v_cmp_gt_i16_sdwa s[6:7], v3, s4 src0_sel:BYTE_0 src1_sel:DWORD
	s_mov_b64 s[4:5], 0
                                        ; implicit-def: $sgpr10
	s_and_saveexec_b64 s[8:9], s[6:7]
	s_xor_b64 s[6:7], exec, s[8:9]
	s_cbranch_execz .LBB1_8009
; %bb.43849:
	s_getpc_b64 s[14:15]
.Lpost_getpc7588:
	s_add_u32 s14, s14, (.LBB1_22345-.Lpost_getpc7588)&4294967295
	s_addc_u32 s15, s15, (.LBB1_22345-.Lpost_getpc7588)>>32
	s_setpc_b64 s[14:15]
.LBB1_8009:
	s_or_saveexec_b64 s[6:7], s[6:7]
	v_mov_b32_e32 v2, s10
	s_xor_b64 exec, exec, s[6:7]
	s_cbranch_execz .LBB1_8010
; %bb.43851:
	s_getpc_b64 s[14:15]
.Lpost_getpc7589:
	s_add_u32 s14, s14, (.LBB1_22348-.Lpost_getpc7589)&4294967295
	s_addc_u32 s15, s15, (.LBB1_22348-.Lpost_getpc7589)>>32
	s_setpc_b64 s[14:15]
.LBB1_8010:
	s_or_b64 exec, exec, s[6:7]
	s_and_saveexec_b64 s[6:7], s[4:5]
	s_cbranch_execz .LBB1_8012
.LBB1_8011:
	v_bfe_u32 v2, v8, 8, 3
	v_ffbh_u32_e32 v7, v2
	v_min_u32_e32 v7, 32, v7
	v_lshrrev_b16_e32 v6, 3, v3
	v_subrev_u32_e32 v12, 28, v7
	v_and_b32_e32 v6, 15, v6
	v_lshlrev_b32_e32 v3, v12, v3
	v_sub_u32_e32 v7, 29, v7
	v_and_b32_e32 v3, 7, v3
	v_cmp_eq_u16_e32 vcc, 0, v6
	v_cndmask_b32_e32 v2, v2, v3, vcc
	v_cndmask_b32_e32 v3, v6, v7, vcc
	v_lshlrev_b32_e32 v6, 16, v8
	v_mov_b32_e32 v7, 0x3b800000
	v_lshlrev_b32_e32 v2, 20, v2
	v_and_b32_e32 v6, 0x80000000, v6
	v_lshl_add_u32 v3, v3, 23, v7
	v_or3_b32 v2, v6, v3, v2
.LBB1_8012:
	s_or_b64 exec, exec, s[6:7]
	v_lshrrev_b32_e32 v3, 8, v4
	s_movk_i32 s4, 0x7f
	v_cmp_gt_i16_sdwa s[6:7], v3, s4 src0_sel:BYTE_0 src1_sel:DWORD
	s_mov_b64 s[4:5], 0
                                        ; implicit-def: $sgpr10
	s_and_saveexec_b64 s[8:9], s[6:7]
	s_xor_b64 s[6:7], exec, s[8:9]
	s_cbranch_execz .LBB1_8013
; %bb.43853:
	s_getpc_b64 s[14:15]
.Lpost_getpc7590:
	s_add_u32 s14, s14, (.LBB1_22349-.Lpost_getpc7590)&4294967295
	s_addc_u32 s15, s15, (.LBB1_22349-.Lpost_getpc7590)>>32
	s_setpc_b64 s[14:15]
.LBB1_8013:
	s_or_saveexec_b64 s[6:7], s[6:7]
	v_mov_b32_e32 v6, s10
	s_xor_b64 exec, exec, s[6:7]
	s_cbranch_execz .LBB1_8014
; %bb.43855:
	s_getpc_b64 s[14:15]
.Lpost_getpc7591:
	s_add_u32 s14, s14, (.LBB1_22352-.Lpost_getpc7591)&4294967295
	s_addc_u32 s15, s15, (.LBB1_22352-.Lpost_getpc7591)>>32
	s_setpc_b64 s[14:15]
.LBB1_8014:
	s_or_b64 exec, exec, s[6:7]
	s_and_saveexec_b64 s[6:7], s[4:5]
	s_cbranch_execz .LBB1_8016
.LBB1_8015:
	v_bfe_u32 v6, v4, 8, 3
	v_ffbh_u32_e32 v12, v6
	v_min_u32_e32 v12, 32, v12
	v_lshrrev_b16_e32 v7, 3, v3
	v_subrev_u32_e32 v13, 28, v12
	v_and_b32_e32 v7, 15, v7
	v_lshlrev_b32_e32 v3, v13, v3
	v_sub_u32_e32 v12, 29, v12
	v_and_b32_e32 v3, 7, v3
	v_cmp_eq_u16_e32 vcc, 0, v7
	v_cndmask_b32_e32 v3, v6, v3, vcc
	v_cndmask_b32_e32 v6, v7, v12, vcc
	v_lshlrev_b32_e32 v7, 16, v4
	v_mov_b32_e32 v12, 0x3b800000
	v_lshlrev_b32_e32 v3, 20, v3
	v_and_b32_e32 v7, 0x80000000, v7
	v_lshl_add_u32 v6, v6, 23, v12
	v_or3_b32 v6, v7, v6, v3
.LBB1_8016:
	s_or_b64 exec, exec, s[6:7]
	s_nop 0
	v_mfma_f32_16x16x4f32 a[0:3], v2, v6, a[0:3]
	s_movk_i32 s4, 0xff
	v_and_b32_sdwa v3, v8, s4 dst_sel:DWORD dst_unused:UNUSED_PAD src0_sel:WORD_1 src1_sel:DWORD
	s_movk_i32 s4, 0x7f
	v_cmp_lt_i16_e32 vcc, s4, v3
	s_mov_b64 s[4:5], 0
                                        ; implicit-def: $sgpr10
	s_and_saveexec_b64 s[6:7], vcc
	s_xor_b64 s[6:7], exec, s[6:7]
	s_cbranch_execz .LBB1_8017
; %bb.43857:
	s_getpc_b64 s[14:15]
.Lpost_getpc7592:
	s_add_u32 s14, s14, (.LBB1_22353-.Lpost_getpc7592)&4294967295
	s_addc_u32 s15, s15, (.LBB1_22353-.Lpost_getpc7592)>>32
	s_setpc_b64 s[14:15]
.LBB1_8017:
	s_or_saveexec_b64 s[6:7], s[6:7]
	v_mov_b32_e32 v2, s10
	s_xor_b64 exec, exec, s[6:7]
	s_cbranch_execz .LBB1_8018
; %bb.43859:
	s_getpc_b64 s[14:15]
.Lpost_getpc7593:
	s_add_u32 s14, s14, (.LBB1_22356-.Lpost_getpc7593)&4294967295
	s_addc_u32 s15, s15, (.LBB1_22356-.Lpost_getpc7593)>>32
	s_setpc_b64 s[14:15]
.LBB1_8018:
	s_or_b64 exec, exec, s[6:7]
	s_and_saveexec_b64 s[6:7], s[4:5]
	s_cbranch_execz .LBB1_8020
.LBB1_8019:
	v_bfe_u32 v2, v8, 16, 3
	v_ffbh_u32_e32 v7, v2
	v_min_u32_e32 v7, 32, v7
	v_lshrrev_b32_e32 v3, 19, v8
	v_subrev_u32_e32 v12, 28, v7
	v_and_b32_e32 v3, 15, v3
	v_lshlrev_b32_sdwa v12, v12, v8 dst_sel:DWORD dst_unused:UNUSED_PAD src0_sel:DWORD src1_sel:WORD_1
	v_bfe_u32 v6, v8, 19, 4
	v_sub_u32_e32 v7, 29, v7
	v_and_b32_e32 v12, 7, v12
	v_cmp_eq_u16_e32 vcc, 0, v3
	v_cndmask_b32_e32 v2, v2, v12, vcc
	v_cndmask_b32_e32 v3, v6, v7, vcc
	v_lshlrev_b32_e32 v6, 8, v8
	v_mov_b32_e32 v7, 0x3b800000
	v_lshlrev_b32_e32 v2, 20, v2
	v_and_b32_e32 v6, 0x80000000, v6
	v_lshl_add_u32 v3, v3, 23, v7
	v_or3_b32 v2, v6, v3, v2
.LBB1_8020:
	s_or_b64 exec, exec, s[6:7]
	s_movk_i32 s4, 0xff
	v_and_b32_sdwa v3, v4, s4 dst_sel:DWORD dst_unused:UNUSED_PAD src0_sel:WORD_1 src1_sel:DWORD
	s_movk_i32 s4, 0x7f
	v_cmp_lt_i16_e32 vcc, s4, v3
	s_mov_b64 s[4:5], 0
                                        ; implicit-def: $sgpr10
	s_and_saveexec_b64 s[6:7], vcc
	s_xor_b64 s[6:7], exec, s[6:7]
	s_cbranch_execz .LBB1_8021
; %bb.43861:
	s_getpc_b64 s[14:15]
.Lpost_getpc7594:
	s_add_u32 s14, s14, (.LBB1_22357-.Lpost_getpc7594)&4294967295
	s_addc_u32 s15, s15, (.LBB1_22357-.Lpost_getpc7594)>>32
	s_setpc_b64 s[14:15]
.LBB1_8021:
	s_or_saveexec_b64 s[6:7], s[6:7]
	v_mov_b32_e32 v6, s10
	s_xor_b64 exec, exec, s[6:7]
	s_cbranch_execz .LBB1_8022
; %bb.43863:
	s_getpc_b64 s[14:15]
.Lpost_getpc7595:
	s_add_u32 s14, s14, (.LBB1_22360-.Lpost_getpc7595)&4294967295
	s_addc_u32 s15, s15, (.LBB1_22360-.Lpost_getpc7595)>>32
	s_setpc_b64 s[14:15]
.LBB1_8022:
	s_or_b64 exec, exec, s[6:7]
	s_and_saveexec_b64 s[6:7], s[4:5]
	s_cbranch_execz .LBB1_8024
.LBB1_8023:
	v_bfe_u32 v3, v4, 16, 3
	v_ffbh_u32_e32 v12, v3
	v_min_u32_e32 v12, 32, v12
	v_lshrrev_b32_e32 v6, 19, v4
	v_subrev_u32_e32 v13, 28, v12
	v_and_b32_e32 v6, 15, v6
	v_lshlrev_b32_sdwa v13, v13, v4 dst_sel:DWORD dst_unused:UNUSED_PAD src0_sel:DWORD src1_sel:WORD_1
	v_bfe_u32 v7, v4, 19, 4
	v_sub_u32_e32 v12, 29, v12
	v_and_b32_e32 v13, 7, v13
	v_cmp_eq_u16_e32 vcc, 0, v6
	v_cndmask_b32_e32 v3, v3, v13, vcc
	v_cndmask_b32_e32 v6, v7, v12, vcc
	v_lshlrev_b32_e32 v7, 8, v4
	v_mov_b32_e32 v12, 0x3b800000
	v_lshlrev_b32_e32 v3, 20, v3
	v_and_b32_e32 v7, 0x80000000, v7
	v_lshl_add_u32 v6, v6, 23, v12
	v_or3_b32 v6, v7, v6, v3
.LBB1_8024:
	s_or_b64 exec, exec, s[6:7]
	s_nop 0
	v_mfma_f32_16x16x4f32 a[0:3], v2, v6, a[0:3]
	s_movk_i32 s4, 0x7f
	v_cmp_gt_i16_sdwa s[6:7], v8, s4 src0_sel:BYTE_3 src1_sel:DWORD
	s_mov_b64 s[4:5], 0
                                        ; implicit-def: $sgpr10
	s_and_saveexec_b64 s[8:9], s[6:7]
	s_xor_b64 s[6:7], exec, s[8:9]
	s_cbranch_execz .LBB1_8025
; %bb.43865:
	s_getpc_b64 s[14:15]
.Lpost_getpc7596:
	s_add_u32 s14, s14, (.LBB1_22361-.Lpost_getpc7596)&4294967295
	s_addc_u32 s15, s15, (.LBB1_22361-.Lpost_getpc7596)>>32
	s_setpc_b64 s[14:15]
.LBB1_8025:
	s_or_saveexec_b64 s[6:7], s[6:7]
	v_mov_b32_e32 v2, s10
	s_xor_b64 exec, exec, s[6:7]
	s_cbranch_execz .LBB1_8026
; %bb.43867:
	s_getpc_b64 s[14:15]
.Lpost_getpc7597:
	s_add_u32 s14, s14, (.LBB1_22364-.Lpost_getpc7597)&4294967295
	s_addc_u32 s15, s15, (.LBB1_22364-.Lpost_getpc7597)>>32
	s_setpc_b64 s[14:15]
.LBB1_8026:
	s_or_b64 exec, exec, s[6:7]
	s_and_saveexec_b64 s[6:7], s[4:5]
	s_cbranch_execz .LBB1_8028
.LBB1_8027:
	v_bfe_u32 v2, v8, 24, 3
	v_ffbh_u32_e32 v12, v2
	v_min_u32_e32 v12, 32, v12
	v_lshrrev_b32_e32 v6, 27, v8
	v_subrev_u32_e32 v13, 28, v12
	v_and_b32_e32 v3, 0x80000000, v8
	v_and_b32_e32 v6, 15, v6
	v_bfe_u32 v7, v8, 27, 4
	v_lshlrev_b32_sdwa v8, v13, v8 dst_sel:DWORD dst_unused:UNUSED_PAD src0_sel:DWORD src1_sel:BYTE_3
	v_sub_u32_e32 v12, 29, v12
	v_and_b32_e32 v8, 7, v8
	v_cmp_eq_u16_e32 vcc, 0, v6
	v_cndmask_b32_e32 v2, v2, v8, vcc
	v_cndmask_b32_e32 v6, v7, v12, vcc
	v_mov_b32_e32 v7, 0x3b800000
	v_lshlrev_b32_e32 v2, 20, v2
	v_lshl_add_u32 v6, v6, 23, v7
	v_or3_b32 v2, v3, v6, v2
.LBB1_8028:
	s_or_b64 exec, exec, s[6:7]
	s_movk_i32 s4, 0x7f
	v_cmp_gt_i16_sdwa s[6:7], v4, s4 src0_sel:BYTE_3 src1_sel:DWORD
	s_mov_b64 s[4:5], 0
                                        ; implicit-def: $sgpr10
	s_and_saveexec_b64 s[8:9], s[6:7]
	s_xor_b64 s[6:7], exec, s[8:9]
	s_cbranch_execz .LBB1_8029
; %bb.43869:
	s_getpc_b64 s[14:15]
.Lpost_getpc7598:
	s_add_u32 s14, s14, (.LBB1_22365-.Lpost_getpc7598)&4294967295
	s_addc_u32 s15, s15, (.LBB1_22365-.Lpost_getpc7598)>>32
	s_setpc_b64 s[14:15]
.LBB1_8029:
	s_or_saveexec_b64 s[6:7], s[6:7]
	v_mov_b32_e32 v3, s10
	s_xor_b64 exec, exec, s[6:7]
	s_cbranch_execz .LBB1_8030
; %bb.43871:
	s_getpc_b64 s[14:15]
.Lpost_getpc7599:
	s_add_u32 s14, s14, (.LBB1_22368-.Lpost_getpc7599)&4294967295
	s_addc_u32 s15, s15, (.LBB1_22368-.Lpost_getpc7599)>>32
	s_setpc_b64 s[14:15]
.LBB1_8030:
	s_or_b64 exec, exec, s[6:7]
	s_and_saveexec_b64 s[6:7], s[4:5]
	s_cbranch_execz .LBB1_8032
.LBB1_8031:
	v_bfe_u32 v3, v4, 24, 3
	v_ffbh_u32_e32 v12, v3
	v_min_u32_e32 v12, 32, v12
	v_lshrrev_b32_e32 v7, 27, v4
	v_subrev_u32_e32 v13, 28, v12
	v_and_b32_e32 v6, 0x80000000, v4
	v_and_b32_e32 v7, 15, v7
	v_bfe_u32 v8, v4, 27, 4
	v_lshlrev_b32_sdwa v4, v13, v4 dst_sel:DWORD dst_unused:UNUSED_PAD src0_sel:DWORD src1_sel:BYTE_3
	v_sub_u32_e32 v12, 29, v12
	v_and_b32_e32 v4, 7, v4
	v_cmp_eq_u16_e32 vcc, 0, v7
	v_cndmask_b32_e32 v3, v3, v4, vcc
	v_cndmask_b32_e32 v4, v8, v12, vcc
	v_mov_b32_e32 v7, 0x3b800000
	v_lshlrev_b32_e32 v3, 20, v3
	v_lshl_add_u32 v4, v4, 23, v7
	v_or3_b32 v3, v6, v4, v3
.LBB1_8032:
	s_or_b64 exec, exec, s[6:7]
	s_nop 0
	v_mfma_f32_16x16x4f32 a[0:3], v2, v3, a[0:3]
	s_movk_i32 s4, 0x7f
	v_cmp_gt_i16_sdwa s[6:7], v9, s4 src0_sel:BYTE_0 src1_sel:DWORD
	s_mov_b64 s[4:5], 0
                                        ; implicit-def: $sgpr10
	s_and_saveexec_b64 s[8:9], s[6:7]
	s_xor_b64 s[6:7], exec, s[8:9]
	s_cbranch_execz .LBB1_8033
; %bb.43873:
	s_getpc_b64 s[14:15]
.Lpost_getpc7600:
	s_add_u32 s14, s14, (.LBB1_22369-.Lpost_getpc7600)&4294967295
	s_addc_u32 s15, s15, (.LBB1_22369-.Lpost_getpc7600)>>32
	s_setpc_b64 s[14:15]
.LBB1_8033:
	s_or_saveexec_b64 s[6:7], s[6:7]
	v_mov_b32_e32 v2, s10
	s_xor_b64 exec, exec, s[6:7]
	s_cbranch_execz .LBB1_8034
; %bb.43875:
	s_getpc_b64 s[14:15]
.Lpost_getpc7601:
	s_add_u32 s14, s14, (.LBB1_22372-.Lpost_getpc7601)&4294967295
	s_addc_u32 s15, s15, (.LBB1_22372-.Lpost_getpc7601)>>32
	s_setpc_b64 s[14:15]
.LBB1_8034:
	s_or_b64 exec, exec, s[6:7]
	s_and_saveexec_b64 s[6:7], s[4:5]
	s_cbranch_execz .LBB1_8036
.LBB1_8035:
	v_mov_b32_e32 v2, 8
	v_and_b32_e32 v3, 7, v9
	v_lshrrev_b32_sdwa v2, v2, v9 dst_sel:BYTE_1 dst_unused:UNUSED_PAD src0_sel:DWORD src1_sel:DWORD
	v_ffbh_u32_e32 v4, v3
	v_or_b32_sdwa v2, v9, v2 dst_sel:DWORD dst_unused:UNUSED_PAD src0_sel:BYTE_0 src1_sel:DWORD
	v_min_u32_e32 v4, 32, v4
	v_lshrrev_b16_e32 v2, 3, v2
	v_subrev_u32_e32 v6, 28, v4
	v_and_b32_e32 v2, 15, v2
	v_lshlrev_b32_e32 v6, v6, v9
	v_sub_u32_e32 v4, 29, v4
	v_and_b32_e32 v6, 7, v6
	v_cmp_eq_u16_e32 vcc, 0, v2
	v_cndmask_b32_e32 v3, v3, v6, vcc
	v_cndmask_b32_e32 v2, v2, v4, vcc
	v_lshlrev_b32_e32 v4, 24, v9
	v_mov_b32_e32 v6, 0x3b800000
	v_lshlrev_b32_e32 v3, 20, v3
	v_and_b32_e32 v4, 0x80000000, v4
	v_lshl_add_u32 v2, v2, 23, v6
	v_or3_b32 v2, v4, v2, v3
.LBB1_8036:
	s_or_b64 exec, exec, s[6:7]
	s_movk_i32 s4, 0x7f
	v_cmp_gt_i16_sdwa s[6:7], v5, s4 src0_sel:BYTE_0 src1_sel:DWORD
	s_mov_b64 s[4:5], 0
                                        ; implicit-def: $sgpr10
	s_and_saveexec_b64 s[8:9], s[6:7]
	s_xor_b64 s[6:7], exec, s[8:9]
	s_cbranch_execz .LBB1_8037
; %bb.43877:
	s_getpc_b64 s[14:15]
.Lpost_getpc7602:
	s_add_u32 s14, s14, (.LBB1_22373-.Lpost_getpc7602)&4294967295
	s_addc_u32 s15, s15, (.LBB1_22373-.Lpost_getpc7602)>>32
	s_setpc_b64 s[14:15]
.LBB1_8037:
	s_or_saveexec_b64 s[6:7], s[6:7]
	v_mov_b32_e32 v3, s10
	s_xor_b64 exec, exec, s[6:7]
	s_cbranch_execz .LBB1_8038
; %bb.43879:
	s_getpc_b64 s[14:15]
.Lpost_getpc7603:
	s_add_u32 s14, s14, (.LBB1_22376-.Lpost_getpc7603)&4294967295
	s_addc_u32 s15, s15, (.LBB1_22376-.Lpost_getpc7603)>>32
	s_setpc_b64 s[14:15]
.LBB1_8038:
	s_or_b64 exec, exec, s[6:7]
	s_and_saveexec_b64 s[6:7], s[4:5]
	s_cbranch_execz .LBB1_8040
.LBB1_8039:
	v_mov_b32_e32 v3, 8
	v_and_b32_e32 v4, 7, v5
	v_lshrrev_b32_sdwa v3, v3, v5 dst_sel:BYTE_1 dst_unused:UNUSED_PAD src0_sel:DWORD src1_sel:DWORD
	v_ffbh_u32_e32 v6, v4
	v_or_b32_sdwa v3, v5, v3 dst_sel:DWORD dst_unused:UNUSED_PAD src0_sel:BYTE_0 src1_sel:DWORD
	v_min_u32_e32 v6, 32, v6
	v_lshrrev_b16_e32 v3, 3, v3
	v_subrev_u32_e32 v7, 28, v6
	v_and_b32_e32 v3, 15, v3
	v_lshlrev_b32_e32 v7, v7, v5
	v_sub_u32_e32 v6, 29, v6
	v_and_b32_e32 v7, 7, v7
	v_cmp_eq_u16_e32 vcc, 0, v3
	v_cndmask_b32_e32 v4, v4, v7, vcc
	v_cndmask_b32_e32 v3, v3, v6, vcc
	v_lshlrev_b32_e32 v6, 24, v5
	v_mov_b32_e32 v7, 0x3b800000
	v_lshlrev_b32_e32 v4, 20, v4
	v_and_b32_e32 v6, 0x80000000, v6
	v_lshl_add_u32 v3, v3, 23, v7
	v_or3_b32 v3, v6, v3, v4
.LBB1_8040:
	s_or_b64 exec, exec, s[6:7]
	s_nop 0
	v_mfma_f32_16x16x4f32 a[0:3], v2, v3, a[0:3]
	v_lshrrev_b32_e32 v3, 8, v9
	s_movk_i32 s4, 0x7f
	v_cmp_gt_i16_sdwa s[6:7], v3, s4 src0_sel:BYTE_0 src1_sel:DWORD
	s_mov_b64 s[4:5], 0
                                        ; implicit-def: $sgpr10
	s_and_saveexec_b64 s[8:9], s[6:7]
	s_xor_b64 s[6:7], exec, s[8:9]
	s_cbranch_execz .LBB1_8041
; %bb.43881:
	s_getpc_b64 s[14:15]
.Lpost_getpc7604:
	s_add_u32 s14, s14, (.LBB1_22377-.Lpost_getpc7604)&4294967295
	s_addc_u32 s15, s15, (.LBB1_22377-.Lpost_getpc7604)>>32
	s_setpc_b64 s[14:15]
.LBB1_8041:
	s_or_saveexec_b64 s[6:7], s[6:7]
	v_mov_b32_e32 v2, s10
	s_xor_b64 exec, exec, s[6:7]
	s_cbranch_execz .LBB1_8042
; %bb.43883:
	s_getpc_b64 s[14:15]
.Lpost_getpc7605:
	s_add_u32 s14, s14, (.LBB1_22380-.Lpost_getpc7605)&4294967295
	s_addc_u32 s15, s15, (.LBB1_22380-.Lpost_getpc7605)>>32
	s_setpc_b64 s[14:15]
.LBB1_8042:
	s_or_b64 exec, exec, s[6:7]
	s_and_saveexec_b64 s[6:7], s[4:5]
	s_cbranch_execz .LBB1_8044
.LBB1_8043:
	v_bfe_u32 v2, v9, 8, 3
	v_ffbh_u32_e32 v6, v2
	v_min_u32_e32 v6, 32, v6
	v_lshrrev_b16_e32 v4, 3, v3
	v_subrev_u32_e32 v7, 28, v6
	v_and_b32_e32 v4, 15, v4
	v_lshlrev_b32_e32 v3, v7, v3
	v_sub_u32_e32 v6, 29, v6
	v_and_b32_e32 v3, 7, v3
	v_cmp_eq_u16_e32 vcc, 0, v4
	v_cndmask_b32_e32 v2, v2, v3, vcc
	v_cndmask_b32_e32 v3, v4, v6, vcc
	v_lshlrev_b32_e32 v4, 16, v9
	v_mov_b32_e32 v6, 0x3b800000
	v_lshlrev_b32_e32 v2, 20, v2
	v_and_b32_e32 v4, 0x80000000, v4
	v_lshl_add_u32 v3, v3, 23, v6
	v_or3_b32 v2, v4, v3, v2
.LBB1_8044:
	s_or_b64 exec, exec, s[6:7]
	v_lshrrev_b32_e32 v3, 8, v5
	s_movk_i32 s4, 0x7f
	v_cmp_gt_i16_sdwa s[6:7], v3, s4 src0_sel:BYTE_0 src1_sel:DWORD
	s_mov_b64 s[4:5], 0
                                        ; implicit-def: $sgpr10
	s_and_saveexec_b64 s[8:9], s[6:7]
	s_xor_b64 s[6:7], exec, s[8:9]
	s_cbranch_execz .LBB1_8045
; %bb.43885:
	s_getpc_b64 s[14:15]
.Lpost_getpc7606:
	s_add_u32 s14, s14, (.LBB1_22381-.Lpost_getpc7606)&4294967295
	s_addc_u32 s15, s15, (.LBB1_22381-.Lpost_getpc7606)>>32
	s_setpc_b64 s[14:15]
.LBB1_8045:
	s_or_saveexec_b64 s[6:7], s[6:7]
	v_mov_b32_e32 v4, s10
	s_xor_b64 exec, exec, s[6:7]
	s_cbranch_execz .LBB1_8046
; %bb.43887:
	s_getpc_b64 s[14:15]
.Lpost_getpc7607:
	s_add_u32 s14, s14, (.LBB1_22384-.Lpost_getpc7607)&4294967295
	s_addc_u32 s15, s15, (.LBB1_22384-.Lpost_getpc7607)>>32
	s_setpc_b64 s[14:15]
.LBB1_8046:
	s_or_b64 exec, exec, s[6:7]
	s_and_saveexec_b64 s[6:7], s[4:5]
	s_cbranch_execz .LBB1_8048
.LBB1_8047:
	v_bfe_u32 v4, v5, 8, 3
	v_ffbh_u32_e32 v7, v4
	v_min_u32_e32 v7, 32, v7
	v_lshrrev_b16_e32 v6, 3, v3
	v_subrev_u32_e32 v8, 28, v7
	v_and_b32_e32 v6, 15, v6
	v_lshlrev_b32_e32 v3, v8, v3
	v_sub_u32_e32 v7, 29, v7
	v_and_b32_e32 v3, 7, v3
	v_cmp_eq_u16_e32 vcc, 0, v6
	v_cndmask_b32_e32 v3, v4, v3, vcc
	v_cndmask_b32_e32 v4, v6, v7, vcc
	v_lshlrev_b32_e32 v6, 16, v5
	v_mov_b32_e32 v7, 0x3b800000
	v_lshlrev_b32_e32 v3, 20, v3
	v_and_b32_e32 v6, 0x80000000, v6
	v_lshl_add_u32 v4, v4, 23, v7
	v_or3_b32 v4, v6, v4, v3
.LBB1_8048:
	s_or_b64 exec, exec, s[6:7]
	s_nop 0
	v_mfma_f32_16x16x4f32 a[0:3], v2, v4, a[0:3]
	s_movk_i32 s4, 0xff
	v_and_b32_sdwa v3, v9, s4 dst_sel:DWORD dst_unused:UNUSED_PAD src0_sel:WORD_1 src1_sel:DWORD
	s_movk_i32 s4, 0x7f
	v_cmp_lt_i16_e32 vcc, s4, v3
	s_mov_b64 s[4:5], 0
                                        ; implicit-def: $sgpr10
	s_and_saveexec_b64 s[6:7], vcc
	s_xor_b64 s[6:7], exec, s[6:7]
	s_cbranch_execz .LBB1_8049
; %bb.43889:
	s_getpc_b64 s[14:15]
.Lpost_getpc7608:
	s_add_u32 s14, s14, (.LBB1_22385-.Lpost_getpc7608)&4294967295
	s_addc_u32 s15, s15, (.LBB1_22385-.Lpost_getpc7608)>>32
	s_setpc_b64 s[14:15]
.LBB1_8049:
	s_or_saveexec_b64 s[6:7], s[6:7]
	v_mov_b32_e32 v2, s10
	s_xor_b64 exec, exec, s[6:7]
	s_cbranch_execz .LBB1_8050
; %bb.43891:
	s_getpc_b64 s[14:15]
.Lpost_getpc7609:
	s_add_u32 s14, s14, (.LBB1_22388-.Lpost_getpc7609)&4294967295
	s_addc_u32 s15, s15, (.LBB1_22388-.Lpost_getpc7609)>>32
	s_setpc_b64 s[14:15]
.LBB1_8050:
	s_or_b64 exec, exec, s[6:7]
	s_and_saveexec_b64 s[6:7], s[4:5]
	s_cbranch_execz .LBB1_8052
.LBB1_8051:
	v_bfe_u32 v2, v9, 16, 3
	v_ffbh_u32_e32 v6, v2
	v_min_u32_e32 v6, 32, v6
	v_lshrrev_b32_e32 v3, 19, v9
	v_subrev_u32_e32 v7, 28, v6
	v_and_b32_e32 v3, 15, v3
	v_lshlrev_b32_sdwa v7, v7, v9 dst_sel:DWORD dst_unused:UNUSED_PAD src0_sel:DWORD src1_sel:WORD_1
	v_bfe_u32 v4, v9, 19, 4
	v_sub_u32_e32 v6, 29, v6
	v_and_b32_e32 v7, 7, v7
	v_cmp_eq_u16_e32 vcc, 0, v3
	v_cndmask_b32_e32 v2, v2, v7, vcc
	v_cndmask_b32_e32 v3, v4, v6, vcc
	v_lshlrev_b32_e32 v4, 8, v9
	v_mov_b32_e32 v6, 0x3b800000
	v_lshlrev_b32_e32 v2, 20, v2
	v_and_b32_e32 v4, 0x80000000, v4
	v_lshl_add_u32 v3, v3, 23, v6
	v_or3_b32 v2, v4, v3, v2
.LBB1_8052:
	s_or_b64 exec, exec, s[6:7]
	s_movk_i32 s4, 0xff
	v_and_b32_sdwa v3, v5, s4 dst_sel:DWORD dst_unused:UNUSED_PAD src0_sel:WORD_1 src1_sel:DWORD
	s_movk_i32 s4, 0x7f
	v_cmp_lt_i16_e32 vcc, s4, v3
	s_mov_b64 s[4:5], 0
                                        ; implicit-def: $sgpr10
	s_and_saveexec_b64 s[6:7], vcc
	s_xor_b64 s[6:7], exec, s[6:7]
	s_cbranch_execz .LBB1_8053
; %bb.43893:
	s_getpc_b64 s[14:15]
.Lpost_getpc7610:
	s_add_u32 s14, s14, (.LBB1_22389-.Lpost_getpc7610)&4294967295
	s_addc_u32 s15, s15, (.LBB1_22389-.Lpost_getpc7610)>>32
	s_setpc_b64 s[14:15]
.LBB1_8053:
	s_or_saveexec_b64 s[6:7], s[6:7]
	v_mov_b32_e32 v4, s10
	s_xor_b64 exec, exec, s[6:7]
	s_cbranch_execz .LBB1_8054
; %bb.43895:
	s_getpc_b64 s[14:15]
.Lpost_getpc7611:
	s_add_u32 s14, s14, (.LBB1_22392-.Lpost_getpc7611)&4294967295
	s_addc_u32 s15, s15, (.LBB1_22392-.Lpost_getpc7611)>>32
	s_setpc_b64 s[14:15]
.LBB1_8054:
	s_or_b64 exec, exec, s[6:7]
	s_and_saveexec_b64 s[6:7], s[4:5]
	s_cbranch_execz .LBB1_8056
.LBB1_8055:
	v_bfe_u32 v3, v5, 16, 3
	v_ffbh_u32_e32 v7, v3
	v_min_u32_e32 v7, 32, v7
	v_lshrrev_b32_e32 v4, 19, v5
	v_subrev_u32_e32 v8, 28, v7
	v_and_b32_e32 v4, 15, v4
	v_lshlrev_b32_sdwa v8, v8, v5 dst_sel:DWORD dst_unused:UNUSED_PAD src0_sel:DWORD src1_sel:WORD_1
	v_bfe_u32 v6, v5, 19, 4
	v_sub_u32_e32 v7, 29, v7
	v_and_b32_e32 v8, 7, v8
	v_cmp_eq_u16_e32 vcc, 0, v4
	v_cndmask_b32_e32 v3, v3, v8, vcc
	v_cndmask_b32_e32 v4, v6, v7, vcc
	v_lshlrev_b32_e32 v6, 8, v5
	v_mov_b32_e32 v7, 0x3b800000
	v_lshlrev_b32_e32 v3, 20, v3
	v_and_b32_e32 v6, 0x80000000, v6
	v_lshl_add_u32 v4, v4, 23, v7
	v_or3_b32 v4, v6, v4, v3
.LBB1_8056:
	s_or_b64 exec, exec, s[6:7]
	s_nop 0
	v_mfma_f32_16x16x4f32 a[0:3], v2, v4, a[0:3]
	s_movk_i32 s4, 0x7f
	v_cmp_gt_i16_sdwa s[6:7], v9, s4 src0_sel:BYTE_3 src1_sel:DWORD
	s_mov_b64 s[4:5], 0
                                        ; implicit-def: $sgpr10
	s_and_saveexec_b64 s[8:9], s[6:7]
	s_xor_b64 s[6:7], exec, s[8:9]
	s_cbranch_execz .LBB1_8057
; %bb.43897:
	s_getpc_b64 s[14:15]
.Lpost_getpc7612:
	s_add_u32 s14, s14, (.LBB1_22393-.Lpost_getpc7612)&4294967295
	s_addc_u32 s15, s15, (.LBB1_22393-.Lpost_getpc7612)>>32
	s_setpc_b64 s[14:15]
.LBB1_8057:
	s_or_saveexec_b64 s[6:7], s[6:7]
	v_mov_b32_e32 v2, s10
	s_xor_b64 exec, exec, s[6:7]
	s_cbranch_execz .LBB1_8058
; %bb.43899:
	s_getpc_b64 s[14:15]
.Lpost_getpc7613:
	s_add_u32 s14, s14, (.LBB1_22396-.Lpost_getpc7613)&4294967295
	s_addc_u32 s15, s15, (.LBB1_22396-.Lpost_getpc7613)>>32
	s_setpc_b64 s[14:15]
.LBB1_8058:
	s_or_b64 exec, exec, s[6:7]
	s_and_saveexec_b64 s[6:7], s[4:5]
	s_cbranch_execz .LBB1_8060
.LBB1_8059:
	v_bfe_u32 v2, v9, 24, 3
	v_ffbh_u32_e32 v7, v2
	v_min_u32_e32 v7, 32, v7
	v_lshrrev_b32_e32 v4, 27, v9
	v_subrev_u32_e32 v8, 28, v7
	v_and_b32_e32 v4, 15, v4
	v_lshlrev_b32_sdwa v8, v8, v9 dst_sel:DWORD dst_unused:UNUSED_PAD src0_sel:DWORD src1_sel:BYTE_3
	v_bfe_u32 v6, v9, 27, 4
	v_sub_u32_e32 v7, 29, v7
	v_and_b32_e32 v8, 7, v8
	v_cmp_eq_u16_e32 vcc, 0, v4
	v_cndmask_b32_e32 v2, v2, v8, vcc
	v_cndmask_b32_e32 v4, v6, v7, vcc
	v_mov_b32_e32 v6, 0x3b800000
	v_and_b32_e32 v3, 0x80000000, v9
	v_lshlrev_b32_e32 v2, 20, v2
	v_lshl_add_u32 v4, v4, 23, v6
	v_or3_b32 v2, v3, v4, v2
.LBB1_8060:
	s_or_b64 exec, exec, s[6:7]
	s_movk_i32 s4, 0x7f
	v_cmp_gt_i16_sdwa s[6:7], v5, s4 src0_sel:BYTE_3 src1_sel:DWORD
	s_mov_b64 s[4:5], 0
                                        ; implicit-def: $sgpr10
	s_and_saveexec_b64 s[8:9], s[6:7]
	s_xor_b64 s[6:7], exec, s[8:9]
	s_cbranch_execz .LBB1_8061
; %bb.43901:
	s_getpc_b64 s[14:15]
.Lpost_getpc7614:
	s_add_u32 s14, s14, (.LBB1_22397-.Lpost_getpc7614)&4294967295
	s_addc_u32 s15, s15, (.LBB1_22397-.Lpost_getpc7614)>>32
	s_setpc_b64 s[14:15]
.LBB1_8061:
	s_or_saveexec_b64 s[6:7], s[6:7]
	v_mov_b32_e32 v3, s10
	s_xor_b64 exec, exec, s[6:7]
	s_cbranch_execz .LBB1_8062
; %bb.43903:
	s_getpc_b64 s[14:15]
.Lpost_getpc7615:
	s_add_u32 s14, s14, (.LBB1_22400-.Lpost_getpc7615)&4294967295
	s_addc_u32 s15, s15, (.LBB1_22400-.Lpost_getpc7615)>>32
	s_setpc_b64 s[14:15]
.LBB1_8062:
	s_or_b64 exec, exec, s[6:7]
	s_and_saveexec_b64 s[6:7], s[4:5]
	s_cbranch_execz .LBB1_8064
.LBB1_8063:
	v_bfe_u32 v3, v5, 24, 3
	v_ffbh_u32_e32 v8, v3
	v_min_u32_e32 v8, 32, v8
	v_lshrrev_b32_e32 v6, 27, v5
	v_subrev_u32_e32 v9, 28, v8
	v_and_b32_e32 v4, 0x80000000, v5
	v_and_b32_e32 v6, 15, v6
	v_bfe_u32 v7, v5, 27, 4
	v_lshlrev_b32_sdwa v5, v9, v5 dst_sel:DWORD dst_unused:UNUSED_PAD src0_sel:DWORD src1_sel:BYTE_3
	v_sub_u32_e32 v8, 29, v8
	v_and_b32_e32 v5, 7, v5
	v_cmp_eq_u16_e32 vcc, 0, v6
	v_cndmask_b32_e32 v3, v3, v5, vcc
	v_cndmask_b32_e32 v5, v7, v8, vcc
	v_mov_b32_e32 v6, 0x3b800000
	v_lshlrev_b32_e32 v3, 20, v3
	v_lshl_add_u32 v5, v5, 23, v6
	v_or3_b32 v3, v4, v5, v3
.LBB1_8064:
	s_or_b64 exec, exec, s[6:7]
	s_nop 0
	v_mfma_f32_16x16x4f32 a[0:3], v2, v3, a[0:3]
	s_movk_i32 s4, 0x7f
                                        ; implicit-def: $sgpr10
	s_nop 7
	s_nop 1
	flat_store_dwordx4 v[10:11], a[0:3] offset:96
	flat_load_dwordx4 v[12:15], v[0:1]
	s_nop 0
	flat_load_dwordx2 v[10:11], v[0:1] offset:16
	s_waitcnt vmcnt(0) lgkmcnt(0)
	flat_load_dwordx4 v[6:9], v[12:13] offset:112
	flat_load_dwordx4 v[2:5], v[14:15] offset:240
	s_waitcnt vmcnt(0) lgkmcnt(0)
	v_cmp_gt_i16_sdwa s[6:7], v6, s4 src0_sel:BYTE_0 src1_sel:DWORD
	s_mov_b64 s[4:5], 0
	s_and_saveexec_b64 s[8:9], s[6:7]
	s_xor_b64 s[6:7], exec, s[8:9]
	s_cbranch_execz .LBB1_8065
; %bb.43905:
	s_getpc_b64 s[14:15]
.Lpost_getpc7616:
	s_add_u32 s14, s14, (.LBB1_22401-.Lpost_getpc7616)&4294967295
	s_addc_u32 s15, s15, (.LBB1_22401-.Lpost_getpc7616)>>32
	s_setpc_b64 s[14:15]
.LBB1_8065:
	s_or_saveexec_b64 s[6:7], s[6:7]
	v_mov_b32_e32 v12, s10
	s_xor_b64 exec, exec, s[6:7]
	s_cbranch_execz .LBB1_8066
; %bb.43907:
	s_getpc_b64 s[14:15]
.Lpost_getpc7617:
	s_add_u32 s14, s14, (.LBB1_22404-.Lpost_getpc7617)&4294967295
	s_addc_u32 s15, s15, (.LBB1_22404-.Lpost_getpc7617)>>32
	s_setpc_b64 s[14:15]
.LBB1_8066:
	s_or_b64 exec, exec, s[6:7]
	s_and_saveexec_b64 s[6:7], s[4:5]
	s_cbranch_execz .LBB1_8068
.LBB1_8067:
	v_and_b32_e32 v12, 7, v6
	v_ffbh_u32_e32 v14, v12
	v_min_u32_e32 v14, 32, v14
	v_lshrrev_b16_e32 v13, 3, v6
	v_subrev_u32_e32 v15, 28, v14
	v_and_b32_e32 v13, 15, v13
	v_lshlrev_b32_e32 v15, v15, v6
	v_sub_u32_e32 v14, 29, v14
	v_and_b32_e32 v15, 7, v15
	v_cmp_eq_u16_e32 vcc, 0, v13
	v_cndmask_b32_e32 v12, v12, v15, vcc
	v_cndmask_b32_e32 v13, v13, v14, vcc
	v_lshlrev_b32_e32 v14, 24, v6
	v_mov_b32_e32 v15, 0x3b800000
	v_lshlrev_b32_e32 v12, 20, v12
	v_and_b32_e32 v14, 0x80000000, v14
	v_lshl_add_u32 v13, v13, 23, v15
	v_or3_b32 v12, v14, v13, v12
.LBB1_8068:
	s_or_b64 exec, exec, s[6:7]
	s_movk_i32 s4, 0x7f
	v_cmp_gt_i16_sdwa s[6:7], v2, s4 src0_sel:BYTE_0 src1_sel:DWORD
	s_mov_b64 s[4:5], 0
                                        ; implicit-def: $sgpr10
	s_and_saveexec_b64 s[8:9], s[6:7]
	s_xor_b64 s[6:7], exec, s[8:9]
	s_cbranch_execz .LBB1_8069
; %bb.43909:
	s_getpc_b64 s[14:15]
.Lpost_getpc7618:
	s_add_u32 s14, s14, (.LBB1_22405-.Lpost_getpc7618)&4294967295
	s_addc_u32 s15, s15, (.LBB1_22405-.Lpost_getpc7618)>>32
	s_setpc_b64 s[14:15]
.LBB1_8069:
	s_or_saveexec_b64 s[6:7], s[6:7]
	v_mov_b32_e32 v13, s10
	s_xor_b64 exec, exec, s[6:7]
	s_cbranch_execz .LBB1_8070
; %bb.43911:
	s_getpc_b64 s[14:15]
.Lpost_getpc7619:
	s_add_u32 s14, s14, (.LBB1_22408-.Lpost_getpc7619)&4294967295
	s_addc_u32 s15, s15, (.LBB1_22408-.Lpost_getpc7619)>>32
	s_setpc_b64 s[14:15]
.LBB1_8070:
	s_or_b64 exec, exec, s[6:7]
	s_and_saveexec_b64 s[6:7], s[4:5]
	s_cbranch_execz .LBB1_8072
.LBB1_8071:
	v_and_b32_e32 v13, 7, v2
	v_ffbh_u32_e32 v15, v13
	v_min_u32_e32 v15, 32, v15
	v_lshrrev_b16_e32 v14, 3, v2
	v_subrev_u32_e32 v16, 28, v15
	v_and_b32_e32 v14, 15, v14
	v_lshlrev_b32_e32 v16, v16, v2
	v_sub_u32_e32 v15, 29, v15
	v_and_b32_e32 v16, 7, v16
	v_cmp_eq_u16_e32 vcc, 0, v14
	v_cndmask_b32_e32 v13, v13, v16, vcc
	v_cndmask_b32_e32 v14, v14, v15, vcc
	v_lshlrev_b32_e32 v15, 24, v2
	v_mov_b32_e32 v16, 0x3b800000
	v_lshlrev_b32_e32 v13, 20, v13
	v_and_b32_e32 v15, 0x80000000, v15
	v_lshl_add_u32 v14, v14, 23, v16
	v_or3_b32 v13, v15, v14, v13
.LBB1_8072:
	s_or_b64 exec, exec, s[6:7]
	flat_load_dwordx4 a[0:3], v[10:11] offset:112
	s_movk_i32 s4, 0x7f
                                        ; implicit-def: $sgpr10
	s_waitcnt vmcnt(0) lgkmcnt(0)
	v_mfma_f32_16x16x4f32 a[0:3], v12, v13, a[0:3]
	v_lshrrev_b32_e32 v13, 8, v6
	v_cmp_gt_i16_sdwa s[6:7], v13, s4 src0_sel:BYTE_0 src1_sel:DWORD
	s_mov_b64 s[4:5], 0
	s_and_saveexec_b64 s[8:9], s[6:7]
	s_xor_b64 s[6:7], exec, s[8:9]
	s_cbranch_execz .LBB1_8073
; %bb.43913:
	s_getpc_b64 s[14:15]
.Lpost_getpc7620:
	s_add_u32 s14, s14, (.LBB1_22409-.Lpost_getpc7620)&4294967295
	s_addc_u32 s15, s15, (.LBB1_22409-.Lpost_getpc7620)>>32
	s_setpc_b64 s[14:15]
.LBB1_8073:
	s_or_saveexec_b64 s[6:7], s[6:7]
	v_mov_b32_e32 v12, s10
	s_xor_b64 exec, exec, s[6:7]
	s_cbranch_execz .LBB1_8074
; %bb.43915:
	s_getpc_b64 s[14:15]
.Lpost_getpc7621:
	s_add_u32 s14, s14, (.LBB1_22412-.Lpost_getpc7621)&4294967295
	s_addc_u32 s15, s15, (.LBB1_22412-.Lpost_getpc7621)>>32
	s_setpc_b64 s[14:15]
.LBB1_8074:
	s_or_b64 exec, exec, s[6:7]
	s_and_saveexec_b64 s[6:7], s[4:5]
	s_cbranch_execz .LBB1_8076
.LBB1_8075:
	v_bfe_u32 v12, v6, 8, 3
	v_ffbh_u32_e32 v15, v12
	v_min_u32_e32 v15, 32, v15
	v_lshrrev_b16_e32 v14, 3, v13
	v_subrev_u32_e32 v16, 28, v15
	v_and_b32_e32 v14, 15, v14
	v_lshlrev_b32_e32 v13, v16, v13
	v_sub_u32_e32 v15, 29, v15
	v_and_b32_e32 v13, 7, v13
	v_cmp_eq_u16_e32 vcc, 0, v14
	v_cndmask_b32_e32 v12, v12, v13, vcc
	v_cndmask_b32_e32 v13, v14, v15, vcc
	v_lshlrev_b32_e32 v14, 16, v6
	v_mov_b32_e32 v15, 0x3b800000
	v_lshlrev_b32_e32 v12, 20, v12
	v_and_b32_e32 v14, 0x80000000, v14
	v_lshl_add_u32 v13, v13, 23, v15
	v_or3_b32 v12, v14, v13, v12
.LBB1_8076:
	s_or_b64 exec, exec, s[6:7]
	v_lshrrev_b32_e32 v13, 8, v2
	s_movk_i32 s4, 0x7f
	v_cmp_gt_i16_sdwa s[6:7], v13, s4 src0_sel:BYTE_0 src1_sel:DWORD
	s_mov_b64 s[4:5], 0
                                        ; implicit-def: $sgpr10
	s_and_saveexec_b64 s[8:9], s[6:7]
	s_xor_b64 s[6:7], exec, s[8:9]
	s_cbranch_execz .LBB1_8077
; %bb.43917:
	s_getpc_b64 s[14:15]
.Lpost_getpc7622:
	s_add_u32 s14, s14, (.LBB1_22413-.Lpost_getpc7622)&4294967295
	s_addc_u32 s15, s15, (.LBB1_22413-.Lpost_getpc7622)>>32
	s_setpc_b64 s[14:15]
.LBB1_8077:
	s_or_saveexec_b64 s[6:7], s[6:7]
	v_mov_b32_e32 v14, s10
	s_xor_b64 exec, exec, s[6:7]
	s_cbranch_execz .LBB1_8078
; %bb.43919:
	s_getpc_b64 s[14:15]
.Lpost_getpc7623:
	s_add_u32 s14, s14, (.LBB1_22416-.Lpost_getpc7623)&4294967295
	s_addc_u32 s15, s15, (.LBB1_22416-.Lpost_getpc7623)>>32
	s_setpc_b64 s[14:15]
.LBB1_8078:
	s_or_b64 exec, exec, s[6:7]
	s_and_saveexec_b64 s[6:7], s[4:5]
	s_cbranch_execz .LBB1_8080
.LBB1_8079:
	v_bfe_u32 v14, v2, 8, 3
	v_ffbh_u32_e32 v16, v14
	v_min_u32_e32 v16, 32, v16
	v_lshrrev_b16_e32 v15, 3, v13
	v_subrev_u32_e32 v17, 28, v16
	v_and_b32_e32 v15, 15, v15
	v_lshlrev_b32_e32 v13, v17, v13
	v_sub_u32_e32 v16, 29, v16
	v_and_b32_e32 v13, 7, v13
	v_cmp_eq_u16_e32 vcc, 0, v15
	v_cndmask_b32_e32 v13, v14, v13, vcc
	v_cndmask_b32_e32 v14, v15, v16, vcc
	v_lshlrev_b32_e32 v15, 16, v2
	v_mov_b32_e32 v16, 0x3b800000
	v_lshlrev_b32_e32 v13, 20, v13
	v_and_b32_e32 v15, 0x80000000, v15
	v_lshl_add_u32 v14, v14, 23, v16
	v_or3_b32 v14, v15, v14, v13
.LBB1_8080:
	s_or_b64 exec, exec, s[6:7]
	s_nop 0
	v_mfma_f32_16x16x4f32 a[0:3], v12, v14, a[0:3]
	s_movk_i32 s4, 0xff
	v_and_b32_sdwa v13, v6, s4 dst_sel:DWORD dst_unused:UNUSED_PAD src0_sel:WORD_1 src1_sel:DWORD
	s_movk_i32 s4, 0x7f
	v_cmp_lt_i16_e32 vcc, s4, v13
	s_mov_b64 s[4:5], 0
                                        ; implicit-def: $sgpr10
	s_and_saveexec_b64 s[6:7], vcc
	s_xor_b64 s[6:7], exec, s[6:7]
	s_cbranch_execz .LBB1_8081
; %bb.43921:
	s_getpc_b64 s[14:15]
.Lpost_getpc7624:
	s_add_u32 s14, s14, (.LBB1_22417-.Lpost_getpc7624)&4294967295
	s_addc_u32 s15, s15, (.LBB1_22417-.Lpost_getpc7624)>>32
	s_setpc_b64 s[14:15]
.LBB1_8081:
	s_or_saveexec_b64 s[6:7], s[6:7]
	v_mov_b32_e32 v12, s10
	s_xor_b64 exec, exec, s[6:7]
	s_cbranch_execz .LBB1_8082
; %bb.43923:
	s_getpc_b64 s[14:15]
.Lpost_getpc7625:
	s_add_u32 s14, s14, (.LBB1_22420-.Lpost_getpc7625)&4294967295
	s_addc_u32 s15, s15, (.LBB1_22420-.Lpost_getpc7625)>>32
	s_setpc_b64 s[14:15]
.LBB1_8082:
	s_or_b64 exec, exec, s[6:7]
	s_and_saveexec_b64 s[6:7], s[4:5]
	s_cbranch_execz .LBB1_8084
.LBB1_8083:
	v_bfe_u32 v12, v6, 16, 3
	v_ffbh_u32_e32 v15, v12
	v_min_u32_e32 v15, 32, v15
	v_lshrrev_b32_e32 v13, 19, v6
	v_subrev_u32_e32 v16, 28, v15
	v_and_b32_e32 v13, 15, v13
	v_lshlrev_b32_sdwa v16, v16, v6 dst_sel:DWORD dst_unused:UNUSED_PAD src0_sel:DWORD src1_sel:WORD_1
	v_bfe_u32 v14, v6, 19, 4
	v_sub_u32_e32 v15, 29, v15
	v_and_b32_e32 v16, 7, v16
	v_cmp_eq_u16_e32 vcc, 0, v13
	v_cndmask_b32_e32 v12, v12, v16, vcc
	v_cndmask_b32_e32 v13, v14, v15, vcc
	v_lshlrev_b32_e32 v14, 8, v6
	v_mov_b32_e32 v15, 0x3b800000
	v_lshlrev_b32_e32 v12, 20, v12
	v_and_b32_e32 v14, 0x80000000, v14
	v_lshl_add_u32 v13, v13, 23, v15
	v_or3_b32 v12, v14, v13, v12
.LBB1_8084:
	s_or_b64 exec, exec, s[6:7]
	s_movk_i32 s4, 0xff
	v_and_b32_sdwa v13, v2, s4 dst_sel:DWORD dst_unused:UNUSED_PAD src0_sel:WORD_1 src1_sel:DWORD
	s_movk_i32 s4, 0x7f
	v_cmp_lt_i16_e32 vcc, s4, v13
	s_mov_b64 s[4:5], 0
                                        ; implicit-def: $sgpr10
	s_and_saveexec_b64 s[6:7], vcc
	s_xor_b64 s[6:7], exec, s[6:7]
	s_cbranch_execz .LBB1_8085
; %bb.43925:
	s_getpc_b64 s[14:15]
.Lpost_getpc7626:
	s_add_u32 s14, s14, (.LBB1_22421-.Lpost_getpc7626)&4294967295
	s_addc_u32 s15, s15, (.LBB1_22421-.Lpost_getpc7626)>>32
	s_setpc_b64 s[14:15]
.LBB1_8085:
	s_or_saveexec_b64 s[6:7], s[6:7]
	v_mov_b32_e32 v14, s10
	s_xor_b64 exec, exec, s[6:7]
	s_cbranch_execz .LBB1_8086
; %bb.43927:
	s_getpc_b64 s[14:15]
.Lpost_getpc7627:
	s_add_u32 s14, s14, (.LBB1_22424-.Lpost_getpc7627)&4294967295
	s_addc_u32 s15, s15, (.LBB1_22424-.Lpost_getpc7627)>>32
	s_setpc_b64 s[14:15]
.LBB1_8086:
	s_or_b64 exec, exec, s[6:7]
	s_and_saveexec_b64 s[6:7], s[4:5]
	s_cbranch_execz .LBB1_8088
.LBB1_8087:
	v_bfe_u32 v13, v2, 16, 3
	v_ffbh_u32_e32 v16, v13
	v_min_u32_e32 v16, 32, v16
	v_lshrrev_b32_e32 v14, 19, v2
	v_subrev_u32_e32 v17, 28, v16
	v_and_b32_e32 v14, 15, v14
	v_lshlrev_b32_sdwa v17, v17, v2 dst_sel:DWORD dst_unused:UNUSED_PAD src0_sel:DWORD src1_sel:WORD_1
	v_bfe_u32 v15, v2, 19, 4
	v_sub_u32_e32 v16, 29, v16
	v_and_b32_e32 v17, 7, v17
	v_cmp_eq_u16_e32 vcc, 0, v14
	v_cndmask_b32_e32 v13, v13, v17, vcc
	v_cndmask_b32_e32 v14, v15, v16, vcc
	v_lshlrev_b32_e32 v15, 8, v2
	v_mov_b32_e32 v16, 0x3b800000
	v_lshlrev_b32_e32 v13, 20, v13
	v_and_b32_e32 v15, 0x80000000, v15
	v_lshl_add_u32 v14, v14, 23, v16
	v_or3_b32 v14, v15, v14, v13
.LBB1_8088:
	s_or_b64 exec, exec, s[6:7]
	s_nop 0
	v_mfma_f32_16x16x4f32 a[0:3], v12, v14, a[0:3]
	s_movk_i32 s4, 0x7f
	v_cmp_gt_i16_sdwa s[6:7], v6, s4 src0_sel:BYTE_3 src1_sel:DWORD
	s_mov_b64 s[4:5], 0
                                        ; implicit-def: $sgpr10
	s_and_saveexec_b64 s[8:9], s[6:7]
	s_xor_b64 s[6:7], exec, s[8:9]
	s_cbranch_execz .LBB1_8089
; %bb.43929:
	s_getpc_b64 s[14:15]
.Lpost_getpc7628:
	s_add_u32 s14, s14, (.LBB1_22425-.Lpost_getpc7628)&4294967295
	s_addc_u32 s15, s15, (.LBB1_22425-.Lpost_getpc7628)>>32
	s_setpc_b64 s[14:15]
.LBB1_8089:
	s_or_saveexec_b64 s[6:7], s[6:7]
	v_mov_b32_e32 v12, s10
	s_xor_b64 exec, exec, s[6:7]
	s_cbranch_execz .LBB1_8090
; %bb.43931:
	s_getpc_b64 s[14:15]
.Lpost_getpc7629:
	s_add_u32 s14, s14, (.LBB1_22428-.Lpost_getpc7629)&4294967295
	s_addc_u32 s15, s15, (.LBB1_22428-.Lpost_getpc7629)>>32
	s_setpc_b64 s[14:15]
.LBB1_8090:
	s_or_b64 exec, exec, s[6:7]
	s_and_saveexec_b64 s[6:7], s[4:5]
	s_cbranch_execz .LBB1_8092
.LBB1_8091:
	v_bfe_u32 v12, v6, 24, 3
	v_ffbh_u32_e32 v16, v12
	v_min_u32_e32 v16, 32, v16
	v_lshrrev_b32_e32 v14, 27, v6
	v_subrev_u32_e32 v17, 28, v16
	v_and_b32_e32 v13, 0x80000000, v6
	v_and_b32_e32 v14, 15, v14
	v_bfe_u32 v15, v6, 27, 4
	v_lshlrev_b32_sdwa v6, v17, v6 dst_sel:DWORD dst_unused:UNUSED_PAD src0_sel:DWORD src1_sel:BYTE_3
	v_sub_u32_e32 v16, 29, v16
	v_and_b32_e32 v6, 7, v6
	v_cmp_eq_u16_e32 vcc, 0, v14
	v_cndmask_b32_e32 v6, v12, v6, vcc
	v_cndmask_b32_e32 v12, v15, v16, vcc
	v_mov_b32_e32 v14, 0x3b800000
	v_lshlrev_b32_e32 v6, 20, v6
	v_lshl_add_u32 v12, v12, 23, v14
	v_or3_b32 v12, v13, v12, v6
.LBB1_8092:
	s_or_b64 exec, exec, s[6:7]
	s_movk_i32 s4, 0x7f
	v_cmp_gt_i16_sdwa s[6:7], v2, s4 src0_sel:BYTE_3 src1_sel:DWORD
	s_mov_b64 s[4:5], 0
                                        ; implicit-def: $sgpr10
	s_and_saveexec_b64 s[8:9], s[6:7]
	s_xor_b64 s[6:7], exec, s[8:9]
	s_cbranch_execz .LBB1_8093
; %bb.43933:
	s_getpc_b64 s[14:15]
.Lpost_getpc7630:
	s_add_u32 s14, s14, (.LBB1_22429-.Lpost_getpc7630)&4294967295
	s_addc_u32 s15, s15, (.LBB1_22429-.Lpost_getpc7630)>>32
	s_setpc_b64 s[14:15]
.LBB1_8093:
	s_or_saveexec_b64 s[6:7], s[6:7]
	v_mov_b32_e32 v6, s10
	s_xor_b64 exec, exec, s[6:7]
	s_cbranch_execz .LBB1_8094
; %bb.43935:
	s_getpc_b64 s[14:15]
.Lpost_getpc7631:
	s_add_u32 s14, s14, (.LBB1_22432-.Lpost_getpc7631)&4294967295
	s_addc_u32 s15, s15, (.LBB1_22432-.Lpost_getpc7631)>>32
	s_setpc_b64 s[14:15]
.LBB1_8094:
	s_or_b64 exec, exec, s[6:7]
	s_and_saveexec_b64 s[6:7], s[4:5]
	s_cbranch_execz .LBB1_8096
.LBB1_8095:
	v_bfe_u32 v6, v2, 24, 3
	v_ffbh_u32_e32 v16, v6
	v_min_u32_e32 v16, 32, v16
	v_lshrrev_b32_e32 v14, 27, v2
	v_subrev_u32_e32 v17, 28, v16
	v_and_b32_e32 v13, 0x80000000, v2
	v_and_b32_e32 v14, 15, v14
	v_bfe_u32 v15, v2, 27, 4
	v_lshlrev_b32_sdwa v2, v17, v2 dst_sel:DWORD dst_unused:UNUSED_PAD src0_sel:DWORD src1_sel:BYTE_3
	v_sub_u32_e32 v16, 29, v16
	v_and_b32_e32 v2, 7, v2
	v_cmp_eq_u16_e32 vcc, 0, v14
	v_cndmask_b32_e32 v2, v6, v2, vcc
	v_cndmask_b32_e32 v6, v15, v16, vcc
	v_mov_b32_e32 v14, 0x3b800000
	v_lshlrev_b32_e32 v2, 20, v2
	v_lshl_add_u32 v6, v6, 23, v14
	v_or3_b32 v6, v13, v6, v2
.LBB1_8096:
	s_or_b64 exec, exec, s[6:7]
	s_nop 0
	v_mfma_f32_16x16x4f32 a[0:3], v12, v6, a[0:3]
	s_movk_i32 s4, 0x7f
	v_cmp_gt_i16_sdwa s[6:7], v7, s4 src0_sel:BYTE_0 src1_sel:DWORD
	s_mov_b64 s[4:5], 0
                                        ; implicit-def: $sgpr10
	s_and_saveexec_b64 s[8:9], s[6:7]
	s_xor_b64 s[6:7], exec, s[8:9]
	s_cbranch_execz .LBB1_8097
; %bb.43937:
	s_getpc_b64 s[14:15]
.Lpost_getpc7632:
	s_add_u32 s14, s14, (.LBB1_22433-.Lpost_getpc7632)&4294967295
	s_addc_u32 s15, s15, (.LBB1_22433-.Lpost_getpc7632)>>32
	s_setpc_b64 s[14:15]
.LBB1_8097:
	s_or_saveexec_b64 s[6:7], s[6:7]
	v_mov_b32_e32 v2, s10
	s_xor_b64 exec, exec, s[6:7]
	s_cbranch_execz .LBB1_8098
; %bb.43939:
	s_getpc_b64 s[14:15]
.Lpost_getpc7633:
	s_add_u32 s14, s14, (.LBB1_22436-.Lpost_getpc7633)&4294967295
	s_addc_u32 s15, s15, (.LBB1_22436-.Lpost_getpc7633)>>32
	s_setpc_b64 s[14:15]
.LBB1_8098:
	s_or_b64 exec, exec, s[6:7]
	s_and_saveexec_b64 s[6:7], s[4:5]
	s_cbranch_execz .LBB1_8100
.LBB1_8099:
	v_and_b32_e32 v2, 7, v7
	v_ffbh_u32_e32 v12, v2
	v_min_u32_e32 v12, 32, v12
	v_lshrrev_b16_e32 v6, 3, v7
	v_subrev_u32_e32 v13, 28, v12
	v_and_b32_e32 v6, 15, v6
	v_lshlrev_b32_e32 v13, v13, v7
	v_sub_u32_e32 v12, 29, v12
	v_and_b32_e32 v13, 7, v13
	v_cmp_eq_u16_e32 vcc, 0, v6
	v_cndmask_b32_e32 v2, v2, v13, vcc
	v_cndmask_b32_e32 v6, v6, v12, vcc
	v_lshlrev_b32_e32 v12, 24, v7
	v_mov_b32_e32 v13, 0x3b800000
	v_lshlrev_b32_e32 v2, 20, v2
	v_and_b32_e32 v12, 0x80000000, v12
	v_lshl_add_u32 v6, v6, 23, v13
	v_or3_b32 v2, v12, v6, v2
.LBB1_8100:
	s_or_b64 exec, exec, s[6:7]
	s_movk_i32 s4, 0x7f
	v_cmp_gt_i16_sdwa s[6:7], v3, s4 src0_sel:BYTE_0 src1_sel:DWORD
	s_mov_b64 s[4:5], 0
                                        ; implicit-def: $sgpr10
	s_and_saveexec_b64 s[8:9], s[6:7]
	s_xor_b64 s[6:7], exec, s[8:9]
	s_cbranch_execz .LBB1_8101
; %bb.43941:
	s_getpc_b64 s[14:15]
.Lpost_getpc7634:
	s_add_u32 s14, s14, (.LBB1_22437-.Lpost_getpc7634)&4294967295
	s_addc_u32 s15, s15, (.LBB1_22437-.Lpost_getpc7634)>>32
	s_setpc_b64 s[14:15]
.LBB1_8101:
	s_or_saveexec_b64 s[6:7], s[6:7]
	v_mov_b32_e32 v6, s10
	s_xor_b64 exec, exec, s[6:7]
	s_cbranch_execz .LBB1_8102
; %bb.43943:
	s_getpc_b64 s[14:15]
.Lpost_getpc7635:
	s_add_u32 s14, s14, (.LBB1_22440-.Lpost_getpc7635)&4294967295
	s_addc_u32 s15, s15, (.LBB1_22440-.Lpost_getpc7635)>>32
	s_setpc_b64 s[14:15]
.LBB1_8102:
	s_or_b64 exec, exec, s[6:7]
	s_and_saveexec_b64 s[6:7], s[4:5]
	s_cbranch_execz .LBB1_8104
.LBB1_8103:
	v_and_b32_e32 v6, 7, v3
	v_ffbh_u32_e32 v13, v6
	v_min_u32_e32 v13, 32, v13
	v_lshrrev_b16_e32 v12, 3, v3
	v_subrev_u32_e32 v14, 28, v13
	v_and_b32_e32 v12, 15, v12
	v_lshlrev_b32_e32 v14, v14, v3
	v_sub_u32_e32 v13, 29, v13
	v_and_b32_e32 v14, 7, v14
	v_cmp_eq_u16_e32 vcc, 0, v12
	v_cndmask_b32_e32 v6, v6, v14, vcc
	v_cndmask_b32_e32 v12, v12, v13, vcc
	v_lshlrev_b32_e32 v13, 24, v3
	v_mov_b32_e32 v14, 0x3b800000
	v_lshlrev_b32_e32 v6, 20, v6
	v_and_b32_e32 v13, 0x80000000, v13
	v_lshl_add_u32 v12, v12, 23, v14
	v_or3_b32 v6, v13, v12, v6
.LBB1_8104:
	s_or_b64 exec, exec, s[6:7]
	s_nop 0
	v_mfma_f32_16x16x4f32 a[0:3], v2, v6, a[0:3]
	v_lshrrev_b32_e32 v6, 8, v7
	s_movk_i32 s4, 0x7f
	v_cmp_gt_i16_sdwa s[6:7], v6, s4 src0_sel:BYTE_0 src1_sel:DWORD
	s_mov_b64 s[4:5], 0
                                        ; implicit-def: $sgpr10
	s_and_saveexec_b64 s[8:9], s[6:7]
	s_xor_b64 s[6:7], exec, s[8:9]
	s_cbranch_execz .LBB1_8105
; %bb.43945:
	s_getpc_b64 s[14:15]
.Lpost_getpc7636:
	s_add_u32 s14, s14, (.LBB1_22441-.Lpost_getpc7636)&4294967295
	s_addc_u32 s15, s15, (.LBB1_22441-.Lpost_getpc7636)>>32
	s_setpc_b64 s[14:15]
.LBB1_8105:
	s_or_saveexec_b64 s[6:7], s[6:7]
	v_mov_b32_e32 v2, s10
	s_xor_b64 exec, exec, s[6:7]
	s_cbranch_execz .LBB1_8106
; %bb.43947:
	s_getpc_b64 s[14:15]
.Lpost_getpc7637:
	s_add_u32 s14, s14, (.LBB1_22444-.Lpost_getpc7637)&4294967295
	s_addc_u32 s15, s15, (.LBB1_22444-.Lpost_getpc7637)>>32
	s_setpc_b64 s[14:15]
.LBB1_8106:
	s_or_b64 exec, exec, s[6:7]
	s_and_saveexec_b64 s[6:7], s[4:5]
	s_cbranch_execz .LBB1_8108
.LBB1_8107:
	v_bfe_u32 v2, v7, 8, 3
	v_ffbh_u32_e32 v13, v2
	v_min_u32_e32 v13, 32, v13
	v_lshrrev_b16_e32 v12, 3, v6
	v_subrev_u32_e32 v14, 28, v13
	v_and_b32_e32 v12, 15, v12
	v_lshlrev_b32_e32 v6, v14, v6
	v_sub_u32_e32 v13, 29, v13
	v_and_b32_e32 v6, 7, v6
	v_cmp_eq_u16_e32 vcc, 0, v12
	v_cndmask_b32_e32 v2, v2, v6, vcc
	v_cndmask_b32_e32 v6, v12, v13, vcc
	v_lshlrev_b32_e32 v12, 16, v7
	v_mov_b32_e32 v13, 0x3b800000
	v_lshlrev_b32_e32 v2, 20, v2
	v_and_b32_e32 v12, 0x80000000, v12
	v_lshl_add_u32 v6, v6, 23, v13
	v_or3_b32 v2, v12, v6, v2
.LBB1_8108:
	s_or_b64 exec, exec, s[6:7]
	v_lshrrev_b32_e32 v6, 8, v3
	s_movk_i32 s4, 0x7f
	v_cmp_gt_i16_sdwa s[6:7], v6, s4 src0_sel:BYTE_0 src1_sel:DWORD
	s_mov_b64 s[4:5], 0
                                        ; implicit-def: $sgpr10
	s_and_saveexec_b64 s[8:9], s[6:7]
	s_xor_b64 s[6:7], exec, s[8:9]
	s_cbranch_execz .LBB1_8109
; %bb.43949:
	s_getpc_b64 s[14:15]
.Lpost_getpc7638:
	s_add_u32 s14, s14, (.LBB1_22445-.Lpost_getpc7638)&4294967295
	s_addc_u32 s15, s15, (.LBB1_22445-.Lpost_getpc7638)>>32
	s_setpc_b64 s[14:15]
.LBB1_8109:
	s_or_saveexec_b64 s[6:7], s[6:7]
	v_mov_b32_e32 v12, s10
	s_xor_b64 exec, exec, s[6:7]
	s_cbranch_execz .LBB1_8110
; %bb.43951:
	s_getpc_b64 s[14:15]
.Lpost_getpc7639:
	s_add_u32 s14, s14, (.LBB1_22448-.Lpost_getpc7639)&4294967295
	s_addc_u32 s15, s15, (.LBB1_22448-.Lpost_getpc7639)>>32
	s_setpc_b64 s[14:15]
.LBB1_8110:
	s_or_b64 exec, exec, s[6:7]
	s_and_saveexec_b64 s[6:7], s[4:5]
	s_cbranch_execz .LBB1_8112
.LBB1_8111:
	v_bfe_u32 v12, v3, 8, 3
	v_ffbh_u32_e32 v14, v12
	v_min_u32_e32 v14, 32, v14
	v_lshrrev_b16_e32 v13, 3, v6
	v_subrev_u32_e32 v15, 28, v14
	v_and_b32_e32 v13, 15, v13
	v_lshlrev_b32_e32 v6, v15, v6
	v_sub_u32_e32 v14, 29, v14
	v_and_b32_e32 v6, 7, v6
	v_cmp_eq_u16_e32 vcc, 0, v13
	v_cndmask_b32_e32 v6, v12, v6, vcc
	v_cndmask_b32_e32 v12, v13, v14, vcc
	v_lshlrev_b32_e32 v13, 16, v3
	v_mov_b32_e32 v14, 0x3b800000
	v_lshlrev_b32_e32 v6, 20, v6
	v_and_b32_e32 v13, 0x80000000, v13
	v_lshl_add_u32 v12, v12, 23, v14
	v_or3_b32 v12, v13, v12, v6
.LBB1_8112:
	s_or_b64 exec, exec, s[6:7]
	s_nop 0
	v_mfma_f32_16x16x4f32 a[0:3], v2, v12, a[0:3]
	s_movk_i32 s4, 0xff
	v_and_b32_sdwa v6, v7, s4 dst_sel:DWORD dst_unused:UNUSED_PAD src0_sel:WORD_1 src1_sel:DWORD
	s_movk_i32 s4, 0x7f
	v_cmp_lt_i16_e32 vcc, s4, v6
	s_mov_b64 s[4:5], 0
                                        ; implicit-def: $sgpr10
	s_and_saveexec_b64 s[6:7], vcc
	s_xor_b64 s[6:7], exec, s[6:7]
	s_cbranch_execz .LBB1_8113
; %bb.43953:
	s_getpc_b64 s[14:15]
.Lpost_getpc7640:
	s_add_u32 s14, s14, (.LBB1_22449-.Lpost_getpc7640)&4294967295
	s_addc_u32 s15, s15, (.LBB1_22449-.Lpost_getpc7640)>>32
	s_setpc_b64 s[14:15]
.LBB1_8113:
	s_or_saveexec_b64 s[6:7], s[6:7]
	v_mov_b32_e32 v2, s10
	s_xor_b64 exec, exec, s[6:7]
	s_cbranch_execz .LBB1_8114
; %bb.43955:
	s_getpc_b64 s[14:15]
.Lpost_getpc7641:
	s_add_u32 s14, s14, (.LBB1_22452-.Lpost_getpc7641)&4294967295
	s_addc_u32 s15, s15, (.LBB1_22452-.Lpost_getpc7641)>>32
	s_setpc_b64 s[14:15]
.LBB1_8114:
	s_or_b64 exec, exec, s[6:7]
	s_and_saveexec_b64 s[6:7], s[4:5]
	s_cbranch_execz .LBB1_8116
.LBB1_8115:
	v_bfe_u32 v2, v7, 16, 3
	v_ffbh_u32_e32 v13, v2
	v_min_u32_e32 v13, 32, v13
	v_lshrrev_b32_e32 v6, 19, v7
	v_subrev_u32_e32 v14, 28, v13
	v_and_b32_e32 v6, 15, v6
	v_lshlrev_b32_sdwa v14, v14, v7 dst_sel:DWORD dst_unused:UNUSED_PAD src0_sel:DWORD src1_sel:WORD_1
	v_bfe_u32 v12, v7, 19, 4
	v_sub_u32_e32 v13, 29, v13
	v_and_b32_e32 v14, 7, v14
	v_cmp_eq_u16_e32 vcc, 0, v6
	v_cndmask_b32_e32 v2, v2, v14, vcc
	v_cndmask_b32_e32 v6, v12, v13, vcc
	v_lshlrev_b32_e32 v12, 8, v7
	v_mov_b32_e32 v13, 0x3b800000
	v_lshlrev_b32_e32 v2, 20, v2
	v_and_b32_e32 v12, 0x80000000, v12
	v_lshl_add_u32 v6, v6, 23, v13
	v_or3_b32 v2, v12, v6, v2
.LBB1_8116:
	s_or_b64 exec, exec, s[6:7]
	s_movk_i32 s4, 0xff
	v_and_b32_sdwa v6, v3, s4 dst_sel:DWORD dst_unused:UNUSED_PAD src0_sel:WORD_1 src1_sel:DWORD
	s_movk_i32 s4, 0x7f
	v_cmp_lt_i16_e32 vcc, s4, v6
	s_mov_b64 s[4:5], 0
                                        ; implicit-def: $sgpr10
	s_and_saveexec_b64 s[6:7], vcc
	s_xor_b64 s[6:7], exec, s[6:7]
	s_cbranch_execz .LBB1_8117
; %bb.43957:
	s_getpc_b64 s[14:15]
.Lpost_getpc7642:
	s_add_u32 s14, s14, (.LBB1_22453-.Lpost_getpc7642)&4294967295
	s_addc_u32 s15, s15, (.LBB1_22453-.Lpost_getpc7642)>>32
	s_setpc_b64 s[14:15]
.LBB1_8117:
	s_or_saveexec_b64 s[6:7], s[6:7]
	v_mov_b32_e32 v12, s10
	s_xor_b64 exec, exec, s[6:7]
	s_cbranch_execz .LBB1_8118
; %bb.43959:
	s_getpc_b64 s[14:15]
.Lpost_getpc7643:
	s_add_u32 s14, s14, (.LBB1_22456-.Lpost_getpc7643)&4294967295
	s_addc_u32 s15, s15, (.LBB1_22456-.Lpost_getpc7643)>>32
	s_setpc_b64 s[14:15]
.LBB1_8118:
	s_or_b64 exec, exec, s[6:7]
	s_and_saveexec_b64 s[6:7], s[4:5]
	s_cbranch_execz .LBB1_8120
.LBB1_8119:
	v_bfe_u32 v6, v3, 16, 3
	v_ffbh_u32_e32 v14, v6
	v_min_u32_e32 v14, 32, v14
	v_lshrrev_b32_e32 v12, 19, v3
	v_subrev_u32_e32 v15, 28, v14
	v_and_b32_e32 v12, 15, v12
	v_lshlrev_b32_sdwa v15, v15, v3 dst_sel:DWORD dst_unused:UNUSED_PAD src0_sel:DWORD src1_sel:WORD_1
	v_bfe_u32 v13, v3, 19, 4
	v_sub_u32_e32 v14, 29, v14
	v_and_b32_e32 v15, 7, v15
	v_cmp_eq_u16_e32 vcc, 0, v12
	v_cndmask_b32_e32 v6, v6, v15, vcc
	v_cndmask_b32_e32 v12, v13, v14, vcc
	v_lshlrev_b32_e32 v13, 8, v3
	v_mov_b32_e32 v14, 0x3b800000
	v_lshlrev_b32_e32 v6, 20, v6
	v_and_b32_e32 v13, 0x80000000, v13
	v_lshl_add_u32 v12, v12, 23, v14
	v_or3_b32 v12, v13, v12, v6
.LBB1_8120:
	s_or_b64 exec, exec, s[6:7]
	s_nop 0
	v_mfma_f32_16x16x4f32 a[0:3], v2, v12, a[0:3]
	s_movk_i32 s4, 0x7f
	v_cmp_gt_i16_sdwa s[6:7], v7, s4 src0_sel:BYTE_3 src1_sel:DWORD
	s_mov_b64 s[4:5], 0
                                        ; implicit-def: $sgpr10
	s_and_saveexec_b64 s[8:9], s[6:7]
	s_xor_b64 s[6:7], exec, s[8:9]
	s_cbranch_execz .LBB1_8121
; %bb.43961:
	s_getpc_b64 s[14:15]
.Lpost_getpc7644:
	s_add_u32 s14, s14, (.LBB1_22457-.Lpost_getpc7644)&4294967295
	s_addc_u32 s15, s15, (.LBB1_22457-.Lpost_getpc7644)>>32
	s_setpc_b64 s[14:15]
.LBB1_8121:
	s_or_saveexec_b64 s[6:7], s[6:7]
	v_mov_b32_e32 v2, s10
	s_xor_b64 exec, exec, s[6:7]
	s_cbranch_execz .LBB1_8122
; %bb.43963:
	s_getpc_b64 s[14:15]
.Lpost_getpc7645:
	s_add_u32 s14, s14, (.LBB1_22460-.Lpost_getpc7645)&4294967295
	s_addc_u32 s15, s15, (.LBB1_22460-.Lpost_getpc7645)>>32
	s_setpc_b64 s[14:15]
.LBB1_8122:
	s_or_b64 exec, exec, s[6:7]
	s_and_saveexec_b64 s[6:7], s[4:5]
	s_cbranch_execz .LBB1_8124
.LBB1_8123:
	v_bfe_u32 v2, v7, 24, 3
	v_ffbh_u32_e32 v14, v2
	v_min_u32_e32 v14, 32, v14
	v_lshrrev_b32_e32 v12, 27, v7
	v_subrev_u32_e32 v15, 28, v14
	v_and_b32_e32 v6, 0x80000000, v7
	v_and_b32_e32 v12, 15, v12
	v_bfe_u32 v13, v7, 27, 4
	v_lshlrev_b32_sdwa v7, v15, v7 dst_sel:DWORD dst_unused:UNUSED_PAD src0_sel:DWORD src1_sel:BYTE_3
	v_sub_u32_e32 v14, 29, v14
	v_and_b32_e32 v7, 7, v7
	v_cmp_eq_u16_e32 vcc, 0, v12
	v_cndmask_b32_e32 v2, v2, v7, vcc
	v_cndmask_b32_e32 v7, v13, v14, vcc
	v_mov_b32_e32 v12, 0x3b800000
	v_lshlrev_b32_e32 v2, 20, v2
	v_lshl_add_u32 v7, v7, 23, v12
	v_or3_b32 v2, v6, v7, v2
.LBB1_8124:
	s_or_b64 exec, exec, s[6:7]
	s_movk_i32 s4, 0x7f
	v_cmp_gt_i16_sdwa s[6:7], v3, s4 src0_sel:BYTE_3 src1_sel:DWORD
	s_mov_b64 s[4:5], 0
                                        ; implicit-def: $sgpr10
	s_and_saveexec_b64 s[8:9], s[6:7]
	s_xor_b64 s[6:7], exec, s[8:9]
	s_cbranch_execz .LBB1_8125
; %bb.43965:
	s_getpc_b64 s[14:15]
.Lpost_getpc7646:
	s_add_u32 s14, s14, (.LBB1_22461-.Lpost_getpc7646)&4294967295
	s_addc_u32 s15, s15, (.LBB1_22461-.Lpost_getpc7646)>>32
	s_setpc_b64 s[14:15]
.LBB1_8125:
	s_or_saveexec_b64 s[6:7], s[6:7]
	v_mov_b32_e32 v6, s10
	s_xor_b64 exec, exec, s[6:7]
	s_cbranch_execz .LBB1_8126
; %bb.43967:
	s_getpc_b64 s[14:15]
.Lpost_getpc7647:
	s_add_u32 s14, s14, (.LBB1_22464-.Lpost_getpc7647)&4294967295
	s_addc_u32 s15, s15, (.LBB1_22464-.Lpost_getpc7647)>>32
	s_setpc_b64 s[14:15]
.LBB1_8126:
	s_or_b64 exec, exec, s[6:7]
	s_and_saveexec_b64 s[6:7], s[4:5]
	s_cbranch_execz .LBB1_8128
.LBB1_8127:
	v_bfe_u32 v6, v3, 24, 3
	v_ffbh_u32_e32 v14, v6
	v_min_u32_e32 v14, 32, v14
	v_lshrrev_b32_e32 v12, 27, v3
	v_subrev_u32_e32 v15, 28, v14
	v_and_b32_e32 v7, 0x80000000, v3
	v_and_b32_e32 v12, 15, v12
	v_bfe_u32 v13, v3, 27, 4
	v_lshlrev_b32_sdwa v3, v15, v3 dst_sel:DWORD dst_unused:UNUSED_PAD src0_sel:DWORD src1_sel:BYTE_3
	v_sub_u32_e32 v14, 29, v14
	v_and_b32_e32 v3, 7, v3
	v_cmp_eq_u16_e32 vcc, 0, v12
	v_cndmask_b32_e32 v3, v6, v3, vcc
	v_cndmask_b32_e32 v6, v13, v14, vcc
	v_mov_b32_e32 v12, 0x3b800000
	v_lshlrev_b32_e32 v3, 20, v3
	v_lshl_add_u32 v6, v6, 23, v12
	v_or3_b32 v6, v7, v6, v3
.LBB1_8128:
	s_or_b64 exec, exec, s[6:7]
	s_nop 0
	v_mfma_f32_16x16x4f32 a[0:3], v2, v6, a[0:3]
	s_movk_i32 s4, 0x7f
	v_cmp_gt_i16_sdwa s[6:7], v8, s4 src0_sel:BYTE_0 src1_sel:DWORD
	s_mov_b64 s[4:5], 0
                                        ; implicit-def: $sgpr10
	s_and_saveexec_b64 s[8:9], s[6:7]
	s_xor_b64 s[6:7], exec, s[8:9]
	s_cbranch_execz .LBB1_8129
; %bb.43969:
	s_getpc_b64 s[14:15]
.Lpost_getpc7648:
	s_add_u32 s14, s14, (.LBB1_22465-.Lpost_getpc7648)&4294967295
	s_addc_u32 s15, s15, (.LBB1_22465-.Lpost_getpc7648)>>32
	s_setpc_b64 s[14:15]
.LBB1_8129:
	s_or_saveexec_b64 s[6:7], s[6:7]
	v_mov_b32_e32 v2, s10
	s_xor_b64 exec, exec, s[6:7]
	s_cbranch_execz .LBB1_8130
; %bb.43971:
	s_getpc_b64 s[14:15]
.Lpost_getpc7649:
	s_add_u32 s14, s14, (.LBB1_22468-.Lpost_getpc7649)&4294967295
	s_addc_u32 s15, s15, (.LBB1_22468-.Lpost_getpc7649)>>32
	s_setpc_b64 s[14:15]
.LBB1_8130:
	s_or_b64 exec, exec, s[6:7]
	s_and_saveexec_b64 s[6:7], s[4:5]
	s_cbranch_execz .LBB1_8132
.LBB1_8131:
	v_and_b32_e32 v2, 7, v8
	v_ffbh_u32_e32 v6, v2
	v_min_u32_e32 v6, 32, v6
	v_lshrrev_b16_e32 v3, 3, v8
	v_subrev_u32_e32 v7, 28, v6
	v_and_b32_e32 v3, 15, v3
	v_lshlrev_b32_e32 v7, v7, v8
	v_sub_u32_e32 v6, 29, v6
	v_and_b32_e32 v7, 7, v7
	v_cmp_eq_u16_e32 vcc, 0, v3
	v_cndmask_b32_e32 v2, v2, v7, vcc
	v_cndmask_b32_e32 v3, v3, v6, vcc
	v_lshlrev_b32_e32 v6, 24, v8
	v_mov_b32_e32 v7, 0x3b800000
	v_lshlrev_b32_e32 v2, 20, v2
	v_and_b32_e32 v6, 0x80000000, v6
	v_lshl_add_u32 v3, v3, 23, v7
	v_or3_b32 v2, v6, v3, v2
.LBB1_8132:
	s_or_b64 exec, exec, s[6:7]
	s_movk_i32 s4, 0x7f
	v_cmp_gt_i16_sdwa s[6:7], v4, s4 src0_sel:BYTE_0 src1_sel:DWORD
	s_mov_b64 s[4:5], 0
                                        ; implicit-def: $sgpr10
	s_and_saveexec_b64 s[8:9], s[6:7]
	s_xor_b64 s[6:7], exec, s[8:9]
	s_cbranch_execz .LBB1_8133
; %bb.43973:
	s_getpc_b64 s[14:15]
.Lpost_getpc7650:
	s_add_u32 s14, s14, (.LBB1_22469-.Lpost_getpc7650)&4294967295
	s_addc_u32 s15, s15, (.LBB1_22469-.Lpost_getpc7650)>>32
	s_setpc_b64 s[14:15]
.LBB1_8133:
	s_or_saveexec_b64 s[6:7], s[6:7]
	v_mov_b32_e32 v3, s10
	s_xor_b64 exec, exec, s[6:7]
	s_cbranch_execz .LBB1_8134
; %bb.43975:
	s_getpc_b64 s[14:15]
.Lpost_getpc7651:
	s_add_u32 s14, s14, (.LBB1_22472-.Lpost_getpc7651)&4294967295
	s_addc_u32 s15, s15, (.LBB1_22472-.Lpost_getpc7651)>>32
	s_setpc_b64 s[14:15]
.LBB1_8134:
	s_or_b64 exec, exec, s[6:7]
	s_and_saveexec_b64 s[6:7], s[4:5]
	s_cbranch_execz .LBB1_8136
.LBB1_8135:
	v_and_b32_e32 v3, 7, v4
	v_ffbh_u32_e32 v7, v3
	v_min_u32_e32 v7, 32, v7
	v_lshrrev_b16_e32 v6, 3, v4
	v_subrev_u32_e32 v12, 28, v7
	v_and_b32_e32 v6, 15, v6
	v_lshlrev_b32_e32 v12, v12, v4
	v_sub_u32_e32 v7, 29, v7
	v_and_b32_e32 v12, 7, v12
	v_cmp_eq_u16_e32 vcc, 0, v6
	v_cndmask_b32_e32 v3, v3, v12, vcc
	v_cndmask_b32_e32 v6, v6, v7, vcc
	v_lshlrev_b32_e32 v7, 24, v4
	v_mov_b32_e32 v12, 0x3b800000
	v_lshlrev_b32_e32 v3, 20, v3
	v_and_b32_e32 v7, 0x80000000, v7
	v_lshl_add_u32 v6, v6, 23, v12
	v_or3_b32 v3, v7, v6, v3
.LBB1_8136:
	s_or_b64 exec, exec, s[6:7]
	s_nop 0
	v_mfma_f32_16x16x4f32 a[0:3], v2, v3, a[0:3]
	v_lshrrev_b32_e32 v3, 8, v8
	s_movk_i32 s4, 0x7f
	v_cmp_gt_i16_sdwa s[6:7], v3, s4 src0_sel:BYTE_0 src1_sel:DWORD
	s_mov_b64 s[4:5], 0
                                        ; implicit-def: $sgpr10
	s_and_saveexec_b64 s[8:9], s[6:7]
	s_xor_b64 s[6:7], exec, s[8:9]
	s_cbranch_execz .LBB1_8137
; %bb.43977:
	s_getpc_b64 s[14:15]
.Lpost_getpc7652:
	s_add_u32 s14, s14, (.LBB1_22473-.Lpost_getpc7652)&4294967295
	s_addc_u32 s15, s15, (.LBB1_22473-.Lpost_getpc7652)>>32
	s_setpc_b64 s[14:15]
.LBB1_8137:
	s_or_saveexec_b64 s[6:7], s[6:7]
	v_mov_b32_e32 v2, s10
	s_xor_b64 exec, exec, s[6:7]
	s_cbranch_execz .LBB1_8138
; %bb.43979:
	s_getpc_b64 s[14:15]
.Lpost_getpc7653:
	s_add_u32 s14, s14, (.LBB1_22476-.Lpost_getpc7653)&4294967295
	s_addc_u32 s15, s15, (.LBB1_22476-.Lpost_getpc7653)>>32
	s_setpc_b64 s[14:15]
.LBB1_8138:
	s_or_b64 exec, exec, s[6:7]
	s_and_saveexec_b64 s[6:7], s[4:5]
	s_cbranch_execz .LBB1_8140
.LBB1_8139:
	v_bfe_u32 v2, v8, 8, 3
	v_ffbh_u32_e32 v7, v2
	v_min_u32_e32 v7, 32, v7
	v_lshrrev_b16_e32 v6, 3, v3
	v_subrev_u32_e32 v12, 28, v7
	v_and_b32_e32 v6, 15, v6
	v_lshlrev_b32_e32 v3, v12, v3
	v_sub_u32_e32 v7, 29, v7
	v_and_b32_e32 v3, 7, v3
	v_cmp_eq_u16_e32 vcc, 0, v6
	v_cndmask_b32_e32 v2, v2, v3, vcc
	v_cndmask_b32_e32 v3, v6, v7, vcc
	v_lshlrev_b32_e32 v6, 16, v8
	v_mov_b32_e32 v7, 0x3b800000
	v_lshlrev_b32_e32 v2, 20, v2
	v_and_b32_e32 v6, 0x80000000, v6
	v_lshl_add_u32 v3, v3, 23, v7
	v_or3_b32 v2, v6, v3, v2
.LBB1_8140:
	s_or_b64 exec, exec, s[6:7]
	v_lshrrev_b32_e32 v3, 8, v4
	s_movk_i32 s4, 0x7f
	v_cmp_gt_i16_sdwa s[6:7], v3, s4 src0_sel:BYTE_0 src1_sel:DWORD
	s_mov_b64 s[4:5], 0
                                        ; implicit-def: $sgpr10
	s_and_saveexec_b64 s[8:9], s[6:7]
	s_xor_b64 s[6:7], exec, s[8:9]
	s_cbranch_execz .LBB1_8141
; %bb.43981:
	s_getpc_b64 s[14:15]
.Lpost_getpc7654:
	s_add_u32 s14, s14, (.LBB1_22477-.Lpost_getpc7654)&4294967295
	s_addc_u32 s15, s15, (.LBB1_22477-.Lpost_getpc7654)>>32
	s_setpc_b64 s[14:15]
.LBB1_8141:
	s_or_saveexec_b64 s[6:7], s[6:7]
	v_mov_b32_e32 v6, s10
	s_xor_b64 exec, exec, s[6:7]
	s_cbranch_execz .LBB1_8142
; %bb.43983:
	s_getpc_b64 s[14:15]
.Lpost_getpc7655:
	s_add_u32 s14, s14, (.LBB1_22480-.Lpost_getpc7655)&4294967295
	s_addc_u32 s15, s15, (.LBB1_22480-.Lpost_getpc7655)>>32
	s_setpc_b64 s[14:15]
.LBB1_8142:
	s_or_b64 exec, exec, s[6:7]
	s_and_saveexec_b64 s[6:7], s[4:5]
	s_cbranch_execz .LBB1_8144
.LBB1_8143:
	v_bfe_u32 v6, v4, 8, 3
	v_ffbh_u32_e32 v12, v6
	v_min_u32_e32 v12, 32, v12
	v_lshrrev_b16_e32 v7, 3, v3
	v_subrev_u32_e32 v13, 28, v12
	v_and_b32_e32 v7, 15, v7
	v_lshlrev_b32_e32 v3, v13, v3
	v_sub_u32_e32 v12, 29, v12
	v_and_b32_e32 v3, 7, v3
	v_cmp_eq_u16_e32 vcc, 0, v7
	v_cndmask_b32_e32 v3, v6, v3, vcc
	v_cndmask_b32_e32 v6, v7, v12, vcc
	v_lshlrev_b32_e32 v7, 16, v4
	v_mov_b32_e32 v12, 0x3b800000
	v_lshlrev_b32_e32 v3, 20, v3
	v_and_b32_e32 v7, 0x80000000, v7
	v_lshl_add_u32 v6, v6, 23, v12
	v_or3_b32 v6, v7, v6, v3
.LBB1_8144:
	s_or_b64 exec, exec, s[6:7]
	s_nop 0
	v_mfma_f32_16x16x4f32 a[0:3], v2, v6, a[0:3]
	s_movk_i32 s4, 0xff
	v_and_b32_sdwa v3, v8, s4 dst_sel:DWORD dst_unused:UNUSED_PAD src0_sel:WORD_1 src1_sel:DWORD
	s_movk_i32 s4, 0x7f
	v_cmp_lt_i16_e32 vcc, s4, v3
	s_mov_b64 s[4:5], 0
                                        ; implicit-def: $sgpr10
	s_and_saveexec_b64 s[6:7], vcc
	s_xor_b64 s[6:7], exec, s[6:7]
	s_cbranch_execz .LBB1_8145
; %bb.43985:
	s_getpc_b64 s[14:15]
.Lpost_getpc7656:
	s_add_u32 s14, s14, (.LBB1_22481-.Lpost_getpc7656)&4294967295
	s_addc_u32 s15, s15, (.LBB1_22481-.Lpost_getpc7656)>>32
	s_setpc_b64 s[14:15]
.LBB1_8145:
	s_or_saveexec_b64 s[6:7], s[6:7]
	v_mov_b32_e32 v2, s10
	s_xor_b64 exec, exec, s[6:7]
	s_cbranch_execz .LBB1_8146
; %bb.43987:
	s_getpc_b64 s[14:15]
.Lpost_getpc7657:
	s_add_u32 s14, s14, (.LBB1_22484-.Lpost_getpc7657)&4294967295
	s_addc_u32 s15, s15, (.LBB1_22484-.Lpost_getpc7657)>>32
	s_setpc_b64 s[14:15]
.LBB1_8146:
	s_or_b64 exec, exec, s[6:7]
	s_and_saveexec_b64 s[6:7], s[4:5]
	s_cbranch_execz .LBB1_8148
.LBB1_8147:
	v_bfe_u32 v2, v8, 16, 3
	v_ffbh_u32_e32 v7, v2
	v_min_u32_e32 v7, 32, v7
	v_lshrrev_b32_e32 v3, 19, v8
	v_subrev_u32_e32 v12, 28, v7
	v_and_b32_e32 v3, 15, v3
	v_lshlrev_b32_sdwa v12, v12, v8 dst_sel:DWORD dst_unused:UNUSED_PAD src0_sel:DWORD src1_sel:WORD_1
	v_bfe_u32 v6, v8, 19, 4
	v_sub_u32_e32 v7, 29, v7
	v_and_b32_e32 v12, 7, v12
	v_cmp_eq_u16_e32 vcc, 0, v3
	v_cndmask_b32_e32 v2, v2, v12, vcc
	v_cndmask_b32_e32 v3, v6, v7, vcc
	v_lshlrev_b32_e32 v6, 8, v8
	v_mov_b32_e32 v7, 0x3b800000
	v_lshlrev_b32_e32 v2, 20, v2
	v_and_b32_e32 v6, 0x80000000, v6
	v_lshl_add_u32 v3, v3, 23, v7
	v_or3_b32 v2, v6, v3, v2
.LBB1_8148:
	s_or_b64 exec, exec, s[6:7]
	s_movk_i32 s4, 0xff
	v_and_b32_sdwa v3, v4, s4 dst_sel:DWORD dst_unused:UNUSED_PAD src0_sel:WORD_1 src1_sel:DWORD
	s_movk_i32 s4, 0x7f
	v_cmp_lt_i16_e32 vcc, s4, v3
	s_mov_b64 s[4:5], 0
                                        ; implicit-def: $sgpr10
	s_and_saveexec_b64 s[6:7], vcc
	s_xor_b64 s[6:7], exec, s[6:7]
	s_cbranch_execz .LBB1_8149
; %bb.43989:
	s_getpc_b64 s[14:15]
.Lpost_getpc7658:
	s_add_u32 s14, s14, (.LBB1_22485-.Lpost_getpc7658)&4294967295
	s_addc_u32 s15, s15, (.LBB1_22485-.Lpost_getpc7658)>>32
	s_setpc_b64 s[14:15]
.LBB1_8149:
	s_or_saveexec_b64 s[6:7], s[6:7]
	v_mov_b32_e32 v6, s10
	s_xor_b64 exec, exec, s[6:7]
	s_cbranch_execz .LBB1_8150
; %bb.43991:
	s_getpc_b64 s[14:15]
.Lpost_getpc7659:
	s_add_u32 s14, s14, (.LBB1_22488-.Lpost_getpc7659)&4294967295
	s_addc_u32 s15, s15, (.LBB1_22488-.Lpost_getpc7659)>>32
	s_setpc_b64 s[14:15]
.LBB1_8150:
	s_or_b64 exec, exec, s[6:7]
	s_and_saveexec_b64 s[6:7], s[4:5]
	s_cbranch_execz .LBB1_8152
.LBB1_8151:
	v_bfe_u32 v3, v4, 16, 3
	v_ffbh_u32_e32 v12, v3
	v_min_u32_e32 v12, 32, v12
	v_lshrrev_b32_e32 v6, 19, v4
	v_subrev_u32_e32 v13, 28, v12
	v_and_b32_e32 v6, 15, v6
	v_lshlrev_b32_sdwa v13, v13, v4 dst_sel:DWORD dst_unused:UNUSED_PAD src0_sel:DWORD src1_sel:WORD_1
	v_bfe_u32 v7, v4, 19, 4
	v_sub_u32_e32 v12, 29, v12
	v_and_b32_e32 v13, 7, v13
	v_cmp_eq_u16_e32 vcc, 0, v6
	v_cndmask_b32_e32 v3, v3, v13, vcc
	v_cndmask_b32_e32 v6, v7, v12, vcc
	v_lshlrev_b32_e32 v7, 8, v4
	v_mov_b32_e32 v12, 0x3b800000
	v_lshlrev_b32_e32 v3, 20, v3
	v_and_b32_e32 v7, 0x80000000, v7
	v_lshl_add_u32 v6, v6, 23, v12
	v_or3_b32 v6, v7, v6, v3
.LBB1_8152:
	s_or_b64 exec, exec, s[6:7]
	s_nop 0
	v_mfma_f32_16x16x4f32 a[0:3], v2, v6, a[0:3]
	s_movk_i32 s4, 0x7f
	v_cmp_gt_i16_sdwa s[6:7], v8, s4 src0_sel:BYTE_3 src1_sel:DWORD
	s_mov_b64 s[4:5], 0
                                        ; implicit-def: $sgpr10
	s_and_saveexec_b64 s[8:9], s[6:7]
	s_xor_b64 s[6:7], exec, s[8:9]
	s_cbranch_execz .LBB1_8153
; %bb.43993:
	s_getpc_b64 s[14:15]
.Lpost_getpc7660:
	s_add_u32 s14, s14, (.LBB1_22489-.Lpost_getpc7660)&4294967295
	s_addc_u32 s15, s15, (.LBB1_22489-.Lpost_getpc7660)>>32
	s_setpc_b64 s[14:15]
.LBB1_8153:
	s_or_saveexec_b64 s[6:7], s[6:7]
	v_mov_b32_e32 v2, s10
	s_xor_b64 exec, exec, s[6:7]
	s_cbranch_execz .LBB1_8154
; %bb.43995:
	s_getpc_b64 s[14:15]
.Lpost_getpc7661:
	s_add_u32 s14, s14, (.LBB1_22492-.Lpost_getpc7661)&4294967295
	s_addc_u32 s15, s15, (.LBB1_22492-.Lpost_getpc7661)>>32
	s_setpc_b64 s[14:15]
.LBB1_8154:
	s_or_b64 exec, exec, s[6:7]
	s_and_saveexec_b64 s[6:7], s[4:5]
	s_cbranch_execz .LBB1_8156
.LBB1_8155:
	v_bfe_u32 v2, v8, 24, 3
	v_ffbh_u32_e32 v12, v2
	v_min_u32_e32 v12, 32, v12
	v_lshrrev_b32_e32 v6, 27, v8
	v_subrev_u32_e32 v13, 28, v12
	v_and_b32_e32 v3, 0x80000000, v8
	v_and_b32_e32 v6, 15, v6
	v_bfe_u32 v7, v8, 27, 4
	v_lshlrev_b32_sdwa v8, v13, v8 dst_sel:DWORD dst_unused:UNUSED_PAD src0_sel:DWORD src1_sel:BYTE_3
	v_sub_u32_e32 v12, 29, v12
	v_and_b32_e32 v8, 7, v8
	v_cmp_eq_u16_e32 vcc, 0, v6
	v_cndmask_b32_e32 v2, v2, v8, vcc
	v_cndmask_b32_e32 v6, v7, v12, vcc
	v_mov_b32_e32 v7, 0x3b800000
	v_lshlrev_b32_e32 v2, 20, v2
	v_lshl_add_u32 v6, v6, 23, v7
	v_or3_b32 v2, v3, v6, v2
.LBB1_8156:
	s_or_b64 exec, exec, s[6:7]
	s_movk_i32 s4, 0x7f
	v_cmp_gt_i16_sdwa s[6:7], v4, s4 src0_sel:BYTE_3 src1_sel:DWORD
	s_mov_b64 s[4:5], 0
                                        ; implicit-def: $sgpr10
	s_and_saveexec_b64 s[8:9], s[6:7]
	s_xor_b64 s[6:7], exec, s[8:9]
	s_cbranch_execz .LBB1_8157
; %bb.43997:
	s_getpc_b64 s[14:15]
.Lpost_getpc7662:
	s_add_u32 s14, s14, (.LBB1_22493-.Lpost_getpc7662)&4294967295
	s_addc_u32 s15, s15, (.LBB1_22493-.Lpost_getpc7662)>>32
	s_setpc_b64 s[14:15]
.LBB1_8157:
	s_or_saveexec_b64 s[6:7], s[6:7]
	v_mov_b32_e32 v3, s10
	s_xor_b64 exec, exec, s[6:7]
	s_cbranch_execz .LBB1_8158
; %bb.43999:
	s_getpc_b64 s[14:15]
.Lpost_getpc7663:
	s_add_u32 s14, s14, (.LBB1_22496-.Lpost_getpc7663)&4294967295
	s_addc_u32 s15, s15, (.LBB1_22496-.Lpost_getpc7663)>>32
	s_setpc_b64 s[14:15]
.LBB1_8158:
	s_or_b64 exec, exec, s[6:7]
	s_and_saveexec_b64 s[6:7], s[4:5]
	s_cbranch_execz .LBB1_8160
.LBB1_8159:
	v_bfe_u32 v3, v4, 24, 3
	v_ffbh_u32_e32 v12, v3
	v_min_u32_e32 v12, 32, v12
	v_lshrrev_b32_e32 v7, 27, v4
	v_subrev_u32_e32 v13, 28, v12
	v_and_b32_e32 v6, 0x80000000, v4
	v_and_b32_e32 v7, 15, v7
	v_bfe_u32 v8, v4, 27, 4
	v_lshlrev_b32_sdwa v4, v13, v4 dst_sel:DWORD dst_unused:UNUSED_PAD src0_sel:DWORD src1_sel:BYTE_3
	v_sub_u32_e32 v12, 29, v12
	v_and_b32_e32 v4, 7, v4
	v_cmp_eq_u16_e32 vcc, 0, v7
	v_cndmask_b32_e32 v3, v3, v4, vcc
	v_cndmask_b32_e32 v4, v8, v12, vcc
	v_mov_b32_e32 v7, 0x3b800000
	v_lshlrev_b32_e32 v3, 20, v3
	v_lshl_add_u32 v4, v4, 23, v7
	v_or3_b32 v3, v6, v4, v3
.LBB1_8160:
	s_or_b64 exec, exec, s[6:7]
	s_nop 0
	v_mfma_f32_16x16x4f32 a[0:3], v2, v3, a[0:3]
	s_movk_i32 s4, 0x7f
	v_cmp_gt_i16_sdwa s[6:7], v9, s4 src0_sel:BYTE_0 src1_sel:DWORD
	s_mov_b64 s[4:5], 0
                                        ; implicit-def: $sgpr10
	s_and_saveexec_b64 s[8:9], s[6:7]
	s_xor_b64 s[6:7], exec, s[8:9]
	s_cbranch_execz .LBB1_8161
; %bb.44001:
	s_getpc_b64 s[14:15]
.Lpost_getpc7664:
	s_add_u32 s14, s14, (.LBB1_22497-.Lpost_getpc7664)&4294967295
	s_addc_u32 s15, s15, (.LBB1_22497-.Lpost_getpc7664)>>32
	s_setpc_b64 s[14:15]
.LBB1_8161:
	s_or_saveexec_b64 s[6:7], s[6:7]
	v_mov_b32_e32 v2, s10
	s_xor_b64 exec, exec, s[6:7]
	s_cbranch_execz .LBB1_8162
; %bb.44003:
	s_getpc_b64 s[14:15]
.Lpost_getpc7665:
	s_add_u32 s14, s14, (.LBB1_22500-.Lpost_getpc7665)&4294967295
	s_addc_u32 s15, s15, (.LBB1_22500-.Lpost_getpc7665)>>32
	s_setpc_b64 s[14:15]
.LBB1_8162:
	s_or_b64 exec, exec, s[6:7]
	s_and_saveexec_b64 s[6:7], s[4:5]
	s_cbranch_execz .LBB1_8164
.LBB1_8163:
	v_mov_b32_e32 v2, 8
	v_and_b32_e32 v3, 7, v9
	v_lshrrev_b32_sdwa v2, v2, v9 dst_sel:BYTE_1 dst_unused:UNUSED_PAD src0_sel:DWORD src1_sel:DWORD
	v_ffbh_u32_e32 v4, v3
	v_or_b32_sdwa v2, v9, v2 dst_sel:DWORD dst_unused:UNUSED_PAD src0_sel:BYTE_0 src1_sel:DWORD
	v_min_u32_e32 v4, 32, v4
	v_lshrrev_b16_e32 v2, 3, v2
	v_subrev_u32_e32 v6, 28, v4
	v_and_b32_e32 v2, 15, v2
	v_lshlrev_b32_e32 v6, v6, v9
	v_sub_u32_e32 v4, 29, v4
	v_and_b32_e32 v6, 7, v6
	v_cmp_eq_u16_e32 vcc, 0, v2
	v_cndmask_b32_e32 v3, v3, v6, vcc
	v_cndmask_b32_e32 v2, v2, v4, vcc
	v_lshlrev_b32_e32 v4, 24, v9
	v_mov_b32_e32 v6, 0x3b800000
	v_lshlrev_b32_e32 v3, 20, v3
	v_and_b32_e32 v4, 0x80000000, v4
	v_lshl_add_u32 v2, v2, 23, v6
	v_or3_b32 v2, v4, v2, v3
.LBB1_8164:
	s_or_b64 exec, exec, s[6:7]
	s_movk_i32 s4, 0x7f
	v_cmp_gt_i16_sdwa s[6:7], v5, s4 src0_sel:BYTE_0 src1_sel:DWORD
	s_mov_b64 s[4:5], 0
                                        ; implicit-def: $sgpr10
	s_and_saveexec_b64 s[8:9], s[6:7]
	s_xor_b64 s[6:7], exec, s[8:9]
	s_cbranch_execz .LBB1_8165
; %bb.44005:
	s_getpc_b64 s[14:15]
.Lpost_getpc7666:
	s_add_u32 s14, s14, (.LBB1_22501-.Lpost_getpc7666)&4294967295
	s_addc_u32 s15, s15, (.LBB1_22501-.Lpost_getpc7666)>>32
	s_setpc_b64 s[14:15]
.LBB1_8165:
	s_or_saveexec_b64 s[6:7], s[6:7]
	v_mov_b32_e32 v3, s10
	s_xor_b64 exec, exec, s[6:7]
	s_cbranch_execz .LBB1_8166
; %bb.44007:
	s_getpc_b64 s[14:15]
.Lpost_getpc7667:
	s_add_u32 s14, s14, (.LBB1_22504-.Lpost_getpc7667)&4294967295
	s_addc_u32 s15, s15, (.LBB1_22504-.Lpost_getpc7667)>>32
	s_setpc_b64 s[14:15]
.LBB1_8166:
	s_or_b64 exec, exec, s[6:7]
	s_and_saveexec_b64 s[6:7], s[4:5]
	s_cbranch_execz .LBB1_8168
.LBB1_8167:
	v_mov_b32_e32 v3, 8
	v_and_b32_e32 v4, 7, v5
	v_lshrrev_b32_sdwa v3, v3, v5 dst_sel:BYTE_1 dst_unused:UNUSED_PAD src0_sel:DWORD src1_sel:DWORD
	v_ffbh_u32_e32 v6, v4
	v_or_b32_sdwa v3, v5, v3 dst_sel:DWORD dst_unused:UNUSED_PAD src0_sel:BYTE_0 src1_sel:DWORD
	v_min_u32_e32 v6, 32, v6
	v_lshrrev_b16_e32 v3, 3, v3
	v_subrev_u32_e32 v7, 28, v6
	v_and_b32_e32 v3, 15, v3
	v_lshlrev_b32_e32 v7, v7, v5
	v_sub_u32_e32 v6, 29, v6
	v_and_b32_e32 v7, 7, v7
	v_cmp_eq_u16_e32 vcc, 0, v3
	v_cndmask_b32_e32 v4, v4, v7, vcc
	v_cndmask_b32_e32 v3, v3, v6, vcc
	v_lshlrev_b32_e32 v6, 24, v5
	v_mov_b32_e32 v7, 0x3b800000
	v_lshlrev_b32_e32 v4, 20, v4
	v_and_b32_e32 v6, 0x80000000, v6
	v_lshl_add_u32 v3, v3, 23, v7
	v_or3_b32 v3, v6, v3, v4
.LBB1_8168:
	s_or_b64 exec, exec, s[6:7]
	s_nop 0
	v_mfma_f32_16x16x4f32 a[0:3], v2, v3, a[0:3]
	v_lshrrev_b32_e32 v3, 8, v9
	s_movk_i32 s4, 0x7f
	v_cmp_gt_i16_sdwa s[6:7], v3, s4 src0_sel:BYTE_0 src1_sel:DWORD
	s_mov_b64 s[4:5], 0
                                        ; implicit-def: $sgpr10
	s_and_saveexec_b64 s[8:9], s[6:7]
	s_xor_b64 s[6:7], exec, s[8:9]
	s_cbranch_execz .LBB1_8169
; %bb.44009:
	s_getpc_b64 s[14:15]
.Lpost_getpc7668:
	s_add_u32 s14, s14, (.LBB1_22505-.Lpost_getpc7668)&4294967295
	s_addc_u32 s15, s15, (.LBB1_22505-.Lpost_getpc7668)>>32
	s_setpc_b64 s[14:15]
.LBB1_8169:
	s_or_saveexec_b64 s[6:7], s[6:7]
	v_mov_b32_e32 v2, s10
	s_xor_b64 exec, exec, s[6:7]
	s_cbranch_execz .LBB1_8170
; %bb.44011:
	s_getpc_b64 s[14:15]
.Lpost_getpc7669:
	s_add_u32 s14, s14, (.LBB1_22508-.Lpost_getpc7669)&4294967295
	s_addc_u32 s15, s15, (.LBB1_22508-.Lpost_getpc7669)>>32
	s_setpc_b64 s[14:15]
.LBB1_8170:
	s_or_b64 exec, exec, s[6:7]
	s_and_saveexec_b64 s[6:7], s[4:5]
	s_cbranch_execz .LBB1_8172
.LBB1_8171:
	v_bfe_u32 v2, v9, 8, 3
	v_ffbh_u32_e32 v6, v2
	v_min_u32_e32 v6, 32, v6
	v_lshrrev_b16_e32 v4, 3, v3
	v_subrev_u32_e32 v7, 28, v6
	v_and_b32_e32 v4, 15, v4
	v_lshlrev_b32_e32 v3, v7, v3
	v_sub_u32_e32 v6, 29, v6
	v_and_b32_e32 v3, 7, v3
	v_cmp_eq_u16_e32 vcc, 0, v4
	v_cndmask_b32_e32 v2, v2, v3, vcc
	v_cndmask_b32_e32 v3, v4, v6, vcc
	v_lshlrev_b32_e32 v4, 16, v9
	v_mov_b32_e32 v6, 0x3b800000
	v_lshlrev_b32_e32 v2, 20, v2
	v_and_b32_e32 v4, 0x80000000, v4
	v_lshl_add_u32 v3, v3, 23, v6
	v_or3_b32 v2, v4, v3, v2
.LBB1_8172:
	s_or_b64 exec, exec, s[6:7]
	v_lshrrev_b32_e32 v3, 8, v5
	s_movk_i32 s4, 0x7f
	v_cmp_gt_i16_sdwa s[6:7], v3, s4 src0_sel:BYTE_0 src1_sel:DWORD
	s_mov_b64 s[4:5], 0
                                        ; implicit-def: $sgpr10
	s_and_saveexec_b64 s[8:9], s[6:7]
	s_xor_b64 s[6:7], exec, s[8:9]
	s_cbranch_execz .LBB1_8173
; %bb.44013:
	s_getpc_b64 s[14:15]
.Lpost_getpc7670:
	s_add_u32 s14, s14, (.LBB1_22509-.Lpost_getpc7670)&4294967295
	s_addc_u32 s15, s15, (.LBB1_22509-.Lpost_getpc7670)>>32
	s_setpc_b64 s[14:15]
.LBB1_8173:
	s_or_saveexec_b64 s[6:7], s[6:7]
	v_mov_b32_e32 v4, s10
	s_xor_b64 exec, exec, s[6:7]
	s_cbranch_execz .LBB1_8174
; %bb.44015:
	s_getpc_b64 s[14:15]
.Lpost_getpc7671:
	s_add_u32 s14, s14, (.LBB1_22512-.Lpost_getpc7671)&4294967295
	s_addc_u32 s15, s15, (.LBB1_22512-.Lpost_getpc7671)>>32
	s_setpc_b64 s[14:15]
.LBB1_8174:
	s_or_b64 exec, exec, s[6:7]
	s_and_saveexec_b64 s[6:7], s[4:5]
	s_cbranch_execz .LBB1_8176
.LBB1_8175:
	v_bfe_u32 v4, v5, 8, 3
	v_ffbh_u32_e32 v7, v4
	v_min_u32_e32 v7, 32, v7
	v_lshrrev_b16_e32 v6, 3, v3
	v_subrev_u32_e32 v8, 28, v7
	v_and_b32_e32 v6, 15, v6
	v_lshlrev_b32_e32 v3, v8, v3
	v_sub_u32_e32 v7, 29, v7
	v_and_b32_e32 v3, 7, v3
	v_cmp_eq_u16_e32 vcc, 0, v6
	v_cndmask_b32_e32 v3, v4, v3, vcc
	v_cndmask_b32_e32 v4, v6, v7, vcc
	v_lshlrev_b32_e32 v6, 16, v5
	v_mov_b32_e32 v7, 0x3b800000
	v_lshlrev_b32_e32 v3, 20, v3
	v_and_b32_e32 v6, 0x80000000, v6
	v_lshl_add_u32 v4, v4, 23, v7
	v_or3_b32 v4, v6, v4, v3
.LBB1_8176:
	s_or_b64 exec, exec, s[6:7]
	s_nop 0
	v_mfma_f32_16x16x4f32 a[0:3], v2, v4, a[0:3]
	s_movk_i32 s4, 0xff
	v_and_b32_sdwa v3, v9, s4 dst_sel:DWORD dst_unused:UNUSED_PAD src0_sel:WORD_1 src1_sel:DWORD
	s_movk_i32 s4, 0x7f
	v_cmp_lt_i16_e32 vcc, s4, v3
	s_mov_b64 s[4:5], 0
                                        ; implicit-def: $sgpr10
	s_and_saveexec_b64 s[6:7], vcc
	s_xor_b64 s[6:7], exec, s[6:7]
	s_cbranch_execz .LBB1_8177
; %bb.44017:
	s_getpc_b64 s[14:15]
.Lpost_getpc7672:
	s_add_u32 s14, s14, (.LBB1_22513-.Lpost_getpc7672)&4294967295
	s_addc_u32 s15, s15, (.LBB1_22513-.Lpost_getpc7672)>>32
	s_setpc_b64 s[14:15]
.LBB1_8177:
	s_or_saveexec_b64 s[6:7], s[6:7]
	v_mov_b32_e32 v2, s10
	s_xor_b64 exec, exec, s[6:7]
	s_cbranch_execz .LBB1_8178
; %bb.44019:
	s_getpc_b64 s[14:15]
.Lpost_getpc7673:
	s_add_u32 s14, s14, (.LBB1_22516-.Lpost_getpc7673)&4294967295
	s_addc_u32 s15, s15, (.LBB1_22516-.Lpost_getpc7673)>>32
	s_setpc_b64 s[14:15]
.LBB1_8178:
	s_or_b64 exec, exec, s[6:7]
	s_and_saveexec_b64 s[6:7], s[4:5]
	s_cbranch_execz .LBB1_8180
.LBB1_8179:
	v_bfe_u32 v2, v9, 16, 3
	v_ffbh_u32_e32 v6, v2
	v_min_u32_e32 v6, 32, v6
	v_lshrrev_b32_e32 v3, 19, v9
	v_subrev_u32_e32 v7, 28, v6
	v_and_b32_e32 v3, 15, v3
	v_lshlrev_b32_sdwa v7, v7, v9 dst_sel:DWORD dst_unused:UNUSED_PAD src0_sel:DWORD src1_sel:WORD_1
	v_bfe_u32 v4, v9, 19, 4
	v_sub_u32_e32 v6, 29, v6
	v_and_b32_e32 v7, 7, v7
	v_cmp_eq_u16_e32 vcc, 0, v3
	v_cndmask_b32_e32 v2, v2, v7, vcc
	v_cndmask_b32_e32 v3, v4, v6, vcc
	v_lshlrev_b32_e32 v4, 8, v9
	v_mov_b32_e32 v6, 0x3b800000
	v_lshlrev_b32_e32 v2, 20, v2
	v_and_b32_e32 v4, 0x80000000, v4
	v_lshl_add_u32 v3, v3, 23, v6
	v_or3_b32 v2, v4, v3, v2
.LBB1_8180:
	s_or_b64 exec, exec, s[6:7]
	s_movk_i32 s4, 0xff
	v_and_b32_sdwa v3, v5, s4 dst_sel:DWORD dst_unused:UNUSED_PAD src0_sel:WORD_1 src1_sel:DWORD
	s_movk_i32 s4, 0x7f
	v_cmp_lt_i16_e32 vcc, s4, v3
	s_mov_b64 s[4:5], 0
                                        ; implicit-def: $sgpr10
	s_and_saveexec_b64 s[6:7], vcc
	s_xor_b64 s[6:7], exec, s[6:7]
	s_cbranch_execz .LBB1_8181
; %bb.44021:
	s_getpc_b64 s[14:15]
.Lpost_getpc7674:
	s_add_u32 s14, s14, (.LBB1_22517-.Lpost_getpc7674)&4294967295
	s_addc_u32 s15, s15, (.LBB1_22517-.Lpost_getpc7674)>>32
	s_setpc_b64 s[14:15]
.LBB1_8181:
	s_or_saveexec_b64 s[6:7], s[6:7]
	v_mov_b32_e32 v4, s10
	s_xor_b64 exec, exec, s[6:7]
	s_cbranch_execz .LBB1_8182
; %bb.44023:
	s_getpc_b64 s[14:15]
.Lpost_getpc7675:
	s_add_u32 s14, s14, (.LBB1_22520-.Lpost_getpc7675)&4294967295
	s_addc_u32 s15, s15, (.LBB1_22520-.Lpost_getpc7675)>>32
	s_setpc_b64 s[14:15]
.LBB1_8182:
	s_or_b64 exec, exec, s[6:7]
	s_and_saveexec_b64 s[6:7], s[4:5]
	s_cbranch_execz .LBB1_8184
.LBB1_8183:
	v_bfe_u32 v3, v5, 16, 3
	v_ffbh_u32_e32 v7, v3
	v_min_u32_e32 v7, 32, v7
	v_lshrrev_b32_e32 v4, 19, v5
	v_subrev_u32_e32 v8, 28, v7
	v_and_b32_e32 v4, 15, v4
	v_lshlrev_b32_sdwa v8, v8, v5 dst_sel:DWORD dst_unused:UNUSED_PAD src0_sel:DWORD src1_sel:WORD_1
	v_bfe_u32 v6, v5, 19, 4
	v_sub_u32_e32 v7, 29, v7
	v_and_b32_e32 v8, 7, v8
	v_cmp_eq_u16_e32 vcc, 0, v4
	v_cndmask_b32_e32 v3, v3, v8, vcc
	v_cndmask_b32_e32 v4, v6, v7, vcc
	v_lshlrev_b32_e32 v6, 8, v5
	v_mov_b32_e32 v7, 0x3b800000
	v_lshlrev_b32_e32 v3, 20, v3
	v_and_b32_e32 v6, 0x80000000, v6
	v_lshl_add_u32 v4, v4, 23, v7
	v_or3_b32 v4, v6, v4, v3
.LBB1_8184:
	s_or_b64 exec, exec, s[6:7]
	s_nop 0
	v_mfma_f32_16x16x4f32 a[0:3], v2, v4, a[0:3]
	s_movk_i32 s4, 0x7f
	v_cmp_gt_i16_sdwa s[6:7], v9, s4 src0_sel:BYTE_3 src1_sel:DWORD
	s_mov_b64 s[4:5], 0
                                        ; implicit-def: $sgpr10
	s_and_saveexec_b64 s[8:9], s[6:7]
	s_xor_b64 s[6:7], exec, s[8:9]
	s_cbranch_execz .LBB1_8185
; %bb.44025:
	s_getpc_b64 s[14:15]
.Lpost_getpc7676:
	s_add_u32 s14, s14, (.LBB1_22521-.Lpost_getpc7676)&4294967295
	s_addc_u32 s15, s15, (.LBB1_22521-.Lpost_getpc7676)>>32
	s_setpc_b64 s[14:15]
.LBB1_8185:
	s_or_saveexec_b64 s[6:7], s[6:7]
	v_mov_b32_e32 v2, s10
	s_xor_b64 exec, exec, s[6:7]
	s_cbranch_execz .LBB1_8186
; %bb.44027:
	s_getpc_b64 s[14:15]
.Lpost_getpc7677:
	s_add_u32 s14, s14, (.LBB1_22524-.Lpost_getpc7677)&4294967295
	s_addc_u32 s15, s15, (.LBB1_22524-.Lpost_getpc7677)>>32
	s_setpc_b64 s[14:15]
.LBB1_8186:
	s_or_b64 exec, exec, s[6:7]
	s_and_saveexec_b64 s[6:7], s[4:5]
	s_cbranch_execz .LBB1_8188
.LBB1_8187:
	v_bfe_u32 v2, v9, 24, 3
	v_ffbh_u32_e32 v7, v2
	v_min_u32_e32 v7, 32, v7
	v_lshrrev_b32_e32 v4, 27, v9
	v_subrev_u32_e32 v8, 28, v7
	v_and_b32_e32 v4, 15, v4
	v_lshlrev_b32_sdwa v8, v8, v9 dst_sel:DWORD dst_unused:UNUSED_PAD src0_sel:DWORD src1_sel:BYTE_3
	v_bfe_u32 v6, v9, 27, 4
	v_sub_u32_e32 v7, 29, v7
	v_and_b32_e32 v8, 7, v8
	v_cmp_eq_u16_e32 vcc, 0, v4
	v_cndmask_b32_e32 v2, v2, v8, vcc
	v_cndmask_b32_e32 v4, v6, v7, vcc
	v_mov_b32_e32 v6, 0x3b800000
	v_and_b32_e32 v3, 0x80000000, v9
	v_lshlrev_b32_e32 v2, 20, v2
	v_lshl_add_u32 v4, v4, 23, v6
	v_or3_b32 v2, v3, v4, v2
.LBB1_8188:
	s_or_b64 exec, exec, s[6:7]
	s_movk_i32 s4, 0x7f
	v_cmp_gt_i16_sdwa s[6:7], v5, s4 src0_sel:BYTE_3 src1_sel:DWORD
	s_mov_b64 s[4:5], 0
                                        ; implicit-def: $sgpr10
	s_and_saveexec_b64 s[8:9], s[6:7]
	s_xor_b64 s[6:7], exec, s[8:9]
	s_cbranch_execz .LBB1_8189
; %bb.44029:
	s_getpc_b64 s[14:15]
.Lpost_getpc7678:
	s_add_u32 s14, s14, (.LBB1_22525-.Lpost_getpc7678)&4294967295
	s_addc_u32 s15, s15, (.LBB1_22525-.Lpost_getpc7678)>>32
	s_setpc_b64 s[14:15]
.LBB1_8189:
	s_or_saveexec_b64 s[6:7], s[6:7]
	v_mov_b32_e32 v3, s10
	s_xor_b64 exec, exec, s[6:7]
	s_cbranch_execz .LBB1_8190
; %bb.44031:
	s_getpc_b64 s[14:15]
.Lpost_getpc7679:
	s_add_u32 s14, s14, (.LBB1_22528-.Lpost_getpc7679)&4294967295
	s_addc_u32 s15, s15, (.LBB1_22528-.Lpost_getpc7679)>>32
	s_setpc_b64 s[14:15]
.LBB1_8190:
	s_or_b64 exec, exec, s[6:7]
	s_and_saveexec_b64 s[6:7], s[4:5]
	s_cbranch_execz .LBB1_8192
.LBB1_8191:
	v_bfe_u32 v3, v5, 24, 3
	v_ffbh_u32_e32 v8, v3
	v_min_u32_e32 v8, 32, v8
	v_lshrrev_b32_e32 v6, 27, v5
	v_subrev_u32_e32 v9, 28, v8
	v_and_b32_e32 v4, 0x80000000, v5
	v_and_b32_e32 v6, 15, v6
	v_bfe_u32 v7, v5, 27, 4
	v_lshlrev_b32_sdwa v5, v9, v5 dst_sel:DWORD dst_unused:UNUSED_PAD src0_sel:DWORD src1_sel:BYTE_3
	v_sub_u32_e32 v8, 29, v8
	v_and_b32_e32 v5, 7, v5
	v_cmp_eq_u16_e32 vcc, 0, v6
	v_cndmask_b32_e32 v3, v3, v5, vcc
	v_cndmask_b32_e32 v5, v7, v8, vcc
	v_mov_b32_e32 v6, 0x3b800000
	v_lshlrev_b32_e32 v3, 20, v3
	v_lshl_add_u32 v5, v5, 23, v6
	v_or3_b32 v3, v4, v5, v3
.LBB1_8192:
	s_or_b64 exec, exec, s[6:7]
	s_nop 0
	v_mfma_f32_16x16x4f32 a[0:3], v2, v3, a[0:3]
	s_movk_i32 s4, 0x7f
                                        ; implicit-def: $sgpr10
	s_nop 7
	s_nop 1
	flat_store_dwordx4 v[10:11], a[0:3] offset:112
	flat_load_dwordx4 v[12:15], v[0:1]
	s_nop 0
	flat_load_dwordx2 v[10:11], v[0:1] offset:16
	s_waitcnt vmcnt(0) lgkmcnt(0)
	flat_load_dwordx4 v[6:9], v[12:13] offset:128
	flat_load_dwordx4 v[2:5], v[14:15] offset:128
	s_waitcnt vmcnt(0) lgkmcnt(0)
	v_cmp_gt_i16_sdwa s[6:7], v6, s4 src0_sel:BYTE_0 src1_sel:DWORD
	s_mov_b64 s[4:5], 0
	s_and_saveexec_b64 s[8:9], s[6:7]
	s_xor_b64 s[6:7], exec, s[8:9]
	s_cbranch_execz .LBB1_8193
; %bb.44033:
	s_getpc_b64 s[14:15]
.Lpost_getpc7680:
	s_add_u32 s14, s14, (.LBB1_22529-.Lpost_getpc7680)&4294967295
	s_addc_u32 s15, s15, (.LBB1_22529-.Lpost_getpc7680)>>32
	s_setpc_b64 s[14:15]
.LBB1_8193:
	s_or_saveexec_b64 s[6:7], s[6:7]
	v_mov_b32_e32 v12, s10
	s_xor_b64 exec, exec, s[6:7]
	s_cbranch_execz .LBB1_8194
; %bb.44035:
	s_getpc_b64 s[14:15]
.Lpost_getpc7681:
	s_add_u32 s14, s14, (.LBB1_22532-.Lpost_getpc7681)&4294967295
	s_addc_u32 s15, s15, (.LBB1_22532-.Lpost_getpc7681)>>32
	s_setpc_b64 s[14:15]
.LBB1_8194:
	s_or_b64 exec, exec, s[6:7]
	s_and_saveexec_b64 s[6:7], s[4:5]
	s_cbranch_execz .LBB1_8196
.LBB1_8195:
	v_and_b32_e32 v12, 7, v6
	v_ffbh_u32_e32 v14, v12
	v_min_u32_e32 v14, 32, v14
	v_lshrrev_b16_e32 v13, 3, v6
	v_subrev_u32_e32 v15, 28, v14
	v_and_b32_e32 v13, 15, v13
	v_lshlrev_b32_e32 v15, v15, v6
	v_sub_u32_e32 v14, 29, v14
	v_and_b32_e32 v15, 7, v15
	v_cmp_eq_u16_e32 vcc, 0, v13
	v_cndmask_b32_e32 v12, v12, v15, vcc
	v_cndmask_b32_e32 v13, v13, v14, vcc
	v_lshlrev_b32_e32 v14, 24, v6
	v_mov_b32_e32 v15, 0x3b800000
	v_lshlrev_b32_e32 v12, 20, v12
	v_and_b32_e32 v14, 0x80000000, v14
	v_lshl_add_u32 v13, v13, 23, v15
	v_or3_b32 v12, v14, v13, v12
.LBB1_8196:
	s_or_b64 exec, exec, s[6:7]
	s_movk_i32 s4, 0x7f
	v_cmp_gt_i16_sdwa s[6:7], v2, s4 src0_sel:BYTE_0 src1_sel:DWORD
	s_mov_b64 s[4:5], 0
                                        ; implicit-def: $sgpr10
	s_and_saveexec_b64 s[8:9], s[6:7]
	s_xor_b64 s[6:7], exec, s[8:9]
	s_cbranch_execz .LBB1_8197
; %bb.44037:
	s_getpc_b64 s[14:15]
.Lpost_getpc7682:
	s_add_u32 s14, s14, (.LBB1_22533-.Lpost_getpc7682)&4294967295
	s_addc_u32 s15, s15, (.LBB1_22533-.Lpost_getpc7682)>>32
	s_setpc_b64 s[14:15]
.LBB1_8197:
	s_or_saveexec_b64 s[6:7], s[6:7]
	v_mov_b32_e32 v13, s10
	s_xor_b64 exec, exec, s[6:7]
	s_cbranch_execz .LBB1_8198
; %bb.44039:
	s_getpc_b64 s[14:15]
.Lpost_getpc7683:
	s_add_u32 s14, s14, (.LBB1_22536-.Lpost_getpc7683)&4294967295
	s_addc_u32 s15, s15, (.LBB1_22536-.Lpost_getpc7683)>>32
	s_setpc_b64 s[14:15]
.LBB1_8198:
	s_or_b64 exec, exec, s[6:7]
	s_and_saveexec_b64 s[6:7], s[4:5]
	s_cbranch_execz .LBB1_8200
.LBB1_8199:
	v_and_b32_e32 v13, 7, v2
	v_ffbh_u32_e32 v15, v13
	v_min_u32_e32 v15, 32, v15
	v_lshrrev_b16_e32 v14, 3, v2
	v_subrev_u32_e32 v16, 28, v15
	v_and_b32_e32 v14, 15, v14
	v_lshlrev_b32_e32 v16, v16, v2
	v_sub_u32_e32 v15, 29, v15
	v_and_b32_e32 v16, 7, v16
	v_cmp_eq_u16_e32 vcc, 0, v14
	v_cndmask_b32_e32 v13, v13, v16, vcc
	v_cndmask_b32_e32 v14, v14, v15, vcc
	v_lshlrev_b32_e32 v15, 24, v2
	v_mov_b32_e32 v16, 0x3b800000
	v_lshlrev_b32_e32 v13, 20, v13
	v_and_b32_e32 v15, 0x80000000, v15
	v_lshl_add_u32 v14, v14, 23, v16
	v_or3_b32 v13, v15, v14, v13
.LBB1_8200:
	s_or_b64 exec, exec, s[6:7]
	flat_load_dwordx4 a[0:3], v[10:11] offset:128
	s_movk_i32 s4, 0x7f
                                        ; implicit-def: $sgpr10
	s_waitcnt vmcnt(0) lgkmcnt(0)
	v_mfma_f32_16x16x4f32 a[0:3], v12, v13, a[0:3]
	v_lshrrev_b32_e32 v13, 8, v6
	v_cmp_gt_i16_sdwa s[6:7], v13, s4 src0_sel:BYTE_0 src1_sel:DWORD
	s_mov_b64 s[4:5], 0
	s_and_saveexec_b64 s[8:9], s[6:7]
	s_xor_b64 s[6:7], exec, s[8:9]
	s_cbranch_execz .LBB1_8201
; %bb.44041:
	s_getpc_b64 s[14:15]
.Lpost_getpc7684:
	s_add_u32 s14, s14, (.LBB1_22537-.Lpost_getpc7684)&4294967295
	s_addc_u32 s15, s15, (.LBB1_22537-.Lpost_getpc7684)>>32
	s_setpc_b64 s[14:15]
.LBB1_8201:
	s_or_saveexec_b64 s[6:7], s[6:7]
	v_mov_b32_e32 v12, s10
	s_xor_b64 exec, exec, s[6:7]
	s_cbranch_execz .LBB1_8202
; %bb.44043:
	s_getpc_b64 s[14:15]
.Lpost_getpc7685:
	s_add_u32 s14, s14, (.LBB1_22540-.Lpost_getpc7685)&4294967295
	s_addc_u32 s15, s15, (.LBB1_22540-.Lpost_getpc7685)>>32
	s_setpc_b64 s[14:15]
.LBB1_8202:
	s_or_b64 exec, exec, s[6:7]
	s_and_saveexec_b64 s[6:7], s[4:5]
	s_cbranch_execz .LBB1_8204
.LBB1_8203:
	v_bfe_u32 v12, v6, 8, 3
	v_ffbh_u32_e32 v15, v12
	v_min_u32_e32 v15, 32, v15
	v_lshrrev_b16_e32 v14, 3, v13
	v_subrev_u32_e32 v16, 28, v15
	v_and_b32_e32 v14, 15, v14
	v_lshlrev_b32_e32 v13, v16, v13
	v_sub_u32_e32 v15, 29, v15
	v_and_b32_e32 v13, 7, v13
	v_cmp_eq_u16_e32 vcc, 0, v14
	v_cndmask_b32_e32 v12, v12, v13, vcc
	v_cndmask_b32_e32 v13, v14, v15, vcc
	v_lshlrev_b32_e32 v14, 16, v6
	v_mov_b32_e32 v15, 0x3b800000
	v_lshlrev_b32_e32 v12, 20, v12
	v_and_b32_e32 v14, 0x80000000, v14
	v_lshl_add_u32 v13, v13, 23, v15
	v_or3_b32 v12, v14, v13, v12
.LBB1_8204:
	s_or_b64 exec, exec, s[6:7]
	v_lshrrev_b32_e32 v13, 8, v2
	s_movk_i32 s4, 0x7f
	v_cmp_gt_i16_sdwa s[6:7], v13, s4 src0_sel:BYTE_0 src1_sel:DWORD
	s_mov_b64 s[4:5], 0
                                        ; implicit-def: $sgpr10
	s_and_saveexec_b64 s[8:9], s[6:7]
	s_xor_b64 s[6:7], exec, s[8:9]
	s_cbranch_execz .LBB1_8205
; %bb.44045:
	s_getpc_b64 s[14:15]
.Lpost_getpc7686:
	s_add_u32 s14, s14, (.LBB1_22541-.Lpost_getpc7686)&4294967295
	s_addc_u32 s15, s15, (.LBB1_22541-.Lpost_getpc7686)>>32
	s_setpc_b64 s[14:15]
.LBB1_8205:
	s_or_saveexec_b64 s[6:7], s[6:7]
	v_mov_b32_e32 v14, s10
	s_xor_b64 exec, exec, s[6:7]
	s_cbranch_execz .LBB1_8206
; %bb.44047:
	s_getpc_b64 s[14:15]
.Lpost_getpc7687:
	s_add_u32 s14, s14, (.LBB1_22544-.Lpost_getpc7687)&4294967295
	s_addc_u32 s15, s15, (.LBB1_22544-.Lpost_getpc7687)>>32
	s_setpc_b64 s[14:15]
.LBB1_8206:
	s_or_b64 exec, exec, s[6:7]
	s_and_saveexec_b64 s[6:7], s[4:5]
	s_cbranch_execz .LBB1_8208
.LBB1_8207:
	v_bfe_u32 v14, v2, 8, 3
	v_ffbh_u32_e32 v16, v14
	v_min_u32_e32 v16, 32, v16
	v_lshrrev_b16_e32 v15, 3, v13
	v_subrev_u32_e32 v17, 28, v16
	v_and_b32_e32 v15, 15, v15
	v_lshlrev_b32_e32 v13, v17, v13
	v_sub_u32_e32 v16, 29, v16
	v_and_b32_e32 v13, 7, v13
	v_cmp_eq_u16_e32 vcc, 0, v15
	v_cndmask_b32_e32 v13, v14, v13, vcc
	v_cndmask_b32_e32 v14, v15, v16, vcc
	v_lshlrev_b32_e32 v15, 16, v2
	v_mov_b32_e32 v16, 0x3b800000
	v_lshlrev_b32_e32 v13, 20, v13
	v_and_b32_e32 v15, 0x80000000, v15
	v_lshl_add_u32 v14, v14, 23, v16
	v_or3_b32 v14, v15, v14, v13
.LBB1_8208:
	s_or_b64 exec, exec, s[6:7]
	s_nop 0
	v_mfma_f32_16x16x4f32 a[0:3], v12, v14, a[0:3]
	s_movk_i32 s4, 0xff
	v_and_b32_sdwa v13, v6, s4 dst_sel:DWORD dst_unused:UNUSED_PAD src0_sel:WORD_1 src1_sel:DWORD
	s_movk_i32 s4, 0x7f
	v_cmp_lt_i16_e32 vcc, s4, v13
	s_mov_b64 s[4:5], 0
                                        ; implicit-def: $sgpr10
	s_and_saveexec_b64 s[6:7], vcc
	s_xor_b64 s[6:7], exec, s[6:7]
	s_cbranch_execz .LBB1_8209
; %bb.44049:
	s_getpc_b64 s[14:15]
.Lpost_getpc7688:
	s_add_u32 s14, s14, (.LBB1_22545-.Lpost_getpc7688)&4294967295
	s_addc_u32 s15, s15, (.LBB1_22545-.Lpost_getpc7688)>>32
	s_setpc_b64 s[14:15]
.LBB1_8209:
	s_or_saveexec_b64 s[6:7], s[6:7]
	v_mov_b32_e32 v12, s10
	s_xor_b64 exec, exec, s[6:7]
	s_cbranch_execz .LBB1_8210
; %bb.44051:
	s_getpc_b64 s[14:15]
.Lpost_getpc7689:
	s_add_u32 s14, s14, (.LBB1_22548-.Lpost_getpc7689)&4294967295
	s_addc_u32 s15, s15, (.LBB1_22548-.Lpost_getpc7689)>>32
	s_setpc_b64 s[14:15]
.LBB1_8210:
	s_or_b64 exec, exec, s[6:7]
	s_and_saveexec_b64 s[6:7], s[4:5]
	s_cbranch_execz .LBB1_8212
.LBB1_8211:
	v_bfe_u32 v12, v6, 16, 3
	v_ffbh_u32_e32 v15, v12
	v_min_u32_e32 v15, 32, v15
	v_lshrrev_b32_e32 v13, 19, v6
	v_subrev_u32_e32 v16, 28, v15
	v_and_b32_e32 v13, 15, v13
	v_lshlrev_b32_sdwa v16, v16, v6 dst_sel:DWORD dst_unused:UNUSED_PAD src0_sel:DWORD src1_sel:WORD_1
	v_bfe_u32 v14, v6, 19, 4
	v_sub_u32_e32 v15, 29, v15
	v_and_b32_e32 v16, 7, v16
	v_cmp_eq_u16_e32 vcc, 0, v13
	v_cndmask_b32_e32 v12, v12, v16, vcc
	v_cndmask_b32_e32 v13, v14, v15, vcc
	v_lshlrev_b32_e32 v14, 8, v6
	v_mov_b32_e32 v15, 0x3b800000
	v_lshlrev_b32_e32 v12, 20, v12
	v_and_b32_e32 v14, 0x80000000, v14
	v_lshl_add_u32 v13, v13, 23, v15
	v_or3_b32 v12, v14, v13, v12
.LBB1_8212:
	s_or_b64 exec, exec, s[6:7]
	s_movk_i32 s4, 0xff
	v_and_b32_sdwa v13, v2, s4 dst_sel:DWORD dst_unused:UNUSED_PAD src0_sel:WORD_1 src1_sel:DWORD
	s_movk_i32 s4, 0x7f
	v_cmp_lt_i16_e32 vcc, s4, v13
	s_mov_b64 s[4:5], 0
                                        ; implicit-def: $sgpr10
	s_and_saveexec_b64 s[6:7], vcc
	s_xor_b64 s[6:7], exec, s[6:7]
	s_cbranch_execz .LBB1_8213
; %bb.44053:
	s_getpc_b64 s[14:15]
.Lpost_getpc7690:
	s_add_u32 s14, s14, (.LBB1_22549-.Lpost_getpc7690)&4294967295
	s_addc_u32 s15, s15, (.LBB1_22549-.Lpost_getpc7690)>>32
	s_setpc_b64 s[14:15]
.LBB1_8213:
	s_or_saveexec_b64 s[6:7], s[6:7]
	v_mov_b32_e32 v14, s10
	s_xor_b64 exec, exec, s[6:7]
	s_cbranch_execz .LBB1_8214
; %bb.44055:
	s_getpc_b64 s[14:15]
.Lpost_getpc7691:
	s_add_u32 s14, s14, (.LBB1_22552-.Lpost_getpc7691)&4294967295
	s_addc_u32 s15, s15, (.LBB1_22552-.Lpost_getpc7691)>>32
	s_setpc_b64 s[14:15]
.LBB1_8214:
	s_or_b64 exec, exec, s[6:7]
	s_and_saveexec_b64 s[6:7], s[4:5]
	s_cbranch_execz .LBB1_8216
.LBB1_8215:
	v_bfe_u32 v13, v2, 16, 3
	v_ffbh_u32_e32 v16, v13
	v_min_u32_e32 v16, 32, v16
	v_lshrrev_b32_e32 v14, 19, v2
	v_subrev_u32_e32 v17, 28, v16
	v_and_b32_e32 v14, 15, v14
	v_lshlrev_b32_sdwa v17, v17, v2 dst_sel:DWORD dst_unused:UNUSED_PAD src0_sel:DWORD src1_sel:WORD_1
	v_bfe_u32 v15, v2, 19, 4
	v_sub_u32_e32 v16, 29, v16
	v_and_b32_e32 v17, 7, v17
	v_cmp_eq_u16_e32 vcc, 0, v14
	v_cndmask_b32_e32 v13, v13, v17, vcc
	v_cndmask_b32_e32 v14, v15, v16, vcc
	v_lshlrev_b32_e32 v15, 8, v2
	v_mov_b32_e32 v16, 0x3b800000
	v_lshlrev_b32_e32 v13, 20, v13
	v_and_b32_e32 v15, 0x80000000, v15
	v_lshl_add_u32 v14, v14, 23, v16
	v_or3_b32 v14, v15, v14, v13
.LBB1_8216:
	s_or_b64 exec, exec, s[6:7]
	s_nop 0
	v_mfma_f32_16x16x4f32 a[0:3], v12, v14, a[0:3]
	s_movk_i32 s4, 0x7f
	v_cmp_gt_i16_sdwa s[6:7], v6, s4 src0_sel:BYTE_3 src1_sel:DWORD
	s_mov_b64 s[4:5], 0
                                        ; implicit-def: $sgpr10
	s_and_saveexec_b64 s[8:9], s[6:7]
	s_xor_b64 s[6:7], exec, s[8:9]
	s_cbranch_execz .LBB1_8217
; %bb.44057:
	s_getpc_b64 s[14:15]
.Lpost_getpc7692:
	s_add_u32 s14, s14, (.LBB1_22553-.Lpost_getpc7692)&4294967295
	s_addc_u32 s15, s15, (.LBB1_22553-.Lpost_getpc7692)>>32
	s_setpc_b64 s[14:15]
.LBB1_8217:
	s_or_saveexec_b64 s[6:7], s[6:7]
	v_mov_b32_e32 v12, s10
	s_xor_b64 exec, exec, s[6:7]
	s_cbranch_execz .LBB1_8218
; %bb.44059:
	s_getpc_b64 s[14:15]
.Lpost_getpc7693:
	s_add_u32 s14, s14, (.LBB1_22556-.Lpost_getpc7693)&4294967295
	s_addc_u32 s15, s15, (.LBB1_22556-.Lpost_getpc7693)>>32
	s_setpc_b64 s[14:15]
.LBB1_8218:
	s_or_b64 exec, exec, s[6:7]
	s_and_saveexec_b64 s[6:7], s[4:5]
	s_cbranch_execz .LBB1_8220
.LBB1_8219:
	v_bfe_u32 v12, v6, 24, 3
	v_ffbh_u32_e32 v16, v12
	v_min_u32_e32 v16, 32, v16
	v_lshrrev_b32_e32 v14, 27, v6
	v_subrev_u32_e32 v17, 28, v16
	v_and_b32_e32 v13, 0x80000000, v6
	v_and_b32_e32 v14, 15, v14
	v_bfe_u32 v15, v6, 27, 4
	v_lshlrev_b32_sdwa v6, v17, v6 dst_sel:DWORD dst_unused:UNUSED_PAD src0_sel:DWORD src1_sel:BYTE_3
	v_sub_u32_e32 v16, 29, v16
	v_and_b32_e32 v6, 7, v6
	v_cmp_eq_u16_e32 vcc, 0, v14
	v_cndmask_b32_e32 v6, v12, v6, vcc
	v_cndmask_b32_e32 v12, v15, v16, vcc
	v_mov_b32_e32 v14, 0x3b800000
	v_lshlrev_b32_e32 v6, 20, v6
	v_lshl_add_u32 v12, v12, 23, v14
	v_or3_b32 v12, v13, v12, v6
.LBB1_8220:
	s_or_b64 exec, exec, s[6:7]
	s_movk_i32 s4, 0x7f
	v_cmp_gt_i16_sdwa s[6:7], v2, s4 src0_sel:BYTE_3 src1_sel:DWORD
	s_mov_b64 s[4:5], 0
                                        ; implicit-def: $sgpr10
	s_and_saveexec_b64 s[8:9], s[6:7]
	s_xor_b64 s[6:7], exec, s[8:9]
	s_cbranch_execz .LBB1_8221
; %bb.44061:
	s_getpc_b64 s[14:15]
.Lpost_getpc7694:
	s_add_u32 s14, s14, (.LBB1_22557-.Lpost_getpc7694)&4294967295
	s_addc_u32 s15, s15, (.LBB1_22557-.Lpost_getpc7694)>>32
	s_setpc_b64 s[14:15]
.LBB1_8221:
	s_or_saveexec_b64 s[6:7], s[6:7]
	v_mov_b32_e32 v6, s10
	s_xor_b64 exec, exec, s[6:7]
	s_cbranch_execz .LBB1_8222
; %bb.44063:
	s_getpc_b64 s[14:15]
.Lpost_getpc7695:
	s_add_u32 s14, s14, (.LBB1_22560-.Lpost_getpc7695)&4294967295
	s_addc_u32 s15, s15, (.LBB1_22560-.Lpost_getpc7695)>>32
	s_setpc_b64 s[14:15]
.LBB1_8222:
	s_or_b64 exec, exec, s[6:7]
	s_and_saveexec_b64 s[6:7], s[4:5]
	s_cbranch_execz .LBB1_8224
.LBB1_8223:
	v_bfe_u32 v6, v2, 24, 3
	v_ffbh_u32_e32 v16, v6
	v_min_u32_e32 v16, 32, v16
	v_lshrrev_b32_e32 v14, 27, v2
	v_subrev_u32_e32 v17, 28, v16
	v_and_b32_e32 v13, 0x80000000, v2
	v_and_b32_e32 v14, 15, v14
	v_bfe_u32 v15, v2, 27, 4
	v_lshlrev_b32_sdwa v2, v17, v2 dst_sel:DWORD dst_unused:UNUSED_PAD src0_sel:DWORD src1_sel:BYTE_3
	v_sub_u32_e32 v16, 29, v16
	v_and_b32_e32 v2, 7, v2
	v_cmp_eq_u16_e32 vcc, 0, v14
	v_cndmask_b32_e32 v2, v6, v2, vcc
	v_cndmask_b32_e32 v6, v15, v16, vcc
	v_mov_b32_e32 v14, 0x3b800000
	v_lshlrev_b32_e32 v2, 20, v2
	v_lshl_add_u32 v6, v6, 23, v14
	v_or3_b32 v6, v13, v6, v2
.LBB1_8224:
	s_or_b64 exec, exec, s[6:7]
	s_nop 0
	v_mfma_f32_16x16x4f32 a[0:3], v12, v6, a[0:3]
	s_movk_i32 s4, 0x7f
	v_cmp_gt_i16_sdwa s[6:7], v7, s4 src0_sel:BYTE_0 src1_sel:DWORD
	s_mov_b64 s[4:5], 0
                                        ; implicit-def: $sgpr10
	s_and_saveexec_b64 s[8:9], s[6:7]
	s_xor_b64 s[6:7], exec, s[8:9]
	s_cbranch_execz .LBB1_8225
; %bb.44065:
	s_getpc_b64 s[14:15]
.Lpost_getpc7696:
	s_add_u32 s14, s14, (.LBB1_22561-.Lpost_getpc7696)&4294967295
	s_addc_u32 s15, s15, (.LBB1_22561-.Lpost_getpc7696)>>32
	s_setpc_b64 s[14:15]
.LBB1_8225:
	s_or_saveexec_b64 s[6:7], s[6:7]
	v_mov_b32_e32 v2, s10
	s_xor_b64 exec, exec, s[6:7]
	s_cbranch_execz .LBB1_8226
; %bb.44067:
	s_getpc_b64 s[14:15]
.Lpost_getpc7697:
	s_add_u32 s14, s14, (.LBB1_22564-.Lpost_getpc7697)&4294967295
	s_addc_u32 s15, s15, (.LBB1_22564-.Lpost_getpc7697)>>32
	s_setpc_b64 s[14:15]
.LBB1_8226:
	s_or_b64 exec, exec, s[6:7]
	s_and_saveexec_b64 s[6:7], s[4:5]
	s_cbranch_execz .LBB1_8228
.LBB1_8227:
	v_and_b32_e32 v2, 7, v7
	v_ffbh_u32_e32 v12, v2
	v_min_u32_e32 v12, 32, v12
	v_lshrrev_b16_e32 v6, 3, v7
	v_subrev_u32_e32 v13, 28, v12
	v_and_b32_e32 v6, 15, v6
	v_lshlrev_b32_e32 v13, v13, v7
	v_sub_u32_e32 v12, 29, v12
	v_and_b32_e32 v13, 7, v13
	v_cmp_eq_u16_e32 vcc, 0, v6
	v_cndmask_b32_e32 v2, v2, v13, vcc
	v_cndmask_b32_e32 v6, v6, v12, vcc
	v_lshlrev_b32_e32 v12, 24, v7
	v_mov_b32_e32 v13, 0x3b800000
	v_lshlrev_b32_e32 v2, 20, v2
	v_and_b32_e32 v12, 0x80000000, v12
	v_lshl_add_u32 v6, v6, 23, v13
	v_or3_b32 v2, v12, v6, v2
.LBB1_8228:
	s_or_b64 exec, exec, s[6:7]
	s_movk_i32 s4, 0x7f
	v_cmp_gt_i16_sdwa s[6:7], v3, s4 src0_sel:BYTE_0 src1_sel:DWORD
	s_mov_b64 s[4:5], 0
                                        ; implicit-def: $sgpr10
	s_and_saveexec_b64 s[8:9], s[6:7]
	s_xor_b64 s[6:7], exec, s[8:9]
	s_cbranch_execz .LBB1_8229
; %bb.44069:
	s_getpc_b64 s[14:15]
.Lpost_getpc7698:
	s_add_u32 s14, s14, (.LBB1_22565-.Lpost_getpc7698)&4294967295
	s_addc_u32 s15, s15, (.LBB1_22565-.Lpost_getpc7698)>>32
	s_setpc_b64 s[14:15]
.LBB1_8229:
	s_or_saveexec_b64 s[6:7], s[6:7]
	v_mov_b32_e32 v6, s10
	s_xor_b64 exec, exec, s[6:7]
	s_cbranch_execz .LBB1_8230
; %bb.44071:
	s_getpc_b64 s[14:15]
.Lpost_getpc7699:
	s_add_u32 s14, s14, (.LBB1_22568-.Lpost_getpc7699)&4294967295
	s_addc_u32 s15, s15, (.LBB1_22568-.Lpost_getpc7699)>>32
	s_setpc_b64 s[14:15]
.LBB1_8230:
	s_or_b64 exec, exec, s[6:7]
	s_and_saveexec_b64 s[6:7], s[4:5]
	s_cbranch_execz .LBB1_8232
.LBB1_8231:
	v_and_b32_e32 v6, 7, v3
	v_ffbh_u32_e32 v13, v6
	v_min_u32_e32 v13, 32, v13
	v_lshrrev_b16_e32 v12, 3, v3
	v_subrev_u32_e32 v14, 28, v13
	v_and_b32_e32 v12, 15, v12
	v_lshlrev_b32_e32 v14, v14, v3
	v_sub_u32_e32 v13, 29, v13
	v_and_b32_e32 v14, 7, v14
	v_cmp_eq_u16_e32 vcc, 0, v12
	v_cndmask_b32_e32 v6, v6, v14, vcc
	v_cndmask_b32_e32 v12, v12, v13, vcc
	v_lshlrev_b32_e32 v13, 24, v3
	v_mov_b32_e32 v14, 0x3b800000
	v_lshlrev_b32_e32 v6, 20, v6
	v_and_b32_e32 v13, 0x80000000, v13
	v_lshl_add_u32 v12, v12, 23, v14
	v_or3_b32 v6, v13, v12, v6
.LBB1_8232:
	s_or_b64 exec, exec, s[6:7]
	s_nop 0
	v_mfma_f32_16x16x4f32 a[0:3], v2, v6, a[0:3]
	v_lshrrev_b32_e32 v6, 8, v7
	s_movk_i32 s4, 0x7f
	v_cmp_gt_i16_sdwa s[6:7], v6, s4 src0_sel:BYTE_0 src1_sel:DWORD
	s_mov_b64 s[4:5], 0
                                        ; implicit-def: $sgpr10
	s_and_saveexec_b64 s[8:9], s[6:7]
	s_xor_b64 s[6:7], exec, s[8:9]
	s_cbranch_execz .LBB1_8233
; %bb.44073:
	s_getpc_b64 s[14:15]
.Lpost_getpc7700:
	s_add_u32 s14, s14, (.LBB1_22569-.Lpost_getpc7700)&4294967295
	s_addc_u32 s15, s15, (.LBB1_22569-.Lpost_getpc7700)>>32
	s_setpc_b64 s[14:15]
.LBB1_8233:
	s_or_saveexec_b64 s[6:7], s[6:7]
	v_mov_b32_e32 v2, s10
	s_xor_b64 exec, exec, s[6:7]
	s_cbranch_execz .LBB1_8234
; %bb.44075:
	s_getpc_b64 s[14:15]
.Lpost_getpc7701:
	s_add_u32 s14, s14, (.LBB1_22572-.Lpost_getpc7701)&4294967295
	s_addc_u32 s15, s15, (.LBB1_22572-.Lpost_getpc7701)>>32
	s_setpc_b64 s[14:15]
.LBB1_8234:
	s_or_b64 exec, exec, s[6:7]
	s_and_saveexec_b64 s[6:7], s[4:5]
	s_cbranch_execz .LBB1_8236
.LBB1_8235:
	v_bfe_u32 v2, v7, 8, 3
	v_ffbh_u32_e32 v13, v2
	v_min_u32_e32 v13, 32, v13
	v_lshrrev_b16_e32 v12, 3, v6
	v_subrev_u32_e32 v14, 28, v13
	v_and_b32_e32 v12, 15, v12
	v_lshlrev_b32_e32 v6, v14, v6
	v_sub_u32_e32 v13, 29, v13
	v_and_b32_e32 v6, 7, v6
	v_cmp_eq_u16_e32 vcc, 0, v12
	v_cndmask_b32_e32 v2, v2, v6, vcc
	v_cndmask_b32_e32 v6, v12, v13, vcc
	v_lshlrev_b32_e32 v12, 16, v7
	v_mov_b32_e32 v13, 0x3b800000
	v_lshlrev_b32_e32 v2, 20, v2
	v_and_b32_e32 v12, 0x80000000, v12
	v_lshl_add_u32 v6, v6, 23, v13
	v_or3_b32 v2, v12, v6, v2
.LBB1_8236:
	s_or_b64 exec, exec, s[6:7]
	v_lshrrev_b32_e32 v6, 8, v3
	s_movk_i32 s4, 0x7f
	v_cmp_gt_i16_sdwa s[6:7], v6, s4 src0_sel:BYTE_0 src1_sel:DWORD
	s_mov_b64 s[4:5], 0
                                        ; implicit-def: $sgpr10
	s_and_saveexec_b64 s[8:9], s[6:7]
	s_xor_b64 s[6:7], exec, s[8:9]
	s_cbranch_execz .LBB1_8237
; %bb.44077:
	s_getpc_b64 s[14:15]
.Lpost_getpc7702:
	s_add_u32 s14, s14, (.LBB1_22573-.Lpost_getpc7702)&4294967295
	s_addc_u32 s15, s15, (.LBB1_22573-.Lpost_getpc7702)>>32
	s_setpc_b64 s[14:15]
.LBB1_8237:
	s_or_saveexec_b64 s[6:7], s[6:7]
	v_mov_b32_e32 v12, s10
	s_xor_b64 exec, exec, s[6:7]
	s_cbranch_execz .LBB1_8238
; %bb.44079:
	s_getpc_b64 s[14:15]
.Lpost_getpc7703:
	s_add_u32 s14, s14, (.LBB1_22576-.Lpost_getpc7703)&4294967295
	s_addc_u32 s15, s15, (.LBB1_22576-.Lpost_getpc7703)>>32
	s_setpc_b64 s[14:15]
.LBB1_8238:
	s_or_b64 exec, exec, s[6:7]
	s_and_saveexec_b64 s[6:7], s[4:5]
	s_cbranch_execz .LBB1_8240
.LBB1_8239:
	v_bfe_u32 v12, v3, 8, 3
	v_ffbh_u32_e32 v14, v12
	v_min_u32_e32 v14, 32, v14
	v_lshrrev_b16_e32 v13, 3, v6
	v_subrev_u32_e32 v15, 28, v14
	v_and_b32_e32 v13, 15, v13
	v_lshlrev_b32_e32 v6, v15, v6
	v_sub_u32_e32 v14, 29, v14
	v_and_b32_e32 v6, 7, v6
	v_cmp_eq_u16_e32 vcc, 0, v13
	v_cndmask_b32_e32 v6, v12, v6, vcc
	v_cndmask_b32_e32 v12, v13, v14, vcc
	v_lshlrev_b32_e32 v13, 16, v3
	v_mov_b32_e32 v14, 0x3b800000
	v_lshlrev_b32_e32 v6, 20, v6
	v_and_b32_e32 v13, 0x80000000, v13
	v_lshl_add_u32 v12, v12, 23, v14
	v_or3_b32 v12, v13, v12, v6
.LBB1_8240:
	s_or_b64 exec, exec, s[6:7]
	s_nop 0
	v_mfma_f32_16x16x4f32 a[0:3], v2, v12, a[0:3]
	s_movk_i32 s4, 0xff
	v_and_b32_sdwa v6, v7, s4 dst_sel:DWORD dst_unused:UNUSED_PAD src0_sel:WORD_1 src1_sel:DWORD
	s_movk_i32 s4, 0x7f
	v_cmp_lt_i16_e32 vcc, s4, v6
	s_mov_b64 s[4:5], 0
                                        ; implicit-def: $sgpr10
	s_and_saveexec_b64 s[6:7], vcc
	s_xor_b64 s[6:7], exec, s[6:7]
	s_cbranch_execz .LBB1_8241
; %bb.44081:
	s_getpc_b64 s[14:15]
.Lpost_getpc7704:
	s_add_u32 s14, s14, (.LBB1_22577-.Lpost_getpc7704)&4294967295
	s_addc_u32 s15, s15, (.LBB1_22577-.Lpost_getpc7704)>>32
	s_setpc_b64 s[14:15]
.LBB1_8241:
	s_or_saveexec_b64 s[6:7], s[6:7]
	v_mov_b32_e32 v2, s10
	s_xor_b64 exec, exec, s[6:7]
	s_cbranch_execz .LBB1_8242
; %bb.44083:
	s_getpc_b64 s[14:15]
.Lpost_getpc7705:
	s_add_u32 s14, s14, (.LBB1_22580-.Lpost_getpc7705)&4294967295
	s_addc_u32 s15, s15, (.LBB1_22580-.Lpost_getpc7705)>>32
	s_setpc_b64 s[14:15]
.LBB1_8242:
	s_or_b64 exec, exec, s[6:7]
	s_and_saveexec_b64 s[6:7], s[4:5]
	s_cbranch_execz .LBB1_8244
.LBB1_8243:
	v_bfe_u32 v2, v7, 16, 3
	v_ffbh_u32_e32 v13, v2
	v_min_u32_e32 v13, 32, v13
	v_lshrrev_b32_e32 v6, 19, v7
	v_subrev_u32_e32 v14, 28, v13
	v_and_b32_e32 v6, 15, v6
	v_lshlrev_b32_sdwa v14, v14, v7 dst_sel:DWORD dst_unused:UNUSED_PAD src0_sel:DWORD src1_sel:WORD_1
	v_bfe_u32 v12, v7, 19, 4
	v_sub_u32_e32 v13, 29, v13
	v_and_b32_e32 v14, 7, v14
	v_cmp_eq_u16_e32 vcc, 0, v6
	v_cndmask_b32_e32 v2, v2, v14, vcc
	v_cndmask_b32_e32 v6, v12, v13, vcc
	v_lshlrev_b32_e32 v12, 8, v7
	v_mov_b32_e32 v13, 0x3b800000
	v_lshlrev_b32_e32 v2, 20, v2
	v_and_b32_e32 v12, 0x80000000, v12
	v_lshl_add_u32 v6, v6, 23, v13
	v_or3_b32 v2, v12, v6, v2
.LBB1_8244:
	s_or_b64 exec, exec, s[6:7]
	s_movk_i32 s4, 0xff
	v_and_b32_sdwa v6, v3, s4 dst_sel:DWORD dst_unused:UNUSED_PAD src0_sel:WORD_1 src1_sel:DWORD
	s_movk_i32 s4, 0x7f
	v_cmp_lt_i16_e32 vcc, s4, v6
	s_mov_b64 s[4:5], 0
                                        ; implicit-def: $sgpr10
	s_and_saveexec_b64 s[6:7], vcc
	s_xor_b64 s[6:7], exec, s[6:7]
	s_cbranch_execz .LBB1_8245
; %bb.44085:
	s_getpc_b64 s[14:15]
.Lpost_getpc7706:
	s_add_u32 s14, s14, (.LBB1_22581-.Lpost_getpc7706)&4294967295
	s_addc_u32 s15, s15, (.LBB1_22581-.Lpost_getpc7706)>>32
	s_setpc_b64 s[14:15]
.LBB1_8245:
	s_or_saveexec_b64 s[6:7], s[6:7]
	v_mov_b32_e32 v12, s10
	s_xor_b64 exec, exec, s[6:7]
	s_cbranch_execz .LBB1_8246
; %bb.44087:
	s_getpc_b64 s[14:15]
.Lpost_getpc7707:
	s_add_u32 s14, s14, (.LBB1_22584-.Lpost_getpc7707)&4294967295
	s_addc_u32 s15, s15, (.LBB1_22584-.Lpost_getpc7707)>>32
	s_setpc_b64 s[14:15]
.LBB1_8246:
	s_or_b64 exec, exec, s[6:7]
	s_and_saveexec_b64 s[6:7], s[4:5]
	s_cbranch_execz .LBB1_8248
.LBB1_8247:
	v_bfe_u32 v6, v3, 16, 3
	v_ffbh_u32_e32 v14, v6
	v_min_u32_e32 v14, 32, v14
	v_lshrrev_b32_e32 v12, 19, v3
	v_subrev_u32_e32 v15, 28, v14
	v_and_b32_e32 v12, 15, v12
	v_lshlrev_b32_sdwa v15, v15, v3 dst_sel:DWORD dst_unused:UNUSED_PAD src0_sel:DWORD src1_sel:WORD_1
	v_bfe_u32 v13, v3, 19, 4
	v_sub_u32_e32 v14, 29, v14
	v_and_b32_e32 v15, 7, v15
	v_cmp_eq_u16_e32 vcc, 0, v12
	v_cndmask_b32_e32 v6, v6, v15, vcc
	v_cndmask_b32_e32 v12, v13, v14, vcc
	v_lshlrev_b32_e32 v13, 8, v3
	v_mov_b32_e32 v14, 0x3b800000
	v_lshlrev_b32_e32 v6, 20, v6
	v_and_b32_e32 v13, 0x80000000, v13
	v_lshl_add_u32 v12, v12, 23, v14
	v_or3_b32 v12, v13, v12, v6
.LBB1_8248:
	s_or_b64 exec, exec, s[6:7]
	s_nop 0
	v_mfma_f32_16x16x4f32 a[0:3], v2, v12, a[0:3]
	s_movk_i32 s4, 0x7f
	v_cmp_gt_i16_sdwa s[6:7], v7, s4 src0_sel:BYTE_3 src1_sel:DWORD
	s_mov_b64 s[4:5], 0
                                        ; implicit-def: $sgpr10
	s_and_saveexec_b64 s[8:9], s[6:7]
	s_xor_b64 s[6:7], exec, s[8:9]
	s_cbranch_execz .LBB1_8249
; %bb.44089:
	s_getpc_b64 s[14:15]
.Lpost_getpc7708:
	s_add_u32 s14, s14, (.LBB1_22585-.Lpost_getpc7708)&4294967295
	s_addc_u32 s15, s15, (.LBB1_22585-.Lpost_getpc7708)>>32
	s_setpc_b64 s[14:15]
.LBB1_8249:
	s_or_saveexec_b64 s[6:7], s[6:7]
	v_mov_b32_e32 v2, s10
	s_xor_b64 exec, exec, s[6:7]
	s_cbranch_execz .LBB1_8250
; %bb.44091:
	s_getpc_b64 s[14:15]
.Lpost_getpc7709:
	s_add_u32 s14, s14, (.LBB1_22588-.Lpost_getpc7709)&4294967295
	s_addc_u32 s15, s15, (.LBB1_22588-.Lpost_getpc7709)>>32
	s_setpc_b64 s[14:15]
.LBB1_8250:
	s_or_b64 exec, exec, s[6:7]
	s_and_saveexec_b64 s[6:7], s[4:5]
	s_cbranch_execz .LBB1_8252
.LBB1_8251:
	v_bfe_u32 v2, v7, 24, 3
	v_ffbh_u32_e32 v14, v2
	v_min_u32_e32 v14, 32, v14
	v_lshrrev_b32_e32 v12, 27, v7
	v_subrev_u32_e32 v15, 28, v14
	v_and_b32_e32 v6, 0x80000000, v7
	v_and_b32_e32 v12, 15, v12
	v_bfe_u32 v13, v7, 27, 4
	v_lshlrev_b32_sdwa v7, v15, v7 dst_sel:DWORD dst_unused:UNUSED_PAD src0_sel:DWORD src1_sel:BYTE_3
	v_sub_u32_e32 v14, 29, v14
	v_and_b32_e32 v7, 7, v7
	v_cmp_eq_u16_e32 vcc, 0, v12
	v_cndmask_b32_e32 v2, v2, v7, vcc
	v_cndmask_b32_e32 v7, v13, v14, vcc
	v_mov_b32_e32 v12, 0x3b800000
	v_lshlrev_b32_e32 v2, 20, v2
	v_lshl_add_u32 v7, v7, 23, v12
	v_or3_b32 v2, v6, v7, v2
.LBB1_8252:
	s_or_b64 exec, exec, s[6:7]
	s_movk_i32 s4, 0x7f
	v_cmp_gt_i16_sdwa s[6:7], v3, s4 src0_sel:BYTE_3 src1_sel:DWORD
	s_mov_b64 s[4:5], 0
                                        ; implicit-def: $sgpr10
	s_and_saveexec_b64 s[8:9], s[6:7]
	s_xor_b64 s[6:7], exec, s[8:9]
	s_cbranch_execz .LBB1_8253
; %bb.44093:
	s_getpc_b64 s[14:15]
.Lpost_getpc7710:
	s_add_u32 s14, s14, (.LBB1_22589-.Lpost_getpc7710)&4294967295
	s_addc_u32 s15, s15, (.LBB1_22589-.Lpost_getpc7710)>>32
	s_setpc_b64 s[14:15]
.LBB1_8253:
	s_or_saveexec_b64 s[6:7], s[6:7]
	v_mov_b32_e32 v6, s10
	s_xor_b64 exec, exec, s[6:7]
	s_cbranch_execz .LBB1_8254
; %bb.44095:
	s_getpc_b64 s[14:15]
.Lpost_getpc7711:
	s_add_u32 s14, s14, (.LBB1_22592-.Lpost_getpc7711)&4294967295
	s_addc_u32 s15, s15, (.LBB1_22592-.Lpost_getpc7711)>>32
	s_setpc_b64 s[14:15]
.LBB1_8254:
	s_or_b64 exec, exec, s[6:7]
	s_and_saveexec_b64 s[6:7], s[4:5]
	s_cbranch_execz .LBB1_8256
.LBB1_8255:
	v_bfe_u32 v6, v3, 24, 3
	v_ffbh_u32_e32 v14, v6
	v_min_u32_e32 v14, 32, v14
	v_lshrrev_b32_e32 v12, 27, v3
	v_subrev_u32_e32 v15, 28, v14
	v_and_b32_e32 v7, 0x80000000, v3
	v_and_b32_e32 v12, 15, v12
	v_bfe_u32 v13, v3, 27, 4
	v_lshlrev_b32_sdwa v3, v15, v3 dst_sel:DWORD dst_unused:UNUSED_PAD src0_sel:DWORD src1_sel:BYTE_3
	v_sub_u32_e32 v14, 29, v14
	v_and_b32_e32 v3, 7, v3
	v_cmp_eq_u16_e32 vcc, 0, v12
	v_cndmask_b32_e32 v3, v6, v3, vcc
	v_cndmask_b32_e32 v6, v13, v14, vcc
	v_mov_b32_e32 v12, 0x3b800000
	v_lshlrev_b32_e32 v3, 20, v3
	v_lshl_add_u32 v6, v6, 23, v12
	v_or3_b32 v6, v7, v6, v3
.LBB1_8256:
	s_or_b64 exec, exec, s[6:7]
	s_nop 0
	v_mfma_f32_16x16x4f32 a[0:3], v2, v6, a[0:3]
	s_movk_i32 s4, 0x7f
	v_cmp_gt_i16_sdwa s[6:7], v8, s4 src0_sel:BYTE_0 src1_sel:DWORD
	s_mov_b64 s[4:5], 0
                                        ; implicit-def: $sgpr10
	s_and_saveexec_b64 s[8:9], s[6:7]
	s_xor_b64 s[6:7], exec, s[8:9]
	s_cbranch_execz .LBB1_8257
; %bb.44097:
	s_getpc_b64 s[14:15]
.Lpost_getpc7712:
	s_add_u32 s14, s14, (.LBB1_22593-.Lpost_getpc7712)&4294967295
	s_addc_u32 s15, s15, (.LBB1_22593-.Lpost_getpc7712)>>32
	s_setpc_b64 s[14:15]
.LBB1_8257:
	s_or_saveexec_b64 s[6:7], s[6:7]
	v_mov_b32_e32 v2, s10
	s_xor_b64 exec, exec, s[6:7]
	s_cbranch_execz .LBB1_8258
; %bb.44099:
	s_getpc_b64 s[14:15]
.Lpost_getpc7713:
	s_add_u32 s14, s14, (.LBB1_22596-.Lpost_getpc7713)&4294967295
	s_addc_u32 s15, s15, (.LBB1_22596-.Lpost_getpc7713)>>32
	s_setpc_b64 s[14:15]
.LBB1_8258:
	s_or_b64 exec, exec, s[6:7]
	s_and_saveexec_b64 s[6:7], s[4:5]
	s_cbranch_execz .LBB1_8260
.LBB1_8259:
	v_and_b32_e32 v2, 7, v8
	v_ffbh_u32_e32 v6, v2
	v_min_u32_e32 v6, 32, v6
	v_lshrrev_b16_e32 v3, 3, v8
	v_subrev_u32_e32 v7, 28, v6
	v_and_b32_e32 v3, 15, v3
	v_lshlrev_b32_e32 v7, v7, v8
	v_sub_u32_e32 v6, 29, v6
	v_and_b32_e32 v7, 7, v7
	v_cmp_eq_u16_e32 vcc, 0, v3
	v_cndmask_b32_e32 v2, v2, v7, vcc
	v_cndmask_b32_e32 v3, v3, v6, vcc
	v_lshlrev_b32_e32 v6, 24, v8
	v_mov_b32_e32 v7, 0x3b800000
	v_lshlrev_b32_e32 v2, 20, v2
	v_and_b32_e32 v6, 0x80000000, v6
	v_lshl_add_u32 v3, v3, 23, v7
	v_or3_b32 v2, v6, v3, v2
.LBB1_8260:
	s_or_b64 exec, exec, s[6:7]
	s_movk_i32 s4, 0x7f
	v_cmp_gt_i16_sdwa s[6:7], v4, s4 src0_sel:BYTE_0 src1_sel:DWORD
	s_mov_b64 s[4:5], 0
                                        ; implicit-def: $sgpr10
	s_and_saveexec_b64 s[8:9], s[6:7]
	s_xor_b64 s[6:7], exec, s[8:9]
	s_cbranch_execz .LBB1_8261
; %bb.44101:
	s_getpc_b64 s[14:15]
.Lpost_getpc7714:
	s_add_u32 s14, s14, (.LBB1_22597-.Lpost_getpc7714)&4294967295
	s_addc_u32 s15, s15, (.LBB1_22597-.Lpost_getpc7714)>>32
	s_setpc_b64 s[14:15]
.LBB1_8261:
	s_or_saveexec_b64 s[6:7], s[6:7]
	v_mov_b32_e32 v3, s10
	s_xor_b64 exec, exec, s[6:7]
	s_cbranch_execz .LBB1_8262
; %bb.44103:
	s_getpc_b64 s[14:15]
.Lpost_getpc7715:
	s_add_u32 s14, s14, (.LBB1_22600-.Lpost_getpc7715)&4294967295
	s_addc_u32 s15, s15, (.LBB1_22600-.Lpost_getpc7715)>>32
	s_setpc_b64 s[14:15]
.LBB1_8262:
	s_or_b64 exec, exec, s[6:7]
	s_and_saveexec_b64 s[6:7], s[4:5]
	s_cbranch_execz .LBB1_8264
.LBB1_8263:
	v_and_b32_e32 v3, 7, v4
	v_ffbh_u32_e32 v7, v3
	v_min_u32_e32 v7, 32, v7
	v_lshrrev_b16_e32 v6, 3, v4
	v_subrev_u32_e32 v12, 28, v7
	v_and_b32_e32 v6, 15, v6
	v_lshlrev_b32_e32 v12, v12, v4
	v_sub_u32_e32 v7, 29, v7
	v_and_b32_e32 v12, 7, v12
	v_cmp_eq_u16_e32 vcc, 0, v6
	v_cndmask_b32_e32 v3, v3, v12, vcc
	v_cndmask_b32_e32 v6, v6, v7, vcc
	v_lshlrev_b32_e32 v7, 24, v4
	v_mov_b32_e32 v12, 0x3b800000
	v_lshlrev_b32_e32 v3, 20, v3
	v_and_b32_e32 v7, 0x80000000, v7
	v_lshl_add_u32 v6, v6, 23, v12
	v_or3_b32 v3, v7, v6, v3
.LBB1_8264:
	s_or_b64 exec, exec, s[6:7]
	s_nop 0
	v_mfma_f32_16x16x4f32 a[0:3], v2, v3, a[0:3]
	v_lshrrev_b32_e32 v3, 8, v8
	s_movk_i32 s4, 0x7f
	v_cmp_gt_i16_sdwa s[6:7], v3, s4 src0_sel:BYTE_0 src1_sel:DWORD
	s_mov_b64 s[4:5], 0
                                        ; implicit-def: $sgpr10
	s_and_saveexec_b64 s[8:9], s[6:7]
	s_xor_b64 s[6:7], exec, s[8:9]
	s_cbranch_execz .LBB1_8265
; %bb.44105:
	s_getpc_b64 s[14:15]
.Lpost_getpc7716:
	s_add_u32 s14, s14, (.LBB1_22601-.Lpost_getpc7716)&4294967295
	s_addc_u32 s15, s15, (.LBB1_22601-.Lpost_getpc7716)>>32
	s_setpc_b64 s[14:15]
.LBB1_8265:
	s_or_saveexec_b64 s[6:7], s[6:7]
	v_mov_b32_e32 v2, s10
	s_xor_b64 exec, exec, s[6:7]
	s_cbranch_execz .LBB1_8266
; %bb.44107:
	s_getpc_b64 s[14:15]
.Lpost_getpc7717:
	s_add_u32 s14, s14, (.LBB1_22604-.Lpost_getpc7717)&4294967295
	s_addc_u32 s15, s15, (.LBB1_22604-.Lpost_getpc7717)>>32
	s_setpc_b64 s[14:15]
.LBB1_8266:
	s_or_b64 exec, exec, s[6:7]
	s_and_saveexec_b64 s[6:7], s[4:5]
	s_cbranch_execz .LBB1_8268
.LBB1_8267:
	v_bfe_u32 v2, v8, 8, 3
	v_ffbh_u32_e32 v7, v2
	v_min_u32_e32 v7, 32, v7
	v_lshrrev_b16_e32 v6, 3, v3
	v_subrev_u32_e32 v12, 28, v7
	v_and_b32_e32 v6, 15, v6
	v_lshlrev_b32_e32 v3, v12, v3
	v_sub_u32_e32 v7, 29, v7
	v_and_b32_e32 v3, 7, v3
	v_cmp_eq_u16_e32 vcc, 0, v6
	v_cndmask_b32_e32 v2, v2, v3, vcc
	v_cndmask_b32_e32 v3, v6, v7, vcc
	v_lshlrev_b32_e32 v6, 16, v8
	v_mov_b32_e32 v7, 0x3b800000
	v_lshlrev_b32_e32 v2, 20, v2
	v_and_b32_e32 v6, 0x80000000, v6
	v_lshl_add_u32 v3, v3, 23, v7
	v_or3_b32 v2, v6, v3, v2
.LBB1_8268:
	s_or_b64 exec, exec, s[6:7]
	v_lshrrev_b32_e32 v3, 8, v4
	s_movk_i32 s4, 0x7f
	v_cmp_gt_i16_sdwa s[6:7], v3, s4 src0_sel:BYTE_0 src1_sel:DWORD
	s_mov_b64 s[4:5], 0
                                        ; implicit-def: $sgpr10
	s_and_saveexec_b64 s[8:9], s[6:7]
	s_xor_b64 s[6:7], exec, s[8:9]
	s_cbranch_execz .LBB1_8269
; %bb.44109:
	s_getpc_b64 s[14:15]
.Lpost_getpc7718:
	s_add_u32 s14, s14, (.LBB1_22605-.Lpost_getpc7718)&4294967295
	s_addc_u32 s15, s15, (.LBB1_22605-.Lpost_getpc7718)>>32
	s_setpc_b64 s[14:15]
.LBB1_8269:
	s_or_saveexec_b64 s[6:7], s[6:7]
	v_mov_b32_e32 v6, s10
	s_xor_b64 exec, exec, s[6:7]
	s_cbranch_execz .LBB1_8270
; %bb.44111:
	s_getpc_b64 s[14:15]
.Lpost_getpc7719:
	s_add_u32 s14, s14, (.LBB1_22608-.Lpost_getpc7719)&4294967295
	s_addc_u32 s15, s15, (.LBB1_22608-.Lpost_getpc7719)>>32
	s_setpc_b64 s[14:15]
.LBB1_8270:
	s_or_b64 exec, exec, s[6:7]
	s_and_saveexec_b64 s[6:7], s[4:5]
	s_cbranch_execz .LBB1_8272
.LBB1_8271:
	v_bfe_u32 v6, v4, 8, 3
	v_ffbh_u32_e32 v12, v6
	v_min_u32_e32 v12, 32, v12
	v_lshrrev_b16_e32 v7, 3, v3
	v_subrev_u32_e32 v13, 28, v12
	v_and_b32_e32 v7, 15, v7
	v_lshlrev_b32_e32 v3, v13, v3
	v_sub_u32_e32 v12, 29, v12
	v_and_b32_e32 v3, 7, v3
	v_cmp_eq_u16_e32 vcc, 0, v7
	v_cndmask_b32_e32 v3, v6, v3, vcc
	v_cndmask_b32_e32 v6, v7, v12, vcc
	v_lshlrev_b32_e32 v7, 16, v4
	v_mov_b32_e32 v12, 0x3b800000
	v_lshlrev_b32_e32 v3, 20, v3
	v_and_b32_e32 v7, 0x80000000, v7
	v_lshl_add_u32 v6, v6, 23, v12
	v_or3_b32 v6, v7, v6, v3
.LBB1_8272:
	s_or_b64 exec, exec, s[6:7]
	s_nop 0
	v_mfma_f32_16x16x4f32 a[0:3], v2, v6, a[0:3]
	s_movk_i32 s4, 0xff
	v_and_b32_sdwa v3, v8, s4 dst_sel:DWORD dst_unused:UNUSED_PAD src0_sel:WORD_1 src1_sel:DWORD
	s_movk_i32 s4, 0x7f
	v_cmp_lt_i16_e32 vcc, s4, v3
	s_mov_b64 s[4:5], 0
                                        ; implicit-def: $sgpr10
	s_and_saveexec_b64 s[6:7], vcc
	s_xor_b64 s[6:7], exec, s[6:7]
	s_cbranch_execz .LBB1_8273
; %bb.44113:
	s_getpc_b64 s[14:15]
.Lpost_getpc7720:
	s_add_u32 s14, s14, (.LBB1_22609-.Lpost_getpc7720)&4294967295
	s_addc_u32 s15, s15, (.LBB1_22609-.Lpost_getpc7720)>>32
	s_setpc_b64 s[14:15]
.LBB1_8273:
	s_or_saveexec_b64 s[6:7], s[6:7]
	v_mov_b32_e32 v2, s10
	s_xor_b64 exec, exec, s[6:7]
	s_cbranch_execz .LBB1_8274
; %bb.44115:
	s_getpc_b64 s[14:15]
.Lpost_getpc7721:
	s_add_u32 s14, s14, (.LBB1_22612-.Lpost_getpc7721)&4294967295
	s_addc_u32 s15, s15, (.LBB1_22612-.Lpost_getpc7721)>>32
	s_setpc_b64 s[14:15]
.LBB1_8274:
	s_or_b64 exec, exec, s[6:7]
	s_and_saveexec_b64 s[6:7], s[4:5]
	s_cbranch_execz .LBB1_8276
.LBB1_8275:
	v_bfe_u32 v2, v8, 16, 3
	v_ffbh_u32_e32 v7, v2
	v_min_u32_e32 v7, 32, v7
	v_lshrrev_b32_e32 v3, 19, v8
	v_subrev_u32_e32 v12, 28, v7
	v_and_b32_e32 v3, 15, v3
	v_lshlrev_b32_sdwa v12, v12, v8 dst_sel:DWORD dst_unused:UNUSED_PAD src0_sel:DWORD src1_sel:WORD_1
	v_bfe_u32 v6, v8, 19, 4
	v_sub_u32_e32 v7, 29, v7
	v_and_b32_e32 v12, 7, v12
	v_cmp_eq_u16_e32 vcc, 0, v3
	v_cndmask_b32_e32 v2, v2, v12, vcc
	v_cndmask_b32_e32 v3, v6, v7, vcc
	v_lshlrev_b32_e32 v6, 8, v8
	v_mov_b32_e32 v7, 0x3b800000
	v_lshlrev_b32_e32 v2, 20, v2
	v_and_b32_e32 v6, 0x80000000, v6
	v_lshl_add_u32 v3, v3, 23, v7
	v_or3_b32 v2, v6, v3, v2
.LBB1_8276:
	s_or_b64 exec, exec, s[6:7]
	s_movk_i32 s4, 0xff
	v_and_b32_sdwa v3, v4, s4 dst_sel:DWORD dst_unused:UNUSED_PAD src0_sel:WORD_1 src1_sel:DWORD
	s_movk_i32 s4, 0x7f
	v_cmp_lt_i16_e32 vcc, s4, v3
	s_mov_b64 s[4:5], 0
                                        ; implicit-def: $sgpr10
	s_and_saveexec_b64 s[6:7], vcc
	s_xor_b64 s[6:7], exec, s[6:7]
	s_cbranch_execz .LBB1_8277
; %bb.44117:
	s_getpc_b64 s[14:15]
.Lpost_getpc7722:
	s_add_u32 s14, s14, (.LBB1_22613-.Lpost_getpc7722)&4294967295
	s_addc_u32 s15, s15, (.LBB1_22613-.Lpost_getpc7722)>>32
	s_setpc_b64 s[14:15]
.LBB1_8277:
	s_or_saveexec_b64 s[6:7], s[6:7]
	v_mov_b32_e32 v6, s10
	s_xor_b64 exec, exec, s[6:7]
	s_cbranch_execz .LBB1_8278
; %bb.44119:
	s_getpc_b64 s[14:15]
.Lpost_getpc7723:
	s_add_u32 s14, s14, (.LBB1_22616-.Lpost_getpc7723)&4294967295
	s_addc_u32 s15, s15, (.LBB1_22616-.Lpost_getpc7723)>>32
	s_setpc_b64 s[14:15]
.LBB1_8278:
	s_or_b64 exec, exec, s[6:7]
	s_and_saveexec_b64 s[6:7], s[4:5]
	s_cbranch_execz .LBB1_8280
.LBB1_8279:
	v_bfe_u32 v3, v4, 16, 3
	v_ffbh_u32_e32 v12, v3
	v_min_u32_e32 v12, 32, v12
	v_lshrrev_b32_e32 v6, 19, v4
	v_subrev_u32_e32 v13, 28, v12
	v_and_b32_e32 v6, 15, v6
	v_lshlrev_b32_sdwa v13, v13, v4 dst_sel:DWORD dst_unused:UNUSED_PAD src0_sel:DWORD src1_sel:WORD_1
	v_bfe_u32 v7, v4, 19, 4
	v_sub_u32_e32 v12, 29, v12
	v_and_b32_e32 v13, 7, v13
	v_cmp_eq_u16_e32 vcc, 0, v6
	v_cndmask_b32_e32 v3, v3, v13, vcc
	v_cndmask_b32_e32 v6, v7, v12, vcc
	v_lshlrev_b32_e32 v7, 8, v4
	v_mov_b32_e32 v12, 0x3b800000
	v_lshlrev_b32_e32 v3, 20, v3
	v_and_b32_e32 v7, 0x80000000, v7
	v_lshl_add_u32 v6, v6, 23, v12
	v_or3_b32 v6, v7, v6, v3
.LBB1_8280:
	s_or_b64 exec, exec, s[6:7]
	s_nop 0
	v_mfma_f32_16x16x4f32 a[0:3], v2, v6, a[0:3]
	s_movk_i32 s4, 0x7f
	v_cmp_gt_i16_sdwa s[6:7], v8, s4 src0_sel:BYTE_3 src1_sel:DWORD
	s_mov_b64 s[4:5], 0
                                        ; implicit-def: $sgpr10
	s_and_saveexec_b64 s[8:9], s[6:7]
	s_xor_b64 s[6:7], exec, s[8:9]
	s_cbranch_execz .LBB1_8281
; %bb.44121:
	s_getpc_b64 s[14:15]
.Lpost_getpc7724:
	s_add_u32 s14, s14, (.LBB1_22617-.Lpost_getpc7724)&4294967295
	s_addc_u32 s15, s15, (.LBB1_22617-.Lpost_getpc7724)>>32
	s_setpc_b64 s[14:15]
.LBB1_8281:
	s_or_saveexec_b64 s[6:7], s[6:7]
	v_mov_b32_e32 v2, s10
	s_xor_b64 exec, exec, s[6:7]
	s_cbranch_execz .LBB1_8282
; %bb.44123:
	s_getpc_b64 s[14:15]
.Lpost_getpc7725:
	s_add_u32 s14, s14, (.LBB1_22620-.Lpost_getpc7725)&4294967295
	s_addc_u32 s15, s15, (.LBB1_22620-.Lpost_getpc7725)>>32
	s_setpc_b64 s[14:15]
.LBB1_8282:
	s_or_b64 exec, exec, s[6:7]
	s_and_saveexec_b64 s[6:7], s[4:5]
	s_cbranch_execz .LBB1_8284
.LBB1_8283:
	v_bfe_u32 v2, v8, 24, 3
	v_ffbh_u32_e32 v12, v2
	v_min_u32_e32 v12, 32, v12
	v_lshrrev_b32_e32 v6, 27, v8
	v_subrev_u32_e32 v13, 28, v12
	v_and_b32_e32 v3, 0x80000000, v8
	v_and_b32_e32 v6, 15, v6
	v_bfe_u32 v7, v8, 27, 4
	v_lshlrev_b32_sdwa v8, v13, v8 dst_sel:DWORD dst_unused:UNUSED_PAD src0_sel:DWORD src1_sel:BYTE_3
	v_sub_u32_e32 v12, 29, v12
	v_and_b32_e32 v8, 7, v8
	v_cmp_eq_u16_e32 vcc, 0, v6
	v_cndmask_b32_e32 v2, v2, v8, vcc
	v_cndmask_b32_e32 v6, v7, v12, vcc
	v_mov_b32_e32 v7, 0x3b800000
	v_lshlrev_b32_e32 v2, 20, v2
	v_lshl_add_u32 v6, v6, 23, v7
	v_or3_b32 v2, v3, v6, v2
.LBB1_8284:
	s_or_b64 exec, exec, s[6:7]
	s_movk_i32 s4, 0x7f
	v_cmp_gt_i16_sdwa s[6:7], v4, s4 src0_sel:BYTE_3 src1_sel:DWORD
	s_mov_b64 s[4:5], 0
                                        ; implicit-def: $sgpr10
	s_and_saveexec_b64 s[8:9], s[6:7]
	s_xor_b64 s[6:7], exec, s[8:9]
	s_cbranch_execz .LBB1_8285
; %bb.44125:
	s_getpc_b64 s[14:15]
.Lpost_getpc7726:
	s_add_u32 s14, s14, (.LBB1_22621-.Lpost_getpc7726)&4294967295
	s_addc_u32 s15, s15, (.LBB1_22621-.Lpost_getpc7726)>>32
	s_setpc_b64 s[14:15]
.LBB1_8285:
	s_or_saveexec_b64 s[6:7], s[6:7]
	v_mov_b32_e32 v3, s10
	s_xor_b64 exec, exec, s[6:7]
	s_cbranch_execz .LBB1_8286
; %bb.44127:
	s_getpc_b64 s[14:15]
.Lpost_getpc7727:
	s_add_u32 s14, s14, (.LBB1_22624-.Lpost_getpc7727)&4294967295
	s_addc_u32 s15, s15, (.LBB1_22624-.Lpost_getpc7727)>>32
	s_setpc_b64 s[14:15]
.LBB1_8286:
	s_or_b64 exec, exec, s[6:7]
	s_and_saveexec_b64 s[6:7], s[4:5]
	s_cbranch_execz .LBB1_8288
.LBB1_8287:
	v_bfe_u32 v3, v4, 24, 3
	v_ffbh_u32_e32 v12, v3
	v_min_u32_e32 v12, 32, v12
	v_lshrrev_b32_e32 v7, 27, v4
	v_subrev_u32_e32 v13, 28, v12
	v_and_b32_e32 v6, 0x80000000, v4
	v_and_b32_e32 v7, 15, v7
	v_bfe_u32 v8, v4, 27, 4
	v_lshlrev_b32_sdwa v4, v13, v4 dst_sel:DWORD dst_unused:UNUSED_PAD src0_sel:DWORD src1_sel:BYTE_3
	v_sub_u32_e32 v12, 29, v12
	v_and_b32_e32 v4, 7, v4
	v_cmp_eq_u16_e32 vcc, 0, v7
	v_cndmask_b32_e32 v3, v3, v4, vcc
	v_cndmask_b32_e32 v4, v8, v12, vcc
	v_mov_b32_e32 v7, 0x3b800000
	v_lshlrev_b32_e32 v3, 20, v3
	v_lshl_add_u32 v4, v4, 23, v7
	v_or3_b32 v3, v6, v4, v3
.LBB1_8288:
	s_or_b64 exec, exec, s[6:7]
	s_nop 0
	v_mfma_f32_16x16x4f32 a[0:3], v2, v3, a[0:3]
	s_movk_i32 s4, 0x7f
	v_cmp_gt_i16_sdwa s[6:7], v9, s4 src0_sel:BYTE_0 src1_sel:DWORD
	s_mov_b64 s[4:5], 0
                                        ; implicit-def: $sgpr10
	s_and_saveexec_b64 s[8:9], s[6:7]
	s_xor_b64 s[6:7], exec, s[8:9]
	s_cbranch_execz .LBB1_8289
; %bb.44129:
	s_getpc_b64 s[14:15]
.Lpost_getpc7728:
	s_add_u32 s14, s14, (.LBB1_22625-.Lpost_getpc7728)&4294967295
	s_addc_u32 s15, s15, (.LBB1_22625-.Lpost_getpc7728)>>32
	s_setpc_b64 s[14:15]
.LBB1_8289:
	s_or_saveexec_b64 s[6:7], s[6:7]
	v_mov_b32_e32 v2, s10
	s_xor_b64 exec, exec, s[6:7]
	s_cbranch_execz .LBB1_8290
; %bb.44131:
	s_getpc_b64 s[14:15]
.Lpost_getpc7729:
	s_add_u32 s14, s14, (.LBB1_22628-.Lpost_getpc7729)&4294967295
	s_addc_u32 s15, s15, (.LBB1_22628-.Lpost_getpc7729)>>32
	s_setpc_b64 s[14:15]
.LBB1_8290:
	s_or_b64 exec, exec, s[6:7]
	s_and_saveexec_b64 s[6:7], s[4:5]
	s_cbranch_execz .LBB1_8292
.LBB1_8291:
	v_mov_b32_e32 v2, 8
	v_and_b32_e32 v3, 7, v9
	v_lshrrev_b32_sdwa v2, v2, v9 dst_sel:BYTE_1 dst_unused:UNUSED_PAD src0_sel:DWORD src1_sel:DWORD
	v_ffbh_u32_e32 v4, v3
	v_or_b32_sdwa v2, v9, v2 dst_sel:DWORD dst_unused:UNUSED_PAD src0_sel:BYTE_0 src1_sel:DWORD
	v_min_u32_e32 v4, 32, v4
	v_lshrrev_b16_e32 v2, 3, v2
	v_subrev_u32_e32 v6, 28, v4
	v_and_b32_e32 v2, 15, v2
	v_lshlrev_b32_e32 v6, v6, v9
	v_sub_u32_e32 v4, 29, v4
	v_and_b32_e32 v6, 7, v6
	v_cmp_eq_u16_e32 vcc, 0, v2
	v_cndmask_b32_e32 v3, v3, v6, vcc
	v_cndmask_b32_e32 v2, v2, v4, vcc
	v_lshlrev_b32_e32 v4, 24, v9
	v_mov_b32_e32 v6, 0x3b800000
	v_lshlrev_b32_e32 v3, 20, v3
	v_and_b32_e32 v4, 0x80000000, v4
	v_lshl_add_u32 v2, v2, 23, v6
	v_or3_b32 v2, v4, v2, v3
.LBB1_8292:
	s_or_b64 exec, exec, s[6:7]
	s_movk_i32 s4, 0x7f
	v_cmp_gt_i16_sdwa s[6:7], v5, s4 src0_sel:BYTE_0 src1_sel:DWORD
	s_mov_b64 s[4:5], 0
                                        ; implicit-def: $sgpr10
	s_and_saveexec_b64 s[8:9], s[6:7]
	s_xor_b64 s[6:7], exec, s[8:9]
	s_cbranch_execz .LBB1_8293
; %bb.44133:
	s_getpc_b64 s[14:15]
.Lpost_getpc7730:
	s_add_u32 s14, s14, (.LBB1_22629-.Lpost_getpc7730)&4294967295
	s_addc_u32 s15, s15, (.LBB1_22629-.Lpost_getpc7730)>>32
	s_setpc_b64 s[14:15]
.LBB1_8293:
	s_or_saveexec_b64 s[6:7], s[6:7]
	v_mov_b32_e32 v3, s10
	s_xor_b64 exec, exec, s[6:7]
	s_cbranch_execz .LBB1_8294
; %bb.44135:
	s_getpc_b64 s[14:15]
.Lpost_getpc7731:
	s_add_u32 s14, s14, (.LBB1_22632-.Lpost_getpc7731)&4294967295
	s_addc_u32 s15, s15, (.LBB1_22632-.Lpost_getpc7731)>>32
	s_setpc_b64 s[14:15]
.LBB1_8294:
	s_or_b64 exec, exec, s[6:7]
	s_and_saveexec_b64 s[6:7], s[4:5]
	s_cbranch_execz .LBB1_8296
.LBB1_8295:
	v_mov_b32_e32 v3, 8
	v_and_b32_e32 v4, 7, v5
	v_lshrrev_b32_sdwa v3, v3, v5 dst_sel:BYTE_1 dst_unused:UNUSED_PAD src0_sel:DWORD src1_sel:DWORD
	v_ffbh_u32_e32 v6, v4
	v_or_b32_sdwa v3, v5, v3 dst_sel:DWORD dst_unused:UNUSED_PAD src0_sel:BYTE_0 src1_sel:DWORD
	v_min_u32_e32 v6, 32, v6
	v_lshrrev_b16_e32 v3, 3, v3
	v_subrev_u32_e32 v7, 28, v6
	v_and_b32_e32 v3, 15, v3
	v_lshlrev_b32_e32 v7, v7, v5
	v_sub_u32_e32 v6, 29, v6
	v_and_b32_e32 v7, 7, v7
	v_cmp_eq_u16_e32 vcc, 0, v3
	v_cndmask_b32_e32 v4, v4, v7, vcc
	v_cndmask_b32_e32 v3, v3, v6, vcc
	v_lshlrev_b32_e32 v6, 24, v5
	v_mov_b32_e32 v7, 0x3b800000
	v_lshlrev_b32_e32 v4, 20, v4
	v_and_b32_e32 v6, 0x80000000, v6
	v_lshl_add_u32 v3, v3, 23, v7
	v_or3_b32 v3, v6, v3, v4
.LBB1_8296:
	s_or_b64 exec, exec, s[6:7]
	s_nop 0
	v_mfma_f32_16x16x4f32 a[0:3], v2, v3, a[0:3]
	v_lshrrev_b32_e32 v3, 8, v9
	s_movk_i32 s4, 0x7f
	v_cmp_gt_i16_sdwa s[6:7], v3, s4 src0_sel:BYTE_0 src1_sel:DWORD
	s_mov_b64 s[4:5], 0
                                        ; implicit-def: $sgpr10
	s_and_saveexec_b64 s[8:9], s[6:7]
	s_xor_b64 s[6:7], exec, s[8:9]
	s_cbranch_execz .LBB1_8297
; %bb.44137:
	s_getpc_b64 s[14:15]
.Lpost_getpc7732:
	s_add_u32 s14, s14, (.LBB1_22633-.Lpost_getpc7732)&4294967295
	s_addc_u32 s15, s15, (.LBB1_22633-.Lpost_getpc7732)>>32
	s_setpc_b64 s[14:15]
.LBB1_8297:
	s_or_saveexec_b64 s[6:7], s[6:7]
	v_mov_b32_e32 v2, s10
	s_xor_b64 exec, exec, s[6:7]
	s_cbranch_execz .LBB1_8298
; %bb.44139:
	s_getpc_b64 s[14:15]
.Lpost_getpc7733:
	s_add_u32 s14, s14, (.LBB1_22636-.Lpost_getpc7733)&4294967295
	s_addc_u32 s15, s15, (.LBB1_22636-.Lpost_getpc7733)>>32
	s_setpc_b64 s[14:15]
.LBB1_8298:
	s_or_b64 exec, exec, s[6:7]
	s_and_saveexec_b64 s[6:7], s[4:5]
	s_cbranch_execz .LBB1_8300
.LBB1_8299:
	v_bfe_u32 v2, v9, 8, 3
	v_ffbh_u32_e32 v6, v2
	v_min_u32_e32 v6, 32, v6
	v_lshrrev_b16_e32 v4, 3, v3
	v_subrev_u32_e32 v7, 28, v6
	v_and_b32_e32 v4, 15, v4
	v_lshlrev_b32_e32 v3, v7, v3
	v_sub_u32_e32 v6, 29, v6
	v_and_b32_e32 v3, 7, v3
	v_cmp_eq_u16_e32 vcc, 0, v4
	v_cndmask_b32_e32 v2, v2, v3, vcc
	v_cndmask_b32_e32 v3, v4, v6, vcc
	v_lshlrev_b32_e32 v4, 16, v9
	v_mov_b32_e32 v6, 0x3b800000
	v_lshlrev_b32_e32 v2, 20, v2
	v_and_b32_e32 v4, 0x80000000, v4
	v_lshl_add_u32 v3, v3, 23, v6
	v_or3_b32 v2, v4, v3, v2
.LBB1_8300:
	s_or_b64 exec, exec, s[6:7]
	v_lshrrev_b32_e32 v3, 8, v5
	s_movk_i32 s4, 0x7f
	v_cmp_gt_i16_sdwa s[6:7], v3, s4 src0_sel:BYTE_0 src1_sel:DWORD
	s_mov_b64 s[4:5], 0
                                        ; implicit-def: $sgpr10
	s_and_saveexec_b64 s[8:9], s[6:7]
	s_xor_b64 s[6:7], exec, s[8:9]
	s_cbranch_execz .LBB1_8301
; %bb.44141:
	s_getpc_b64 s[14:15]
.Lpost_getpc7734:
	s_add_u32 s14, s14, (.LBB1_22637-.Lpost_getpc7734)&4294967295
	s_addc_u32 s15, s15, (.LBB1_22637-.Lpost_getpc7734)>>32
	s_setpc_b64 s[14:15]
.LBB1_8301:
	s_or_saveexec_b64 s[6:7], s[6:7]
	v_mov_b32_e32 v4, s10
	s_xor_b64 exec, exec, s[6:7]
	s_cbranch_execz .LBB1_8302
; %bb.44143:
	s_getpc_b64 s[14:15]
.Lpost_getpc7735:
	s_add_u32 s14, s14, (.LBB1_22640-.Lpost_getpc7735)&4294967295
	s_addc_u32 s15, s15, (.LBB1_22640-.Lpost_getpc7735)>>32
	s_setpc_b64 s[14:15]
.LBB1_8302:
	s_or_b64 exec, exec, s[6:7]
	s_and_saveexec_b64 s[6:7], s[4:5]
	s_cbranch_execz .LBB1_8304
.LBB1_8303:
	v_bfe_u32 v4, v5, 8, 3
	v_ffbh_u32_e32 v7, v4
	v_min_u32_e32 v7, 32, v7
	v_lshrrev_b16_e32 v6, 3, v3
	v_subrev_u32_e32 v8, 28, v7
	v_and_b32_e32 v6, 15, v6
	v_lshlrev_b32_e32 v3, v8, v3
	v_sub_u32_e32 v7, 29, v7
	v_and_b32_e32 v3, 7, v3
	v_cmp_eq_u16_e32 vcc, 0, v6
	v_cndmask_b32_e32 v3, v4, v3, vcc
	v_cndmask_b32_e32 v4, v6, v7, vcc
	v_lshlrev_b32_e32 v6, 16, v5
	v_mov_b32_e32 v7, 0x3b800000
	v_lshlrev_b32_e32 v3, 20, v3
	v_and_b32_e32 v6, 0x80000000, v6
	v_lshl_add_u32 v4, v4, 23, v7
	v_or3_b32 v4, v6, v4, v3
.LBB1_8304:
	s_or_b64 exec, exec, s[6:7]
	s_nop 0
	v_mfma_f32_16x16x4f32 a[0:3], v2, v4, a[0:3]
	s_movk_i32 s4, 0xff
	v_and_b32_sdwa v3, v9, s4 dst_sel:DWORD dst_unused:UNUSED_PAD src0_sel:WORD_1 src1_sel:DWORD
	s_movk_i32 s4, 0x7f
	v_cmp_lt_i16_e32 vcc, s4, v3
	s_mov_b64 s[4:5], 0
                                        ; implicit-def: $sgpr10
	s_and_saveexec_b64 s[6:7], vcc
	s_xor_b64 s[6:7], exec, s[6:7]
	s_cbranch_execz .LBB1_8305
; %bb.44145:
	s_getpc_b64 s[14:15]
.Lpost_getpc7736:
	s_add_u32 s14, s14, (.LBB1_22641-.Lpost_getpc7736)&4294967295
	s_addc_u32 s15, s15, (.LBB1_22641-.Lpost_getpc7736)>>32
	s_setpc_b64 s[14:15]
.LBB1_8305:
	s_or_saveexec_b64 s[6:7], s[6:7]
	v_mov_b32_e32 v2, s10
	s_xor_b64 exec, exec, s[6:7]
	s_cbranch_execz .LBB1_8306
; %bb.44147:
	s_getpc_b64 s[14:15]
.Lpost_getpc7737:
	s_add_u32 s14, s14, (.LBB1_22644-.Lpost_getpc7737)&4294967295
	s_addc_u32 s15, s15, (.LBB1_22644-.Lpost_getpc7737)>>32
	s_setpc_b64 s[14:15]
.LBB1_8306:
	s_or_b64 exec, exec, s[6:7]
	s_and_saveexec_b64 s[6:7], s[4:5]
	s_cbranch_execz .LBB1_8308
.LBB1_8307:
	v_bfe_u32 v2, v9, 16, 3
	v_ffbh_u32_e32 v6, v2
	v_min_u32_e32 v6, 32, v6
	v_lshrrev_b32_e32 v3, 19, v9
	v_subrev_u32_e32 v7, 28, v6
	v_and_b32_e32 v3, 15, v3
	v_lshlrev_b32_sdwa v7, v7, v9 dst_sel:DWORD dst_unused:UNUSED_PAD src0_sel:DWORD src1_sel:WORD_1
	v_bfe_u32 v4, v9, 19, 4
	v_sub_u32_e32 v6, 29, v6
	v_and_b32_e32 v7, 7, v7
	v_cmp_eq_u16_e32 vcc, 0, v3
	v_cndmask_b32_e32 v2, v2, v7, vcc
	v_cndmask_b32_e32 v3, v4, v6, vcc
	v_lshlrev_b32_e32 v4, 8, v9
	v_mov_b32_e32 v6, 0x3b800000
	v_lshlrev_b32_e32 v2, 20, v2
	v_and_b32_e32 v4, 0x80000000, v4
	v_lshl_add_u32 v3, v3, 23, v6
	v_or3_b32 v2, v4, v3, v2
.LBB1_8308:
	s_or_b64 exec, exec, s[6:7]
	s_movk_i32 s4, 0xff
	v_and_b32_sdwa v3, v5, s4 dst_sel:DWORD dst_unused:UNUSED_PAD src0_sel:WORD_1 src1_sel:DWORD
	s_movk_i32 s4, 0x7f
	v_cmp_lt_i16_e32 vcc, s4, v3
	s_mov_b64 s[4:5], 0
                                        ; implicit-def: $sgpr10
	s_and_saveexec_b64 s[6:7], vcc
	s_xor_b64 s[6:7], exec, s[6:7]
	s_cbranch_execz .LBB1_8309
; %bb.44149:
	s_getpc_b64 s[14:15]
.Lpost_getpc7738:
	s_add_u32 s14, s14, (.LBB1_22645-.Lpost_getpc7738)&4294967295
	s_addc_u32 s15, s15, (.LBB1_22645-.Lpost_getpc7738)>>32
	s_setpc_b64 s[14:15]
.LBB1_8309:
	s_or_saveexec_b64 s[6:7], s[6:7]
	v_mov_b32_e32 v4, s10
	s_xor_b64 exec, exec, s[6:7]
	s_cbranch_execz .LBB1_8310
; %bb.44151:
	s_getpc_b64 s[14:15]
.Lpost_getpc7739:
	s_add_u32 s14, s14, (.LBB1_22648-.Lpost_getpc7739)&4294967295
	s_addc_u32 s15, s15, (.LBB1_22648-.Lpost_getpc7739)>>32
	s_setpc_b64 s[14:15]
.LBB1_8310:
	s_or_b64 exec, exec, s[6:7]
	s_and_saveexec_b64 s[6:7], s[4:5]
	s_cbranch_execz .LBB1_8312
.LBB1_8311:
	v_bfe_u32 v3, v5, 16, 3
	v_ffbh_u32_e32 v7, v3
	v_min_u32_e32 v7, 32, v7
	v_lshrrev_b32_e32 v4, 19, v5
	v_subrev_u32_e32 v8, 28, v7
	v_and_b32_e32 v4, 15, v4
	v_lshlrev_b32_sdwa v8, v8, v5 dst_sel:DWORD dst_unused:UNUSED_PAD src0_sel:DWORD src1_sel:WORD_1
	v_bfe_u32 v6, v5, 19, 4
	v_sub_u32_e32 v7, 29, v7
	v_and_b32_e32 v8, 7, v8
	v_cmp_eq_u16_e32 vcc, 0, v4
	v_cndmask_b32_e32 v3, v3, v8, vcc
	v_cndmask_b32_e32 v4, v6, v7, vcc
	v_lshlrev_b32_e32 v6, 8, v5
	v_mov_b32_e32 v7, 0x3b800000
	v_lshlrev_b32_e32 v3, 20, v3
	v_and_b32_e32 v6, 0x80000000, v6
	v_lshl_add_u32 v4, v4, 23, v7
	v_or3_b32 v4, v6, v4, v3
.LBB1_8312:
	s_or_b64 exec, exec, s[6:7]
	s_nop 0
	v_mfma_f32_16x16x4f32 a[0:3], v2, v4, a[0:3]
	s_movk_i32 s4, 0x7f
	v_cmp_gt_i16_sdwa s[6:7], v9, s4 src0_sel:BYTE_3 src1_sel:DWORD
	s_mov_b64 s[4:5], 0
                                        ; implicit-def: $sgpr10
	s_and_saveexec_b64 s[8:9], s[6:7]
	s_xor_b64 s[6:7], exec, s[8:9]
	s_cbranch_execz .LBB1_8313
; %bb.44153:
	s_getpc_b64 s[14:15]
.Lpost_getpc7740:
	s_add_u32 s14, s14, (.LBB1_22649-.Lpost_getpc7740)&4294967295
	s_addc_u32 s15, s15, (.LBB1_22649-.Lpost_getpc7740)>>32
	s_setpc_b64 s[14:15]
.LBB1_8313:
	s_or_saveexec_b64 s[6:7], s[6:7]
	v_mov_b32_e32 v2, s10
	s_xor_b64 exec, exec, s[6:7]
	s_cbranch_execz .LBB1_8314
; %bb.44155:
	s_getpc_b64 s[14:15]
.Lpost_getpc7741:
	s_add_u32 s14, s14, (.LBB1_22652-.Lpost_getpc7741)&4294967295
	s_addc_u32 s15, s15, (.LBB1_22652-.Lpost_getpc7741)>>32
	s_setpc_b64 s[14:15]
.LBB1_8314:
	s_or_b64 exec, exec, s[6:7]
	s_and_saveexec_b64 s[6:7], s[4:5]
	s_cbranch_execz .LBB1_8316
.LBB1_8315:
	v_bfe_u32 v2, v9, 24, 3
	v_ffbh_u32_e32 v7, v2
	v_min_u32_e32 v7, 32, v7
	v_lshrrev_b32_e32 v4, 27, v9
	v_subrev_u32_e32 v8, 28, v7
	v_and_b32_e32 v4, 15, v4
	v_lshlrev_b32_sdwa v8, v8, v9 dst_sel:DWORD dst_unused:UNUSED_PAD src0_sel:DWORD src1_sel:BYTE_3
	v_bfe_u32 v6, v9, 27, 4
	v_sub_u32_e32 v7, 29, v7
	v_and_b32_e32 v8, 7, v8
	v_cmp_eq_u16_e32 vcc, 0, v4
	v_cndmask_b32_e32 v2, v2, v8, vcc
	v_cndmask_b32_e32 v4, v6, v7, vcc
	v_mov_b32_e32 v6, 0x3b800000
	v_and_b32_e32 v3, 0x80000000, v9
	v_lshlrev_b32_e32 v2, 20, v2
	v_lshl_add_u32 v4, v4, 23, v6
	v_or3_b32 v2, v3, v4, v2
.LBB1_8316:
	s_or_b64 exec, exec, s[6:7]
	s_movk_i32 s4, 0x7f
	v_cmp_gt_i16_sdwa s[6:7], v5, s4 src0_sel:BYTE_3 src1_sel:DWORD
	s_mov_b64 s[4:5], 0
                                        ; implicit-def: $sgpr10
	s_and_saveexec_b64 s[8:9], s[6:7]
	s_xor_b64 s[6:7], exec, s[8:9]
	s_cbranch_execz .LBB1_8317
; %bb.44157:
	s_getpc_b64 s[14:15]
.Lpost_getpc7742:
	s_add_u32 s14, s14, (.LBB1_22653-.Lpost_getpc7742)&4294967295
	s_addc_u32 s15, s15, (.LBB1_22653-.Lpost_getpc7742)>>32
	s_setpc_b64 s[14:15]
.LBB1_8317:
	s_or_saveexec_b64 s[6:7], s[6:7]
	v_mov_b32_e32 v3, s10
	s_xor_b64 exec, exec, s[6:7]
	s_cbranch_execz .LBB1_8318
; %bb.44159:
	s_getpc_b64 s[14:15]
.Lpost_getpc7743:
	s_add_u32 s14, s14, (.LBB1_22656-.Lpost_getpc7743)&4294967295
	s_addc_u32 s15, s15, (.LBB1_22656-.Lpost_getpc7743)>>32
	s_setpc_b64 s[14:15]
.LBB1_8318:
	s_or_b64 exec, exec, s[6:7]
	s_and_saveexec_b64 s[6:7], s[4:5]
	s_cbranch_execz .LBB1_8320
.LBB1_8319:
	v_bfe_u32 v3, v5, 24, 3
	v_ffbh_u32_e32 v8, v3
	v_min_u32_e32 v8, 32, v8
	v_lshrrev_b32_e32 v6, 27, v5
	v_subrev_u32_e32 v9, 28, v8
	v_and_b32_e32 v4, 0x80000000, v5
	v_and_b32_e32 v6, 15, v6
	v_bfe_u32 v7, v5, 27, 4
	v_lshlrev_b32_sdwa v5, v9, v5 dst_sel:DWORD dst_unused:UNUSED_PAD src0_sel:DWORD src1_sel:BYTE_3
	v_sub_u32_e32 v8, 29, v8
	v_and_b32_e32 v5, 7, v5
	v_cmp_eq_u16_e32 vcc, 0, v6
	v_cndmask_b32_e32 v3, v3, v5, vcc
	v_cndmask_b32_e32 v5, v7, v8, vcc
	v_mov_b32_e32 v6, 0x3b800000
	v_lshlrev_b32_e32 v3, 20, v3
	v_lshl_add_u32 v5, v5, 23, v6
	v_or3_b32 v3, v4, v5, v3
.LBB1_8320:
	s_or_b64 exec, exec, s[6:7]
	s_nop 0
	v_mfma_f32_16x16x4f32 a[0:3], v2, v3, a[0:3]
	s_movk_i32 s4, 0x7f
                                        ; implicit-def: $sgpr10
	s_nop 7
	s_nop 1
	flat_store_dwordx4 v[10:11], a[0:3] offset:128
	flat_load_dwordx4 v[12:15], v[0:1]
	s_nop 0
	flat_load_dwordx2 v[10:11], v[0:1] offset:16
	s_waitcnt vmcnt(0) lgkmcnt(0)
	flat_load_dwordx4 v[6:9], v[12:13] offset:128
	flat_load_dwordx4 v[2:5], v[14:15] offset:144
	s_waitcnt vmcnt(0) lgkmcnt(0)
	v_cmp_gt_i16_sdwa s[6:7], v6, s4 src0_sel:BYTE_0 src1_sel:DWORD
	s_mov_b64 s[4:5], 0
	s_and_saveexec_b64 s[8:9], s[6:7]
	s_xor_b64 s[6:7], exec, s[8:9]
	s_cbranch_execz .LBB1_8321
; %bb.44161:
	s_getpc_b64 s[14:15]
.Lpost_getpc7744:
	s_add_u32 s14, s14, (.LBB1_22657-.Lpost_getpc7744)&4294967295
	s_addc_u32 s15, s15, (.LBB1_22657-.Lpost_getpc7744)>>32
	s_setpc_b64 s[14:15]
.LBB1_8321:
	s_or_saveexec_b64 s[6:7], s[6:7]
	v_mov_b32_e32 v12, s10
	s_xor_b64 exec, exec, s[6:7]
	s_cbranch_execz .LBB1_8322
; %bb.44163:
	s_getpc_b64 s[14:15]
.Lpost_getpc7745:
	s_add_u32 s14, s14, (.LBB1_22660-.Lpost_getpc7745)&4294967295
	s_addc_u32 s15, s15, (.LBB1_22660-.Lpost_getpc7745)>>32
	s_setpc_b64 s[14:15]
.LBB1_8322:
	s_or_b64 exec, exec, s[6:7]
	s_and_saveexec_b64 s[6:7], s[4:5]
	s_cbranch_execz .LBB1_8324
.LBB1_8323:
	v_and_b32_e32 v12, 7, v6
	v_ffbh_u32_e32 v14, v12
	v_min_u32_e32 v14, 32, v14
	v_lshrrev_b16_e32 v13, 3, v6
	v_subrev_u32_e32 v15, 28, v14
	v_and_b32_e32 v13, 15, v13
	v_lshlrev_b32_e32 v15, v15, v6
	v_sub_u32_e32 v14, 29, v14
	v_and_b32_e32 v15, 7, v15
	v_cmp_eq_u16_e32 vcc, 0, v13
	v_cndmask_b32_e32 v12, v12, v15, vcc
	v_cndmask_b32_e32 v13, v13, v14, vcc
	v_lshlrev_b32_e32 v14, 24, v6
	v_mov_b32_e32 v15, 0x3b800000
	v_lshlrev_b32_e32 v12, 20, v12
	v_and_b32_e32 v14, 0x80000000, v14
	v_lshl_add_u32 v13, v13, 23, v15
	v_or3_b32 v12, v14, v13, v12
.LBB1_8324:
	s_or_b64 exec, exec, s[6:7]
	s_movk_i32 s4, 0x7f
	v_cmp_gt_i16_sdwa s[6:7], v2, s4 src0_sel:BYTE_0 src1_sel:DWORD
	s_mov_b64 s[4:5], 0
                                        ; implicit-def: $sgpr10
	s_and_saveexec_b64 s[8:9], s[6:7]
	s_xor_b64 s[6:7], exec, s[8:9]
	s_cbranch_execz .LBB1_8325
; %bb.44165:
	s_getpc_b64 s[14:15]
.Lpost_getpc7746:
	s_add_u32 s14, s14, (.LBB1_22661-.Lpost_getpc7746)&4294967295
	s_addc_u32 s15, s15, (.LBB1_22661-.Lpost_getpc7746)>>32
	s_setpc_b64 s[14:15]
.LBB1_8325:
	s_or_saveexec_b64 s[6:7], s[6:7]
	v_mov_b32_e32 v13, s10
	s_xor_b64 exec, exec, s[6:7]
	s_cbranch_execz .LBB1_8326
; %bb.44167:
	s_getpc_b64 s[14:15]
.Lpost_getpc7747:
	s_add_u32 s14, s14, (.LBB1_22664-.Lpost_getpc7747)&4294967295
	s_addc_u32 s15, s15, (.LBB1_22664-.Lpost_getpc7747)>>32
	s_setpc_b64 s[14:15]
.LBB1_8326:
	s_or_b64 exec, exec, s[6:7]
	s_and_saveexec_b64 s[6:7], s[4:5]
	s_cbranch_execz .LBB1_8328
.LBB1_8327:
	v_and_b32_e32 v13, 7, v2
	v_ffbh_u32_e32 v15, v13
	v_min_u32_e32 v15, 32, v15
	v_lshrrev_b16_e32 v14, 3, v2
	v_subrev_u32_e32 v16, 28, v15
	v_and_b32_e32 v14, 15, v14
	v_lshlrev_b32_e32 v16, v16, v2
	v_sub_u32_e32 v15, 29, v15
	v_and_b32_e32 v16, 7, v16
	v_cmp_eq_u16_e32 vcc, 0, v14
	v_cndmask_b32_e32 v13, v13, v16, vcc
	v_cndmask_b32_e32 v14, v14, v15, vcc
	v_lshlrev_b32_e32 v15, 24, v2
	v_mov_b32_e32 v16, 0x3b800000
	v_lshlrev_b32_e32 v13, 20, v13
	v_and_b32_e32 v15, 0x80000000, v15
	v_lshl_add_u32 v14, v14, 23, v16
	v_or3_b32 v13, v15, v14, v13
.LBB1_8328:
	s_or_b64 exec, exec, s[6:7]
	flat_load_dwordx4 a[0:3], v[10:11] offset:144
	s_movk_i32 s4, 0x7f
                                        ; implicit-def: $sgpr10
	s_waitcnt vmcnt(0) lgkmcnt(0)
	v_mfma_f32_16x16x4f32 a[0:3], v12, v13, a[0:3]
	v_lshrrev_b32_e32 v13, 8, v6
	v_cmp_gt_i16_sdwa s[6:7], v13, s4 src0_sel:BYTE_0 src1_sel:DWORD
	s_mov_b64 s[4:5], 0
	s_and_saveexec_b64 s[8:9], s[6:7]
	s_xor_b64 s[6:7], exec, s[8:9]
	s_cbranch_execz .LBB1_8329
; %bb.44169:
	s_getpc_b64 s[14:15]
.Lpost_getpc7748:
	s_add_u32 s14, s14, (.LBB1_22665-.Lpost_getpc7748)&4294967295
	s_addc_u32 s15, s15, (.LBB1_22665-.Lpost_getpc7748)>>32
	s_setpc_b64 s[14:15]
.LBB1_8329:
	s_or_saveexec_b64 s[6:7], s[6:7]
	v_mov_b32_e32 v12, s10
	s_xor_b64 exec, exec, s[6:7]
	s_cbranch_execz .LBB1_8330
; %bb.44171:
	s_getpc_b64 s[14:15]
.Lpost_getpc7749:
	s_add_u32 s14, s14, (.LBB1_22668-.Lpost_getpc7749)&4294967295
	s_addc_u32 s15, s15, (.LBB1_22668-.Lpost_getpc7749)>>32
	s_setpc_b64 s[14:15]
.LBB1_8330:
	s_or_b64 exec, exec, s[6:7]
	s_and_saveexec_b64 s[6:7], s[4:5]
	s_cbranch_execz .LBB1_8332
.LBB1_8331:
	v_bfe_u32 v12, v6, 8, 3
	v_ffbh_u32_e32 v15, v12
	v_min_u32_e32 v15, 32, v15
	v_lshrrev_b16_e32 v14, 3, v13
	v_subrev_u32_e32 v16, 28, v15
	v_and_b32_e32 v14, 15, v14
	v_lshlrev_b32_e32 v13, v16, v13
	v_sub_u32_e32 v15, 29, v15
	v_and_b32_e32 v13, 7, v13
	v_cmp_eq_u16_e32 vcc, 0, v14
	v_cndmask_b32_e32 v12, v12, v13, vcc
	v_cndmask_b32_e32 v13, v14, v15, vcc
	v_lshlrev_b32_e32 v14, 16, v6
	v_mov_b32_e32 v15, 0x3b800000
	v_lshlrev_b32_e32 v12, 20, v12
	v_and_b32_e32 v14, 0x80000000, v14
	v_lshl_add_u32 v13, v13, 23, v15
	v_or3_b32 v12, v14, v13, v12
.LBB1_8332:
	s_or_b64 exec, exec, s[6:7]
	v_lshrrev_b32_e32 v13, 8, v2
	s_movk_i32 s4, 0x7f
	v_cmp_gt_i16_sdwa s[6:7], v13, s4 src0_sel:BYTE_0 src1_sel:DWORD
	s_mov_b64 s[4:5], 0
                                        ; implicit-def: $sgpr10
	s_and_saveexec_b64 s[8:9], s[6:7]
	s_xor_b64 s[6:7], exec, s[8:9]
	s_cbranch_execz .LBB1_8333
; %bb.44173:
	s_getpc_b64 s[14:15]
.Lpost_getpc7750:
	s_add_u32 s14, s14, (.LBB1_22669-.Lpost_getpc7750)&4294967295
	s_addc_u32 s15, s15, (.LBB1_22669-.Lpost_getpc7750)>>32
	s_setpc_b64 s[14:15]
.LBB1_8333:
	s_or_saveexec_b64 s[6:7], s[6:7]
	v_mov_b32_e32 v14, s10
	s_xor_b64 exec, exec, s[6:7]
	s_cbranch_execz .LBB1_8334
; %bb.44175:
	s_getpc_b64 s[14:15]
.Lpost_getpc7751:
	s_add_u32 s14, s14, (.LBB1_22672-.Lpost_getpc7751)&4294967295
	s_addc_u32 s15, s15, (.LBB1_22672-.Lpost_getpc7751)>>32
	s_setpc_b64 s[14:15]
.LBB1_8334:
	s_or_b64 exec, exec, s[6:7]
	s_and_saveexec_b64 s[6:7], s[4:5]
	s_cbranch_execz .LBB1_8336
.LBB1_8335:
	v_bfe_u32 v14, v2, 8, 3
	v_ffbh_u32_e32 v16, v14
	v_min_u32_e32 v16, 32, v16
	v_lshrrev_b16_e32 v15, 3, v13
	v_subrev_u32_e32 v17, 28, v16
	v_and_b32_e32 v15, 15, v15
	v_lshlrev_b32_e32 v13, v17, v13
	v_sub_u32_e32 v16, 29, v16
	v_and_b32_e32 v13, 7, v13
	v_cmp_eq_u16_e32 vcc, 0, v15
	v_cndmask_b32_e32 v13, v14, v13, vcc
	v_cndmask_b32_e32 v14, v15, v16, vcc
	v_lshlrev_b32_e32 v15, 16, v2
	v_mov_b32_e32 v16, 0x3b800000
	v_lshlrev_b32_e32 v13, 20, v13
	v_and_b32_e32 v15, 0x80000000, v15
	v_lshl_add_u32 v14, v14, 23, v16
	v_or3_b32 v14, v15, v14, v13
.LBB1_8336:
	s_or_b64 exec, exec, s[6:7]
	s_nop 0
	v_mfma_f32_16x16x4f32 a[0:3], v12, v14, a[0:3]
	s_movk_i32 s4, 0xff
	v_and_b32_sdwa v13, v6, s4 dst_sel:DWORD dst_unused:UNUSED_PAD src0_sel:WORD_1 src1_sel:DWORD
	s_movk_i32 s4, 0x7f
	v_cmp_lt_i16_e32 vcc, s4, v13
	s_mov_b64 s[4:5], 0
                                        ; implicit-def: $sgpr10
	s_and_saveexec_b64 s[6:7], vcc
	s_xor_b64 s[6:7], exec, s[6:7]
	s_cbranch_execz .LBB1_8337
; %bb.44177:
	s_getpc_b64 s[14:15]
.Lpost_getpc7752:
	s_add_u32 s14, s14, (.LBB1_22673-.Lpost_getpc7752)&4294967295
	s_addc_u32 s15, s15, (.LBB1_22673-.Lpost_getpc7752)>>32
	s_setpc_b64 s[14:15]
.LBB1_8337:
	s_or_saveexec_b64 s[6:7], s[6:7]
	v_mov_b32_e32 v12, s10
	s_xor_b64 exec, exec, s[6:7]
	s_cbranch_execz .LBB1_8338
; %bb.44179:
	s_getpc_b64 s[14:15]
.Lpost_getpc7753:
	s_add_u32 s14, s14, (.LBB1_22676-.Lpost_getpc7753)&4294967295
	s_addc_u32 s15, s15, (.LBB1_22676-.Lpost_getpc7753)>>32
	s_setpc_b64 s[14:15]
.LBB1_8338:
	s_or_b64 exec, exec, s[6:7]
	s_and_saveexec_b64 s[6:7], s[4:5]
	s_cbranch_execz .LBB1_8340
.LBB1_8339:
	v_bfe_u32 v12, v6, 16, 3
	v_ffbh_u32_e32 v15, v12
	v_min_u32_e32 v15, 32, v15
	v_lshrrev_b32_e32 v13, 19, v6
	v_subrev_u32_e32 v16, 28, v15
	v_and_b32_e32 v13, 15, v13
	v_lshlrev_b32_sdwa v16, v16, v6 dst_sel:DWORD dst_unused:UNUSED_PAD src0_sel:DWORD src1_sel:WORD_1
	v_bfe_u32 v14, v6, 19, 4
	v_sub_u32_e32 v15, 29, v15
	v_and_b32_e32 v16, 7, v16
	v_cmp_eq_u16_e32 vcc, 0, v13
	v_cndmask_b32_e32 v12, v12, v16, vcc
	v_cndmask_b32_e32 v13, v14, v15, vcc
	v_lshlrev_b32_e32 v14, 8, v6
	v_mov_b32_e32 v15, 0x3b800000
	v_lshlrev_b32_e32 v12, 20, v12
	v_and_b32_e32 v14, 0x80000000, v14
	v_lshl_add_u32 v13, v13, 23, v15
	v_or3_b32 v12, v14, v13, v12
.LBB1_8340:
	s_or_b64 exec, exec, s[6:7]
	s_movk_i32 s4, 0xff
	v_and_b32_sdwa v13, v2, s4 dst_sel:DWORD dst_unused:UNUSED_PAD src0_sel:WORD_1 src1_sel:DWORD
	s_movk_i32 s4, 0x7f
	v_cmp_lt_i16_e32 vcc, s4, v13
	s_mov_b64 s[4:5], 0
                                        ; implicit-def: $sgpr10
	s_and_saveexec_b64 s[6:7], vcc
	s_xor_b64 s[6:7], exec, s[6:7]
	s_cbranch_execz .LBB1_8341
; %bb.44181:
	s_getpc_b64 s[14:15]
.Lpost_getpc7754:
	s_add_u32 s14, s14, (.LBB1_22677-.Lpost_getpc7754)&4294967295
	s_addc_u32 s15, s15, (.LBB1_22677-.Lpost_getpc7754)>>32
	s_setpc_b64 s[14:15]
.LBB1_8341:
	s_or_saveexec_b64 s[6:7], s[6:7]
	v_mov_b32_e32 v14, s10
	s_xor_b64 exec, exec, s[6:7]
	s_cbranch_execz .LBB1_8342
; %bb.44183:
	s_getpc_b64 s[14:15]
.Lpost_getpc7755:
	s_add_u32 s14, s14, (.LBB1_22680-.Lpost_getpc7755)&4294967295
	s_addc_u32 s15, s15, (.LBB1_22680-.Lpost_getpc7755)>>32
	s_setpc_b64 s[14:15]
.LBB1_8342:
	s_or_b64 exec, exec, s[6:7]
	s_and_saveexec_b64 s[6:7], s[4:5]
	s_cbranch_execz .LBB1_8344
.LBB1_8343:
	v_bfe_u32 v13, v2, 16, 3
	v_ffbh_u32_e32 v16, v13
	v_min_u32_e32 v16, 32, v16
	v_lshrrev_b32_e32 v14, 19, v2
	v_subrev_u32_e32 v17, 28, v16
	v_and_b32_e32 v14, 15, v14
	v_lshlrev_b32_sdwa v17, v17, v2 dst_sel:DWORD dst_unused:UNUSED_PAD src0_sel:DWORD src1_sel:WORD_1
	v_bfe_u32 v15, v2, 19, 4
	v_sub_u32_e32 v16, 29, v16
	v_and_b32_e32 v17, 7, v17
	v_cmp_eq_u16_e32 vcc, 0, v14
	v_cndmask_b32_e32 v13, v13, v17, vcc
	v_cndmask_b32_e32 v14, v15, v16, vcc
	v_lshlrev_b32_e32 v15, 8, v2
	v_mov_b32_e32 v16, 0x3b800000
	v_lshlrev_b32_e32 v13, 20, v13
	v_and_b32_e32 v15, 0x80000000, v15
	v_lshl_add_u32 v14, v14, 23, v16
	v_or3_b32 v14, v15, v14, v13
.LBB1_8344:
	s_or_b64 exec, exec, s[6:7]
	s_nop 0
	v_mfma_f32_16x16x4f32 a[0:3], v12, v14, a[0:3]
	s_movk_i32 s4, 0x7f
	v_cmp_gt_i16_sdwa s[6:7], v6, s4 src0_sel:BYTE_3 src1_sel:DWORD
	s_mov_b64 s[4:5], 0
                                        ; implicit-def: $sgpr10
	s_and_saveexec_b64 s[8:9], s[6:7]
	s_xor_b64 s[6:7], exec, s[8:9]
	s_cbranch_execz .LBB1_8345
; %bb.44185:
	s_getpc_b64 s[14:15]
.Lpost_getpc7756:
	s_add_u32 s14, s14, (.LBB1_22681-.Lpost_getpc7756)&4294967295
	s_addc_u32 s15, s15, (.LBB1_22681-.Lpost_getpc7756)>>32
	s_setpc_b64 s[14:15]
.LBB1_8345:
	s_or_saveexec_b64 s[6:7], s[6:7]
	v_mov_b32_e32 v12, s10
	s_xor_b64 exec, exec, s[6:7]
	s_cbranch_execz .LBB1_8346
; %bb.44187:
	s_getpc_b64 s[14:15]
.Lpost_getpc7757:
	s_add_u32 s14, s14, (.LBB1_22684-.Lpost_getpc7757)&4294967295
	s_addc_u32 s15, s15, (.LBB1_22684-.Lpost_getpc7757)>>32
	s_setpc_b64 s[14:15]
.LBB1_8346:
	s_or_b64 exec, exec, s[6:7]
	s_and_saveexec_b64 s[6:7], s[4:5]
	s_cbranch_execz .LBB1_8348
.LBB1_8347:
	v_bfe_u32 v12, v6, 24, 3
	v_ffbh_u32_e32 v16, v12
	v_min_u32_e32 v16, 32, v16
	v_lshrrev_b32_e32 v14, 27, v6
	v_subrev_u32_e32 v17, 28, v16
	v_and_b32_e32 v13, 0x80000000, v6
	v_and_b32_e32 v14, 15, v14
	v_bfe_u32 v15, v6, 27, 4
	v_lshlrev_b32_sdwa v6, v17, v6 dst_sel:DWORD dst_unused:UNUSED_PAD src0_sel:DWORD src1_sel:BYTE_3
	v_sub_u32_e32 v16, 29, v16
	v_and_b32_e32 v6, 7, v6
	v_cmp_eq_u16_e32 vcc, 0, v14
	v_cndmask_b32_e32 v6, v12, v6, vcc
	v_cndmask_b32_e32 v12, v15, v16, vcc
	v_mov_b32_e32 v14, 0x3b800000
	v_lshlrev_b32_e32 v6, 20, v6
	v_lshl_add_u32 v12, v12, 23, v14
	v_or3_b32 v12, v13, v12, v6
.LBB1_8348:
	s_or_b64 exec, exec, s[6:7]
	s_movk_i32 s4, 0x7f
	v_cmp_gt_i16_sdwa s[6:7], v2, s4 src0_sel:BYTE_3 src1_sel:DWORD
	s_mov_b64 s[4:5], 0
                                        ; implicit-def: $sgpr10
	s_and_saveexec_b64 s[8:9], s[6:7]
	s_xor_b64 s[6:7], exec, s[8:9]
	s_cbranch_execz .LBB1_8349
; %bb.44189:
	s_getpc_b64 s[14:15]
.Lpost_getpc7758:
	s_add_u32 s14, s14, (.LBB1_22685-.Lpost_getpc7758)&4294967295
	s_addc_u32 s15, s15, (.LBB1_22685-.Lpost_getpc7758)>>32
	s_setpc_b64 s[14:15]
.LBB1_8349:
	s_or_saveexec_b64 s[6:7], s[6:7]
	v_mov_b32_e32 v6, s10
	s_xor_b64 exec, exec, s[6:7]
	s_cbranch_execz .LBB1_8350
; %bb.44191:
	s_getpc_b64 s[14:15]
.Lpost_getpc7759:
	s_add_u32 s14, s14, (.LBB1_22688-.Lpost_getpc7759)&4294967295
	s_addc_u32 s15, s15, (.LBB1_22688-.Lpost_getpc7759)>>32
	s_setpc_b64 s[14:15]
.LBB1_8350:
	s_or_b64 exec, exec, s[6:7]
	s_and_saveexec_b64 s[6:7], s[4:5]
	s_cbranch_execz .LBB1_8352
.LBB1_8351:
	v_bfe_u32 v6, v2, 24, 3
	v_ffbh_u32_e32 v16, v6
	v_min_u32_e32 v16, 32, v16
	v_lshrrev_b32_e32 v14, 27, v2
	v_subrev_u32_e32 v17, 28, v16
	v_and_b32_e32 v13, 0x80000000, v2
	v_and_b32_e32 v14, 15, v14
	v_bfe_u32 v15, v2, 27, 4
	v_lshlrev_b32_sdwa v2, v17, v2 dst_sel:DWORD dst_unused:UNUSED_PAD src0_sel:DWORD src1_sel:BYTE_3
	v_sub_u32_e32 v16, 29, v16
	v_and_b32_e32 v2, 7, v2
	v_cmp_eq_u16_e32 vcc, 0, v14
	v_cndmask_b32_e32 v2, v6, v2, vcc
	v_cndmask_b32_e32 v6, v15, v16, vcc
	v_mov_b32_e32 v14, 0x3b800000
	v_lshlrev_b32_e32 v2, 20, v2
	v_lshl_add_u32 v6, v6, 23, v14
	v_or3_b32 v6, v13, v6, v2
.LBB1_8352:
	s_or_b64 exec, exec, s[6:7]
	s_nop 0
	v_mfma_f32_16x16x4f32 a[0:3], v12, v6, a[0:3]
	s_movk_i32 s4, 0x7f
	v_cmp_gt_i16_sdwa s[6:7], v7, s4 src0_sel:BYTE_0 src1_sel:DWORD
	s_mov_b64 s[4:5], 0
                                        ; implicit-def: $sgpr10
	s_and_saveexec_b64 s[8:9], s[6:7]
	s_xor_b64 s[6:7], exec, s[8:9]
	s_cbranch_execz .LBB1_8353
; %bb.44193:
	s_getpc_b64 s[14:15]
.Lpost_getpc7760:
	s_add_u32 s14, s14, (.LBB1_22689-.Lpost_getpc7760)&4294967295
	s_addc_u32 s15, s15, (.LBB1_22689-.Lpost_getpc7760)>>32
	s_setpc_b64 s[14:15]
.LBB1_8353:
	s_or_saveexec_b64 s[6:7], s[6:7]
	v_mov_b32_e32 v2, s10
	s_xor_b64 exec, exec, s[6:7]
	s_cbranch_execz .LBB1_8354
; %bb.44195:
	s_getpc_b64 s[14:15]
.Lpost_getpc7761:
	s_add_u32 s14, s14, (.LBB1_22692-.Lpost_getpc7761)&4294967295
	s_addc_u32 s15, s15, (.LBB1_22692-.Lpost_getpc7761)>>32
	s_setpc_b64 s[14:15]
.LBB1_8354:
	s_or_b64 exec, exec, s[6:7]
	s_and_saveexec_b64 s[6:7], s[4:5]
	s_cbranch_execz .LBB1_8356
.LBB1_8355:
	v_and_b32_e32 v2, 7, v7
	v_ffbh_u32_e32 v12, v2
	v_min_u32_e32 v12, 32, v12
	v_lshrrev_b16_e32 v6, 3, v7
	v_subrev_u32_e32 v13, 28, v12
	v_and_b32_e32 v6, 15, v6
	v_lshlrev_b32_e32 v13, v13, v7
	v_sub_u32_e32 v12, 29, v12
	v_and_b32_e32 v13, 7, v13
	v_cmp_eq_u16_e32 vcc, 0, v6
	v_cndmask_b32_e32 v2, v2, v13, vcc
	v_cndmask_b32_e32 v6, v6, v12, vcc
	v_lshlrev_b32_e32 v12, 24, v7
	v_mov_b32_e32 v13, 0x3b800000
	v_lshlrev_b32_e32 v2, 20, v2
	v_and_b32_e32 v12, 0x80000000, v12
	v_lshl_add_u32 v6, v6, 23, v13
	v_or3_b32 v2, v12, v6, v2
.LBB1_8356:
	s_or_b64 exec, exec, s[6:7]
	s_movk_i32 s4, 0x7f
	v_cmp_gt_i16_sdwa s[6:7], v3, s4 src0_sel:BYTE_0 src1_sel:DWORD
	s_mov_b64 s[4:5], 0
                                        ; implicit-def: $sgpr10
	s_and_saveexec_b64 s[8:9], s[6:7]
	s_xor_b64 s[6:7], exec, s[8:9]
	s_cbranch_execz .LBB1_8357
; %bb.44197:
	s_getpc_b64 s[14:15]
.Lpost_getpc7762:
	s_add_u32 s14, s14, (.LBB1_22693-.Lpost_getpc7762)&4294967295
	s_addc_u32 s15, s15, (.LBB1_22693-.Lpost_getpc7762)>>32
	s_setpc_b64 s[14:15]
.LBB1_8357:
	s_or_saveexec_b64 s[6:7], s[6:7]
	v_mov_b32_e32 v6, s10
	s_xor_b64 exec, exec, s[6:7]
	s_cbranch_execz .LBB1_8358
; %bb.44199:
	s_getpc_b64 s[14:15]
.Lpost_getpc7763:
	s_add_u32 s14, s14, (.LBB1_22696-.Lpost_getpc7763)&4294967295
	s_addc_u32 s15, s15, (.LBB1_22696-.Lpost_getpc7763)>>32
	s_setpc_b64 s[14:15]
.LBB1_8358:
	s_or_b64 exec, exec, s[6:7]
	s_and_saveexec_b64 s[6:7], s[4:5]
	s_cbranch_execz .LBB1_8360
.LBB1_8359:
	v_and_b32_e32 v6, 7, v3
	v_ffbh_u32_e32 v13, v6
	v_min_u32_e32 v13, 32, v13
	v_lshrrev_b16_e32 v12, 3, v3
	v_subrev_u32_e32 v14, 28, v13
	v_and_b32_e32 v12, 15, v12
	v_lshlrev_b32_e32 v14, v14, v3
	v_sub_u32_e32 v13, 29, v13
	v_and_b32_e32 v14, 7, v14
	v_cmp_eq_u16_e32 vcc, 0, v12
	v_cndmask_b32_e32 v6, v6, v14, vcc
	v_cndmask_b32_e32 v12, v12, v13, vcc
	v_lshlrev_b32_e32 v13, 24, v3
	v_mov_b32_e32 v14, 0x3b800000
	v_lshlrev_b32_e32 v6, 20, v6
	v_and_b32_e32 v13, 0x80000000, v13
	v_lshl_add_u32 v12, v12, 23, v14
	v_or3_b32 v6, v13, v12, v6
.LBB1_8360:
	s_or_b64 exec, exec, s[6:7]
	s_nop 0
	v_mfma_f32_16x16x4f32 a[0:3], v2, v6, a[0:3]
	v_lshrrev_b32_e32 v6, 8, v7
	s_movk_i32 s4, 0x7f
	v_cmp_gt_i16_sdwa s[6:7], v6, s4 src0_sel:BYTE_0 src1_sel:DWORD
	s_mov_b64 s[4:5], 0
                                        ; implicit-def: $sgpr10
	s_and_saveexec_b64 s[8:9], s[6:7]
	s_xor_b64 s[6:7], exec, s[8:9]
	s_cbranch_execz .LBB1_8361
; %bb.44201:
	s_getpc_b64 s[14:15]
.Lpost_getpc7764:
	s_add_u32 s14, s14, (.LBB1_22697-.Lpost_getpc7764)&4294967295
	s_addc_u32 s15, s15, (.LBB1_22697-.Lpost_getpc7764)>>32
	s_setpc_b64 s[14:15]
.LBB1_8361:
	s_or_saveexec_b64 s[6:7], s[6:7]
	v_mov_b32_e32 v2, s10
	s_xor_b64 exec, exec, s[6:7]
	s_cbranch_execz .LBB1_8362
; %bb.44203:
	s_getpc_b64 s[14:15]
.Lpost_getpc7765:
	s_add_u32 s14, s14, (.LBB1_22700-.Lpost_getpc7765)&4294967295
	s_addc_u32 s15, s15, (.LBB1_22700-.Lpost_getpc7765)>>32
	s_setpc_b64 s[14:15]
.LBB1_8362:
	s_or_b64 exec, exec, s[6:7]
	s_and_saveexec_b64 s[6:7], s[4:5]
	s_cbranch_execz .LBB1_8364
.LBB1_8363:
	v_bfe_u32 v2, v7, 8, 3
	v_ffbh_u32_e32 v13, v2
	v_min_u32_e32 v13, 32, v13
	v_lshrrev_b16_e32 v12, 3, v6
	v_subrev_u32_e32 v14, 28, v13
	v_and_b32_e32 v12, 15, v12
	v_lshlrev_b32_e32 v6, v14, v6
	v_sub_u32_e32 v13, 29, v13
	v_and_b32_e32 v6, 7, v6
	v_cmp_eq_u16_e32 vcc, 0, v12
	v_cndmask_b32_e32 v2, v2, v6, vcc
	v_cndmask_b32_e32 v6, v12, v13, vcc
	v_lshlrev_b32_e32 v12, 16, v7
	v_mov_b32_e32 v13, 0x3b800000
	v_lshlrev_b32_e32 v2, 20, v2
	v_and_b32_e32 v12, 0x80000000, v12
	v_lshl_add_u32 v6, v6, 23, v13
	v_or3_b32 v2, v12, v6, v2
.LBB1_8364:
	s_or_b64 exec, exec, s[6:7]
	v_lshrrev_b32_e32 v6, 8, v3
	s_movk_i32 s4, 0x7f
	v_cmp_gt_i16_sdwa s[6:7], v6, s4 src0_sel:BYTE_0 src1_sel:DWORD
	s_mov_b64 s[4:5], 0
                                        ; implicit-def: $sgpr10
	s_and_saveexec_b64 s[8:9], s[6:7]
	s_xor_b64 s[6:7], exec, s[8:9]
	s_cbranch_execz .LBB1_8365
; %bb.44205:
	s_getpc_b64 s[14:15]
.Lpost_getpc7766:
	s_add_u32 s14, s14, (.LBB1_22701-.Lpost_getpc7766)&4294967295
	s_addc_u32 s15, s15, (.LBB1_22701-.Lpost_getpc7766)>>32
	s_setpc_b64 s[14:15]
.LBB1_8365:
	s_or_saveexec_b64 s[6:7], s[6:7]
	v_mov_b32_e32 v12, s10
	s_xor_b64 exec, exec, s[6:7]
	s_cbranch_execz .LBB1_8366
; %bb.44207:
	s_getpc_b64 s[14:15]
.Lpost_getpc7767:
	s_add_u32 s14, s14, (.LBB1_22704-.Lpost_getpc7767)&4294967295
	s_addc_u32 s15, s15, (.LBB1_22704-.Lpost_getpc7767)>>32
	s_setpc_b64 s[14:15]
.LBB1_8366:
	s_or_b64 exec, exec, s[6:7]
	s_and_saveexec_b64 s[6:7], s[4:5]
	s_cbranch_execz .LBB1_8368
.LBB1_8367:
	v_bfe_u32 v12, v3, 8, 3
	v_ffbh_u32_e32 v14, v12
	v_min_u32_e32 v14, 32, v14
	v_lshrrev_b16_e32 v13, 3, v6
	v_subrev_u32_e32 v15, 28, v14
	v_and_b32_e32 v13, 15, v13
	v_lshlrev_b32_e32 v6, v15, v6
	v_sub_u32_e32 v14, 29, v14
	v_and_b32_e32 v6, 7, v6
	v_cmp_eq_u16_e32 vcc, 0, v13
	v_cndmask_b32_e32 v6, v12, v6, vcc
	v_cndmask_b32_e32 v12, v13, v14, vcc
	v_lshlrev_b32_e32 v13, 16, v3
	v_mov_b32_e32 v14, 0x3b800000
	v_lshlrev_b32_e32 v6, 20, v6
	v_and_b32_e32 v13, 0x80000000, v13
	v_lshl_add_u32 v12, v12, 23, v14
	v_or3_b32 v12, v13, v12, v6
.LBB1_8368:
	s_or_b64 exec, exec, s[6:7]
	s_nop 0
	v_mfma_f32_16x16x4f32 a[0:3], v2, v12, a[0:3]
	s_movk_i32 s4, 0xff
	v_and_b32_sdwa v6, v7, s4 dst_sel:DWORD dst_unused:UNUSED_PAD src0_sel:WORD_1 src1_sel:DWORD
	s_movk_i32 s4, 0x7f
	v_cmp_lt_i16_e32 vcc, s4, v6
	s_mov_b64 s[4:5], 0
                                        ; implicit-def: $sgpr10
	s_and_saveexec_b64 s[6:7], vcc
	s_xor_b64 s[6:7], exec, s[6:7]
	s_cbranch_execz .LBB1_8369
; %bb.44209:
	s_getpc_b64 s[14:15]
.Lpost_getpc7768:
	s_add_u32 s14, s14, (.LBB1_22705-.Lpost_getpc7768)&4294967295
	s_addc_u32 s15, s15, (.LBB1_22705-.Lpost_getpc7768)>>32
	s_setpc_b64 s[14:15]
.LBB1_8369:
	s_or_saveexec_b64 s[6:7], s[6:7]
	v_mov_b32_e32 v2, s10
	s_xor_b64 exec, exec, s[6:7]
	s_cbranch_execz .LBB1_8370
; %bb.44211:
	s_getpc_b64 s[14:15]
.Lpost_getpc7769:
	s_add_u32 s14, s14, (.LBB1_22708-.Lpost_getpc7769)&4294967295
	s_addc_u32 s15, s15, (.LBB1_22708-.Lpost_getpc7769)>>32
	s_setpc_b64 s[14:15]
.LBB1_8370:
	s_or_b64 exec, exec, s[6:7]
	s_and_saveexec_b64 s[6:7], s[4:5]
	s_cbranch_execz .LBB1_8372
.LBB1_8371:
	v_bfe_u32 v2, v7, 16, 3
	v_ffbh_u32_e32 v13, v2
	v_min_u32_e32 v13, 32, v13
	v_lshrrev_b32_e32 v6, 19, v7
	v_subrev_u32_e32 v14, 28, v13
	v_and_b32_e32 v6, 15, v6
	v_lshlrev_b32_sdwa v14, v14, v7 dst_sel:DWORD dst_unused:UNUSED_PAD src0_sel:DWORD src1_sel:WORD_1
	v_bfe_u32 v12, v7, 19, 4
	v_sub_u32_e32 v13, 29, v13
	v_and_b32_e32 v14, 7, v14
	v_cmp_eq_u16_e32 vcc, 0, v6
	v_cndmask_b32_e32 v2, v2, v14, vcc
	v_cndmask_b32_e32 v6, v12, v13, vcc
	v_lshlrev_b32_e32 v12, 8, v7
	v_mov_b32_e32 v13, 0x3b800000
	v_lshlrev_b32_e32 v2, 20, v2
	v_and_b32_e32 v12, 0x80000000, v12
	v_lshl_add_u32 v6, v6, 23, v13
	v_or3_b32 v2, v12, v6, v2
.LBB1_8372:
	s_or_b64 exec, exec, s[6:7]
	s_movk_i32 s4, 0xff
	v_and_b32_sdwa v6, v3, s4 dst_sel:DWORD dst_unused:UNUSED_PAD src0_sel:WORD_1 src1_sel:DWORD
	s_movk_i32 s4, 0x7f
	v_cmp_lt_i16_e32 vcc, s4, v6
	s_mov_b64 s[4:5], 0
                                        ; implicit-def: $sgpr10
	s_and_saveexec_b64 s[6:7], vcc
	s_xor_b64 s[6:7], exec, s[6:7]
	s_cbranch_execz .LBB1_8373
; %bb.44213:
	s_getpc_b64 s[14:15]
.Lpost_getpc7770:
	s_add_u32 s14, s14, (.LBB1_22709-.Lpost_getpc7770)&4294967295
	s_addc_u32 s15, s15, (.LBB1_22709-.Lpost_getpc7770)>>32
	s_setpc_b64 s[14:15]
.LBB1_8373:
	s_or_saveexec_b64 s[6:7], s[6:7]
	v_mov_b32_e32 v12, s10
	s_xor_b64 exec, exec, s[6:7]
	s_cbranch_execz .LBB1_8374
; %bb.44215:
	s_getpc_b64 s[14:15]
.Lpost_getpc7771:
	s_add_u32 s14, s14, (.LBB1_22712-.Lpost_getpc7771)&4294967295
	s_addc_u32 s15, s15, (.LBB1_22712-.Lpost_getpc7771)>>32
	s_setpc_b64 s[14:15]
.LBB1_8374:
	s_or_b64 exec, exec, s[6:7]
	s_and_saveexec_b64 s[6:7], s[4:5]
	s_cbranch_execz .LBB1_8376
.LBB1_8375:
	v_bfe_u32 v6, v3, 16, 3
	v_ffbh_u32_e32 v14, v6
	v_min_u32_e32 v14, 32, v14
	v_lshrrev_b32_e32 v12, 19, v3
	v_subrev_u32_e32 v15, 28, v14
	v_and_b32_e32 v12, 15, v12
	v_lshlrev_b32_sdwa v15, v15, v3 dst_sel:DWORD dst_unused:UNUSED_PAD src0_sel:DWORD src1_sel:WORD_1
	v_bfe_u32 v13, v3, 19, 4
	v_sub_u32_e32 v14, 29, v14
	v_and_b32_e32 v15, 7, v15
	v_cmp_eq_u16_e32 vcc, 0, v12
	v_cndmask_b32_e32 v6, v6, v15, vcc
	v_cndmask_b32_e32 v12, v13, v14, vcc
	v_lshlrev_b32_e32 v13, 8, v3
	v_mov_b32_e32 v14, 0x3b800000
	v_lshlrev_b32_e32 v6, 20, v6
	v_and_b32_e32 v13, 0x80000000, v13
	v_lshl_add_u32 v12, v12, 23, v14
	v_or3_b32 v12, v13, v12, v6
.LBB1_8376:
	s_or_b64 exec, exec, s[6:7]
	s_nop 0
	v_mfma_f32_16x16x4f32 a[0:3], v2, v12, a[0:3]
	s_movk_i32 s4, 0x7f
	v_cmp_gt_i16_sdwa s[6:7], v7, s4 src0_sel:BYTE_3 src1_sel:DWORD
	s_mov_b64 s[4:5], 0
                                        ; implicit-def: $sgpr10
	s_and_saveexec_b64 s[8:9], s[6:7]
	s_xor_b64 s[6:7], exec, s[8:9]
	s_cbranch_execz .LBB1_8377
; %bb.44217:
	s_getpc_b64 s[14:15]
.Lpost_getpc7772:
	s_add_u32 s14, s14, (.LBB1_22713-.Lpost_getpc7772)&4294967295
	s_addc_u32 s15, s15, (.LBB1_22713-.Lpost_getpc7772)>>32
	s_setpc_b64 s[14:15]
.LBB1_8377:
	s_or_saveexec_b64 s[6:7], s[6:7]
	v_mov_b32_e32 v2, s10
	s_xor_b64 exec, exec, s[6:7]
	s_cbranch_execz .LBB1_8378
; %bb.44219:
	s_getpc_b64 s[14:15]
.Lpost_getpc7773:
	s_add_u32 s14, s14, (.LBB1_22716-.Lpost_getpc7773)&4294967295
	s_addc_u32 s15, s15, (.LBB1_22716-.Lpost_getpc7773)>>32
	s_setpc_b64 s[14:15]
.LBB1_8378:
	s_or_b64 exec, exec, s[6:7]
	s_and_saveexec_b64 s[6:7], s[4:5]
	s_cbranch_execz .LBB1_8380
.LBB1_8379:
	v_bfe_u32 v2, v7, 24, 3
	v_ffbh_u32_e32 v14, v2
	v_min_u32_e32 v14, 32, v14
	v_lshrrev_b32_e32 v12, 27, v7
	v_subrev_u32_e32 v15, 28, v14
	v_and_b32_e32 v6, 0x80000000, v7
	v_and_b32_e32 v12, 15, v12
	v_bfe_u32 v13, v7, 27, 4
	v_lshlrev_b32_sdwa v7, v15, v7 dst_sel:DWORD dst_unused:UNUSED_PAD src0_sel:DWORD src1_sel:BYTE_3
	v_sub_u32_e32 v14, 29, v14
	v_and_b32_e32 v7, 7, v7
	v_cmp_eq_u16_e32 vcc, 0, v12
	v_cndmask_b32_e32 v2, v2, v7, vcc
	v_cndmask_b32_e32 v7, v13, v14, vcc
	v_mov_b32_e32 v12, 0x3b800000
	v_lshlrev_b32_e32 v2, 20, v2
	v_lshl_add_u32 v7, v7, 23, v12
	v_or3_b32 v2, v6, v7, v2
.LBB1_8380:
	s_or_b64 exec, exec, s[6:7]
	s_movk_i32 s4, 0x7f
	v_cmp_gt_i16_sdwa s[6:7], v3, s4 src0_sel:BYTE_3 src1_sel:DWORD
	s_mov_b64 s[4:5], 0
                                        ; implicit-def: $sgpr10
	s_and_saveexec_b64 s[8:9], s[6:7]
	s_xor_b64 s[6:7], exec, s[8:9]
	s_cbranch_execz .LBB1_8381
; %bb.44221:
	s_getpc_b64 s[14:15]
.Lpost_getpc7774:
	s_add_u32 s14, s14, (.LBB1_22717-.Lpost_getpc7774)&4294967295
	s_addc_u32 s15, s15, (.LBB1_22717-.Lpost_getpc7774)>>32
	s_setpc_b64 s[14:15]
.LBB1_8381:
	s_or_saveexec_b64 s[6:7], s[6:7]
	v_mov_b32_e32 v6, s10
	s_xor_b64 exec, exec, s[6:7]
	s_cbranch_execz .LBB1_8382
; %bb.44223:
	s_getpc_b64 s[14:15]
.Lpost_getpc7775:
	s_add_u32 s14, s14, (.LBB1_22720-.Lpost_getpc7775)&4294967295
	s_addc_u32 s15, s15, (.LBB1_22720-.Lpost_getpc7775)>>32
	s_setpc_b64 s[14:15]
.LBB1_8382:
	s_or_b64 exec, exec, s[6:7]
	s_and_saveexec_b64 s[6:7], s[4:5]
	s_cbranch_execz .LBB1_8384
.LBB1_8383:
	v_bfe_u32 v6, v3, 24, 3
	v_ffbh_u32_e32 v14, v6
	v_min_u32_e32 v14, 32, v14
	v_lshrrev_b32_e32 v12, 27, v3
	v_subrev_u32_e32 v15, 28, v14
	v_and_b32_e32 v7, 0x80000000, v3
	v_and_b32_e32 v12, 15, v12
	v_bfe_u32 v13, v3, 27, 4
	v_lshlrev_b32_sdwa v3, v15, v3 dst_sel:DWORD dst_unused:UNUSED_PAD src0_sel:DWORD src1_sel:BYTE_3
	v_sub_u32_e32 v14, 29, v14
	v_and_b32_e32 v3, 7, v3
	v_cmp_eq_u16_e32 vcc, 0, v12
	v_cndmask_b32_e32 v3, v6, v3, vcc
	v_cndmask_b32_e32 v6, v13, v14, vcc
	v_mov_b32_e32 v12, 0x3b800000
	v_lshlrev_b32_e32 v3, 20, v3
	v_lshl_add_u32 v6, v6, 23, v12
	v_or3_b32 v6, v7, v6, v3
.LBB1_8384:
	s_or_b64 exec, exec, s[6:7]
	s_nop 0
	v_mfma_f32_16x16x4f32 a[0:3], v2, v6, a[0:3]
	s_movk_i32 s4, 0x7f
	v_cmp_gt_i16_sdwa s[6:7], v8, s4 src0_sel:BYTE_0 src1_sel:DWORD
	s_mov_b64 s[4:5], 0
                                        ; implicit-def: $sgpr10
	s_and_saveexec_b64 s[8:9], s[6:7]
	s_xor_b64 s[6:7], exec, s[8:9]
	s_cbranch_execz .LBB1_8385
; %bb.44225:
	s_getpc_b64 s[14:15]
.Lpost_getpc7776:
	s_add_u32 s14, s14, (.LBB1_22721-.Lpost_getpc7776)&4294967295
	s_addc_u32 s15, s15, (.LBB1_22721-.Lpost_getpc7776)>>32
	s_setpc_b64 s[14:15]
.LBB1_8385:
	s_or_saveexec_b64 s[6:7], s[6:7]
	v_mov_b32_e32 v2, s10
	s_xor_b64 exec, exec, s[6:7]
	s_cbranch_execz .LBB1_8386
; %bb.44227:
	s_getpc_b64 s[14:15]
.Lpost_getpc7777:
	s_add_u32 s14, s14, (.LBB1_22724-.Lpost_getpc7777)&4294967295
	s_addc_u32 s15, s15, (.LBB1_22724-.Lpost_getpc7777)>>32
	s_setpc_b64 s[14:15]
.LBB1_8386:
	s_or_b64 exec, exec, s[6:7]
	s_and_saveexec_b64 s[6:7], s[4:5]
	s_cbranch_execz .LBB1_8388
.LBB1_8387:
	v_and_b32_e32 v2, 7, v8
	v_ffbh_u32_e32 v6, v2
	v_min_u32_e32 v6, 32, v6
	v_lshrrev_b16_e32 v3, 3, v8
	v_subrev_u32_e32 v7, 28, v6
	v_and_b32_e32 v3, 15, v3
	v_lshlrev_b32_e32 v7, v7, v8
	v_sub_u32_e32 v6, 29, v6
	v_and_b32_e32 v7, 7, v7
	v_cmp_eq_u16_e32 vcc, 0, v3
	v_cndmask_b32_e32 v2, v2, v7, vcc
	v_cndmask_b32_e32 v3, v3, v6, vcc
	v_lshlrev_b32_e32 v6, 24, v8
	v_mov_b32_e32 v7, 0x3b800000
	v_lshlrev_b32_e32 v2, 20, v2
	v_and_b32_e32 v6, 0x80000000, v6
	v_lshl_add_u32 v3, v3, 23, v7
	v_or3_b32 v2, v6, v3, v2
.LBB1_8388:
	s_or_b64 exec, exec, s[6:7]
	s_movk_i32 s4, 0x7f
	v_cmp_gt_i16_sdwa s[6:7], v4, s4 src0_sel:BYTE_0 src1_sel:DWORD
	s_mov_b64 s[4:5], 0
                                        ; implicit-def: $sgpr10
	s_and_saveexec_b64 s[8:9], s[6:7]
	s_xor_b64 s[6:7], exec, s[8:9]
	s_cbranch_execz .LBB1_8389
; %bb.44229:
	s_getpc_b64 s[14:15]
.Lpost_getpc7778:
	s_add_u32 s14, s14, (.LBB1_22725-.Lpost_getpc7778)&4294967295
	s_addc_u32 s15, s15, (.LBB1_22725-.Lpost_getpc7778)>>32
	s_setpc_b64 s[14:15]
.LBB1_8389:
	s_or_saveexec_b64 s[6:7], s[6:7]
	v_mov_b32_e32 v3, s10
	s_xor_b64 exec, exec, s[6:7]
	s_cbranch_execz .LBB1_8390
; %bb.44231:
	s_getpc_b64 s[14:15]
.Lpost_getpc7779:
	s_add_u32 s14, s14, (.LBB1_22728-.Lpost_getpc7779)&4294967295
	s_addc_u32 s15, s15, (.LBB1_22728-.Lpost_getpc7779)>>32
	s_setpc_b64 s[14:15]
.LBB1_8390:
	s_or_b64 exec, exec, s[6:7]
	s_and_saveexec_b64 s[6:7], s[4:5]
	s_cbranch_execz .LBB1_8392
.LBB1_8391:
	v_and_b32_e32 v3, 7, v4
	v_ffbh_u32_e32 v7, v3
	v_min_u32_e32 v7, 32, v7
	v_lshrrev_b16_e32 v6, 3, v4
	v_subrev_u32_e32 v12, 28, v7
	v_and_b32_e32 v6, 15, v6
	v_lshlrev_b32_e32 v12, v12, v4
	v_sub_u32_e32 v7, 29, v7
	v_and_b32_e32 v12, 7, v12
	v_cmp_eq_u16_e32 vcc, 0, v6
	v_cndmask_b32_e32 v3, v3, v12, vcc
	v_cndmask_b32_e32 v6, v6, v7, vcc
	v_lshlrev_b32_e32 v7, 24, v4
	v_mov_b32_e32 v12, 0x3b800000
	v_lshlrev_b32_e32 v3, 20, v3
	v_and_b32_e32 v7, 0x80000000, v7
	v_lshl_add_u32 v6, v6, 23, v12
	v_or3_b32 v3, v7, v6, v3
.LBB1_8392:
	s_or_b64 exec, exec, s[6:7]
	s_nop 0
	v_mfma_f32_16x16x4f32 a[0:3], v2, v3, a[0:3]
	v_lshrrev_b32_e32 v3, 8, v8
	s_movk_i32 s4, 0x7f
	v_cmp_gt_i16_sdwa s[6:7], v3, s4 src0_sel:BYTE_0 src1_sel:DWORD
	s_mov_b64 s[4:5], 0
                                        ; implicit-def: $sgpr10
	s_and_saveexec_b64 s[8:9], s[6:7]
	s_xor_b64 s[6:7], exec, s[8:9]
	s_cbranch_execz .LBB1_8393
; %bb.44233:
	s_getpc_b64 s[14:15]
.Lpost_getpc7780:
	s_add_u32 s14, s14, (.LBB1_22729-.Lpost_getpc7780)&4294967295
	s_addc_u32 s15, s15, (.LBB1_22729-.Lpost_getpc7780)>>32
	s_setpc_b64 s[14:15]
.LBB1_8393:
	s_or_saveexec_b64 s[6:7], s[6:7]
	v_mov_b32_e32 v2, s10
	s_xor_b64 exec, exec, s[6:7]
	s_cbranch_execz .LBB1_8394
; %bb.44235:
	s_getpc_b64 s[14:15]
.Lpost_getpc7781:
	s_add_u32 s14, s14, (.LBB1_22732-.Lpost_getpc7781)&4294967295
	s_addc_u32 s15, s15, (.LBB1_22732-.Lpost_getpc7781)>>32
	s_setpc_b64 s[14:15]
.LBB1_8394:
	s_or_b64 exec, exec, s[6:7]
	s_and_saveexec_b64 s[6:7], s[4:5]
	s_cbranch_execz .LBB1_8396
.LBB1_8395:
	v_bfe_u32 v2, v8, 8, 3
	v_ffbh_u32_e32 v7, v2
	v_min_u32_e32 v7, 32, v7
	v_lshrrev_b16_e32 v6, 3, v3
	v_subrev_u32_e32 v12, 28, v7
	v_and_b32_e32 v6, 15, v6
	v_lshlrev_b32_e32 v3, v12, v3
	v_sub_u32_e32 v7, 29, v7
	v_and_b32_e32 v3, 7, v3
	v_cmp_eq_u16_e32 vcc, 0, v6
	v_cndmask_b32_e32 v2, v2, v3, vcc
	v_cndmask_b32_e32 v3, v6, v7, vcc
	v_lshlrev_b32_e32 v6, 16, v8
	v_mov_b32_e32 v7, 0x3b800000
	v_lshlrev_b32_e32 v2, 20, v2
	v_and_b32_e32 v6, 0x80000000, v6
	v_lshl_add_u32 v3, v3, 23, v7
	v_or3_b32 v2, v6, v3, v2
.LBB1_8396:
	s_or_b64 exec, exec, s[6:7]
	v_lshrrev_b32_e32 v3, 8, v4
	s_movk_i32 s4, 0x7f
	v_cmp_gt_i16_sdwa s[6:7], v3, s4 src0_sel:BYTE_0 src1_sel:DWORD
	s_mov_b64 s[4:5], 0
                                        ; implicit-def: $sgpr10
	s_and_saveexec_b64 s[8:9], s[6:7]
	s_xor_b64 s[6:7], exec, s[8:9]
	s_cbranch_execz .LBB1_8397
; %bb.44237:
	s_getpc_b64 s[14:15]
.Lpost_getpc7782:
	s_add_u32 s14, s14, (.LBB1_22733-.Lpost_getpc7782)&4294967295
	s_addc_u32 s15, s15, (.LBB1_22733-.Lpost_getpc7782)>>32
	s_setpc_b64 s[14:15]
.LBB1_8397:
	s_or_saveexec_b64 s[6:7], s[6:7]
	v_mov_b32_e32 v6, s10
	s_xor_b64 exec, exec, s[6:7]
	s_cbranch_execz .LBB1_8398
; %bb.44239:
	s_getpc_b64 s[14:15]
.Lpost_getpc7783:
	s_add_u32 s14, s14, (.LBB1_22736-.Lpost_getpc7783)&4294967295
	s_addc_u32 s15, s15, (.LBB1_22736-.Lpost_getpc7783)>>32
	s_setpc_b64 s[14:15]
.LBB1_8398:
	s_or_b64 exec, exec, s[6:7]
	s_and_saveexec_b64 s[6:7], s[4:5]
	s_cbranch_execz .LBB1_8400
.LBB1_8399:
	v_bfe_u32 v6, v4, 8, 3
	v_ffbh_u32_e32 v12, v6
	v_min_u32_e32 v12, 32, v12
	v_lshrrev_b16_e32 v7, 3, v3
	v_subrev_u32_e32 v13, 28, v12
	v_and_b32_e32 v7, 15, v7
	v_lshlrev_b32_e32 v3, v13, v3
	v_sub_u32_e32 v12, 29, v12
	v_and_b32_e32 v3, 7, v3
	v_cmp_eq_u16_e32 vcc, 0, v7
	v_cndmask_b32_e32 v3, v6, v3, vcc
	v_cndmask_b32_e32 v6, v7, v12, vcc
	v_lshlrev_b32_e32 v7, 16, v4
	v_mov_b32_e32 v12, 0x3b800000
	v_lshlrev_b32_e32 v3, 20, v3
	v_and_b32_e32 v7, 0x80000000, v7
	v_lshl_add_u32 v6, v6, 23, v12
	v_or3_b32 v6, v7, v6, v3
.LBB1_8400:
	s_or_b64 exec, exec, s[6:7]
	s_nop 0
	v_mfma_f32_16x16x4f32 a[0:3], v2, v6, a[0:3]
	s_movk_i32 s4, 0xff
	v_and_b32_sdwa v3, v8, s4 dst_sel:DWORD dst_unused:UNUSED_PAD src0_sel:WORD_1 src1_sel:DWORD
	s_movk_i32 s4, 0x7f
	v_cmp_lt_i16_e32 vcc, s4, v3
	s_mov_b64 s[4:5], 0
                                        ; implicit-def: $sgpr10
	s_and_saveexec_b64 s[6:7], vcc
	s_xor_b64 s[6:7], exec, s[6:7]
	s_cbranch_execz .LBB1_8401
; %bb.44241:
	s_getpc_b64 s[14:15]
.Lpost_getpc7784:
	s_add_u32 s14, s14, (.LBB1_22737-.Lpost_getpc7784)&4294967295
	s_addc_u32 s15, s15, (.LBB1_22737-.Lpost_getpc7784)>>32
	s_setpc_b64 s[14:15]
.LBB1_8401:
	s_or_saveexec_b64 s[6:7], s[6:7]
	v_mov_b32_e32 v2, s10
	s_xor_b64 exec, exec, s[6:7]
	s_cbranch_execz .LBB1_8402
; %bb.44243:
	s_getpc_b64 s[14:15]
.Lpost_getpc7785:
	s_add_u32 s14, s14, (.LBB1_22740-.Lpost_getpc7785)&4294967295
	s_addc_u32 s15, s15, (.LBB1_22740-.Lpost_getpc7785)>>32
	s_setpc_b64 s[14:15]
.LBB1_8402:
	s_or_b64 exec, exec, s[6:7]
	s_and_saveexec_b64 s[6:7], s[4:5]
	s_cbranch_execz .LBB1_8404
.LBB1_8403:
	v_bfe_u32 v2, v8, 16, 3
	v_ffbh_u32_e32 v7, v2
	v_min_u32_e32 v7, 32, v7
	v_lshrrev_b32_e32 v3, 19, v8
	v_subrev_u32_e32 v12, 28, v7
	v_and_b32_e32 v3, 15, v3
	v_lshlrev_b32_sdwa v12, v12, v8 dst_sel:DWORD dst_unused:UNUSED_PAD src0_sel:DWORD src1_sel:WORD_1
	v_bfe_u32 v6, v8, 19, 4
	v_sub_u32_e32 v7, 29, v7
	v_and_b32_e32 v12, 7, v12
	v_cmp_eq_u16_e32 vcc, 0, v3
	v_cndmask_b32_e32 v2, v2, v12, vcc
	v_cndmask_b32_e32 v3, v6, v7, vcc
	v_lshlrev_b32_e32 v6, 8, v8
	v_mov_b32_e32 v7, 0x3b800000
	v_lshlrev_b32_e32 v2, 20, v2
	v_and_b32_e32 v6, 0x80000000, v6
	v_lshl_add_u32 v3, v3, 23, v7
	v_or3_b32 v2, v6, v3, v2
.LBB1_8404:
	s_or_b64 exec, exec, s[6:7]
	s_movk_i32 s4, 0xff
	v_and_b32_sdwa v3, v4, s4 dst_sel:DWORD dst_unused:UNUSED_PAD src0_sel:WORD_1 src1_sel:DWORD
	s_movk_i32 s4, 0x7f
	v_cmp_lt_i16_e32 vcc, s4, v3
	s_mov_b64 s[4:5], 0
                                        ; implicit-def: $sgpr10
	s_and_saveexec_b64 s[6:7], vcc
	s_xor_b64 s[6:7], exec, s[6:7]
	s_cbranch_execz .LBB1_8405
; %bb.44245:
	s_getpc_b64 s[14:15]
.Lpost_getpc7786:
	s_add_u32 s14, s14, (.LBB1_22741-.Lpost_getpc7786)&4294967295
	s_addc_u32 s15, s15, (.LBB1_22741-.Lpost_getpc7786)>>32
	s_setpc_b64 s[14:15]
.LBB1_8405:
	s_or_saveexec_b64 s[6:7], s[6:7]
	v_mov_b32_e32 v6, s10
	s_xor_b64 exec, exec, s[6:7]
	s_cbranch_execz .LBB1_8406
; %bb.44247:
	s_getpc_b64 s[14:15]
.Lpost_getpc7787:
	s_add_u32 s14, s14, (.LBB1_22744-.Lpost_getpc7787)&4294967295
	s_addc_u32 s15, s15, (.LBB1_22744-.Lpost_getpc7787)>>32
	s_setpc_b64 s[14:15]
.LBB1_8406:
	s_or_b64 exec, exec, s[6:7]
	s_and_saveexec_b64 s[6:7], s[4:5]
	s_cbranch_execz .LBB1_8408
.LBB1_8407:
	v_bfe_u32 v3, v4, 16, 3
	v_ffbh_u32_e32 v12, v3
	v_min_u32_e32 v12, 32, v12
	v_lshrrev_b32_e32 v6, 19, v4
	v_subrev_u32_e32 v13, 28, v12
	v_and_b32_e32 v6, 15, v6
	v_lshlrev_b32_sdwa v13, v13, v4 dst_sel:DWORD dst_unused:UNUSED_PAD src0_sel:DWORD src1_sel:WORD_1
	v_bfe_u32 v7, v4, 19, 4
	v_sub_u32_e32 v12, 29, v12
	v_and_b32_e32 v13, 7, v13
	v_cmp_eq_u16_e32 vcc, 0, v6
	v_cndmask_b32_e32 v3, v3, v13, vcc
	v_cndmask_b32_e32 v6, v7, v12, vcc
	v_lshlrev_b32_e32 v7, 8, v4
	v_mov_b32_e32 v12, 0x3b800000
	v_lshlrev_b32_e32 v3, 20, v3
	v_and_b32_e32 v7, 0x80000000, v7
	v_lshl_add_u32 v6, v6, 23, v12
	v_or3_b32 v6, v7, v6, v3
.LBB1_8408:
	s_or_b64 exec, exec, s[6:7]
	s_nop 0
	v_mfma_f32_16x16x4f32 a[0:3], v2, v6, a[0:3]
	s_movk_i32 s4, 0x7f
	v_cmp_gt_i16_sdwa s[6:7], v8, s4 src0_sel:BYTE_3 src1_sel:DWORD
	s_mov_b64 s[4:5], 0
                                        ; implicit-def: $sgpr10
	s_and_saveexec_b64 s[8:9], s[6:7]
	s_xor_b64 s[6:7], exec, s[8:9]
	s_cbranch_execz .LBB1_8409
; %bb.44249:
	s_getpc_b64 s[14:15]
.Lpost_getpc7788:
	s_add_u32 s14, s14, (.LBB1_22745-.Lpost_getpc7788)&4294967295
	s_addc_u32 s15, s15, (.LBB1_22745-.Lpost_getpc7788)>>32
	s_setpc_b64 s[14:15]
.LBB1_8409:
	s_or_saveexec_b64 s[6:7], s[6:7]
	v_mov_b32_e32 v2, s10
	s_xor_b64 exec, exec, s[6:7]
	s_cbranch_execz .LBB1_8410
; %bb.44251:
	s_getpc_b64 s[14:15]
.Lpost_getpc7789:
	s_add_u32 s14, s14, (.LBB1_22748-.Lpost_getpc7789)&4294967295
	s_addc_u32 s15, s15, (.LBB1_22748-.Lpost_getpc7789)>>32
	s_setpc_b64 s[14:15]
.LBB1_8410:
	s_or_b64 exec, exec, s[6:7]
	s_and_saveexec_b64 s[6:7], s[4:5]
	s_cbranch_execz .LBB1_8412
.LBB1_8411:
	v_bfe_u32 v2, v8, 24, 3
	v_ffbh_u32_e32 v12, v2
	v_min_u32_e32 v12, 32, v12
	v_lshrrev_b32_e32 v6, 27, v8
	v_subrev_u32_e32 v13, 28, v12
	v_and_b32_e32 v3, 0x80000000, v8
	v_and_b32_e32 v6, 15, v6
	v_bfe_u32 v7, v8, 27, 4
	v_lshlrev_b32_sdwa v8, v13, v8 dst_sel:DWORD dst_unused:UNUSED_PAD src0_sel:DWORD src1_sel:BYTE_3
	v_sub_u32_e32 v12, 29, v12
	v_and_b32_e32 v8, 7, v8
	v_cmp_eq_u16_e32 vcc, 0, v6
	v_cndmask_b32_e32 v2, v2, v8, vcc
	v_cndmask_b32_e32 v6, v7, v12, vcc
	v_mov_b32_e32 v7, 0x3b800000
	v_lshlrev_b32_e32 v2, 20, v2
	v_lshl_add_u32 v6, v6, 23, v7
	v_or3_b32 v2, v3, v6, v2
.LBB1_8412:
	s_or_b64 exec, exec, s[6:7]
	s_movk_i32 s4, 0x7f
	v_cmp_gt_i16_sdwa s[6:7], v4, s4 src0_sel:BYTE_3 src1_sel:DWORD
	s_mov_b64 s[4:5], 0
                                        ; implicit-def: $sgpr10
	s_and_saveexec_b64 s[8:9], s[6:7]
	s_xor_b64 s[6:7], exec, s[8:9]
	s_cbranch_execz .LBB1_8413
; %bb.44253:
	s_getpc_b64 s[14:15]
.Lpost_getpc7790:
	s_add_u32 s14, s14, (.LBB1_22749-.Lpost_getpc7790)&4294967295
	s_addc_u32 s15, s15, (.LBB1_22749-.Lpost_getpc7790)>>32
	s_setpc_b64 s[14:15]
.LBB1_8413:
	s_or_saveexec_b64 s[6:7], s[6:7]
	v_mov_b32_e32 v3, s10
	s_xor_b64 exec, exec, s[6:7]
	s_cbranch_execz .LBB1_8414
; %bb.44255:
	s_getpc_b64 s[14:15]
.Lpost_getpc7791:
	s_add_u32 s14, s14, (.LBB1_22752-.Lpost_getpc7791)&4294967295
	s_addc_u32 s15, s15, (.LBB1_22752-.Lpost_getpc7791)>>32
	s_setpc_b64 s[14:15]
.LBB1_8414:
	s_or_b64 exec, exec, s[6:7]
	s_and_saveexec_b64 s[6:7], s[4:5]
	s_cbranch_execz .LBB1_8416
.LBB1_8415:
	v_bfe_u32 v3, v4, 24, 3
	v_ffbh_u32_e32 v12, v3
	v_min_u32_e32 v12, 32, v12
	v_lshrrev_b32_e32 v7, 27, v4
	v_subrev_u32_e32 v13, 28, v12
	v_and_b32_e32 v6, 0x80000000, v4
	v_and_b32_e32 v7, 15, v7
	v_bfe_u32 v8, v4, 27, 4
	v_lshlrev_b32_sdwa v4, v13, v4 dst_sel:DWORD dst_unused:UNUSED_PAD src0_sel:DWORD src1_sel:BYTE_3
	v_sub_u32_e32 v12, 29, v12
	v_and_b32_e32 v4, 7, v4
	v_cmp_eq_u16_e32 vcc, 0, v7
	v_cndmask_b32_e32 v3, v3, v4, vcc
	v_cndmask_b32_e32 v4, v8, v12, vcc
	v_mov_b32_e32 v7, 0x3b800000
	v_lshlrev_b32_e32 v3, 20, v3
	v_lshl_add_u32 v4, v4, 23, v7
	v_or3_b32 v3, v6, v4, v3
.LBB1_8416:
	s_or_b64 exec, exec, s[6:7]
	s_nop 0
	v_mfma_f32_16x16x4f32 a[0:3], v2, v3, a[0:3]
	s_movk_i32 s4, 0x7f
	v_cmp_gt_i16_sdwa s[6:7], v9, s4 src0_sel:BYTE_0 src1_sel:DWORD
	s_mov_b64 s[4:5], 0
                                        ; implicit-def: $sgpr10
	s_and_saveexec_b64 s[8:9], s[6:7]
	s_xor_b64 s[6:7], exec, s[8:9]
	s_cbranch_execz .LBB1_8417
; %bb.44257:
	s_getpc_b64 s[14:15]
.Lpost_getpc7792:
	s_add_u32 s14, s14, (.LBB1_22753-.Lpost_getpc7792)&4294967295
	s_addc_u32 s15, s15, (.LBB1_22753-.Lpost_getpc7792)>>32
	s_setpc_b64 s[14:15]
.LBB1_8417:
	s_or_saveexec_b64 s[6:7], s[6:7]
	v_mov_b32_e32 v2, s10
	s_xor_b64 exec, exec, s[6:7]
	s_cbranch_execz .LBB1_8418
; %bb.44259:
	s_getpc_b64 s[14:15]
.Lpost_getpc7793:
	s_add_u32 s14, s14, (.LBB1_22756-.Lpost_getpc7793)&4294967295
	s_addc_u32 s15, s15, (.LBB1_22756-.Lpost_getpc7793)>>32
	s_setpc_b64 s[14:15]
.LBB1_8418:
	s_or_b64 exec, exec, s[6:7]
	s_and_saveexec_b64 s[6:7], s[4:5]
	s_cbranch_execz .LBB1_8420
.LBB1_8419:
	v_mov_b32_e32 v2, 8
	v_and_b32_e32 v3, 7, v9
	v_lshrrev_b32_sdwa v2, v2, v9 dst_sel:BYTE_1 dst_unused:UNUSED_PAD src0_sel:DWORD src1_sel:DWORD
	v_ffbh_u32_e32 v4, v3
	v_or_b32_sdwa v2, v9, v2 dst_sel:DWORD dst_unused:UNUSED_PAD src0_sel:BYTE_0 src1_sel:DWORD
	v_min_u32_e32 v4, 32, v4
	v_lshrrev_b16_e32 v2, 3, v2
	v_subrev_u32_e32 v6, 28, v4
	v_and_b32_e32 v2, 15, v2
	v_lshlrev_b32_e32 v6, v6, v9
	v_sub_u32_e32 v4, 29, v4
	v_and_b32_e32 v6, 7, v6
	v_cmp_eq_u16_e32 vcc, 0, v2
	v_cndmask_b32_e32 v3, v3, v6, vcc
	v_cndmask_b32_e32 v2, v2, v4, vcc
	v_lshlrev_b32_e32 v4, 24, v9
	v_mov_b32_e32 v6, 0x3b800000
	v_lshlrev_b32_e32 v3, 20, v3
	v_and_b32_e32 v4, 0x80000000, v4
	v_lshl_add_u32 v2, v2, 23, v6
	v_or3_b32 v2, v4, v2, v3
.LBB1_8420:
	s_or_b64 exec, exec, s[6:7]
	s_movk_i32 s4, 0x7f
	v_cmp_gt_i16_sdwa s[6:7], v5, s4 src0_sel:BYTE_0 src1_sel:DWORD
	s_mov_b64 s[4:5], 0
                                        ; implicit-def: $sgpr10
	s_and_saveexec_b64 s[8:9], s[6:7]
	s_xor_b64 s[6:7], exec, s[8:9]
	s_cbranch_execz .LBB1_8421
; %bb.44261:
	s_getpc_b64 s[14:15]
.Lpost_getpc7794:
	s_add_u32 s14, s14, (.LBB1_22757-.Lpost_getpc7794)&4294967295
	s_addc_u32 s15, s15, (.LBB1_22757-.Lpost_getpc7794)>>32
	s_setpc_b64 s[14:15]
.LBB1_8421:
	s_or_saveexec_b64 s[6:7], s[6:7]
	v_mov_b32_e32 v3, s10
	s_xor_b64 exec, exec, s[6:7]
	s_cbranch_execz .LBB1_8422
; %bb.44263:
	s_getpc_b64 s[14:15]
.Lpost_getpc7795:
	s_add_u32 s14, s14, (.LBB1_22760-.Lpost_getpc7795)&4294967295
	s_addc_u32 s15, s15, (.LBB1_22760-.Lpost_getpc7795)>>32
	s_setpc_b64 s[14:15]
.LBB1_8422:
	s_or_b64 exec, exec, s[6:7]
	s_and_saveexec_b64 s[6:7], s[4:5]
	s_cbranch_execz .LBB1_8424
.LBB1_8423:
	v_mov_b32_e32 v3, 8
	v_and_b32_e32 v4, 7, v5
	v_lshrrev_b32_sdwa v3, v3, v5 dst_sel:BYTE_1 dst_unused:UNUSED_PAD src0_sel:DWORD src1_sel:DWORD
	v_ffbh_u32_e32 v6, v4
	v_or_b32_sdwa v3, v5, v3 dst_sel:DWORD dst_unused:UNUSED_PAD src0_sel:BYTE_0 src1_sel:DWORD
	v_min_u32_e32 v6, 32, v6
	v_lshrrev_b16_e32 v3, 3, v3
	v_subrev_u32_e32 v7, 28, v6
	v_and_b32_e32 v3, 15, v3
	v_lshlrev_b32_e32 v7, v7, v5
	v_sub_u32_e32 v6, 29, v6
	v_and_b32_e32 v7, 7, v7
	v_cmp_eq_u16_e32 vcc, 0, v3
	v_cndmask_b32_e32 v4, v4, v7, vcc
	v_cndmask_b32_e32 v3, v3, v6, vcc
	v_lshlrev_b32_e32 v6, 24, v5
	v_mov_b32_e32 v7, 0x3b800000
	v_lshlrev_b32_e32 v4, 20, v4
	v_and_b32_e32 v6, 0x80000000, v6
	v_lshl_add_u32 v3, v3, 23, v7
	v_or3_b32 v3, v6, v3, v4
.LBB1_8424:
	s_or_b64 exec, exec, s[6:7]
	s_nop 0
	v_mfma_f32_16x16x4f32 a[0:3], v2, v3, a[0:3]
	v_lshrrev_b32_e32 v3, 8, v9
	s_movk_i32 s4, 0x7f
	v_cmp_gt_i16_sdwa s[6:7], v3, s4 src0_sel:BYTE_0 src1_sel:DWORD
	s_mov_b64 s[4:5], 0
                                        ; implicit-def: $sgpr10
	s_and_saveexec_b64 s[8:9], s[6:7]
	s_xor_b64 s[6:7], exec, s[8:9]
	s_cbranch_execz .LBB1_8425
; %bb.44265:
	s_getpc_b64 s[14:15]
.Lpost_getpc7796:
	s_add_u32 s14, s14, (.LBB1_22761-.Lpost_getpc7796)&4294967295
	s_addc_u32 s15, s15, (.LBB1_22761-.Lpost_getpc7796)>>32
	s_setpc_b64 s[14:15]
.LBB1_8425:
	s_or_saveexec_b64 s[6:7], s[6:7]
	v_mov_b32_e32 v2, s10
	s_xor_b64 exec, exec, s[6:7]
	s_cbranch_execz .LBB1_8426
; %bb.44267:
	s_getpc_b64 s[14:15]
.Lpost_getpc7797:
	s_add_u32 s14, s14, (.LBB1_22764-.Lpost_getpc7797)&4294967295
	s_addc_u32 s15, s15, (.LBB1_22764-.Lpost_getpc7797)>>32
	s_setpc_b64 s[14:15]
.LBB1_8426:
	s_or_b64 exec, exec, s[6:7]
	s_and_saveexec_b64 s[6:7], s[4:5]
	s_cbranch_execz .LBB1_8428
.LBB1_8427:
	v_bfe_u32 v2, v9, 8, 3
	v_ffbh_u32_e32 v6, v2
	v_min_u32_e32 v6, 32, v6
	v_lshrrev_b16_e32 v4, 3, v3
	v_subrev_u32_e32 v7, 28, v6
	v_and_b32_e32 v4, 15, v4
	v_lshlrev_b32_e32 v3, v7, v3
	v_sub_u32_e32 v6, 29, v6
	v_and_b32_e32 v3, 7, v3
	v_cmp_eq_u16_e32 vcc, 0, v4
	v_cndmask_b32_e32 v2, v2, v3, vcc
	v_cndmask_b32_e32 v3, v4, v6, vcc
	v_lshlrev_b32_e32 v4, 16, v9
	v_mov_b32_e32 v6, 0x3b800000
	v_lshlrev_b32_e32 v2, 20, v2
	v_and_b32_e32 v4, 0x80000000, v4
	v_lshl_add_u32 v3, v3, 23, v6
	v_or3_b32 v2, v4, v3, v2
.LBB1_8428:
	s_or_b64 exec, exec, s[6:7]
	v_lshrrev_b32_e32 v3, 8, v5
	s_movk_i32 s4, 0x7f
	v_cmp_gt_i16_sdwa s[6:7], v3, s4 src0_sel:BYTE_0 src1_sel:DWORD
	s_mov_b64 s[4:5], 0
                                        ; implicit-def: $sgpr10
	s_and_saveexec_b64 s[8:9], s[6:7]
	s_xor_b64 s[6:7], exec, s[8:9]
	s_cbranch_execz .LBB1_8429
; %bb.44269:
	s_getpc_b64 s[14:15]
.Lpost_getpc7798:
	s_add_u32 s14, s14, (.LBB1_22765-.Lpost_getpc7798)&4294967295
	s_addc_u32 s15, s15, (.LBB1_22765-.Lpost_getpc7798)>>32
	s_setpc_b64 s[14:15]
.LBB1_8429:
	s_or_saveexec_b64 s[6:7], s[6:7]
	v_mov_b32_e32 v4, s10
	s_xor_b64 exec, exec, s[6:7]
	s_cbranch_execz .LBB1_8430
; %bb.44271:
	s_getpc_b64 s[14:15]
.Lpost_getpc7799:
	s_add_u32 s14, s14, (.LBB1_22768-.Lpost_getpc7799)&4294967295
	s_addc_u32 s15, s15, (.LBB1_22768-.Lpost_getpc7799)>>32
	s_setpc_b64 s[14:15]
.LBB1_8430:
	s_or_b64 exec, exec, s[6:7]
	s_and_saveexec_b64 s[6:7], s[4:5]
	s_cbranch_execz .LBB1_8432
.LBB1_8431:
	v_bfe_u32 v4, v5, 8, 3
	v_ffbh_u32_e32 v7, v4
	v_min_u32_e32 v7, 32, v7
	v_lshrrev_b16_e32 v6, 3, v3
	v_subrev_u32_e32 v8, 28, v7
	v_and_b32_e32 v6, 15, v6
	v_lshlrev_b32_e32 v3, v8, v3
	v_sub_u32_e32 v7, 29, v7
	v_and_b32_e32 v3, 7, v3
	v_cmp_eq_u16_e32 vcc, 0, v6
	v_cndmask_b32_e32 v3, v4, v3, vcc
	v_cndmask_b32_e32 v4, v6, v7, vcc
	v_lshlrev_b32_e32 v6, 16, v5
	v_mov_b32_e32 v7, 0x3b800000
	v_lshlrev_b32_e32 v3, 20, v3
	v_and_b32_e32 v6, 0x80000000, v6
	v_lshl_add_u32 v4, v4, 23, v7
	v_or3_b32 v4, v6, v4, v3
.LBB1_8432:
	s_or_b64 exec, exec, s[6:7]
	s_nop 0
	v_mfma_f32_16x16x4f32 a[0:3], v2, v4, a[0:3]
	s_movk_i32 s4, 0xff
	v_and_b32_sdwa v3, v9, s4 dst_sel:DWORD dst_unused:UNUSED_PAD src0_sel:WORD_1 src1_sel:DWORD
	s_movk_i32 s4, 0x7f
	v_cmp_lt_i16_e32 vcc, s4, v3
	s_mov_b64 s[4:5], 0
                                        ; implicit-def: $sgpr10
	s_and_saveexec_b64 s[6:7], vcc
	s_xor_b64 s[6:7], exec, s[6:7]
	s_cbranch_execz .LBB1_8433
; %bb.44273:
	s_getpc_b64 s[14:15]
.Lpost_getpc7800:
	s_add_u32 s14, s14, (.LBB1_22769-.Lpost_getpc7800)&4294967295
	s_addc_u32 s15, s15, (.LBB1_22769-.Lpost_getpc7800)>>32
	s_setpc_b64 s[14:15]
.LBB1_8433:
	s_or_saveexec_b64 s[6:7], s[6:7]
	v_mov_b32_e32 v2, s10
	s_xor_b64 exec, exec, s[6:7]
	s_cbranch_execz .LBB1_8434
; %bb.44275:
	s_getpc_b64 s[14:15]
.Lpost_getpc7801:
	s_add_u32 s14, s14, (.LBB1_22772-.Lpost_getpc7801)&4294967295
	s_addc_u32 s15, s15, (.LBB1_22772-.Lpost_getpc7801)>>32
	s_setpc_b64 s[14:15]
.LBB1_8434:
	s_or_b64 exec, exec, s[6:7]
	s_and_saveexec_b64 s[6:7], s[4:5]
	s_cbranch_execz .LBB1_8436
.LBB1_8435:
	v_bfe_u32 v2, v9, 16, 3
	v_ffbh_u32_e32 v6, v2
	v_min_u32_e32 v6, 32, v6
	v_lshrrev_b32_e32 v3, 19, v9
	v_subrev_u32_e32 v7, 28, v6
	v_and_b32_e32 v3, 15, v3
	v_lshlrev_b32_sdwa v7, v7, v9 dst_sel:DWORD dst_unused:UNUSED_PAD src0_sel:DWORD src1_sel:WORD_1
	v_bfe_u32 v4, v9, 19, 4
	v_sub_u32_e32 v6, 29, v6
	v_and_b32_e32 v7, 7, v7
	v_cmp_eq_u16_e32 vcc, 0, v3
	v_cndmask_b32_e32 v2, v2, v7, vcc
	v_cndmask_b32_e32 v3, v4, v6, vcc
	v_lshlrev_b32_e32 v4, 8, v9
	v_mov_b32_e32 v6, 0x3b800000
	v_lshlrev_b32_e32 v2, 20, v2
	v_and_b32_e32 v4, 0x80000000, v4
	v_lshl_add_u32 v3, v3, 23, v6
	v_or3_b32 v2, v4, v3, v2
.LBB1_8436:
	s_or_b64 exec, exec, s[6:7]
	s_movk_i32 s4, 0xff
	v_and_b32_sdwa v3, v5, s4 dst_sel:DWORD dst_unused:UNUSED_PAD src0_sel:WORD_1 src1_sel:DWORD
	s_movk_i32 s4, 0x7f
	v_cmp_lt_i16_e32 vcc, s4, v3
	s_mov_b64 s[4:5], 0
                                        ; implicit-def: $sgpr10
	s_and_saveexec_b64 s[6:7], vcc
	s_xor_b64 s[6:7], exec, s[6:7]
	s_cbranch_execz .LBB1_8437
; %bb.44277:
	s_getpc_b64 s[14:15]
.Lpost_getpc7802:
	s_add_u32 s14, s14, (.LBB1_22773-.Lpost_getpc7802)&4294967295
	s_addc_u32 s15, s15, (.LBB1_22773-.Lpost_getpc7802)>>32
	s_setpc_b64 s[14:15]
.LBB1_8437:
	s_or_saveexec_b64 s[6:7], s[6:7]
	v_mov_b32_e32 v4, s10
	s_xor_b64 exec, exec, s[6:7]
	s_cbranch_execz .LBB1_8438
; %bb.44279:
	s_getpc_b64 s[14:15]
.Lpost_getpc7803:
	s_add_u32 s14, s14, (.LBB1_22776-.Lpost_getpc7803)&4294967295
	s_addc_u32 s15, s15, (.LBB1_22776-.Lpost_getpc7803)>>32
	s_setpc_b64 s[14:15]
.LBB1_8438:
	s_or_b64 exec, exec, s[6:7]
	s_and_saveexec_b64 s[6:7], s[4:5]
	s_cbranch_execz .LBB1_8440
.LBB1_8439:
	v_bfe_u32 v3, v5, 16, 3
	v_ffbh_u32_e32 v7, v3
	v_min_u32_e32 v7, 32, v7
	v_lshrrev_b32_e32 v4, 19, v5
	v_subrev_u32_e32 v8, 28, v7
	v_and_b32_e32 v4, 15, v4
	v_lshlrev_b32_sdwa v8, v8, v5 dst_sel:DWORD dst_unused:UNUSED_PAD src0_sel:DWORD src1_sel:WORD_1
	v_bfe_u32 v6, v5, 19, 4
	v_sub_u32_e32 v7, 29, v7
	v_and_b32_e32 v8, 7, v8
	v_cmp_eq_u16_e32 vcc, 0, v4
	v_cndmask_b32_e32 v3, v3, v8, vcc
	v_cndmask_b32_e32 v4, v6, v7, vcc
	v_lshlrev_b32_e32 v6, 8, v5
	v_mov_b32_e32 v7, 0x3b800000
	v_lshlrev_b32_e32 v3, 20, v3
	v_and_b32_e32 v6, 0x80000000, v6
	v_lshl_add_u32 v4, v4, 23, v7
	v_or3_b32 v4, v6, v4, v3
.LBB1_8440:
	s_or_b64 exec, exec, s[6:7]
	s_nop 0
	v_mfma_f32_16x16x4f32 a[0:3], v2, v4, a[0:3]
	s_movk_i32 s4, 0x7f
	v_cmp_gt_i16_sdwa s[6:7], v9, s4 src0_sel:BYTE_3 src1_sel:DWORD
	s_mov_b64 s[4:5], 0
                                        ; implicit-def: $sgpr10
	s_and_saveexec_b64 s[8:9], s[6:7]
	s_xor_b64 s[6:7], exec, s[8:9]
	s_cbranch_execz .LBB1_8441
; %bb.44281:
	s_getpc_b64 s[14:15]
.Lpost_getpc7804:
	s_add_u32 s14, s14, (.LBB1_22777-.Lpost_getpc7804)&4294967295
	s_addc_u32 s15, s15, (.LBB1_22777-.Lpost_getpc7804)>>32
	s_setpc_b64 s[14:15]
.LBB1_8441:
	s_or_saveexec_b64 s[6:7], s[6:7]
	v_mov_b32_e32 v2, s10
	s_xor_b64 exec, exec, s[6:7]
	s_cbranch_execz .LBB1_8442
; %bb.44283:
	s_getpc_b64 s[14:15]
.Lpost_getpc7805:
	s_add_u32 s14, s14, (.LBB1_22780-.Lpost_getpc7805)&4294967295
	s_addc_u32 s15, s15, (.LBB1_22780-.Lpost_getpc7805)>>32
	s_setpc_b64 s[14:15]
.LBB1_8442:
	s_or_b64 exec, exec, s[6:7]
	s_and_saveexec_b64 s[6:7], s[4:5]
	s_cbranch_execz .LBB1_8444
.LBB1_8443:
	v_bfe_u32 v2, v9, 24, 3
	v_ffbh_u32_e32 v7, v2
	v_min_u32_e32 v7, 32, v7
	v_lshrrev_b32_e32 v4, 27, v9
	v_subrev_u32_e32 v8, 28, v7
	v_and_b32_e32 v4, 15, v4
	v_lshlrev_b32_sdwa v8, v8, v9 dst_sel:DWORD dst_unused:UNUSED_PAD src0_sel:DWORD src1_sel:BYTE_3
	v_bfe_u32 v6, v9, 27, 4
	v_sub_u32_e32 v7, 29, v7
	v_and_b32_e32 v8, 7, v8
	v_cmp_eq_u16_e32 vcc, 0, v4
	v_cndmask_b32_e32 v2, v2, v8, vcc
	v_cndmask_b32_e32 v4, v6, v7, vcc
	v_mov_b32_e32 v6, 0x3b800000
	v_and_b32_e32 v3, 0x80000000, v9
	v_lshlrev_b32_e32 v2, 20, v2
	v_lshl_add_u32 v4, v4, 23, v6
	v_or3_b32 v2, v3, v4, v2
.LBB1_8444:
	s_or_b64 exec, exec, s[6:7]
	s_movk_i32 s4, 0x7f
	v_cmp_gt_i16_sdwa s[6:7], v5, s4 src0_sel:BYTE_3 src1_sel:DWORD
	s_mov_b64 s[4:5], 0
                                        ; implicit-def: $sgpr10
	s_and_saveexec_b64 s[8:9], s[6:7]
	s_xor_b64 s[6:7], exec, s[8:9]
	s_cbranch_execz .LBB1_8445
; %bb.44285:
	s_getpc_b64 s[14:15]
.Lpost_getpc7806:
	s_add_u32 s14, s14, (.LBB1_22781-.Lpost_getpc7806)&4294967295
	s_addc_u32 s15, s15, (.LBB1_22781-.Lpost_getpc7806)>>32
	s_setpc_b64 s[14:15]
.LBB1_8445:
	s_or_saveexec_b64 s[6:7], s[6:7]
	v_mov_b32_e32 v3, s10
	s_xor_b64 exec, exec, s[6:7]
	s_cbranch_execz .LBB1_8446
; %bb.44287:
	s_getpc_b64 s[14:15]
.Lpost_getpc7807:
	s_add_u32 s14, s14, (.LBB1_22784-.Lpost_getpc7807)&4294967295
	s_addc_u32 s15, s15, (.LBB1_22784-.Lpost_getpc7807)>>32
	s_setpc_b64 s[14:15]
.LBB1_8446:
	s_or_b64 exec, exec, s[6:7]
	s_and_saveexec_b64 s[6:7], s[4:5]
	s_cbranch_execz .LBB1_8448
.LBB1_8447:
	v_bfe_u32 v3, v5, 24, 3
	v_ffbh_u32_e32 v8, v3
	v_min_u32_e32 v8, 32, v8
	v_lshrrev_b32_e32 v6, 27, v5
	v_subrev_u32_e32 v9, 28, v8
	v_and_b32_e32 v4, 0x80000000, v5
	v_and_b32_e32 v6, 15, v6
	v_bfe_u32 v7, v5, 27, 4
	v_lshlrev_b32_sdwa v5, v9, v5 dst_sel:DWORD dst_unused:UNUSED_PAD src0_sel:DWORD src1_sel:BYTE_3
	v_sub_u32_e32 v8, 29, v8
	v_and_b32_e32 v5, 7, v5
	v_cmp_eq_u16_e32 vcc, 0, v6
	v_cndmask_b32_e32 v3, v3, v5, vcc
	v_cndmask_b32_e32 v5, v7, v8, vcc
	v_mov_b32_e32 v6, 0x3b800000
	v_lshlrev_b32_e32 v3, 20, v3
	v_lshl_add_u32 v5, v5, 23, v6
	v_or3_b32 v3, v4, v5, v3
.LBB1_8448:
	s_or_b64 exec, exec, s[6:7]
	s_nop 0
	v_mfma_f32_16x16x4f32 a[0:3], v2, v3, a[0:3]
	s_movk_i32 s4, 0x7f
                                        ; implicit-def: $sgpr10
	s_nop 7
	s_nop 1
	flat_store_dwordx4 v[10:11], a[0:3] offset:144
	flat_load_dwordx4 v[12:15], v[0:1]
	s_nop 0
	flat_load_dwordx2 v[10:11], v[0:1] offset:16
	s_waitcnt vmcnt(0) lgkmcnt(0)
	flat_load_dwordx4 v[6:9], v[12:13] offset:128
	flat_load_dwordx4 v[2:5], v[14:15] offset:160
	s_waitcnt vmcnt(0) lgkmcnt(0)
	v_cmp_gt_i16_sdwa s[6:7], v6, s4 src0_sel:BYTE_0 src1_sel:DWORD
	s_mov_b64 s[4:5], 0
	s_and_saveexec_b64 s[8:9], s[6:7]
	s_xor_b64 s[6:7], exec, s[8:9]
	s_cbranch_execz .LBB1_8449
; %bb.44289:
	s_getpc_b64 s[14:15]
.Lpost_getpc7808:
	s_add_u32 s14, s14, (.LBB1_22785-.Lpost_getpc7808)&4294967295
	s_addc_u32 s15, s15, (.LBB1_22785-.Lpost_getpc7808)>>32
	s_setpc_b64 s[14:15]
.LBB1_8449:
	s_or_saveexec_b64 s[6:7], s[6:7]
	v_mov_b32_e32 v12, s10
	s_xor_b64 exec, exec, s[6:7]
	s_cbranch_execz .LBB1_8450
; %bb.44291:
	s_getpc_b64 s[14:15]
.Lpost_getpc7809:
	s_add_u32 s14, s14, (.LBB1_22788-.Lpost_getpc7809)&4294967295
	s_addc_u32 s15, s15, (.LBB1_22788-.Lpost_getpc7809)>>32
	s_setpc_b64 s[14:15]
.LBB1_8450:
	s_or_b64 exec, exec, s[6:7]
	s_and_saveexec_b64 s[6:7], s[4:5]
	s_cbranch_execz .LBB1_8452
.LBB1_8451:
	v_and_b32_e32 v12, 7, v6
	v_ffbh_u32_e32 v14, v12
	v_min_u32_e32 v14, 32, v14
	v_lshrrev_b16_e32 v13, 3, v6
	v_subrev_u32_e32 v15, 28, v14
	v_and_b32_e32 v13, 15, v13
	v_lshlrev_b32_e32 v15, v15, v6
	v_sub_u32_e32 v14, 29, v14
	v_and_b32_e32 v15, 7, v15
	v_cmp_eq_u16_e32 vcc, 0, v13
	v_cndmask_b32_e32 v12, v12, v15, vcc
	v_cndmask_b32_e32 v13, v13, v14, vcc
	v_lshlrev_b32_e32 v14, 24, v6
	v_mov_b32_e32 v15, 0x3b800000
	v_lshlrev_b32_e32 v12, 20, v12
	v_and_b32_e32 v14, 0x80000000, v14
	v_lshl_add_u32 v13, v13, 23, v15
	v_or3_b32 v12, v14, v13, v12
.LBB1_8452:
	s_or_b64 exec, exec, s[6:7]
	s_movk_i32 s4, 0x7f
	v_cmp_gt_i16_sdwa s[6:7], v2, s4 src0_sel:BYTE_0 src1_sel:DWORD
	s_mov_b64 s[4:5], 0
                                        ; implicit-def: $sgpr10
	s_and_saveexec_b64 s[8:9], s[6:7]
	s_xor_b64 s[6:7], exec, s[8:9]
	s_cbranch_execz .LBB1_8453
; %bb.44293:
	s_getpc_b64 s[14:15]
.Lpost_getpc7810:
	s_add_u32 s14, s14, (.LBB1_22789-.Lpost_getpc7810)&4294967295
	s_addc_u32 s15, s15, (.LBB1_22789-.Lpost_getpc7810)>>32
	s_setpc_b64 s[14:15]
.LBB1_8453:
	s_or_saveexec_b64 s[6:7], s[6:7]
	v_mov_b32_e32 v13, s10
	s_xor_b64 exec, exec, s[6:7]
	s_cbranch_execz .LBB1_8454
; %bb.44295:
	s_getpc_b64 s[14:15]
.Lpost_getpc7811:
	s_add_u32 s14, s14, (.LBB1_22792-.Lpost_getpc7811)&4294967295
	s_addc_u32 s15, s15, (.LBB1_22792-.Lpost_getpc7811)>>32
	s_setpc_b64 s[14:15]
.LBB1_8454:
	s_or_b64 exec, exec, s[6:7]
	s_and_saveexec_b64 s[6:7], s[4:5]
	s_cbranch_execz .LBB1_8456
.LBB1_8455:
	v_and_b32_e32 v13, 7, v2
	v_ffbh_u32_e32 v15, v13
	v_min_u32_e32 v15, 32, v15
	v_lshrrev_b16_e32 v14, 3, v2
	v_subrev_u32_e32 v16, 28, v15
	v_and_b32_e32 v14, 15, v14
	v_lshlrev_b32_e32 v16, v16, v2
	v_sub_u32_e32 v15, 29, v15
	v_and_b32_e32 v16, 7, v16
	v_cmp_eq_u16_e32 vcc, 0, v14
	v_cndmask_b32_e32 v13, v13, v16, vcc
	v_cndmask_b32_e32 v14, v14, v15, vcc
	v_lshlrev_b32_e32 v15, 24, v2
	v_mov_b32_e32 v16, 0x3b800000
	v_lshlrev_b32_e32 v13, 20, v13
	v_and_b32_e32 v15, 0x80000000, v15
	v_lshl_add_u32 v14, v14, 23, v16
	v_or3_b32 v13, v15, v14, v13
.LBB1_8456:
	s_or_b64 exec, exec, s[6:7]
	flat_load_dwordx4 a[0:3], v[10:11] offset:160
	s_movk_i32 s4, 0x7f
                                        ; implicit-def: $sgpr10
	s_waitcnt vmcnt(0) lgkmcnt(0)
	v_mfma_f32_16x16x4f32 a[0:3], v12, v13, a[0:3]
	v_lshrrev_b32_e32 v13, 8, v6
	v_cmp_gt_i16_sdwa s[6:7], v13, s4 src0_sel:BYTE_0 src1_sel:DWORD
	s_mov_b64 s[4:5], 0
	s_and_saveexec_b64 s[8:9], s[6:7]
	s_xor_b64 s[6:7], exec, s[8:9]
	s_cbranch_execz .LBB1_8457
; %bb.44297:
	s_getpc_b64 s[14:15]
.Lpost_getpc7812:
	s_add_u32 s14, s14, (.LBB1_22793-.Lpost_getpc7812)&4294967295
	s_addc_u32 s15, s15, (.LBB1_22793-.Lpost_getpc7812)>>32
	s_setpc_b64 s[14:15]
.LBB1_8457:
	s_or_saveexec_b64 s[6:7], s[6:7]
	v_mov_b32_e32 v12, s10
	s_xor_b64 exec, exec, s[6:7]
	s_cbranch_execz .LBB1_8458
; %bb.44299:
	s_getpc_b64 s[14:15]
.Lpost_getpc7813:
	s_add_u32 s14, s14, (.LBB1_22796-.Lpost_getpc7813)&4294967295
	s_addc_u32 s15, s15, (.LBB1_22796-.Lpost_getpc7813)>>32
	s_setpc_b64 s[14:15]
.LBB1_8458:
	s_or_b64 exec, exec, s[6:7]
	s_and_saveexec_b64 s[6:7], s[4:5]
	s_cbranch_execz .LBB1_8460
.LBB1_8459:
	v_bfe_u32 v12, v6, 8, 3
	v_ffbh_u32_e32 v15, v12
	v_min_u32_e32 v15, 32, v15
	v_lshrrev_b16_e32 v14, 3, v13
	v_subrev_u32_e32 v16, 28, v15
	v_and_b32_e32 v14, 15, v14
	v_lshlrev_b32_e32 v13, v16, v13
	v_sub_u32_e32 v15, 29, v15
	v_and_b32_e32 v13, 7, v13
	v_cmp_eq_u16_e32 vcc, 0, v14
	v_cndmask_b32_e32 v12, v12, v13, vcc
	v_cndmask_b32_e32 v13, v14, v15, vcc
	v_lshlrev_b32_e32 v14, 16, v6
	v_mov_b32_e32 v15, 0x3b800000
	v_lshlrev_b32_e32 v12, 20, v12
	v_and_b32_e32 v14, 0x80000000, v14
	v_lshl_add_u32 v13, v13, 23, v15
	v_or3_b32 v12, v14, v13, v12
.LBB1_8460:
	s_or_b64 exec, exec, s[6:7]
	v_lshrrev_b32_e32 v13, 8, v2
	s_movk_i32 s4, 0x7f
	v_cmp_gt_i16_sdwa s[6:7], v13, s4 src0_sel:BYTE_0 src1_sel:DWORD
	s_mov_b64 s[4:5], 0
                                        ; implicit-def: $sgpr10
	s_and_saveexec_b64 s[8:9], s[6:7]
	s_xor_b64 s[6:7], exec, s[8:9]
	s_cbranch_execz .LBB1_8461
; %bb.44301:
	s_getpc_b64 s[14:15]
.Lpost_getpc7814:
	s_add_u32 s14, s14, (.LBB1_22797-.Lpost_getpc7814)&4294967295
	s_addc_u32 s15, s15, (.LBB1_22797-.Lpost_getpc7814)>>32
	s_setpc_b64 s[14:15]
.LBB1_8461:
	s_or_saveexec_b64 s[6:7], s[6:7]
	v_mov_b32_e32 v14, s10
	s_xor_b64 exec, exec, s[6:7]
	s_cbranch_execz .LBB1_8462
; %bb.44303:
	s_getpc_b64 s[14:15]
.Lpost_getpc7815:
	s_add_u32 s14, s14, (.LBB1_22800-.Lpost_getpc7815)&4294967295
	s_addc_u32 s15, s15, (.LBB1_22800-.Lpost_getpc7815)>>32
	s_setpc_b64 s[14:15]
.LBB1_8462:
	s_or_b64 exec, exec, s[6:7]
	s_and_saveexec_b64 s[6:7], s[4:5]
	s_cbranch_execz .LBB1_8464
.LBB1_8463:
	v_bfe_u32 v14, v2, 8, 3
	v_ffbh_u32_e32 v16, v14
	v_min_u32_e32 v16, 32, v16
	v_lshrrev_b16_e32 v15, 3, v13
	v_subrev_u32_e32 v17, 28, v16
	v_and_b32_e32 v15, 15, v15
	v_lshlrev_b32_e32 v13, v17, v13
	v_sub_u32_e32 v16, 29, v16
	v_and_b32_e32 v13, 7, v13
	v_cmp_eq_u16_e32 vcc, 0, v15
	v_cndmask_b32_e32 v13, v14, v13, vcc
	v_cndmask_b32_e32 v14, v15, v16, vcc
	v_lshlrev_b32_e32 v15, 16, v2
	v_mov_b32_e32 v16, 0x3b800000
	v_lshlrev_b32_e32 v13, 20, v13
	v_and_b32_e32 v15, 0x80000000, v15
	v_lshl_add_u32 v14, v14, 23, v16
	v_or3_b32 v14, v15, v14, v13
.LBB1_8464:
	s_or_b64 exec, exec, s[6:7]
	s_nop 0
	v_mfma_f32_16x16x4f32 a[0:3], v12, v14, a[0:3]
	s_movk_i32 s4, 0xff
	v_and_b32_sdwa v13, v6, s4 dst_sel:DWORD dst_unused:UNUSED_PAD src0_sel:WORD_1 src1_sel:DWORD
	s_movk_i32 s4, 0x7f
	v_cmp_lt_i16_e32 vcc, s4, v13
	s_mov_b64 s[4:5], 0
                                        ; implicit-def: $sgpr10
	s_and_saveexec_b64 s[6:7], vcc
	s_xor_b64 s[6:7], exec, s[6:7]
	s_cbranch_execz .LBB1_8465
; %bb.44305:
	s_getpc_b64 s[14:15]
.Lpost_getpc7816:
	s_add_u32 s14, s14, (.LBB1_22801-.Lpost_getpc7816)&4294967295
	s_addc_u32 s15, s15, (.LBB1_22801-.Lpost_getpc7816)>>32
	s_setpc_b64 s[14:15]
.LBB1_8465:
	s_or_saveexec_b64 s[6:7], s[6:7]
	v_mov_b32_e32 v12, s10
	s_xor_b64 exec, exec, s[6:7]
	s_cbranch_execz .LBB1_8466
; %bb.44307:
	s_getpc_b64 s[14:15]
.Lpost_getpc7817:
	s_add_u32 s14, s14, (.LBB1_22804-.Lpost_getpc7817)&4294967295
	s_addc_u32 s15, s15, (.LBB1_22804-.Lpost_getpc7817)>>32
	s_setpc_b64 s[14:15]
.LBB1_8466:
	s_or_b64 exec, exec, s[6:7]
	s_and_saveexec_b64 s[6:7], s[4:5]
	s_cbranch_execz .LBB1_8468
.LBB1_8467:
	v_bfe_u32 v12, v6, 16, 3
	v_ffbh_u32_e32 v15, v12
	v_min_u32_e32 v15, 32, v15
	v_lshrrev_b32_e32 v13, 19, v6
	v_subrev_u32_e32 v16, 28, v15
	v_and_b32_e32 v13, 15, v13
	v_lshlrev_b32_sdwa v16, v16, v6 dst_sel:DWORD dst_unused:UNUSED_PAD src0_sel:DWORD src1_sel:WORD_1
	v_bfe_u32 v14, v6, 19, 4
	v_sub_u32_e32 v15, 29, v15
	v_and_b32_e32 v16, 7, v16
	v_cmp_eq_u16_e32 vcc, 0, v13
	v_cndmask_b32_e32 v12, v12, v16, vcc
	v_cndmask_b32_e32 v13, v14, v15, vcc
	v_lshlrev_b32_e32 v14, 8, v6
	v_mov_b32_e32 v15, 0x3b800000
	v_lshlrev_b32_e32 v12, 20, v12
	v_and_b32_e32 v14, 0x80000000, v14
	v_lshl_add_u32 v13, v13, 23, v15
	v_or3_b32 v12, v14, v13, v12
.LBB1_8468:
	s_or_b64 exec, exec, s[6:7]
	s_movk_i32 s4, 0xff
	v_and_b32_sdwa v13, v2, s4 dst_sel:DWORD dst_unused:UNUSED_PAD src0_sel:WORD_1 src1_sel:DWORD
	s_movk_i32 s4, 0x7f
	v_cmp_lt_i16_e32 vcc, s4, v13
	s_mov_b64 s[4:5], 0
                                        ; implicit-def: $sgpr10
	s_and_saveexec_b64 s[6:7], vcc
	s_xor_b64 s[6:7], exec, s[6:7]
	s_cbranch_execz .LBB1_8469
; %bb.44309:
	s_getpc_b64 s[14:15]
.Lpost_getpc7818:
	s_add_u32 s14, s14, (.LBB1_22805-.Lpost_getpc7818)&4294967295
	s_addc_u32 s15, s15, (.LBB1_22805-.Lpost_getpc7818)>>32
	s_setpc_b64 s[14:15]
.LBB1_8469:
	s_or_saveexec_b64 s[6:7], s[6:7]
	v_mov_b32_e32 v14, s10
	s_xor_b64 exec, exec, s[6:7]
	s_cbranch_execz .LBB1_8470
; %bb.44311:
	s_getpc_b64 s[14:15]
.Lpost_getpc7819:
	s_add_u32 s14, s14, (.LBB1_22808-.Lpost_getpc7819)&4294967295
	s_addc_u32 s15, s15, (.LBB1_22808-.Lpost_getpc7819)>>32
	s_setpc_b64 s[14:15]
.LBB1_8470:
	s_or_b64 exec, exec, s[6:7]
	s_and_saveexec_b64 s[6:7], s[4:5]
	s_cbranch_execz .LBB1_8472
.LBB1_8471:
	v_bfe_u32 v13, v2, 16, 3
	v_ffbh_u32_e32 v16, v13
	v_min_u32_e32 v16, 32, v16
	v_lshrrev_b32_e32 v14, 19, v2
	v_subrev_u32_e32 v17, 28, v16
	v_and_b32_e32 v14, 15, v14
	v_lshlrev_b32_sdwa v17, v17, v2 dst_sel:DWORD dst_unused:UNUSED_PAD src0_sel:DWORD src1_sel:WORD_1
	v_bfe_u32 v15, v2, 19, 4
	v_sub_u32_e32 v16, 29, v16
	v_and_b32_e32 v17, 7, v17
	v_cmp_eq_u16_e32 vcc, 0, v14
	v_cndmask_b32_e32 v13, v13, v17, vcc
	v_cndmask_b32_e32 v14, v15, v16, vcc
	v_lshlrev_b32_e32 v15, 8, v2
	v_mov_b32_e32 v16, 0x3b800000
	v_lshlrev_b32_e32 v13, 20, v13
	v_and_b32_e32 v15, 0x80000000, v15
	v_lshl_add_u32 v14, v14, 23, v16
	v_or3_b32 v14, v15, v14, v13
.LBB1_8472:
	s_or_b64 exec, exec, s[6:7]
	s_nop 0
	v_mfma_f32_16x16x4f32 a[0:3], v12, v14, a[0:3]
	s_movk_i32 s4, 0x7f
	v_cmp_gt_i16_sdwa s[6:7], v6, s4 src0_sel:BYTE_3 src1_sel:DWORD
	s_mov_b64 s[4:5], 0
                                        ; implicit-def: $sgpr10
	s_and_saveexec_b64 s[8:9], s[6:7]
	s_xor_b64 s[6:7], exec, s[8:9]
	s_cbranch_execz .LBB1_8473
; %bb.44313:
	s_getpc_b64 s[14:15]
.Lpost_getpc7820:
	s_add_u32 s14, s14, (.LBB1_22809-.Lpost_getpc7820)&4294967295
	s_addc_u32 s15, s15, (.LBB1_22809-.Lpost_getpc7820)>>32
	s_setpc_b64 s[14:15]
.LBB1_8473:
	s_or_saveexec_b64 s[6:7], s[6:7]
	v_mov_b32_e32 v12, s10
	s_xor_b64 exec, exec, s[6:7]
	s_cbranch_execz .LBB1_8474
; %bb.44315:
	s_getpc_b64 s[14:15]
.Lpost_getpc7821:
	s_add_u32 s14, s14, (.LBB1_22812-.Lpost_getpc7821)&4294967295
	s_addc_u32 s15, s15, (.LBB1_22812-.Lpost_getpc7821)>>32
	s_setpc_b64 s[14:15]
.LBB1_8474:
	s_or_b64 exec, exec, s[6:7]
	s_and_saveexec_b64 s[6:7], s[4:5]
	s_cbranch_execz .LBB1_8476
.LBB1_8475:
	v_bfe_u32 v12, v6, 24, 3
	v_ffbh_u32_e32 v16, v12
	v_min_u32_e32 v16, 32, v16
	v_lshrrev_b32_e32 v14, 27, v6
	v_subrev_u32_e32 v17, 28, v16
	v_and_b32_e32 v13, 0x80000000, v6
	v_and_b32_e32 v14, 15, v14
	v_bfe_u32 v15, v6, 27, 4
	v_lshlrev_b32_sdwa v6, v17, v6 dst_sel:DWORD dst_unused:UNUSED_PAD src0_sel:DWORD src1_sel:BYTE_3
	v_sub_u32_e32 v16, 29, v16
	v_and_b32_e32 v6, 7, v6
	v_cmp_eq_u16_e32 vcc, 0, v14
	v_cndmask_b32_e32 v6, v12, v6, vcc
	v_cndmask_b32_e32 v12, v15, v16, vcc
	v_mov_b32_e32 v14, 0x3b800000
	v_lshlrev_b32_e32 v6, 20, v6
	v_lshl_add_u32 v12, v12, 23, v14
	v_or3_b32 v12, v13, v12, v6
.LBB1_8476:
	s_or_b64 exec, exec, s[6:7]
	s_movk_i32 s4, 0x7f
	v_cmp_gt_i16_sdwa s[6:7], v2, s4 src0_sel:BYTE_3 src1_sel:DWORD
	s_mov_b64 s[4:5], 0
                                        ; implicit-def: $sgpr10
	s_and_saveexec_b64 s[8:9], s[6:7]
	s_xor_b64 s[6:7], exec, s[8:9]
	s_cbranch_execz .LBB1_8477
; %bb.44317:
	s_getpc_b64 s[14:15]
.Lpost_getpc7822:
	s_add_u32 s14, s14, (.LBB1_22813-.Lpost_getpc7822)&4294967295
	s_addc_u32 s15, s15, (.LBB1_22813-.Lpost_getpc7822)>>32
	s_setpc_b64 s[14:15]
.LBB1_8477:
	s_or_saveexec_b64 s[6:7], s[6:7]
	v_mov_b32_e32 v6, s10
	s_xor_b64 exec, exec, s[6:7]
	s_cbranch_execz .LBB1_8478
; %bb.44319:
	s_getpc_b64 s[14:15]
.Lpost_getpc7823:
	s_add_u32 s14, s14, (.LBB1_22816-.Lpost_getpc7823)&4294967295
	s_addc_u32 s15, s15, (.LBB1_22816-.Lpost_getpc7823)>>32
	s_setpc_b64 s[14:15]
.LBB1_8478:
	s_or_b64 exec, exec, s[6:7]
	s_and_saveexec_b64 s[6:7], s[4:5]
	s_cbranch_execz .LBB1_8480
.LBB1_8479:
	v_bfe_u32 v6, v2, 24, 3
	v_ffbh_u32_e32 v16, v6
	v_min_u32_e32 v16, 32, v16
	v_lshrrev_b32_e32 v14, 27, v2
	v_subrev_u32_e32 v17, 28, v16
	v_and_b32_e32 v13, 0x80000000, v2
	v_and_b32_e32 v14, 15, v14
	v_bfe_u32 v15, v2, 27, 4
	v_lshlrev_b32_sdwa v2, v17, v2 dst_sel:DWORD dst_unused:UNUSED_PAD src0_sel:DWORD src1_sel:BYTE_3
	v_sub_u32_e32 v16, 29, v16
	v_and_b32_e32 v2, 7, v2
	v_cmp_eq_u16_e32 vcc, 0, v14
	v_cndmask_b32_e32 v2, v6, v2, vcc
	v_cndmask_b32_e32 v6, v15, v16, vcc
	v_mov_b32_e32 v14, 0x3b800000
	v_lshlrev_b32_e32 v2, 20, v2
	v_lshl_add_u32 v6, v6, 23, v14
	v_or3_b32 v6, v13, v6, v2
.LBB1_8480:
	s_or_b64 exec, exec, s[6:7]
	s_nop 0
	v_mfma_f32_16x16x4f32 a[0:3], v12, v6, a[0:3]
	s_movk_i32 s4, 0x7f
	v_cmp_gt_i16_sdwa s[6:7], v7, s4 src0_sel:BYTE_0 src1_sel:DWORD
	s_mov_b64 s[4:5], 0
                                        ; implicit-def: $sgpr10
	s_and_saveexec_b64 s[8:9], s[6:7]
	s_xor_b64 s[6:7], exec, s[8:9]
	s_cbranch_execz .LBB1_8481
; %bb.44321:
	s_getpc_b64 s[14:15]
.Lpost_getpc7824:
	s_add_u32 s14, s14, (.LBB1_22817-.Lpost_getpc7824)&4294967295
	s_addc_u32 s15, s15, (.LBB1_22817-.Lpost_getpc7824)>>32
	s_setpc_b64 s[14:15]
.LBB1_8481:
	s_or_saveexec_b64 s[6:7], s[6:7]
	v_mov_b32_e32 v2, s10
	s_xor_b64 exec, exec, s[6:7]
	s_cbranch_execz .LBB1_8482
; %bb.44323:
	s_getpc_b64 s[14:15]
.Lpost_getpc7825:
	s_add_u32 s14, s14, (.LBB1_22820-.Lpost_getpc7825)&4294967295
	s_addc_u32 s15, s15, (.LBB1_22820-.Lpost_getpc7825)>>32
	s_setpc_b64 s[14:15]
.LBB1_8482:
	s_or_b64 exec, exec, s[6:7]
	s_and_saveexec_b64 s[6:7], s[4:5]
	s_cbranch_execz .LBB1_8484
.LBB1_8483:
	v_and_b32_e32 v2, 7, v7
	v_ffbh_u32_e32 v12, v2
	v_min_u32_e32 v12, 32, v12
	v_lshrrev_b16_e32 v6, 3, v7
	v_subrev_u32_e32 v13, 28, v12
	v_and_b32_e32 v6, 15, v6
	v_lshlrev_b32_e32 v13, v13, v7
	v_sub_u32_e32 v12, 29, v12
	v_and_b32_e32 v13, 7, v13
	v_cmp_eq_u16_e32 vcc, 0, v6
	v_cndmask_b32_e32 v2, v2, v13, vcc
	v_cndmask_b32_e32 v6, v6, v12, vcc
	v_lshlrev_b32_e32 v12, 24, v7
	v_mov_b32_e32 v13, 0x3b800000
	v_lshlrev_b32_e32 v2, 20, v2
	v_and_b32_e32 v12, 0x80000000, v12
	v_lshl_add_u32 v6, v6, 23, v13
	v_or3_b32 v2, v12, v6, v2
.LBB1_8484:
	s_or_b64 exec, exec, s[6:7]
	s_movk_i32 s4, 0x7f
	v_cmp_gt_i16_sdwa s[6:7], v3, s4 src0_sel:BYTE_0 src1_sel:DWORD
	s_mov_b64 s[4:5], 0
                                        ; implicit-def: $sgpr10
	s_and_saveexec_b64 s[8:9], s[6:7]
	s_xor_b64 s[6:7], exec, s[8:9]
	s_cbranch_execz .LBB1_8485
; %bb.44325:
	s_getpc_b64 s[14:15]
.Lpost_getpc7826:
	s_add_u32 s14, s14, (.LBB1_22821-.Lpost_getpc7826)&4294967295
	s_addc_u32 s15, s15, (.LBB1_22821-.Lpost_getpc7826)>>32
	s_setpc_b64 s[14:15]
.LBB1_8485:
	s_or_saveexec_b64 s[6:7], s[6:7]
	v_mov_b32_e32 v6, s10
	s_xor_b64 exec, exec, s[6:7]
	s_cbranch_execz .LBB1_8486
; %bb.44327:
	s_getpc_b64 s[14:15]
.Lpost_getpc7827:
	s_add_u32 s14, s14, (.LBB1_22824-.Lpost_getpc7827)&4294967295
	s_addc_u32 s15, s15, (.LBB1_22824-.Lpost_getpc7827)>>32
	s_setpc_b64 s[14:15]
.LBB1_8486:
	s_or_b64 exec, exec, s[6:7]
	s_and_saveexec_b64 s[6:7], s[4:5]
	s_cbranch_execz .LBB1_8488
.LBB1_8487:
	v_and_b32_e32 v6, 7, v3
	v_ffbh_u32_e32 v13, v6
	v_min_u32_e32 v13, 32, v13
	v_lshrrev_b16_e32 v12, 3, v3
	v_subrev_u32_e32 v14, 28, v13
	v_and_b32_e32 v12, 15, v12
	v_lshlrev_b32_e32 v14, v14, v3
	v_sub_u32_e32 v13, 29, v13
	v_and_b32_e32 v14, 7, v14
	v_cmp_eq_u16_e32 vcc, 0, v12
	v_cndmask_b32_e32 v6, v6, v14, vcc
	v_cndmask_b32_e32 v12, v12, v13, vcc
	v_lshlrev_b32_e32 v13, 24, v3
	v_mov_b32_e32 v14, 0x3b800000
	v_lshlrev_b32_e32 v6, 20, v6
	v_and_b32_e32 v13, 0x80000000, v13
	v_lshl_add_u32 v12, v12, 23, v14
	v_or3_b32 v6, v13, v12, v6
.LBB1_8488:
	s_or_b64 exec, exec, s[6:7]
	s_nop 0
	v_mfma_f32_16x16x4f32 a[0:3], v2, v6, a[0:3]
	v_lshrrev_b32_e32 v6, 8, v7
	s_movk_i32 s4, 0x7f
	v_cmp_gt_i16_sdwa s[6:7], v6, s4 src0_sel:BYTE_0 src1_sel:DWORD
	s_mov_b64 s[4:5], 0
                                        ; implicit-def: $sgpr10
	s_and_saveexec_b64 s[8:9], s[6:7]
	s_xor_b64 s[6:7], exec, s[8:9]
	s_cbranch_execz .LBB1_8489
; %bb.44329:
	s_getpc_b64 s[14:15]
.Lpost_getpc7828:
	s_add_u32 s14, s14, (.LBB1_22825-.Lpost_getpc7828)&4294967295
	s_addc_u32 s15, s15, (.LBB1_22825-.Lpost_getpc7828)>>32
	s_setpc_b64 s[14:15]
.LBB1_8489:
	s_or_saveexec_b64 s[6:7], s[6:7]
	v_mov_b32_e32 v2, s10
	s_xor_b64 exec, exec, s[6:7]
	s_cbranch_execz .LBB1_8490
; %bb.44331:
	s_getpc_b64 s[14:15]
.Lpost_getpc7829:
	s_add_u32 s14, s14, (.LBB1_22828-.Lpost_getpc7829)&4294967295
	s_addc_u32 s15, s15, (.LBB1_22828-.Lpost_getpc7829)>>32
	s_setpc_b64 s[14:15]
.LBB1_8490:
	s_or_b64 exec, exec, s[6:7]
	s_and_saveexec_b64 s[6:7], s[4:5]
	s_cbranch_execz .LBB1_8492
.LBB1_8491:
	v_bfe_u32 v2, v7, 8, 3
	v_ffbh_u32_e32 v13, v2
	v_min_u32_e32 v13, 32, v13
	v_lshrrev_b16_e32 v12, 3, v6
	v_subrev_u32_e32 v14, 28, v13
	v_and_b32_e32 v12, 15, v12
	v_lshlrev_b32_e32 v6, v14, v6
	v_sub_u32_e32 v13, 29, v13
	v_and_b32_e32 v6, 7, v6
	v_cmp_eq_u16_e32 vcc, 0, v12
	v_cndmask_b32_e32 v2, v2, v6, vcc
	v_cndmask_b32_e32 v6, v12, v13, vcc
	v_lshlrev_b32_e32 v12, 16, v7
	v_mov_b32_e32 v13, 0x3b800000
	v_lshlrev_b32_e32 v2, 20, v2
	v_and_b32_e32 v12, 0x80000000, v12
	v_lshl_add_u32 v6, v6, 23, v13
	v_or3_b32 v2, v12, v6, v2
.LBB1_8492:
	s_or_b64 exec, exec, s[6:7]
	v_lshrrev_b32_e32 v6, 8, v3
	s_movk_i32 s4, 0x7f
	v_cmp_gt_i16_sdwa s[6:7], v6, s4 src0_sel:BYTE_0 src1_sel:DWORD
	s_mov_b64 s[4:5], 0
                                        ; implicit-def: $sgpr10
	s_and_saveexec_b64 s[8:9], s[6:7]
	s_xor_b64 s[6:7], exec, s[8:9]
	s_cbranch_execz .LBB1_8493
; %bb.44333:
	s_getpc_b64 s[14:15]
.Lpost_getpc7830:
	s_add_u32 s14, s14, (.LBB1_22829-.Lpost_getpc7830)&4294967295
	s_addc_u32 s15, s15, (.LBB1_22829-.Lpost_getpc7830)>>32
	s_setpc_b64 s[14:15]
.LBB1_8493:
	s_or_saveexec_b64 s[6:7], s[6:7]
	v_mov_b32_e32 v12, s10
	s_xor_b64 exec, exec, s[6:7]
	s_cbranch_execz .LBB1_8494
; %bb.44335:
	s_getpc_b64 s[14:15]
.Lpost_getpc7831:
	s_add_u32 s14, s14, (.LBB1_22832-.Lpost_getpc7831)&4294967295
	s_addc_u32 s15, s15, (.LBB1_22832-.Lpost_getpc7831)>>32
	s_setpc_b64 s[14:15]
.LBB1_8494:
	s_or_b64 exec, exec, s[6:7]
	s_and_saveexec_b64 s[6:7], s[4:5]
	s_cbranch_execz .LBB1_8496
.LBB1_8495:
	v_bfe_u32 v12, v3, 8, 3
	v_ffbh_u32_e32 v14, v12
	v_min_u32_e32 v14, 32, v14
	v_lshrrev_b16_e32 v13, 3, v6
	v_subrev_u32_e32 v15, 28, v14
	v_and_b32_e32 v13, 15, v13
	v_lshlrev_b32_e32 v6, v15, v6
	v_sub_u32_e32 v14, 29, v14
	v_and_b32_e32 v6, 7, v6
	v_cmp_eq_u16_e32 vcc, 0, v13
	v_cndmask_b32_e32 v6, v12, v6, vcc
	v_cndmask_b32_e32 v12, v13, v14, vcc
	v_lshlrev_b32_e32 v13, 16, v3
	v_mov_b32_e32 v14, 0x3b800000
	v_lshlrev_b32_e32 v6, 20, v6
	v_and_b32_e32 v13, 0x80000000, v13
	v_lshl_add_u32 v12, v12, 23, v14
	v_or3_b32 v12, v13, v12, v6
.LBB1_8496:
	s_or_b64 exec, exec, s[6:7]
	s_nop 0
	v_mfma_f32_16x16x4f32 a[0:3], v2, v12, a[0:3]
	s_movk_i32 s4, 0xff
	v_and_b32_sdwa v6, v7, s4 dst_sel:DWORD dst_unused:UNUSED_PAD src0_sel:WORD_1 src1_sel:DWORD
	s_movk_i32 s4, 0x7f
	v_cmp_lt_i16_e32 vcc, s4, v6
	s_mov_b64 s[4:5], 0
                                        ; implicit-def: $sgpr10
	s_and_saveexec_b64 s[6:7], vcc
	s_xor_b64 s[6:7], exec, s[6:7]
	s_cbranch_execz .LBB1_8497
; %bb.44337:
	s_getpc_b64 s[14:15]
.Lpost_getpc7832:
	s_add_u32 s14, s14, (.LBB1_22833-.Lpost_getpc7832)&4294967295
	s_addc_u32 s15, s15, (.LBB1_22833-.Lpost_getpc7832)>>32
	s_setpc_b64 s[14:15]
.LBB1_8497:
	s_or_saveexec_b64 s[6:7], s[6:7]
	v_mov_b32_e32 v2, s10
	s_xor_b64 exec, exec, s[6:7]
	s_cbranch_execz .LBB1_8498
; %bb.44339:
	s_getpc_b64 s[14:15]
.Lpost_getpc7833:
	s_add_u32 s14, s14, (.LBB1_22836-.Lpost_getpc7833)&4294967295
	s_addc_u32 s15, s15, (.LBB1_22836-.Lpost_getpc7833)>>32
	s_setpc_b64 s[14:15]
.LBB1_8498:
	s_or_b64 exec, exec, s[6:7]
	s_and_saveexec_b64 s[6:7], s[4:5]
	s_cbranch_execz .LBB1_8500
.LBB1_8499:
	v_bfe_u32 v2, v7, 16, 3
	v_ffbh_u32_e32 v13, v2
	v_min_u32_e32 v13, 32, v13
	v_lshrrev_b32_e32 v6, 19, v7
	v_subrev_u32_e32 v14, 28, v13
	v_and_b32_e32 v6, 15, v6
	v_lshlrev_b32_sdwa v14, v14, v7 dst_sel:DWORD dst_unused:UNUSED_PAD src0_sel:DWORD src1_sel:WORD_1
	v_bfe_u32 v12, v7, 19, 4
	v_sub_u32_e32 v13, 29, v13
	v_and_b32_e32 v14, 7, v14
	v_cmp_eq_u16_e32 vcc, 0, v6
	v_cndmask_b32_e32 v2, v2, v14, vcc
	v_cndmask_b32_e32 v6, v12, v13, vcc
	v_lshlrev_b32_e32 v12, 8, v7
	v_mov_b32_e32 v13, 0x3b800000
	v_lshlrev_b32_e32 v2, 20, v2
	v_and_b32_e32 v12, 0x80000000, v12
	v_lshl_add_u32 v6, v6, 23, v13
	v_or3_b32 v2, v12, v6, v2
.LBB1_8500:
	s_or_b64 exec, exec, s[6:7]
	s_movk_i32 s4, 0xff
	v_and_b32_sdwa v6, v3, s4 dst_sel:DWORD dst_unused:UNUSED_PAD src0_sel:WORD_1 src1_sel:DWORD
	s_movk_i32 s4, 0x7f
	v_cmp_lt_i16_e32 vcc, s4, v6
	s_mov_b64 s[4:5], 0
                                        ; implicit-def: $sgpr10
	s_and_saveexec_b64 s[6:7], vcc
	s_xor_b64 s[6:7], exec, s[6:7]
	s_cbranch_execz .LBB1_8501
; %bb.44341:
	s_getpc_b64 s[14:15]
.Lpost_getpc7834:
	s_add_u32 s14, s14, (.LBB1_22837-.Lpost_getpc7834)&4294967295
	s_addc_u32 s15, s15, (.LBB1_22837-.Lpost_getpc7834)>>32
	s_setpc_b64 s[14:15]
.LBB1_8501:
	s_or_saveexec_b64 s[6:7], s[6:7]
	v_mov_b32_e32 v12, s10
	s_xor_b64 exec, exec, s[6:7]
	s_cbranch_execz .LBB1_8502
; %bb.44343:
	s_getpc_b64 s[14:15]
.Lpost_getpc7835:
	s_add_u32 s14, s14, (.LBB1_22840-.Lpost_getpc7835)&4294967295
	s_addc_u32 s15, s15, (.LBB1_22840-.Lpost_getpc7835)>>32
	s_setpc_b64 s[14:15]
.LBB1_8502:
	s_or_b64 exec, exec, s[6:7]
	s_and_saveexec_b64 s[6:7], s[4:5]
	s_cbranch_execz .LBB1_8504
.LBB1_8503:
	v_bfe_u32 v6, v3, 16, 3
	v_ffbh_u32_e32 v14, v6
	v_min_u32_e32 v14, 32, v14
	v_lshrrev_b32_e32 v12, 19, v3
	v_subrev_u32_e32 v15, 28, v14
	v_and_b32_e32 v12, 15, v12
	v_lshlrev_b32_sdwa v15, v15, v3 dst_sel:DWORD dst_unused:UNUSED_PAD src0_sel:DWORD src1_sel:WORD_1
	v_bfe_u32 v13, v3, 19, 4
	v_sub_u32_e32 v14, 29, v14
	v_and_b32_e32 v15, 7, v15
	v_cmp_eq_u16_e32 vcc, 0, v12
	v_cndmask_b32_e32 v6, v6, v15, vcc
	v_cndmask_b32_e32 v12, v13, v14, vcc
	v_lshlrev_b32_e32 v13, 8, v3
	v_mov_b32_e32 v14, 0x3b800000
	v_lshlrev_b32_e32 v6, 20, v6
	v_and_b32_e32 v13, 0x80000000, v13
	v_lshl_add_u32 v12, v12, 23, v14
	v_or3_b32 v12, v13, v12, v6
.LBB1_8504:
	s_or_b64 exec, exec, s[6:7]
	s_nop 0
	v_mfma_f32_16x16x4f32 a[0:3], v2, v12, a[0:3]
	s_movk_i32 s4, 0x7f
	v_cmp_gt_i16_sdwa s[6:7], v7, s4 src0_sel:BYTE_3 src1_sel:DWORD
	s_mov_b64 s[4:5], 0
                                        ; implicit-def: $sgpr10
	s_and_saveexec_b64 s[8:9], s[6:7]
	s_xor_b64 s[6:7], exec, s[8:9]
	s_cbranch_execz .LBB1_8505
; %bb.44345:
	s_getpc_b64 s[14:15]
.Lpost_getpc7836:
	s_add_u32 s14, s14, (.LBB1_22841-.Lpost_getpc7836)&4294967295
	s_addc_u32 s15, s15, (.LBB1_22841-.Lpost_getpc7836)>>32
	s_setpc_b64 s[14:15]
.LBB1_8505:
	s_or_saveexec_b64 s[6:7], s[6:7]
	v_mov_b32_e32 v2, s10
	s_xor_b64 exec, exec, s[6:7]
	s_cbranch_execz .LBB1_8506
; %bb.44347:
	s_getpc_b64 s[14:15]
.Lpost_getpc7837:
	s_add_u32 s14, s14, (.LBB1_22844-.Lpost_getpc7837)&4294967295
	s_addc_u32 s15, s15, (.LBB1_22844-.Lpost_getpc7837)>>32
	s_setpc_b64 s[14:15]
.LBB1_8506:
	s_or_b64 exec, exec, s[6:7]
	s_and_saveexec_b64 s[6:7], s[4:5]
	s_cbranch_execz .LBB1_8508
.LBB1_8507:
	v_bfe_u32 v2, v7, 24, 3
	v_ffbh_u32_e32 v14, v2
	v_min_u32_e32 v14, 32, v14
	v_lshrrev_b32_e32 v12, 27, v7
	v_subrev_u32_e32 v15, 28, v14
	v_and_b32_e32 v6, 0x80000000, v7
	v_and_b32_e32 v12, 15, v12
	v_bfe_u32 v13, v7, 27, 4
	v_lshlrev_b32_sdwa v7, v15, v7 dst_sel:DWORD dst_unused:UNUSED_PAD src0_sel:DWORD src1_sel:BYTE_3
	v_sub_u32_e32 v14, 29, v14
	v_and_b32_e32 v7, 7, v7
	v_cmp_eq_u16_e32 vcc, 0, v12
	v_cndmask_b32_e32 v2, v2, v7, vcc
	v_cndmask_b32_e32 v7, v13, v14, vcc
	v_mov_b32_e32 v12, 0x3b800000
	v_lshlrev_b32_e32 v2, 20, v2
	v_lshl_add_u32 v7, v7, 23, v12
	v_or3_b32 v2, v6, v7, v2
.LBB1_8508:
	s_or_b64 exec, exec, s[6:7]
	s_movk_i32 s4, 0x7f
	v_cmp_gt_i16_sdwa s[6:7], v3, s4 src0_sel:BYTE_3 src1_sel:DWORD
	s_mov_b64 s[4:5], 0
                                        ; implicit-def: $sgpr10
	s_and_saveexec_b64 s[8:9], s[6:7]
	s_xor_b64 s[6:7], exec, s[8:9]
	s_cbranch_execz .LBB1_8509
; %bb.44349:
	s_getpc_b64 s[14:15]
.Lpost_getpc7838:
	s_add_u32 s14, s14, (.LBB1_22845-.Lpost_getpc7838)&4294967295
	s_addc_u32 s15, s15, (.LBB1_22845-.Lpost_getpc7838)>>32
	s_setpc_b64 s[14:15]
.LBB1_8509:
	s_or_saveexec_b64 s[6:7], s[6:7]
	v_mov_b32_e32 v6, s10
	s_xor_b64 exec, exec, s[6:7]
	s_cbranch_execz .LBB1_8510
; %bb.44351:
	s_getpc_b64 s[14:15]
.Lpost_getpc7839:
	s_add_u32 s14, s14, (.LBB1_22848-.Lpost_getpc7839)&4294967295
	s_addc_u32 s15, s15, (.LBB1_22848-.Lpost_getpc7839)>>32
	s_setpc_b64 s[14:15]
.LBB1_8510:
	s_or_b64 exec, exec, s[6:7]
	s_and_saveexec_b64 s[6:7], s[4:5]
	s_cbranch_execz .LBB1_8512
.LBB1_8511:
	v_bfe_u32 v6, v3, 24, 3
	v_ffbh_u32_e32 v14, v6
	v_min_u32_e32 v14, 32, v14
	v_lshrrev_b32_e32 v12, 27, v3
	v_subrev_u32_e32 v15, 28, v14
	v_and_b32_e32 v7, 0x80000000, v3
	v_and_b32_e32 v12, 15, v12
	v_bfe_u32 v13, v3, 27, 4
	v_lshlrev_b32_sdwa v3, v15, v3 dst_sel:DWORD dst_unused:UNUSED_PAD src0_sel:DWORD src1_sel:BYTE_3
	v_sub_u32_e32 v14, 29, v14
	v_and_b32_e32 v3, 7, v3
	v_cmp_eq_u16_e32 vcc, 0, v12
	v_cndmask_b32_e32 v3, v6, v3, vcc
	v_cndmask_b32_e32 v6, v13, v14, vcc
	v_mov_b32_e32 v12, 0x3b800000
	v_lshlrev_b32_e32 v3, 20, v3
	v_lshl_add_u32 v6, v6, 23, v12
	v_or3_b32 v6, v7, v6, v3
.LBB1_8512:
	s_or_b64 exec, exec, s[6:7]
	s_nop 0
	v_mfma_f32_16x16x4f32 a[0:3], v2, v6, a[0:3]
	s_movk_i32 s4, 0x7f
	v_cmp_gt_i16_sdwa s[6:7], v8, s4 src0_sel:BYTE_0 src1_sel:DWORD
	s_mov_b64 s[4:5], 0
                                        ; implicit-def: $sgpr10
	s_and_saveexec_b64 s[8:9], s[6:7]
	s_xor_b64 s[6:7], exec, s[8:9]
	s_cbranch_execz .LBB1_8513
; %bb.44353:
	s_getpc_b64 s[14:15]
.Lpost_getpc7840:
	s_add_u32 s14, s14, (.LBB1_22849-.Lpost_getpc7840)&4294967295
	s_addc_u32 s15, s15, (.LBB1_22849-.Lpost_getpc7840)>>32
	s_setpc_b64 s[14:15]
.LBB1_8513:
	s_or_saveexec_b64 s[6:7], s[6:7]
	v_mov_b32_e32 v2, s10
	s_xor_b64 exec, exec, s[6:7]
	s_cbranch_execz .LBB1_8514
; %bb.44355:
	s_getpc_b64 s[14:15]
.Lpost_getpc7841:
	s_add_u32 s14, s14, (.LBB1_22852-.Lpost_getpc7841)&4294967295
	s_addc_u32 s15, s15, (.LBB1_22852-.Lpost_getpc7841)>>32
	s_setpc_b64 s[14:15]
.LBB1_8514:
	s_or_b64 exec, exec, s[6:7]
	s_and_saveexec_b64 s[6:7], s[4:5]
	s_cbranch_execz .LBB1_8516
.LBB1_8515:
	v_and_b32_e32 v2, 7, v8
	v_ffbh_u32_e32 v6, v2
	v_min_u32_e32 v6, 32, v6
	v_lshrrev_b16_e32 v3, 3, v8
	v_subrev_u32_e32 v7, 28, v6
	v_and_b32_e32 v3, 15, v3
	v_lshlrev_b32_e32 v7, v7, v8
	v_sub_u32_e32 v6, 29, v6
	v_and_b32_e32 v7, 7, v7
	v_cmp_eq_u16_e32 vcc, 0, v3
	v_cndmask_b32_e32 v2, v2, v7, vcc
	v_cndmask_b32_e32 v3, v3, v6, vcc
	v_lshlrev_b32_e32 v6, 24, v8
	v_mov_b32_e32 v7, 0x3b800000
	v_lshlrev_b32_e32 v2, 20, v2
	v_and_b32_e32 v6, 0x80000000, v6
	v_lshl_add_u32 v3, v3, 23, v7
	v_or3_b32 v2, v6, v3, v2
.LBB1_8516:
	s_or_b64 exec, exec, s[6:7]
	s_movk_i32 s4, 0x7f
	v_cmp_gt_i16_sdwa s[6:7], v4, s4 src0_sel:BYTE_0 src1_sel:DWORD
	s_mov_b64 s[4:5], 0
                                        ; implicit-def: $sgpr10
	s_and_saveexec_b64 s[8:9], s[6:7]
	s_xor_b64 s[6:7], exec, s[8:9]
	s_cbranch_execz .LBB1_8517
; %bb.44357:
	s_getpc_b64 s[14:15]
.Lpost_getpc7842:
	s_add_u32 s14, s14, (.LBB1_22853-.Lpost_getpc7842)&4294967295
	s_addc_u32 s15, s15, (.LBB1_22853-.Lpost_getpc7842)>>32
	s_setpc_b64 s[14:15]
.LBB1_8517:
	s_or_saveexec_b64 s[6:7], s[6:7]
	v_mov_b32_e32 v3, s10
	s_xor_b64 exec, exec, s[6:7]
	s_cbranch_execz .LBB1_8518
; %bb.44359:
	s_getpc_b64 s[14:15]
.Lpost_getpc7843:
	s_add_u32 s14, s14, (.LBB1_22856-.Lpost_getpc7843)&4294967295
	s_addc_u32 s15, s15, (.LBB1_22856-.Lpost_getpc7843)>>32
	s_setpc_b64 s[14:15]
.LBB1_8518:
	s_or_b64 exec, exec, s[6:7]
	s_and_saveexec_b64 s[6:7], s[4:5]
	s_cbranch_execz .LBB1_8520
.LBB1_8519:
	v_and_b32_e32 v3, 7, v4
	v_ffbh_u32_e32 v7, v3
	v_min_u32_e32 v7, 32, v7
	v_lshrrev_b16_e32 v6, 3, v4
	v_subrev_u32_e32 v12, 28, v7
	v_and_b32_e32 v6, 15, v6
	v_lshlrev_b32_e32 v12, v12, v4
	v_sub_u32_e32 v7, 29, v7
	v_and_b32_e32 v12, 7, v12
	v_cmp_eq_u16_e32 vcc, 0, v6
	v_cndmask_b32_e32 v3, v3, v12, vcc
	v_cndmask_b32_e32 v6, v6, v7, vcc
	v_lshlrev_b32_e32 v7, 24, v4
	v_mov_b32_e32 v12, 0x3b800000
	v_lshlrev_b32_e32 v3, 20, v3
	v_and_b32_e32 v7, 0x80000000, v7
	v_lshl_add_u32 v6, v6, 23, v12
	v_or3_b32 v3, v7, v6, v3
.LBB1_8520:
	s_or_b64 exec, exec, s[6:7]
	s_nop 0
	v_mfma_f32_16x16x4f32 a[0:3], v2, v3, a[0:3]
	v_lshrrev_b32_e32 v3, 8, v8
	s_movk_i32 s4, 0x7f
	v_cmp_gt_i16_sdwa s[6:7], v3, s4 src0_sel:BYTE_0 src1_sel:DWORD
	s_mov_b64 s[4:5], 0
                                        ; implicit-def: $sgpr10
	s_and_saveexec_b64 s[8:9], s[6:7]
	s_xor_b64 s[6:7], exec, s[8:9]
	s_cbranch_execz .LBB1_8521
; %bb.44361:
	s_getpc_b64 s[14:15]
.Lpost_getpc7844:
	s_add_u32 s14, s14, (.LBB1_22857-.Lpost_getpc7844)&4294967295
	s_addc_u32 s15, s15, (.LBB1_22857-.Lpost_getpc7844)>>32
	s_setpc_b64 s[14:15]
.LBB1_8521:
	s_or_saveexec_b64 s[6:7], s[6:7]
	v_mov_b32_e32 v2, s10
	s_xor_b64 exec, exec, s[6:7]
	s_cbranch_execz .LBB1_8522
; %bb.44363:
	s_getpc_b64 s[14:15]
.Lpost_getpc7845:
	s_add_u32 s14, s14, (.LBB1_22860-.Lpost_getpc7845)&4294967295
	s_addc_u32 s15, s15, (.LBB1_22860-.Lpost_getpc7845)>>32
	s_setpc_b64 s[14:15]
.LBB1_8522:
	s_or_b64 exec, exec, s[6:7]
	s_and_saveexec_b64 s[6:7], s[4:5]
	s_cbranch_execz .LBB1_8524
.LBB1_8523:
	v_bfe_u32 v2, v8, 8, 3
	v_ffbh_u32_e32 v7, v2
	v_min_u32_e32 v7, 32, v7
	v_lshrrev_b16_e32 v6, 3, v3
	v_subrev_u32_e32 v12, 28, v7
	v_and_b32_e32 v6, 15, v6
	v_lshlrev_b32_e32 v3, v12, v3
	v_sub_u32_e32 v7, 29, v7
	v_and_b32_e32 v3, 7, v3
	v_cmp_eq_u16_e32 vcc, 0, v6
	v_cndmask_b32_e32 v2, v2, v3, vcc
	v_cndmask_b32_e32 v3, v6, v7, vcc
	v_lshlrev_b32_e32 v6, 16, v8
	v_mov_b32_e32 v7, 0x3b800000
	v_lshlrev_b32_e32 v2, 20, v2
	v_and_b32_e32 v6, 0x80000000, v6
	v_lshl_add_u32 v3, v3, 23, v7
	v_or3_b32 v2, v6, v3, v2
.LBB1_8524:
	s_or_b64 exec, exec, s[6:7]
	v_lshrrev_b32_e32 v3, 8, v4
	s_movk_i32 s4, 0x7f
	v_cmp_gt_i16_sdwa s[6:7], v3, s4 src0_sel:BYTE_0 src1_sel:DWORD
	s_mov_b64 s[4:5], 0
                                        ; implicit-def: $sgpr10
	s_and_saveexec_b64 s[8:9], s[6:7]
	s_xor_b64 s[6:7], exec, s[8:9]
	s_cbranch_execz .LBB1_8525
; %bb.44365:
	s_getpc_b64 s[14:15]
.Lpost_getpc7846:
	s_add_u32 s14, s14, (.LBB1_22861-.Lpost_getpc7846)&4294967295
	s_addc_u32 s15, s15, (.LBB1_22861-.Lpost_getpc7846)>>32
	s_setpc_b64 s[14:15]
.LBB1_8525:
	s_or_saveexec_b64 s[6:7], s[6:7]
	v_mov_b32_e32 v6, s10
	s_xor_b64 exec, exec, s[6:7]
	s_cbranch_execz .LBB1_8526
; %bb.44367:
	s_getpc_b64 s[14:15]
.Lpost_getpc7847:
	s_add_u32 s14, s14, (.LBB1_22864-.Lpost_getpc7847)&4294967295
	s_addc_u32 s15, s15, (.LBB1_22864-.Lpost_getpc7847)>>32
	s_setpc_b64 s[14:15]
.LBB1_8526:
	s_or_b64 exec, exec, s[6:7]
	s_and_saveexec_b64 s[6:7], s[4:5]
	s_cbranch_execz .LBB1_8528
.LBB1_8527:
	v_bfe_u32 v6, v4, 8, 3
	v_ffbh_u32_e32 v12, v6
	v_min_u32_e32 v12, 32, v12
	v_lshrrev_b16_e32 v7, 3, v3
	v_subrev_u32_e32 v13, 28, v12
	v_and_b32_e32 v7, 15, v7
	v_lshlrev_b32_e32 v3, v13, v3
	v_sub_u32_e32 v12, 29, v12
	v_and_b32_e32 v3, 7, v3
	v_cmp_eq_u16_e32 vcc, 0, v7
	v_cndmask_b32_e32 v3, v6, v3, vcc
	v_cndmask_b32_e32 v6, v7, v12, vcc
	v_lshlrev_b32_e32 v7, 16, v4
	v_mov_b32_e32 v12, 0x3b800000
	v_lshlrev_b32_e32 v3, 20, v3
	v_and_b32_e32 v7, 0x80000000, v7
	v_lshl_add_u32 v6, v6, 23, v12
	v_or3_b32 v6, v7, v6, v3
.LBB1_8528:
	s_or_b64 exec, exec, s[6:7]
	s_nop 0
	v_mfma_f32_16x16x4f32 a[0:3], v2, v6, a[0:3]
	s_movk_i32 s4, 0xff
	v_and_b32_sdwa v3, v8, s4 dst_sel:DWORD dst_unused:UNUSED_PAD src0_sel:WORD_1 src1_sel:DWORD
	s_movk_i32 s4, 0x7f
	v_cmp_lt_i16_e32 vcc, s4, v3
	s_mov_b64 s[4:5], 0
                                        ; implicit-def: $sgpr10
	s_and_saveexec_b64 s[6:7], vcc
	s_xor_b64 s[6:7], exec, s[6:7]
	s_cbranch_execz .LBB1_8529
; %bb.44369:
	s_getpc_b64 s[14:15]
.Lpost_getpc7848:
	s_add_u32 s14, s14, (.LBB1_22865-.Lpost_getpc7848)&4294967295
	s_addc_u32 s15, s15, (.LBB1_22865-.Lpost_getpc7848)>>32
	s_setpc_b64 s[14:15]
.LBB1_8529:
	s_or_saveexec_b64 s[6:7], s[6:7]
	v_mov_b32_e32 v2, s10
	s_xor_b64 exec, exec, s[6:7]
	s_cbranch_execz .LBB1_8530
; %bb.44371:
	s_getpc_b64 s[14:15]
.Lpost_getpc7849:
	s_add_u32 s14, s14, (.LBB1_22868-.Lpost_getpc7849)&4294967295
	s_addc_u32 s15, s15, (.LBB1_22868-.Lpost_getpc7849)>>32
	s_setpc_b64 s[14:15]
.LBB1_8530:
	s_or_b64 exec, exec, s[6:7]
	s_and_saveexec_b64 s[6:7], s[4:5]
	s_cbranch_execz .LBB1_8532
.LBB1_8531:
	v_bfe_u32 v2, v8, 16, 3
	v_ffbh_u32_e32 v7, v2
	v_min_u32_e32 v7, 32, v7
	v_lshrrev_b32_e32 v3, 19, v8
	v_subrev_u32_e32 v12, 28, v7
	v_and_b32_e32 v3, 15, v3
	v_lshlrev_b32_sdwa v12, v12, v8 dst_sel:DWORD dst_unused:UNUSED_PAD src0_sel:DWORD src1_sel:WORD_1
	v_bfe_u32 v6, v8, 19, 4
	v_sub_u32_e32 v7, 29, v7
	v_and_b32_e32 v12, 7, v12
	v_cmp_eq_u16_e32 vcc, 0, v3
	v_cndmask_b32_e32 v2, v2, v12, vcc
	v_cndmask_b32_e32 v3, v6, v7, vcc
	v_lshlrev_b32_e32 v6, 8, v8
	v_mov_b32_e32 v7, 0x3b800000
	v_lshlrev_b32_e32 v2, 20, v2
	v_and_b32_e32 v6, 0x80000000, v6
	v_lshl_add_u32 v3, v3, 23, v7
	v_or3_b32 v2, v6, v3, v2
.LBB1_8532:
	s_or_b64 exec, exec, s[6:7]
	s_movk_i32 s4, 0xff
	v_and_b32_sdwa v3, v4, s4 dst_sel:DWORD dst_unused:UNUSED_PAD src0_sel:WORD_1 src1_sel:DWORD
	s_movk_i32 s4, 0x7f
	v_cmp_lt_i16_e32 vcc, s4, v3
	s_mov_b64 s[4:5], 0
                                        ; implicit-def: $sgpr10
	s_and_saveexec_b64 s[6:7], vcc
	s_xor_b64 s[6:7], exec, s[6:7]
	s_cbranch_execz .LBB1_8533
; %bb.44373:
	s_getpc_b64 s[14:15]
.Lpost_getpc7850:
	s_add_u32 s14, s14, (.LBB1_22869-.Lpost_getpc7850)&4294967295
	s_addc_u32 s15, s15, (.LBB1_22869-.Lpost_getpc7850)>>32
	s_setpc_b64 s[14:15]
.LBB1_8533:
	s_or_saveexec_b64 s[6:7], s[6:7]
	v_mov_b32_e32 v6, s10
	s_xor_b64 exec, exec, s[6:7]
	s_cbranch_execz .LBB1_8534
; %bb.44375:
	s_getpc_b64 s[14:15]
.Lpost_getpc7851:
	s_add_u32 s14, s14, (.LBB1_22872-.Lpost_getpc7851)&4294967295
	s_addc_u32 s15, s15, (.LBB1_22872-.Lpost_getpc7851)>>32
	s_setpc_b64 s[14:15]
.LBB1_8534:
	s_or_b64 exec, exec, s[6:7]
	s_and_saveexec_b64 s[6:7], s[4:5]
	s_cbranch_execz .LBB1_8536
.LBB1_8535:
	v_bfe_u32 v3, v4, 16, 3
	v_ffbh_u32_e32 v12, v3
	v_min_u32_e32 v12, 32, v12
	v_lshrrev_b32_e32 v6, 19, v4
	v_subrev_u32_e32 v13, 28, v12
	v_and_b32_e32 v6, 15, v6
	v_lshlrev_b32_sdwa v13, v13, v4 dst_sel:DWORD dst_unused:UNUSED_PAD src0_sel:DWORD src1_sel:WORD_1
	v_bfe_u32 v7, v4, 19, 4
	v_sub_u32_e32 v12, 29, v12
	v_and_b32_e32 v13, 7, v13
	v_cmp_eq_u16_e32 vcc, 0, v6
	v_cndmask_b32_e32 v3, v3, v13, vcc
	v_cndmask_b32_e32 v6, v7, v12, vcc
	v_lshlrev_b32_e32 v7, 8, v4
	v_mov_b32_e32 v12, 0x3b800000
	v_lshlrev_b32_e32 v3, 20, v3
	v_and_b32_e32 v7, 0x80000000, v7
	v_lshl_add_u32 v6, v6, 23, v12
	v_or3_b32 v6, v7, v6, v3
.LBB1_8536:
	s_or_b64 exec, exec, s[6:7]
	s_nop 0
	v_mfma_f32_16x16x4f32 a[0:3], v2, v6, a[0:3]
	s_movk_i32 s4, 0x7f
	v_cmp_gt_i16_sdwa s[6:7], v8, s4 src0_sel:BYTE_3 src1_sel:DWORD
	s_mov_b64 s[4:5], 0
                                        ; implicit-def: $sgpr10
	s_and_saveexec_b64 s[8:9], s[6:7]
	s_xor_b64 s[6:7], exec, s[8:9]
	s_cbranch_execz .LBB1_8537
; %bb.44377:
	s_getpc_b64 s[14:15]
.Lpost_getpc7852:
	s_add_u32 s14, s14, (.LBB1_22873-.Lpost_getpc7852)&4294967295
	s_addc_u32 s15, s15, (.LBB1_22873-.Lpost_getpc7852)>>32
	s_setpc_b64 s[14:15]
.LBB1_8537:
	s_or_saveexec_b64 s[6:7], s[6:7]
	v_mov_b32_e32 v2, s10
	s_xor_b64 exec, exec, s[6:7]
	s_cbranch_execz .LBB1_8538
; %bb.44379:
	s_getpc_b64 s[14:15]
.Lpost_getpc7853:
	s_add_u32 s14, s14, (.LBB1_22876-.Lpost_getpc7853)&4294967295
	s_addc_u32 s15, s15, (.LBB1_22876-.Lpost_getpc7853)>>32
	s_setpc_b64 s[14:15]
.LBB1_8538:
	s_or_b64 exec, exec, s[6:7]
	s_and_saveexec_b64 s[6:7], s[4:5]
	s_cbranch_execz .LBB1_8540
.LBB1_8539:
	v_bfe_u32 v2, v8, 24, 3
	v_ffbh_u32_e32 v12, v2
	v_min_u32_e32 v12, 32, v12
	v_lshrrev_b32_e32 v6, 27, v8
	v_subrev_u32_e32 v13, 28, v12
	v_and_b32_e32 v3, 0x80000000, v8
	v_and_b32_e32 v6, 15, v6
	v_bfe_u32 v7, v8, 27, 4
	v_lshlrev_b32_sdwa v8, v13, v8 dst_sel:DWORD dst_unused:UNUSED_PAD src0_sel:DWORD src1_sel:BYTE_3
	v_sub_u32_e32 v12, 29, v12
	v_and_b32_e32 v8, 7, v8
	v_cmp_eq_u16_e32 vcc, 0, v6
	v_cndmask_b32_e32 v2, v2, v8, vcc
	v_cndmask_b32_e32 v6, v7, v12, vcc
	v_mov_b32_e32 v7, 0x3b800000
	v_lshlrev_b32_e32 v2, 20, v2
	v_lshl_add_u32 v6, v6, 23, v7
	v_or3_b32 v2, v3, v6, v2
.LBB1_8540:
	s_or_b64 exec, exec, s[6:7]
	s_movk_i32 s4, 0x7f
	v_cmp_gt_i16_sdwa s[6:7], v4, s4 src0_sel:BYTE_3 src1_sel:DWORD
	s_mov_b64 s[4:5], 0
                                        ; implicit-def: $sgpr10
	s_and_saveexec_b64 s[8:9], s[6:7]
	s_xor_b64 s[6:7], exec, s[8:9]
	s_cbranch_execz .LBB1_8541
; %bb.44381:
	s_getpc_b64 s[14:15]
.Lpost_getpc7854:
	s_add_u32 s14, s14, (.LBB1_22877-.Lpost_getpc7854)&4294967295
	s_addc_u32 s15, s15, (.LBB1_22877-.Lpost_getpc7854)>>32
	s_setpc_b64 s[14:15]
.LBB1_8541:
	s_or_saveexec_b64 s[6:7], s[6:7]
	v_mov_b32_e32 v3, s10
	s_xor_b64 exec, exec, s[6:7]
	s_cbranch_execz .LBB1_8542
; %bb.44383:
	s_getpc_b64 s[14:15]
.Lpost_getpc7855:
	s_add_u32 s14, s14, (.LBB1_22880-.Lpost_getpc7855)&4294967295
	s_addc_u32 s15, s15, (.LBB1_22880-.Lpost_getpc7855)>>32
	s_setpc_b64 s[14:15]
.LBB1_8542:
	s_or_b64 exec, exec, s[6:7]
	s_and_saveexec_b64 s[6:7], s[4:5]
	s_cbranch_execz .LBB1_8544
.LBB1_8543:
	v_bfe_u32 v3, v4, 24, 3
	v_ffbh_u32_e32 v12, v3
	v_min_u32_e32 v12, 32, v12
	v_lshrrev_b32_e32 v7, 27, v4
	v_subrev_u32_e32 v13, 28, v12
	v_and_b32_e32 v6, 0x80000000, v4
	v_and_b32_e32 v7, 15, v7
	v_bfe_u32 v8, v4, 27, 4
	v_lshlrev_b32_sdwa v4, v13, v4 dst_sel:DWORD dst_unused:UNUSED_PAD src0_sel:DWORD src1_sel:BYTE_3
	v_sub_u32_e32 v12, 29, v12
	v_and_b32_e32 v4, 7, v4
	v_cmp_eq_u16_e32 vcc, 0, v7
	v_cndmask_b32_e32 v3, v3, v4, vcc
	v_cndmask_b32_e32 v4, v8, v12, vcc
	v_mov_b32_e32 v7, 0x3b800000
	v_lshlrev_b32_e32 v3, 20, v3
	v_lshl_add_u32 v4, v4, 23, v7
	v_or3_b32 v3, v6, v4, v3
.LBB1_8544:
	s_or_b64 exec, exec, s[6:7]
	s_nop 0
	v_mfma_f32_16x16x4f32 a[0:3], v2, v3, a[0:3]
	s_movk_i32 s4, 0x7f
	v_cmp_gt_i16_sdwa s[6:7], v9, s4 src0_sel:BYTE_0 src1_sel:DWORD
	s_mov_b64 s[4:5], 0
                                        ; implicit-def: $sgpr10
	s_and_saveexec_b64 s[8:9], s[6:7]
	s_xor_b64 s[6:7], exec, s[8:9]
	s_cbranch_execz .LBB1_8545
; %bb.44385:
	s_getpc_b64 s[14:15]
.Lpost_getpc7856:
	s_add_u32 s14, s14, (.LBB1_22881-.Lpost_getpc7856)&4294967295
	s_addc_u32 s15, s15, (.LBB1_22881-.Lpost_getpc7856)>>32
	s_setpc_b64 s[14:15]
.LBB1_8545:
	s_or_saveexec_b64 s[6:7], s[6:7]
	v_mov_b32_e32 v2, s10
	s_xor_b64 exec, exec, s[6:7]
	s_cbranch_execz .LBB1_8546
; %bb.44387:
	s_getpc_b64 s[14:15]
.Lpost_getpc7857:
	s_add_u32 s14, s14, (.LBB1_22884-.Lpost_getpc7857)&4294967295
	s_addc_u32 s15, s15, (.LBB1_22884-.Lpost_getpc7857)>>32
	s_setpc_b64 s[14:15]
.LBB1_8546:
	s_or_b64 exec, exec, s[6:7]
	s_and_saveexec_b64 s[6:7], s[4:5]
	s_cbranch_execz .LBB1_8548
.LBB1_8547:
	v_mov_b32_e32 v2, 8
	v_and_b32_e32 v3, 7, v9
	v_lshrrev_b32_sdwa v2, v2, v9 dst_sel:BYTE_1 dst_unused:UNUSED_PAD src0_sel:DWORD src1_sel:DWORD
	v_ffbh_u32_e32 v4, v3
	v_or_b32_sdwa v2, v9, v2 dst_sel:DWORD dst_unused:UNUSED_PAD src0_sel:BYTE_0 src1_sel:DWORD
	v_min_u32_e32 v4, 32, v4
	v_lshrrev_b16_e32 v2, 3, v2
	v_subrev_u32_e32 v6, 28, v4
	v_and_b32_e32 v2, 15, v2
	v_lshlrev_b32_e32 v6, v6, v9
	v_sub_u32_e32 v4, 29, v4
	v_and_b32_e32 v6, 7, v6
	v_cmp_eq_u16_e32 vcc, 0, v2
	v_cndmask_b32_e32 v3, v3, v6, vcc
	v_cndmask_b32_e32 v2, v2, v4, vcc
	v_lshlrev_b32_e32 v4, 24, v9
	v_mov_b32_e32 v6, 0x3b800000
	v_lshlrev_b32_e32 v3, 20, v3
	v_and_b32_e32 v4, 0x80000000, v4
	v_lshl_add_u32 v2, v2, 23, v6
	v_or3_b32 v2, v4, v2, v3
.LBB1_8548:
	s_or_b64 exec, exec, s[6:7]
	s_movk_i32 s4, 0x7f
	v_cmp_gt_i16_sdwa s[6:7], v5, s4 src0_sel:BYTE_0 src1_sel:DWORD
	s_mov_b64 s[4:5], 0
                                        ; implicit-def: $sgpr10
	s_and_saveexec_b64 s[8:9], s[6:7]
	s_xor_b64 s[6:7], exec, s[8:9]
	s_cbranch_execz .LBB1_8549
; %bb.44389:
	s_getpc_b64 s[14:15]
.Lpost_getpc7858:
	s_add_u32 s14, s14, (.LBB1_22885-.Lpost_getpc7858)&4294967295
	s_addc_u32 s15, s15, (.LBB1_22885-.Lpost_getpc7858)>>32
	s_setpc_b64 s[14:15]
.LBB1_8549:
	s_or_saveexec_b64 s[6:7], s[6:7]
	v_mov_b32_e32 v3, s10
	s_xor_b64 exec, exec, s[6:7]
	s_cbranch_execz .LBB1_8550
; %bb.44391:
	s_getpc_b64 s[14:15]
.Lpost_getpc7859:
	s_add_u32 s14, s14, (.LBB1_22888-.Lpost_getpc7859)&4294967295
	s_addc_u32 s15, s15, (.LBB1_22888-.Lpost_getpc7859)>>32
	s_setpc_b64 s[14:15]
.LBB1_8550:
	s_or_b64 exec, exec, s[6:7]
	s_and_saveexec_b64 s[6:7], s[4:5]
	s_cbranch_execz .LBB1_8552
.LBB1_8551:
	v_mov_b32_e32 v3, 8
	v_and_b32_e32 v4, 7, v5
	v_lshrrev_b32_sdwa v3, v3, v5 dst_sel:BYTE_1 dst_unused:UNUSED_PAD src0_sel:DWORD src1_sel:DWORD
	v_ffbh_u32_e32 v6, v4
	v_or_b32_sdwa v3, v5, v3 dst_sel:DWORD dst_unused:UNUSED_PAD src0_sel:BYTE_0 src1_sel:DWORD
	v_min_u32_e32 v6, 32, v6
	v_lshrrev_b16_e32 v3, 3, v3
	v_subrev_u32_e32 v7, 28, v6
	v_and_b32_e32 v3, 15, v3
	v_lshlrev_b32_e32 v7, v7, v5
	v_sub_u32_e32 v6, 29, v6
	v_and_b32_e32 v7, 7, v7
	v_cmp_eq_u16_e32 vcc, 0, v3
	v_cndmask_b32_e32 v4, v4, v7, vcc
	v_cndmask_b32_e32 v3, v3, v6, vcc
	v_lshlrev_b32_e32 v6, 24, v5
	v_mov_b32_e32 v7, 0x3b800000
	v_lshlrev_b32_e32 v4, 20, v4
	v_and_b32_e32 v6, 0x80000000, v6
	v_lshl_add_u32 v3, v3, 23, v7
	v_or3_b32 v3, v6, v3, v4
.LBB1_8552:
	s_or_b64 exec, exec, s[6:7]
	s_nop 0
	v_mfma_f32_16x16x4f32 a[0:3], v2, v3, a[0:3]
	v_lshrrev_b32_e32 v3, 8, v9
	s_movk_i32 s4, 0x7f
	v_cmp_gt_i16_sdwa s[6:7], v3, s4 src0_sel:BYTE_0 src1_sel:DWORD
	s_mov_b64 s[4:5], 0
                                        ; implicit-def: $sgpr10
	s_and_saveexec_b64 s[8:9], s[6:7]
	s_xor_b64 s[6:7], exec, s[8:9]
	s_cbranch_execz .LBB1_8553
; %bb.44393:
	s_getpc_b64 s[14:15]
.Lpost_getpc7860:
	s_add_u32 s14, s14, (.LBB1_22889-.Lpost_getpc7860)&4294967295
	s_addc_u32 s15, s15, (.LBB1_22889-.Lpost_getpc7860)>>32
	s_setpc_b64 s[14:15]
.LBB1_8553:
	s_or_saveexec_b64 s[6:7], s[6:7]
	v_mov_b32_e32 v2, s10
	s_xor_b64 exec, exec, s[6:7]
	s_cbranch_execz .LBB1_8554
; %bb.44395:
	s_getpc_b64 s[14:15]
.Lpost_getpc7861:
	s_add_u32 s14, s14, (.LBB1_22892-.Lpost_getpc7861)&4294967295
	s_addc_u32 s15, s15, (.LBB1_22892-.Lpost_getpc7861)>>32
	s_setpc_b64 s[14:15]
.LBB1_8554:
	s_or_b64 exec, exec, s[6:7]
	s_and_saveexec_b64 s[6:7], s[4:5]
	s_cbranch_execz .LBB1_8556
.LBB1_8555:
	v_bfe_u32 v2, v9, 8, 3
	v_ffbh_u32_e32 v6, v2
	v_min_u32_e32 v6, 32, v6
	v_lshrrev_b16_e32 v4, 3, v3
	v_subrev_u32_e32 v7, 28, v6
	v_and_b32_e32 v4, 15, v4
	v_lshlrev_b32_e32 v3, v7, v3
	v_sub_u32_e32 v6, 29, v6
	v_and_b32_e32 v3, 7, v3
	v_cmp_eq_u16_e32 vcc, 0, v4
	v_cndmask_b32_e32 v2, v2, v3, vcc
	v_cndmask_b32_e32 v3, v4, v6, vcc
	v_lshlrev_b32_e32 v4, 16, v9
	v_mov_b32_e32 v6, 0x3b800000
	v_lshlrev_b32_e32 v2, 20, v2
	v_and_b32_e32 v4, 0x80000000, v4
	v_lshl_add_u32 v3, v3, 23, v6
	v_or3_b32 v2, v4, v3, v2
.LBB1_8556:
	s_or_b64 exec, exec, s[6:7]
	v_lshrrev_b32_e32 v3, 8, v5
	s_movk_i32 s4, 0x7f
	v_cmp_gt_i16_sdwa s[6:7], v3, s4 src0_sel:BYTE_0 src1_sel:DWORD
	s_mov_b64 s[4:5], 0
                                        ; implicit-def: $sgpr10
	s_and_saveexec_b64 s[8:9], s[6:7]
	s_xor_b64 s[6:7], exec, s[8:9]
	s_cbranch_execz .LBB1_8557
; %bb.44397:
	s_getpc_b64 s[14:15]
.Lpost_getpc7862:
	s_add_u32 s14, s14, (.LBB1_22893-.Lpost_getpc7862)&4294967295
	s_addc_u32 s15, s15, (.LBB1_22893-.Lpost_getpc7862)>>32
	s_setpc_b64 s[14:15]
.LBB1_8557:
	s_or_saveexec_b64 s[6:7], s[6:7]
	v_mov_b32_e32 v4, s10
	s_xor_b64 exec, exec, s[6:7]
	s_cbranch_execz .LBB1_8558
; %bb.44399:
	s_getpc_b64 s[14:15]
.Lpost_getpc7863:
	s_add_u32 s14, s14, (.LBB1_22896-.Lpost_getpc7863)&4294967295
	s_addc_u32 s15, s15, (.LBB1_22896-.Lpost_getpc7863)>>32
	s_setpc_b64 s[14:15]
.LBB1_8558:
	s_or_b64 exec, exec, s[6:7]
	s_and_saveexec_b64 s[6:7], s[4:5]
	s_cbranch_execz .LBB1_8560
.LBB1_8559:
	v_bfe_u32 v4, v5, 8, 3
	v_ffbh_u32_e32 v7, v4
	v_min_u32_e32 v7, 32, v7
	v_lshrrev_b16_e32 v6, 3, v3
	v_subrev_u32_e32 v8, 28, v7
	v_and_b32_e32 v6, 15, v6
	v_lshlrev_b32_e32 v3, v8, v3
	v_sub_u32_e32 v7, 29, v7
	v_and_b32_e32 v3, 7, v3
	v_cmp_eq_u16_e32 vcc, 0, v6
	v_cndmask_b32_e32 v3, v4, v3, vcc
	v_cndmask_b32_e32 v4, v6, v7, vcc
	v_lshlrev_b32_e32 v6, 16, v5
	v_mov_b32_e32 v7, 0x3b800000
	v_lshlrev_b32_e32 v3, 20, v3
	v_and_b32_e32 v6, 0x80000000, v6
	v_lshl_add_u32 v4, v4, 23, v7
	v_or3_b32 v4, v6, v4, v3
.LBB1_8560:
	s_or_b64 exec, exec, s[6:7]
	s_nop 0
	v_mfma_f32_16x16x4f32 a[0:3], v2, v4, a[0:3]
	s_movk_i32 s4, 0xff
	v_and_b32_sdwa v3, v9, s4 dst_sel:DWORD dst_unused:UNUSED_PAD src0_sel:WORD_1 src1_sel:DWORD
	s_movk_i32 s4, 0x7f
	v_cmp_lt_i16_e32 vcc, s4, v3
	s_mov_b64 s[4:5], 0
                                        ; implicit-def: $sgpr10
	s_and_saveexec_b64 s[6:7], vcc
	s_xor_b64 s[6:7], exec, s[6:7]
	s_cbranch_execz .LBB1_8561
; %bb.44401:
	s_getpc_b64 s[14:15]
.Lpost_getpc7864:
	s_add_u32 s14, s14, (.LBB1_22897-.Lpost_getpc7864)&4294967295
	s_addc_u32 s15, s15, (.LBB1_22897-.Lpost_getpc7864)>>32
	s_setpc_b64 s[14:15]
.LBB1_8561:
	s_or_saveexec_b64 s[6:7], s[6:7]
	v_mov_b32_e32 v2, s10
	s_xor_b64 exec, exec, s[6:7]
	s_cbranch_execz .LBB1_8562
; %bb.44403:
	s_getpc_b64 s[14:15]
.Lpost_getpc7865:
	s_add_u32 s14, s14, (.LBB1_22900-.Lpost_getpc7865)&4294967295
	s_addc_u32 s15, s15, (.LBB1_22900-.Lpost_getpc7865)>>32
	s_setpc_b64 s[14:15]
.LBB1_8562:
	s_or_b64 exec, exec, s[6:7]
	s_and_saveexec_b64 s[6:7], s[4:5]
	s_cbranch_execz .LBB1_8564
.LBB1_8563:
	v_bfe_u32 v2, v9, 16, 3
	v_ffbh_u32_e32 v6, v2
	v_min_u32_e32 v6, 32, v6
	v_lshrrev_b32_e32 v3, 19, v9
	v_subrev_u32_e32 v7, 28, v6
	v_and_b32_e32 v3, 15, v3
	v_lshlrev_b32_sdwa v7, v7, v9 dst_sel:DWORD dst_unused:UNUSED_PAD src0_sel:DWORD src1_sel:WORD_1
	v_bfe_u32 v4, v9, 19, 4
	v_sub_u32_e32 v6, 29, v6
	v_and_b32_e32 v7, 7, v7
	v_cmp_eq_u16_e32 vcc, 0, v3
	v_cndmask_b32_e32 v2, v2, v7, vcc
	v_cndmask_b32_e32 v3, v4, v6, vcc
	v_lshlrev_b32_e32 v4, 8, v9
	v_mov_b32_e32 v6, 0x3b800000
	v_lshlrev_b32_e32 v2, 20, v2
	v_and_b32_e32 v4, 0x80000000, v4
	v_lshl_add_u32 v3, v3, 23, v6
	v_or3_b32 v2, v4, v3, v2
.LBB1_8564:
	s_or_b64 exec, exec, s[6:7]
	s_movk_i32 s4, 0xff
	v_and_b32_sdwa v3, v5, s4 dst_sel:DWORD dst_unused:UNUSED_PAD src0_sel:WORD_1 src1_sel:DWORD
	s_movk_i32 s4, 0x7f
	v_cmp_lt_i16_e32 vcc, s4, v3
	s_mov_b64 s[4:5], 0
                                        ; implicit-def: $sgpr10
	s_and_saveexec_b64 s[6:7], vcc
	s_xor_b64 s[6:7], exec, s[6:7]
	s_cbranch_execz .LBB1_8565
; %bb.44405:
	s_getpc_b64 s[14:15]
.Lpost_getpc7866:
	s_add_u32 s14, s14, (.LBB1_22901-.Lpost_getpc7866)&4294967295
	s_addc_u32 s15, s15, (.LBB1_22901-.Lpost_getpc7866)>>32
	s_setpc_b64 s[14:15]
.LBB1_8565:
	s_or_saveexec_b64 s[6:7], s[6:7]
	v_mov_b32_e32 v4, s10
	s_xor_b64 exec, exec, s[6:7]
	s_cbranch_execz .LBB1_8566
; %bb.44407:
	s_getpc_b64 s[14:15]
.Lpost_getpc7867:
	s_add_u32 s14, s14, (.LBB1_22904-.Lpost_getpc7867)&4294967295
	s_addc_u32 s15, s15, (.LBB1_22904-.Lpost_getpc7867)>>32
	s_setpc_b64 s[14:15]
.LBB1_8566:
	s_or_b64 exec, exec, s[6:7]
	s_and_saveexec_b64 s[6:7], s[4:5]
	s_cbranch_execz .LBB1_8568
.LBB1_8567:
	v_bfe_u32 v3, v5, 16, 3
	v_ffbh_u32_e32 v7, v3
	v_min_u32_e32 v7, 32, v7
	v_lshrrev_b32_e32 v4, 19, v5
	v_subrev_u32_e32 v8, 28, v7
	v_and_b32_e32 v4, 15, v4
	v_lshlrev_b32_sdwa v8, v8, v5 dst_sel:DWORD dst_unused:UNUSED_PAD src0_sel:DWORD src1_sel:WORD_1
	v_bfe_u32 v6, v5, 19, 4
	v_sub_u32_e32 v7, 29, v7
	v_and_b32_e32 v8, 7, v8
	v_cmp_eq_u16_e32 vcc, 0, v4
	v_cndmask_b32_e32 v3, v3, v8, vcc
	v_cndmask_b32_e32 v4, v6, v7, vcc
	v_lshlrev_b32_e32 v6, 8, v5
	v_mov_b32_e32 v7, 0x3b800000
	v_lshlrev_b32_e32 v3, 20, v3
	v_and_b32_e32 v6, 0x80000000, v6
	v_lshl_add_u32 v4, v4, 23, v7
	v_or3_b32 v4, v6, v4, v3
.LBB1_8568:
	s_or_b64 exec, exec, s[6:7]
	s_nop 0
	v_mfma_f32_16x16x4f32 a[0:3], v2, v4, a[0:3]
	s_movk_i32 s4, 0x7f
	v_cmp_gt_i16_sdwa s[6:7], v9, s4 src0_sel:BYTE_3 src1_sel:DWORD
	s_mov_b64 s[4:5], 0
                                        ; implicit-def: $sgpr10
	s_and_saveexec_b64 s[8:9], s[6:7]
	s_xor_b64 s[6:7], exec, s[8:9]
	s_cbranch_execz .LBB1_8569
; %bb.44409:
	s_getpc_b64 s[14:15]
.Lpost_getpc7868:
	s_add_u32 s14, s14, (.LBB1_22905-.Lpost_getpc7868)&4294967295
	s_addc_u32 s15, s15, (.LBB1_22905-.Lpost_getpc7868)>>32
	s_setpc_b64 s[14:15]
.LBB1_8569:
	s_or_saveexec_b64 s[6:7], s[6:7]
	v_mov_b32_e32 v2, s10
	s_xor_b64 exec, exec, s[6:7]
	s_cbranch_execz .LBB1_8570
; %bb.44411:
	s_getpc_b64 s[14:15]
.Lpost_getpc7869:
	s_add_u32 s14, s14, (.LBB1_22908-.Lpost_getpc7869)&4294967295
	s_addc_u32 s15, s15, (.LBB1_22908-.Lpost_getpc7869)>>32
	s_setpc_b64 s[14:15]
.LBB1_8570:
	s_or_b64 exec, exec, s[6:7]
	s_and_saveexec_b64 s[6:7], s[4:5]
	s_cbranch_execz .LBB1_8572
.LBB1_8571:
	v_bfe_u32 v2, v9, 24, 3
	v_ffbh_u32_e32 v7, v2
	v_min_u32_e32 v7, 32, v7
	v_lshrrev_b32_e32 v4, 27, v9
	v_subrev_u32_e32 v8, 28, v7
	v_and_b32_e32 v4, 15, v4
	v_lshlrev_b32_sdwa v8, v8, v9 dst_sel:DWORD dst_unused:UNUSED_PAD src0_sel:DWORD src1_sel:BYTE_3
	v_bfe_u32 v6, v9, 27, 4
	v_sub_u32_e32 v7, 29, v7
	v_and_b32_e32 v8, 7, v8
	v_cmp_eq_u16_e32 vcc, 0, v4
	v_cndmask_b32_e32 v2, v2, v8, vcc
	v_cndmask_b32_e32 v4, v6, v7, vcc
	v_mov_b32_e32 v6, 0x3b800000
	v_and_b32_e32 v3, 0x80000000, v9
	v_lshlrev_b32_e32 v2, 20, v2
	v_lshl_add_u32 v4, v4, 23, v6
	v_or3_b32 v2, v3, v4, v2
.LBB1_8572:
	s_or_b64 exec, exec, s[6:7]
	s_movk_i32 s4, 0x7f
	v_cmp_gt_i16_sdwa s[6:7], v5, s4 src0_sel:BYTE_3 src1_sel:DWORD
	s_mov_b64 s[4:5], 0
                                        ; implicit-def: $sgpr10
	s_and_saveexec_b64 s[8:9], s[6:7]
	s_xor_b64 s[6:7], exec, s[8:9]
	s_cbranch_execz .LBB1_8573
; %bb.44413:
	s_getpc_b64 s[14:15]
.Lpost_getpc7870:
	s_add_u32 s14, s14, (.LBB1_22909-.Lpost_getpc7870)&4294967295
	s_addc_u32 s15, s15, (.LBB1_22909-.Lpost_getpc7870)>>32
	s_setpc_b64 s[14:15]
.LBB1_8573:
	s_or_saveexec_b64 s[6:7], s[6:7]
	v_mov_b32_e32 v3, s10
	s_xor_b64 exec, exec, s[6:7]
	s_cbranch_execz .LBB1_8574
; %bb.44415:
	s_getpc_b64 s[14:15]
.Lpost_getpc7871:
	s_add_u32 s14, s14, (.LBB1_22912-.Lpost_getpc7871)&4294967295
	s_addc_u32 s15, s15, (.LBB1_22912-.Lpost_getpc7871)>>32
	s_setpc_b64 s[14:15]
.LBB1_8574:
	s_or_b64 exec, exec, s[6:7]
	s_and_saveexec_b64 s[6:7], s[4:5]
	s_cbranch_execz .LBB1_8576
.LBB1_8575:
	v_bfe_u32 v3, v5, 24, 3
	v_ffbh_u32_e32 v8, v3
	v_min_u32_e32 v8, 32, v8
	v_lshrrev_b32_e32 v6, 27, v5
	v_subrev_u32_e32 v9, 28, v8
	v_and_b32_e32 v4, 0x80000000, v5
	v_and_b32_e32 v6, 15, v6
	v_bfe_u32 v7, v5, 27, 4
	v_lshlrev_b32_sdwa v5, v9, v5 dst_sel:DWORD dst_unused:UNUSED_PAD src0_sel:DWORD src1_sel:BYTE_3
	v_sub_u32_e32 v8, 29, v8
	v_and_b32_e32 v5, 7, v5
	v_cmp_eq_u16_e32 vcc, 0, v6
	v_cndmask_b32_e32 v3, v3, v5, vcc
	v_cndmask_b32_e32 v5, v7, v8, vcc
	v_mov_b32_e32 v6, 0x3b800000
	v_lshlrev_b32_e32 v3, 20, v3
	v_lshl_add_u32 v5, v5, 23, v6
	v_or3_b32 v3, v4, v5, v3
.LBB1_8576:
	s_or_b64 exec, exec, s[6:7]
	s_nop 0
	v_mfma_f32_16x16x4f32 a[0:3], v2, v3, a[0:3]
	s_movk_i32 s4, 0x7f
                                        ; implicit-def: $sgpr10
	s_nop 7
	s_nop 1
	flat_store_dwordx4 v[10:11], a[0:3] offset:160
	flat_load_dwordx4 v[12:15], v[0:1]
	s_nop 0
	flat_load_dwordx2 v[10:11], v[0:1] offset:16
	s_waitcnt vmcnt(0) lgkmcnt(0)
	flat_load_dwordx4 v[6:9], v[12:13] offset:128
	flat_load_dwordx4 v[2:5], v[14:15] offset:176
	s_waitcnt vmcnt(0) lgkmcnt(0)
	v_cmp_gt_i16_sdwa s[6:7], v6, s4 src0_sel:BYTE_0 src1_sel:DWORD
	s_mov_b64 s[4:5], 0
	s_and_saveexec_b64 s[8:9], s[6:7]
	s_xor_b64 s[6:7], exec, s[8:9]
	s_cbranch_execz .LBB1_8577
; %bb.44417:
	s_getpc_b64 s[14:15]
.Lpost_getpc7872:
	s_add_u32 s14, s14, (.LBB1_22913-.Lpost_getpc7872)&4294967295
	s_addc_u32 s15, s15, (.LBB1_22913-.Lpost_getpc7872)>>32
	s_setpc_b64 s[14:15]
.LBB1_8577:
	s_or_saveexec_b64 s[6:7], s[6:7]
	v_mov_b32_e32 v12, s10
	s_xor_b64 exec, exec, s[6:7]
	s_cbranch_execz .LBB1_8578
; %bb.44419:
	s_getpc_b64 s[14:15]
.Lpost_getpc7873:
	s_add_u32 s14, s14, (.LBB1_22916-.Lpost_getpc7873)&4294967295
	s_addc_u32 s15, s15, (.LBB1_22916-.Lpost_getpc7873)>>32
	s_setpc_b64 s[14:15]
.LBB1_8578:
	s_or_b64 exec, exec, s[6:7]
	s_and_saveexec_b64 s[6:7], s[4:5]
	s_cbranch_execz .LBB1_8580
.LBB1_8579:
	v_and_b32_e32 v12, 7, v6
	v_ffbh_u32_e32 v14, v12
	v_min_u32_e32 v14, 32, v14
	v_lshrrev_b16_e32 v13, 3, v6
	v_subrev_u32_e32 v15, 28, v14
	v_and_b32_e32 v13, 15, v13
	v_lshlrev_b32_e32 v15, v15, v6
	v_sub_u32_e32 v14, 29, v14
	v_and_b32_e32 v15, 7, v15
	v_cmp_eq_u16_e32 vcc, 0, v13
	v_cndmask_b32_e32 v12, v12, v15, vcc
	v_cndmask_b32_e32 v13, v13, v14, vcc
	v_lshlrev_b32_e32 v14, 24, v6
	v_mov_b32_e32 v15, 0x3b800000
	v_lshlrev_b32_e32 v12, 20, v12
	v_and_b32_e32 v14, 0x80000000, v14
	v_lshl_add_u32 v13, v13, 23, v15
	v_or3_b32 v12, v14, v13, v12
.LBB1_8580:
	s_or_b64 exec, exec, s[6:7]
	s_movk_i32 s4, 0x7f
	v_cmp_gt_i16_sdwa s[6:7], v2, s4 src0_sel:BYTE_0 src1_sel:DWORD
	s_mov_b64 s[4:5], 0
                                        ; implicit-def: $sgpr10
	s_and_saveexec_b64 s[8:9], s[6:7]
	s_xor_b64 s[6:7], exec, s[8:9]
	s_cbranch_execz .LBB1_8581
; %bb.44421:
	s_getpc_b64 s[14:15]
.Lpost_getpc7874:
	s_add_u32 s14, s14, (.LBB1_22917-.Lpost_getpc7874)&4294967295
	s_addc_u32 s15, s15, (.LBB1_22917-.Lpost_getpc7874)>>32
	s_setpc_b64 s[14:15]
.LBB1_8581:
	s_or_saveexec_b64 s[6:7], s[6:7]
	v_mov_b32_e32 v13, s10
	s_xor_b64 exec, exec, s[6:7]
	s_cbranch_execz .LBB1_8582
; %bb.44423:
	s_getpc_b64 s[14:15]
.Lpost_getpc7875:
	s_add_u32 s14, s14, (.LBB1_22920-.Lpost_getpc7875)&4294967295
	s_addc_u32 s15, s15, (.LBB1_22920-.Lpost_getpc7875)>>32
	s_setpc_b64 s[14:15]
.LBB1_8582:
	s_or_b64 exec, exec, s[6:7]
	s_and_saveexec_b64 s[6:7], s[4:5]
	s_cbranch_execz .LBB1_8584
.LBB1_8583:
	v_and_b32_e32 v13, 7, v2
	v_ffbh_u32_e32 v15, v13
	v_min_u32_e32 v15, 32, v15
	v_lshrrev_b16_e32 v14, 3, v2
	v_subrev_u32_e32 v16, 28, v15
	v_and_b32_e32 v14, 15, v14
	v_lshlrev_b32_e32 v16, v16, v2
	v_sub_u32_e32 v15, 29, v15
	v_and_b32_e32 v16, 7, v16
	v_cmp_eq_u16_e32 vcc, 0, v14
	v_cndmask_b32_e32 v13, v13, v16, vcc
	v_cndmask_b32_e32 v14, v14, v15, vcc
	v_lshlrev_b32_e32 v15, 24, v2
	v_mov_b32_e32 v16, 0x3b800000
	v_lshlrev_b32_e32 v13, 20, v13
	v_and_b32_e32 v15, 0x80000000, v15
	v_lshl_add_u32 v14, v14, 23, v16
	v_or3_b32 v13, v15, v14, v13
.LBB1_8584:
	s_or_b64 exec, exec, s[6:7]
	flat_load_dwordx4 a[0:3], v[10:11] offset:176
	s_movk_i32 s4, 0x7f
                                        ; implicit-def: $sgpr10
	s_waitcnt vmcnt(0) lgkmcnt(0)
	v_mfma_f32_16x16x4f32 a[0:3], v12, v13, a[0:3]
	v_lshrrev_b32_e32 v13, 8, v6
	v_cmp_gt_i16_sdwa s[6:7], v13, s4 src0_sel:BYTE_0 src1_sel:DWORD
	s_mov_b64 s[4:5], 0
	s_and_saveexec_b64 s[8:9], s[6:7]
	s_xor_b64 s[6:7], exec, s[8:9]
	s_cbranch_execz .LBB1_8585
; %bb.44425:
	s_getpc_b64 s[14:15]
.Lpost_getpc7876:
	s_add_u32 s14, s14, (.LBB1_22921-.Lpost_getpc7876)&4294967295
	s_addc_u32 s15, s15, (.LBB1_22921-.Lpost_getpc7876)>>32
	s_setpc_b64 s[14:15]
.LBB1_8585:
	s_or_saveexec_b64 s[6:7], s[6:7]
	v_mov_b32_e32 v12, s10
	s_xor_b64 exec, exec, s[6:7]
	s_cbranch_execz .LBB1_8586
; %bb.44427:
	s_getpc_b64 s[14:15]
.Lpost_getpc7877:
	s_add_u32 s14, s14, (.LBB1_22924-.Lpost_getpc7877)&4294967295
	s_addc_u32 s15, s15, (.LBB1_22924-.Lpost_getpc7877)>>32
	s_setpc_b64 s[14:15]
.LBB1_8586:
	s_or_b64 exec, exec, s[6:7]
	s_and_saveexec_b64 s[6:7], s[4:5]
	s_cbranch_execz .LBB1_8588
.LBB1_8587:
	v_bfe_u32 v12, v6, 8, 3
	v_ffbh_u32_e32 v15, v12
	v_min_u32_e32 v15, 32, v15
	v_lshrrev_b16_e32 v14, 3, v13
	v_subrev_u32_e32 v16, 28, v15
	v_and_b32_e32 v14, 15, v14
	v_lshlrev_b32_e32 v13, v16, v13
	v_sub_u32_e32 v15, 29, v15
	v_and_b32_e32 v13, 7, v13
	v_cmp_eq_u16_e32 vcc, 0, v14
	v_cndmask_b32_e32 v12, v12, v13, vcc
	v_cndmask_b32_e32 v13, v14, v15, vcc
	v_lshlrev_b32_e32 v14, 16, v6
	v_mov_b32_e32 v15, 0x3b800000
	v_lshlrev_b32_e32 v12, 20, v12
	v_and_b32_e32 v14, 0x80000000, v14
	v_lshl_add_u32 v13, v13, 23, v15
	v_or3_b32 v12, v14, v13, v12
.LBB1_8588:
	s_or_b64 exec, exec, s[6:7]
	v_lshrrev_b32_e32 v13, 8, v2
	s_movk_i32 s4, 0x7f
	v_cmp_gt_i16_sdwa s[6:7], v13, s4 src0_sel:BYTE_0 src1_sel:DWORD
	s_mov_b64 s[4:5], 0
                                        ; implicit-def: $sgpr10
	s_and_saveexec_b64 s[8:9], s[6:7]
	s_xor_b64 s[6:7], exec, s[8:9]
	s_cbranch_execz .LBB1_8589
; %bb.44429:
	s_getpc_b64 s[14:15]
.Lpost_getpc7878:
	s_add_u32 s14, s14, (.LBB1_22925-.Lpost_getpc7878)&4294967295
	s_addc_u32 s15, s15, (.LBB1_22925-.Lpost_getpc7878)>>32
	s_setpc_b64 s[14:15]
.LBB1_8589:
	s_or_saveexec_b64 s[6:7], s[6:7]
	v_mov_b32_e32 v14, s10
	s_xor_b64 exec, exec, s[6:7]
	s_cbranch_execz .LBB1_8590
; %bb.44431:
	s_getpc_b64 s[14:15]
.Lpost_getpc7879:
	s_add_u32 s14, s14, (.LBB1_22928-.Lpost_getpc7879)&4294967295
	s_addc_u32 s15, s15, (.LBB1_22928-.Lpost_getpc7879)>>32
	s_setpc_b64 s[14:15]
.LBB1_8590:
	s_or_b64 exec, exec, s[6:7]
	s_and_saveexec_b64 s[6:7], s[4:5]
	s_cbranch_execz .LBB1_8592
.LBB1_8591:
	v_bfe_u32 v14, v2, 8, 3
	v_ffbh_u32_e32 v16, v14
	v_min_u32_e32 v16, 32, v16
	v_lshrrev_b16_e32 v15, 3, v13
	v_subrev_u32_e32 v17, 28, v16
	v_and_b32_e32 v15, 15, v15
	v_lshlrev_b32_e32 v13, v17, v13
	v_sub_u32_e32 v16, 29, v16
	v_and_b32_e32 v13, 7, v13
	v_cmp_eq_u16_e32 vcc, 0, v15
	v_cndmask_b32_e32 v13, v14, v13, vcc
	v_cndmask_b32_e32 v14, v15, v16, vcc
	v_lshlrev_b32_e32 v15, 16, v2
	v_mov_b32_e32 v16, 0x3b800000
	v_lshlrev_b32_e32 v13, 20, v13
	v_and_b32_e32 v15, 0x80000000, v15
	v_lshl_add_u32 v14, v14, 23, v16
	v_or3_b32 v14, v15, v14, v13
.LBB1_8592:
	s_or_b64 exec, exec, s[6:7]
	s_nop 0
	v_mfma_f32_16x16x4f32 a[0:3], v12, v14, a[0:3]
	s_movk_i32 s4, 0xff
	v_and_b32_sdwa v13, v6, s4 dst_sel:DWORD dst_unused:UNUSED_PAD src0_sel:WORD_1 src1_sel:DWORD
	s_movk_i32 s4, 0x7f
	v_cmp_lt_i16_e32 vcc, s4, v13
	s_mov_b64 s[4:5], 0
                                        ; implicit-def: $sgpr10
	s_and_saveexec_b64 s[6:7], vcc
	s_xor_b64 s[6:7], exec, s[6:7]
	s_cbranch_execz .LBB1_8593
; %bb.44433:
	s_getpc_b64 s[14:15]
.Lpost_getpc7880:
	s_add_u32 s14, s14, (.LBB1_22929-.Lpost_getpc7880)&4294967295
	s_addc_u32 s15, s15, (.LBB1_22929-.Lpost_getpc7880)>>32
	s_setpc_b64 s[14:15]
.LBB1_8593:
	s_or_saveexec_b64 s[6:7], s[6:7]
	v_mov_b32_e32 v12, s10
	s_xor_b64 exec, exec, s[6:7]
	s_cbranch_execz .LBB1_8594
; %bb.44435:
	s_getpc_b64 s[14:15]
.Lpost_getpc7881:
	s_add_u32 s14, s14, (.LBB1_22932-.Lpost_getpc7881)&4294967295
	s_addc_u32 s15, s15, (.LBB1_22932-.Lpost_getpc7881)>>32
	s_setpc_b64 s[14:15]
.LBB1_8594:
	s_or_b64 exec, exec, s[6:7]
	s_and_saveexec_b64 s[6:7], s[4:5]
	s_cbranch_execz .LBB1_8596
.LBB1_8595:
	v_bfe_u32 v12, v6, 16, 3
	v_ffbh_u32_e32 v15, v12
	v_min_u32_e32 v15, 32, v15
	v_lshrrev_b32_e32 v13, 19, v6
	v_subrev_u32_e32 v16, 28, v15
	v_and_b32_e32 v13, 15, v13
	v_lshlrev_b32_sdwa v16, v16, v6 dst_sel:DWORD dst_unused:UNUSED_PAD src0_sel:DWORD src1_sel:WORD_1
	v_bfe_u32 v14, v6, 19, 4
	v_sub_u32_e32 v15, 29, v15
	v_and_b32_e32 v16, 7, v16
	v_cmp_eq_u16_e32 vcc, 0, v13
	v_cndmask_b32_e32 v12, v12, v16, vcc
	v_cndmask_b32_e32 v13, v14, v15, vcc
	v_lshlrev_b32_e32 v14, 8, v6
	v_mov_b32_e32 v15, 0x3b800000
	v_lshlrev_b32_e32 v12, 20, v12
	v_and_b32_e32 v14, 0x80000000, v14
	v_lshl_add_u32 v13, v13, 23, v15
	v_or3_b32 v12, v14, v13, v12
.LBB1_8596:
	s_or_b64 exec, exec, s[6:7]
	s_movk_i32 s4, 0xff
	v_and_b32_sdwa v13, v2, s4 dst_sel:DWORD dst_unused:UNUSED_PAD src0_sel:WORD_1 src1_sel:DWORD
	s_movk_i32 s4, 0x7f
	v_cmp_lt_i16_e32 vcc, s4, v13
	s_mov_b64 s[4:5], 0
                                        ; implicit-def: $sgpr10
	s_and_saveexec_b64 s[6:7], vcc
	s_xor_b64 s[6:7], exec, s[6:7]
	s_cbranch_execz .LBB1_8597
; %bb.44437:
	s_getpc_b64 s[14:15]
.Lpost_getpc7882:
	s_add_u32 s14, s14, (.LBB1_22933-.Lpost_getpc7882)&4294967295
	s_addc_u32 s15, s15, (.LBB1_22933-.Lpost_getpc7882)>>32
	s_setpc_b64 s[14:15]
.LBB1_8597:
	s_or_saveexec_b64 s[6:7], s[6:7]
	v_mov_b32_e32 v14, s10
	s_xor_b64 exec, exec, s[6:7]
	s_cbranch_execz .LBB1_8598
; %bb.44439:
	s_getpc_b64 s[14:15]
.Lpost_getpc7883:
	s_add_u32 s14, s14, (.LBB1_22936-.Lpost_getpc7883)&4294967295
	s_addc_u32 s15, s15, (.LBB1_22936-.Lpost_getpc7883)>>32
	s_setpc_b64 s[14:15]
.LBB1_8598:
	s_or_b64 exec, exec, s[6:7]
	s_and_saveexec_b64 s[6:7], s[4:5]
	s_cbranch_execz .LBB1_8600
.LBB1_8599:
	v_bfe_u32 v13, v2, 16, 3
	v_ffbh_u32_e32 v16, v13
	v_min_u32_e32 v16, 32, v16
	v_lshrrev_b32_e32 v14, 19, v2
	v_subrev_u32_e32 v17, 28, v16
	v_and_b32_e32 v14, 15, v14
	v_lshlrev_b32_sdwa v17, v17, v2 dst_sel:DWORD dst_unused:UNUSED_PAD src0_sel:DWORD src1_sel:WORD_1
	v_bfe_u32 v15, v2, 19, 4
	v_sub_u32_e32 v16, 29, v16
	v_and_b32_e32 v17, 7, v17
	v_cmp_eq_u16_e32 vcc, 0, v14
	v_cndmask_b32_e32 v13, v13, v17, vcc
	v_cndmask_b32_e32 v14, v15, v16, vcc
	v_lshlrev_b32_e32 v15, 8, v2
	v_mov_b32_e32 v16, 0x3b800000
	v_lshlrev_b32_e32 v13, 20, v13
	v_and_b32_e32 v15, 0x80000000, v15
	v_lshl_add_u32 v14, v14, 23, v16
	v_or3_b32 v14, v15, v14, v13
.LBB1_8600:
	s_or_b64 exec, exec, s[6:7]
	s_nop 0
	v_mfma_f32_16x16x4f32 a[0:3], v12, v14, a[0:3]
	s_movk_i32 s4, 0x7f
	v_cmp_gt_i16_sdwa s[6:7], v6, s4 src0_sel:BYTE_3 src1_sel:DWORD
	s_mov_b64 s[4:5], 0
                                        ; implicit-def: $sgpr10
	s_and_saveexec_b64 s[8:9], s[6:7]
	s_xor_b64 s[6:7], exec, s[8:9]
	s_cbranch_execz .LBB1_8601
; %bb.44441:
	s_getpc_b64 s[14:15]
.Lpost_getpc7884:
	s_add_u32 s14, s14, (.LBB1_22937-.Lpost_getpc7884)&4294967295
	s_addc_u32 s15, s15, (.LBB1_22937-.Lpost_getpc7884)>>32
	s_setpc_b64 s[14:15]
.LBB1_8601:
	s_or_saveexec_b64 s[6:7], s[6:7]
	v_mov_b32_e32 v12, s10
	s_xor_b64 exec, exec, s[6:7]
	s_cbranch_execz .LBB1_8602
; %bb.44443:
	s_getpc_b64 s[14:15]
.Lpost_getpc7885:
	s_add_u32 s14, s14, (.LBB1_22940-.Lpost_getpc7885)&4294967295
	s_addc_u32 s15, s15, (.LBB1_22940-.Lpost_getpc7885)>>32
	s_setpc_b64 s[14:15]
.LBB1_8602:
	s_or_b64 exec, exec, s[6:7]
	s_and_saveexec_b64 s[6:7], s[4:5]
	s_cbranch_execz .LBB1_8604
.LBB1_8603:
	v_bfe_u32 v12, v6, 24, 3
	v_ffbh_u32_e32 v16, v12
	v_min_u32_e32 v16, 32, v16
	v_lshrrev_b32_e32 v14, 27, v6
	v_subrev_u32_e32 v17, 28, v16
	v_and_b32_e32 v13, 0x80000000, v6
	v_and_b32_e32 v14, 15, v14
	v_bfe_u32 v15, v6, 27, 4
	v_lshlrev_b32_sdwa v6, v17, v6 dst_sel:DWORD dst_unused:UNUSED_PAD src0_sel:DWORD src1_sel:BYTE_3
	v_sub_u32_e32 v16, 29, v16
	v_and_b32_e32 v6, 7, v6
	v_cmp_eq_u16_e32 vcc, 0, v14
	v_cndmask_b32_e32 v6, v12, v6, vcc
	v_cndmask_b32_e32 v12, v15, v16, vcc
	v_mov_b32_e32 v14, 0x3b800000
	v_lshlrev_b32_e32 v6, 20, v6
	v_lshl_add_u32 v12, v12, 23, v14
	v_or3_b32 v12, v13, v12, v6
.LBB1_8604:
	s_or_b64 exec, exec, s[6:7]
	s_movk_i32 s4, 0x7f
	v_cmp_gt_i16_sdwa s[6:7], v2, s4 src0_sel:BYTE_3 src1_sel:DWORD
	s_mov_b64 s[4:5], 0
                                        ; implicit-def: $sgpr10
	s_and_saveexec_b64 s[8:9], s[6:7]
	s_xor_b64 s[6:7], exec, s[8:9]
	s_cbranch_execz .LBB1_8605
; %bb.44445:
	s_getpc_b64 s[14:15]
.Lpost_getpc7886:
	s_add_u32 s14, s14, (.LBB1_22941-.Lpost_getpc7886)&4294967295
	s_addc_u32 s15, s15, (.LBB1_22941-.Lpost_getpc7886)>>32
	s_setpc_b64 s[14:15]
.LBB1_8605:
	s_or_saveexec_b64 s[6:7], s[6:7]
	v_mov_b32_e32 v6, s10
	s_xor_b64 exec, exec, s[6:7]
	s_cbranch_execz .LBB1_8606
; %bb.44447:
	s_getpc_b64 s[14:15]
.Lpost_getpc7887:
	s_add_u32 s14, s14, (.LBB1_22944-.Lpost_getpc7887)&4294967295
	s_addc_u32 s15, s15, (.LBB1_22944-.Lpost_getpc7887)>>32
	s_setpc_b64 s[14:15]
.LBB1_8606:
	s_or_b64 exec, exec, s[6:7]
	s_and_saveexec_b64 s[6:7], s[4:5]
	s_cbranch_execz .LBB1_8608
.LBB1_8607:
	v_bfe_u32 v6, v2, 24, 3
	v_ffbh_u32_e32 v16, v6
	v_min_u32_e32 v16, 32, v16
	v_lshrrev_b32_e32 v14, 27, v2
	v_subrev_u32_e32 v17, 28, v16
	v_and_b32_e32 v13, 0x80000000, v2
	v_and_b32_e32 v14, 15, v14
	v_bfe_u32 v15, v2, 27, 4
	v_lshlrev_b32_sdwa v2, v17, v2 dst_sel:DWORD dst_unused:UNUSED_PAD src0_sel:DWORD src1_sel:BYTE_3
	v_sub_u32_e32 v16, 29, v16
	v_and_b32_e32 v2, 7, v2
	v_cmp_eq_u16_e32 vcc, 0, v14
	v_cndmask_b32_e32 v2, v6, v2, vcc
	v_cndmask_b32_e32 v6, v15, v16, vcc
	v_mov_b32_e32 v14, 0x3b800000
	v_lshlrev_b32_e32 v2, 20, v2
	v_lshl_add_u32 v6, v6, 23, v14
	v_or3_b32 v6, v13, v6, v2
.LBB1_8608:
	s_or_b64 exec, exec, s[6:7]
	s_nop 0
	v_mfma_f32_16x16x4f32 a[0:3], v12, v6, a[0:3]
	s_movk_i32 s4, 0x7f
	v_cmp_gt_i16_sdwa s[6:7], v7, s4 src0_sel:BYTE_0 src1_sel:DWORD
	s_mov_b64 s[4:5], 0
                                        ; implicit-def: $sgpr10
	s_and_saveexec_b64 s[8:9], s[6:7]
	s_xor_b64 s[6:7], exec, s[8:9]
	s_cbranch_execz .LBB1_8609
; %bb.44449:
	s_getpc_b64 s[14:15]
.Lpost_getpc7888:
	s_add_u32 s14, s14, (.LBB1_22945-.Lpost_getpc7888)&4294967295
	s_addc_u32 s15, s15, (.LBB1_22945-.Lpost_getpc7888)>>32
	s_setpc_b64 s[14:15]
.LBB1_8609:
	s_or_saveexec_b64 s[6:7], s[6:7]
	v_mov_b32_e32 v2, s10
	s_xor_b64 exec, exec, s[6:7]
	s_cbranch_execz .LBB1_8610
; %bb.44451:
	s_getpc_b64 s[14:15]
.Lpost_getpc7889:
	s_add_u32 s14, s14, (.LBB1_22948-.Lpost_getpc7889)&4294967295
	s_addc_u32 s15, s15, (.LBB1_22948-.Lpost_getpc7889)>>32
	s_setpc_b64 s[14:15]
.LBB1_8610:
	s_or_b64 exec, exec, s[6:7]
	s_and_saveexec_b64 s[6:7], s[4:5]
	s_cbranch_execz .LBB1_8612
.LBB1_8611:
	v_and_b32_e32 v2, 7, v7
	v_ffbh_u32_e32 v12, v2
	v_min_u32_e32 v12, 32, v12
	v_lshrrev_b16_e32 v6, 3, v7
	v_subrev_u32_e32 v13, 28, v12
	v_and_b32_e32 v6, 15, v6
	v_lshlrev_b32_e32 v13, v13, v7
	v_sub_u32_e32 v12, 29, v12
	v_and_b32_e32 v13, 7, v13
	v_cmp_eq_u16_e32 vcc, 0, v6
	v_cndmask_b32_e32 v2, v2, v13, vcc
	v_cndmask_b32_e32 v6, v6, v12, vcc
	v_lshlrev_b32_e32 v12, 24, v7
	v_mov_b32_e32 v13, 0x3b800000
	v_lshlrev_b32_e32 v2, 20, v2
	v_and_b32_e32 v12, 0x80000000, v12
	v_lshl_add_u32 v6, v6, 23, v13
	v_or3_b32 v2, v12, v6, v2
.LBB1_8612:
	s_or_b64 exec, exec, s[6:7]
	s_movk_i32 s4, 0x7f
	v_cmp_gt_i16_sdwa s[6:7], v3, s4 src0_sel:BYTE_0 src1_sel:DWORD
	s_mov_b64 s[4:5], 0
                                        ; implicit-def: $sgpr10
	s_and_saveexec_b64 s[8:9], s[6:7]
	s_xor_b64 s[6:7], exec, s[8:9]
	s_cbranch_execz .LBB1_8613
; %bb.44453:
	s_getpc_b64 s[14:15]
.Lpost_getpc7890:
	s_add_u32 s14, s14, (.LBB1_22949-.Lpost_getpc7890)&4294967295
	s_addc_u32 s15, s15, (.LBB1_22949-.Lpost_getpc7890)>>32
	s_setpc_b64 s[14:15]
.LBB1_8613:
	s_or_saveexec_b64 s[6:7], s[6:7]
	v_mov_b32_e32 v6, s10
	s_xor_b64 exec, exec, s[6:7]
	s_cbranch_execz .LBB1_8614
; %bb.44455:
	s_getpc_b64 s[14:15]
.Lpost_getpc7891:
	s_add_u32 s14, s14, (.LBB1_22952-.Lpost_getpc7891)&4294967295
	s_addc_u32 s15, s15, (.LBB1_22952-.Lpost_getpc7891)>>32
	s_setpc_b64 s[14:15]
.LBB1_8614:
	s_or_b64 exec, exec, s[6:7]
	s_and_saveexec_b64 s[6:7], s[4:5]
	s_cbranch_execz .LBB1_8616
.LBB1_8615:
	v_and_b32_e32 v6, 7, v3
	v_ffbh_u32_e32 v13, v6
	v_min_u32_e32 v13, 32, v13
	v_lshrrev_b16_e32 v12, 3, v3
	v_subrev_u32_e32 v14, 28, v13
	v_and_b32_e32 v12, 15, v12
	v_lshlrev_b32_e32 v14, v14, v3
	v_sub_u32_e32 v13, 29, v13
	v_and_b32_e32 v14, 7, v14
	v_cmp_eq_u16_e32 vcc, 0, v12
	v_cndmask_b32_e32 v6, v6, v14, vcc
	v_cndmask_b32_e32 v12, v12, v13, vcc
	v_lshlrev_b32_e32 v13, 24, v3
	v_mov_b32_e32 v14, 0x3b800000
	v_lshlrev_b32_e32 v6, 20, v6
	v_and_b32_e32 v13, 0x80000000, v13
	v_lshl_add_u32 v12, v12, 23, v14
	v_or3_b32 v6, v13, v12, v6
.LBB1_8616:
	s_or_b64 exec, exec, s[6:7]
	s_nop 0
	v_mfma_f32_16x16x4f32 a[0:3], v2, v6, a[0:3]
	v_lshrrev_b32_e32 v6, 8, v7
	s_movk_i32 s4, 0x7f
	v_cmp_gt_i16_sdwa s[6:7], v6, s4 src0_sel:BYTE_0 src1_sel:DWORD
	s_mov_b64 s[4:5], 0
                                        ; implicit-def: $sgpr10
	s_and_saveexec_b64 s[8:9], s[6:7]
	s_xor_b64 s[6:7], exec, s[8:9]
	s_cbranch_execz .LBB1_8617
; %bb.44457:
	s_getpc_b64 s[14:15]
.Lpost_getpc7892:
	s_add_u32 s14, s14, (.LBB1_22953-.Lpost_getpc7892)&4294967295
	s_addc_u32 s15, s15, (.LBB1_22953-.Lpost_getpc7892)>>32
	s_setpc_b64 s[14:15]
.LBB1_8617:
	s_or_saveexec_b64 s[6:7], s[6:7]
	v_mov_b32_e32 v2, s10
	s_xor_b64 exec, exec, s[6:7]
	s_cbranch_execz .LBB1_8618
; %bb.44459:
	s_getpc_b64 s[14:15]
.Lpost_getpc7893:
	s_add_u32 s14, s14, (.LBB1_22956-.Lpost_getpc7893)&4294967295
	s_addc_u32 s15, s15, (.LBB1_22956-.Lpost_getpc7893)>>32
	s_setpc_b64 s[14:15]
.LBB1_8618:
	s_or_b64 exec, exec, s[6:7]
	s_and_saveexec_b64 s[6:7], s[4:5]
	s_cbranch_execz .LBB1_8620
.LBB1_8619:
	v_bfe_u32 v2, v7, 8, 3
	v_ffbh_u32_e32 v13, v2
	v_min_u32_e32 v13, 32, v13
	v_lshrrev_b16_e32 v12, 3, v6
	v_subrev_u32_e32 v14, 28, v13
	v_and_b32_e32 v12, 15, v12
	v_lshlrev_b32_e32 v6, v14, v6
	v_sub_u32_e32 v13, 29, v13
	v_and_b32_e32 v6, 7, v6
	v_cmp_eq_u16_e32 vcc, 0, v12
	v_cndmask_b32_e32 v2, v2, v6, vcc
	v_cndmask_b32_e32 v6, v12, v13, vcc
	v_lshlrev_b32_e32 v12, 16, v7
	v_mov_b32_e32 v13, 0x3b800000
	v_lshlrev_b32_e32 v2, 20, v2
	v_and_b32_e32 v12, 0x80000000, v12
	v_lshl_add_u32 v6, v6, 23, v13
	v_or3_b32 v2, v12, v6, v2
.LBB1_8620:
	s_or_b64 exec, exec, s[6:7]
	v_lshrrev_b32_e32 v6, 8, v3
	s_movk_i32 s4, 0x7f
	v_cmp_gt_i16_sdwa s[6:7], v6, s4 src0_sel:BYTE_0 src1_sel:DWORD
	s_mov_b64 s[4:5], 0
                                        ; implicit-def: $sgpr10
	s_and_saveexec_b64 s[8:9], s[6:7]
	s_xor_b64 s[6:7], exec, s[8:9]
	s_cbranch_execz .LBB1_8621
; %bb.44461:
	s_getpc_b64 s[14:15]
.Lpost_getpc7894:
	s_add_u32 s14, s14, (.LBB1_22957-.Lpost_getpc7894)&4294967295
	s_addc_u32 s15, s15, (.LBB1_22957-.Lpost_getpc7894)>>32
	s_setpc_b64 s[14:15]
.LBB1_8621:
	s_or_saveexec_b64 s[6:7], s[6:7]
	v_mov_b32_e32 v12, s10
	s_xor_b64 exec, exec, s[6:7]
	s_cbranch_execz .LBB1_8622
; %bb.44463:
	s_getpc_b64 s[14:15]
.Lpost_getpc7895:
	s_add_u32 s14, s14, (.LBB1_22960-.Lpost_getpc7895)&4294967295
	s_addc_u32 s15, s15, (.LBB1_22960-.Lpost_getpc7895)>>32
	s_setpc_b64 s[14:15]
.LBB1_8622:
	s_or_b64 exec, exec, s[6:7]
	s_and_saveexec_b64 s[6:7], s[4:5]
	s_cbranch_execz .LBB1_8624
.LBB1_8623:
	v_bfe_u32 v12, v3, 8, 3
	v_ffbh_u32_e32 v14, v12
	v_min_u32_e32 v14, 32, v14
	v_lshrrev_b16_e32 v13, 3, v6
	v_subrev_u32_e32 v15, 28, v14
	v_and_b32_e32 v13, 15, v13
	v_lshlrev_b32_e32 v6, v15, v6
	v_sub_u32_e32 v14, 29, v14
	v_and_b32_e32 v6, 7, v6
	v_cmp_eq_u16_e32 vcc, 0, v13
	v_cndmask_b32_e32 v6, v12, v6, vcc
	v_cndmask_b32_e32 v12, v13, v14, vcc
	v_lshlrev_b32_e32 v13, 16, v3
	v_mov_b32_e32 v14, 0x3b800000
	v_lshlrev_b32_e32 v6, 20, v6
	v_and_b32_e32 v13, 0x80000000, v13
	v_lshl_add_u32 v12, v12, 23, v14
	v_or3_b32 v12, v13, v12, v6
.LBB1_8624:
	s_or_b64 exec, exec, s[6:7]
	s_nop 0
	v_mfma_f32_16x16x4f32 a[0:3], v2, v12, a[0:3]
	s_movk_i32 s4, 0xff
	v_and_b32_sdwa v6, v7, s4 dst_sel:DWORD dst_unused:UNUSED_PAD src0_sel:WORD_1 src1_sel:DWORD
	s_movk_i32 s4, 0x7f
	v_cmp_lt_i16_e32 vcc, s4, v6
	s_mov_b64 s[4:5], 0
                                        ; implicit-def: $sgpr10
	s_and_saveexec_b64 s[6:7], vcc
	s_xor_b64 s[6:7], exec, s[6:7]
	s_cbranch_execz .LBB1_8625
; %bb.44465:
	s_getpc_b64 s[14:15]
.Lpost_getpc7896:
	s_add_u32 s14, s14, (.LBB1_22961-.Lpost_getpc7896)&4294967295
	s_addc_u32 s15, s15, (.LBB1_22961-.Lpost_getpc7896)>>32
	s_setpc_b64 s[14:15]
.LBB1_8625:
	s_or_saveexec_b64 s[6:7], s[6:7]
	v_mov_b32_e32 v2, s10
	s_xor_b64 exec, exec, s[6:7]
	s_cbranch_execz .LBB1_8626
; %bb.44467:
	s_getpc_b64 s[14:15]
.Lpost_getpc7897:
	s_add_u32 s14, s14, (.LBB1_22964-.Lpost_getpc7897)&4294967295
	s_addc_u32 s15, s15, (.LBB1_22964-.Lpost_getpc7897)>>32
	s_setpc_b64 s[14:15]
.LBB1_8626:
	s_or_b64 exec, exec, s[6:7]
	s_and_saveexec_b64 s[6:7], s[4:5]
	s_cbranch_execz .LBB1_8628
.LBB1_8627:
	v_bfe_u32 v2, v7, 16, 3
	v_ffbh_u32_e32 v13, v2
	v_min_u32_e32 v13, 32, v13
	v_lshrrev_b32_e32 v6, 19, v7
	v_subrev_u32_e32 v14, 28, v13
	v_and_b32_e32 v6, 15, v6
	v_lshlrev_b32_sdwa v14, v14, v7 dst_sel:DWORD dst_unused:UNUSED_PAD src0_sel:DWORD src1_sel:WORD_1
	v_bfe_u32 v12, v7, 19, 4
	v_sub_u32_e32 v13, 29, v13
	v_and_b32_e32 v14, 7, v14
	v_cmp_eq_u16_e32 vcc, 0, v6
	v_cndmask_b32_e32 v2, v2, v14, vcc
	v_cndmask_b32_e32 v6, v12, v13, vcc
	v_lshlrev_b32_e32 v12, 8, v7
	v_mov_b32_e32 v13, 0x3b800000
	v_lshlrev_b32_e32 v2, 20, v2
	v_and_b32_e32 v12, 0x80000000, v12
	v_lshl_add_u32 v6, v6, 23, v13
	v_or3_b32 v2, v12, v6, v2
.LBB1_8628:
	s_or_b64 exec, exec, s[6:7]
	s_movk_i32 s4, 0xff
	v_and_b32_sdwa v6, v3, s4 dst_sel:DWORD dst_unused:UNUSED_PAD src0_sel:WORD_1 src1_sel:DWORD
	s_movk_i32 s4, 0x7f
	v_cmp_lt_i16_e32 vcc, s4, v6
	s_mov_b64 s[4:5], 0
                                        ; implicit-def: $sgpr10
	s_and_saveexec_b64 s[6:7], vcc
	s_xor_b64 s[6:7], exec, s[6:7]
	s_cbranch_execz .LBB1_8629
; %bb.44469:
	s_getpc_b64 s[14:15]
.Lpost_getpc7898:
	s_add_u32 s14, s14, (.LBB1_22965-.Lpost_getpc7898)&4294967295
	s_addc_u32 s15, s15, (.LBB1_22965-.Lpost_getpc7898)>>32
	s_setpc_b64 s[14:15]
.LBB1_8629:
	s_or_saveexec_b64 s[6:7], s[6:7]
	v_mov_b32_e32 v12, s10
	s_xor_b64 exec, exec, s[6:7]
	s_cbranch_execz .LBB1_8630
; %bb.44471:
	s_getpc_b64 s[14:15]
.Lpost_getpc7899:
	s_add_u32 s14, s14, (.LBB1_22968-.Lpost_getpc7899)&4294967295
	s_addc_u32 s15, s15, (.LBB1_22968-.Lpost_getpc7899)>>32
	s_setpc_b64 s[14:15]
.LBB1_8630:
	s_or_b64 exec, exec, s[6:7]
	s_and_saveexec_b64 s[6:7], s[4:5]
	s_cbranch_execz .LBB1_8632
.LBB1_8631:
	v_bfe_u32 v6, v3, 16, 3
	v_ffbh_u32_e32 v14, v6
	v_min_u32_e32 v14, 32, v14
	v_lshrrev_b32_e32 v12, 19, v3
	v_subrev_u32_e32 v15, 28, v14
	v_and_b32_e32 v12, 15, v12
	v_lshlrev_b32_sdwa v15, v15, v3 dst_sel:DWORD dst_unused:UNUSED_PAD src0_sel:DWORD src1_sel:WORD_1
	v_bfe_u32 v13, v3, 19, 4
	v_sub_u32_e32 v14, 29, v14
	v_and_b32_e32 v15, 7, v15
	v_cmp_eq_u16_e32 vcc, 0, v12
	v_cndmask_b32_e32 v6, v6, v15, vcc
	v_cndmask_b32_e32 v12, v13, v14, vcc
	v_lshlrev_b32_e32 v13, 8, v3
	v_mov_b32_e32 v14, 0x3b800000
	v_lshlrev_b32_e32 v6, 20, v6
	v_and_b32_e32 v13, 0x80000000, v13
	v_lshl_add_u32 v12, v12, 23, v14
	v_or3_b32 v12, v13, v12, v6
.LBB1_8632:
	s_or_b64 exec, exec, s[6:7]
	s_nop 0
	v_mfma_f32_16x16x4f32 a[0:3], v2, v12, a[0:3]
	s_movk_i32 s4, 0x7f
	v_cmp_gt_i16_sdwa s[6:7], v7, s4 src0_sel:BYTE_3 src1_sel:DWORD
	s_mov_b64 s[4:5], 0
                                        ; implicit-def: $sgpr10
	s_and_saveexec_b64 s[8:9], s[6:7]
	s_xor_b64 s[6:7], exec, s[8:9]
	s_cbranch_execz .LBB1_8633
; %bb.44473:
	s_getpc_b64 s[14:15]
.Lpost_getpc7900:
	s_add_u32 s14, s14, (.LBB1_22969-.Lpost_getpc7900)&4294967295
	s_addc_u32 s15, s15, (.LBB1_22969-.Lpost_getpc7900)>>32
	s_setpc_b64 s[14:15]
.LBB1_8633:
	s_or_saveexec_b64 s[6:7], s[6:7]
	v_mov_b32_e32 v2, s10
	s_xor_b64 exec, exec, s[6:7]
	s_cbranch_execz .LBB1_8634
; %bb.44475:
	s_getpc_b64 s[14:15]
.Lpost_getpc7901:
	s_add_u32 s14, s14, (.LBB1_22972-.Lpost_getpc7901)&4294967295
	s_addc_u32 s15, s15, (.LBB1_22972-.Lpost_getpc7901)>>32
	s_setpc_b64 s[14:15]
.LBB1_8634:
	s_or_b64 exec, exec, s[6:7]
	s_and_saveexec_b64 s[6:7], s[4:5]
	s_cbranch_execz .LBB1_8636
.LBB1_8635:
	v_bfe_u32 v2, v7, 24, 3
	v_ffbh_u32_e32 v14, v2
	v_min_u32_e32 v14, 32, v14
	v_lshrrev_b32_e32 v12, 27, v7
	v_subrev_u32_e32 v15, 28, v14
	v_and_b32_e32 v6, 0x80000000, v7
	v_and_b32_e32 v12, 15, v12
	v_bfe_u32 v13, v7, 27, 4
	v_lshlrev_b32_sdwa v7, v15, v7 dst_sel:DWORD dst_unused:UNUSED_PAD src0_sel:DWORD src1_sel:BYTE_3
	v_sub_u32_e32 v14, 29, v14
	v_and_b32_e32 v7, 7, v7
	v_cmp_eq_u16_e32 vcc, 0, v12
	v_cndmask_b32_e32 v2, v2, v7, vcc
	v_cndmask_b32_e32 v7, v13, v14, vcc
	v_mov_b32_e32 v12, 0x3b800000
	v_lshlrev_b32_e32 v2, 20, v2
	v_lshl_add_u32 v7, v7, 23, v12
	v_or3_b32 v2, v6, v7, v2
.LBB1_8636:
	s_or_b64 exec, exec, s[6:7]
	s_movk_i32 s4, 0x7f
	v_cmp_gt_i16_sdwa s[6:7], v3, s4 src0_sel:BYTE_3 src1_sel:DWORD
	s_mov_b64 s[4:5], 0
                                        ; implicit-def: $sgpr10
	s_and_saveexec_b64 s[8:9], s[6:7]
	s_xor_b64 s[6:7], exec, s[8:9]
	s_cbranch_execz .LBB1_8637
; %bb.44477:
	s_getpc_b64 s[14:15]
.Lpost_getpc7902:
	s_add_u32 s14, s14, (.LBB1_22973-.Lpost_getpc7902)&4294967295
	s_addc_u32 s15, s15, (.LBB1_22973-.Lpost_getpc7902)>>32
	s_setpc_b64 s[14:15]
.LBB1_8637:
	s_or_saveexec_b64 s[6:7], s[6:7]
	v_mov_b32_e32 v6, s10
	s_xor_b64 exec, exec, s[6:7]
	s_cbranch_execz .LBB1_8638
; %bb.44479:
	s_getpc_b64 s[14:15]
.Lpost_getpc7903:
	s_add_u32 s14, s14, (.LBB1_22976-.Lpost_getpc7903)&4294967295
	s_addc_u32 s15, s15, (.LBB1_22976-.Lpost_getpc7903)>>32
	s_setpc_b64 s[14:15]
.LBB1_8638:
	s_or_b64 exec, exec, s[6:7]
	s_and_saveexec_b64 s[6:7], s[4:5]
	s_cbranch_execz .LBB1_8640
.LBB1_8639:
	v_bfe_u32 v6, v3, 24, 3
	v_ffbh_u32_e32 v14, v6
	v_min_u32_e32 v14, 32, v14
	v_lshrrev_b32_e32 v12, 27, v3
	v_subrev_u32_e32 v15, 28, v14
	v_and_b32_e32 v7, 0x80000000, v3
	v_and_b32_e32 v12, 15, v12
	v_bfe_u32 v13, v3, 27, 4
	v_lshlrev_b32_sdwa v3, v15, v3 dst_sel:DWORD dst_unused:UNUSED_PAD src0_sel:DWORD src1_sel:BYTE_3
	v_sub_u32_e32 v14, 29, v14
	v_and_b32_e32 v3, 7, v3
	v_cmp_eq_u16_e32 vcc, 0, v12
	v_cndmask_b32_e32 v3, v6, v3, vcc
	v_cndmask_b32_e32 v6, v13, v14, vcc
	v_mov_b32_e32 v12, 0x3b800000
	v_lshlrev_b32_e32 v3, 20, v3
	v_lshl_add_u32 v6, v6, 23, v12
	v_or3_b32 v6, v7, v6, v3
.LBB1_8640:
	s_or_b64 exec, exec, s[6:7]
	s_nop 0
	v_mfma_f32_16x16x4f32 a[0:3], v2, v6, a[0:3]
	s_movk_i32 s4, 0x7f
	v_cmp_gt_i16_sdwa s[6:7], v8, s4 src0_sel:BYTE_0 src1_sel:DWORD
	s_mov_b64 s[4:5], 0
                                        ; implicit-def: $sgpr10
	s_and_saveexec_b64 s[8:9], s[6:7]
	s_xor_b64 s[6:7], exec, s[8:9]
	s_cbranch_execz .LBB1_8641
; %bb.44481:
	s_getpc_b64 s[14:15]
.Lpost_getpc7904:
	s_add_u32 s14, s14, (.LBB1_22977-.Lpost_getpc7904)&4294967295
	s_addc_u32 s15, s15, (.LBB1_22977-.Lpost_getpc7904)>>32
	s_setpc_b64 s[14:15]
.LBB1_8641:
	s_or_saveexec_b64 s[6:7], s[6:7]
	v_mov_b32_e32 v2, s10
	s_xor_b64 exec, exec, s[6:7]
	s_cbranch_execz .LBB1_8642
; %bb.44483:
	s_getpc_b64 s[14:15]
.Lpost_getpc7905:
	s_add_u32 s14, s14, (.LBB1_22980-.Lpost_getpc7905)&4294967295
	s_addc_u32 s15, s15, (.LBB1_22980-.Lpost_getpc7905)>>32
	s_setpc_b64 s[14:15]
.LBB1_8642:
	s_or_b64 exec, exec, s[6:7]
	s_and_saveexec_b64 s[6:7], s[4:5]
	s_cbranch_execz .LBB1_8644
.LBB1_8643:
	v_and_b32_e32 v2, 7, v8
	v_ffbh_u32_e32 v6, v2
	v_min_u32_e32 v6, 32, v6
	v_lshrrev_b16_e32 v3, 3, v8
	v_subrev_u32_e32 v7, 28, v6
	v_and_b32_e32 v3, 15, v3
	v_lshlrev_b32_e32 v7, v7, v8
	v_sub_u32_e32 v6, 29, v6
	v_and_b32_e32 v7, 7, v7
	v_cmp_eq_u16_e32 vcc, 0, v3
	v_cndmask_b32_e32 v2, v2, v7, vcc
	v_cndmask_b32_e32 v3, v3, v6, vcc
	v_lshlrev_b32_e32 v6, 24, v8
	v_mov_b32_e32 v7, 0x3b800000
	v_lshlrev_b32_e32 v2, 20, v2
	v_and_b32_e32 v6, 0x80000000, v6
	v_lshl_add_u32 v3, v3, 23, v7
	v_or3_b32 v2, v6, v3, v2
.LBB1_8644:
	s_or_b64 exec, exec, s[6:7]
	s_movk_i32 s4, 0x7f
	v_cmp_gt_i16_sdwa s[6:7], v4, s4 src0_sel:BYTE_0 src1_sel:DWORD
	s_mov_b64 s[4:5], 0
                                        ; implicit-def: $sgpr10
	s_and_saveexec_b64 s[8:9], s[6:7]
	s_xor_b64 s[6:7], exec, s[8:9]
	s_cbranch_execz .LBB1_8645
; %bb.44485:
	s_getpc_b64 s[14:15]
.Lpost_getpc7906:
	s_add_u32 s14, s14, (.LBB1_22981-.Lpost_getpc7906)&4294967295
	s_addc_u32 s15, s15, (.LBB1_22981-.Lpost_getpc7906)>>32
	s_setpc_b64 s[14:15]
.LBB1_8645:
	s_or_saveexec_b64 s[6:7], s[6:7]
	v_mov_b32_e32 v3, s10
	s_xor_b64 exec, exec, s[6:7]
	s_cbranch_execz .LBB1_8646
; %bb.44487:
	s_getpc_b64 s[14:15]
.Lpost_getpc7907:
	s_add_u32 s14, s14, (.LBB1_22984-.Lpost_getpc7907)&4294967295
	s_addc_u32 s15, s15, (.LBB1_22984-.Lpost_getpc7907)>>32
	s_setpc_b64 s[14:15]
.LBB1_8646:
	s_or_b64 exec, exec, s[6:7]
	s_and_saveexec_b64 s[6:7], s[4:5]
	s_cbranch_execz .LBB1_8648
.LBB1_8647:
	v_and_b32_e32 v3, 7, v4
	v_ffbh_u32_e32 v7, v3
	v_min_u32_e32 v7, 32, v7
	v_lshrrev_b16_e32 v6, 3, v4
	v_subrev_u32_e32 v12, 28, v7
	v_and_b32_e32 v6, 15, v6
	v_lshlrev_b32_e32 v12, v12, v4
	v_sub_u32_e32 v7, 29, v7
	v_and_b32_e32 v12, 7, v12
	v_cmp_eq_u16_e32 vcc, 0, v6
	v_cndmask_b32_e32 v3, v3, v12, vcc
	v_cndmask_b32_e32 v6, v6, v7, vcc
	v_lshlrev_b32_e32 v7, 24, v4
	v_mov_b32_e32 v12, 0x3b800000
	v_lshlrev_b32_e32 v3, 20, v3
	v_and_b32_e32 v7, 0x80000000, v7
	v_lshl_add_u32 v6, v6, 23, v12
	v_or3_b32 v3, v7, v6, v3
.LBB1_8648:
	s_or_b64 exec, exec, s[6:7]
	s_nop 0
	v_mfma_f32_16x16x4f32 a[0:3], v2, v3, a[0:3]
	v_lshrrev_b32_e32 v3, 8, v8
	s_movk_i32 s4, 0x7f
	v_cmp_gt_i16_sdwa s[6:7], v3, s4 src0_sel:BYTE_0 src1_sel:DWORD
	s_mov_b64 s[4:5], 0
                                        ; implicit-def: $sgpr10
	s_and_saveexec_b64 s[8:9], s[6:7]
	s_xor_b64 s[6:7], exec, s[8:9]
	s_cbranch_execz .LBB1_8649
; %bb.44489:
	s_getpc_b64 s[14:15]
.Lpost_getpc7908:
	s_add_u32 s14, s14, (.LBB1_22985-.Lpost_getpc7908)&4294967295
	s_addc_u32 s15, s15, (.LBB1_22985-.Lpost_getpc7908)>>32
	s_setpc_b64 s[14:15]
.LBB1_8649:
	s_or_saveexec_b64 s[6:7], s[6:7]
	v_mov_b32_e32 v2, s10
	s_xor_b64 exec, exec, s[6:7]
	s_cbranch_execz .LBB1_8650
; %bb.44491:
	s_getpc_b64 s[14:15]
.Lpost_getpc7909:
	s_add_u32 s14, s14, (.LBB1_22988-.Lpost_getpc7909)&4294967295
	s_addc_u32 s15, s15, (.LBB1_22988-.Lpost_getpc7909)>>32
	s_setpc_b64 s[14:15]
.LBB1_8650:
	s_or_b64 exec, exec, s[6:7]
	s_and_saveexec_b64 s[6:7], s[4:5]
	s_cbranch_execz .LBB1_8652
.LBB1_8651:
	v_bfe_u32 v2, v8, 8, 3
	v_ffbh_u32_e32 v7, v2
	v_min_u32_e32 v7, 32, v7
	v_lshrrev_b16_e32 v6, 3, v3
	v_subrev_u32_e32 v12, 28, v7
	v_and_b32_e32 v6, 15, v6
	v_lshlrev_b32_e32 v3, v12, v3
	v_sub_u32_e32 v7, 29, v7
	v_and_b32_e32 v3, 7, v3
	v_cmp_eq_u16_e32 vcc, 0, v6
	v_cndmask_b32_e32 v2, v2, v3, vcc
	v_cndmask_b32_e32 v3, v6, v7, vcc
	v_lshlrev_b32_e32 v6, 16, v8
	v_mov_b32_e32 v7, 0x3b800000
	v_lshlrev_b32_e32 v2, 20, v2
	v_and_b32_e32 v6, 0x80000000, v6
	v_lshl_add_u32 v3, v3, 23, v7
	v_or3_b32 v2, v6, v3, v2
.LBB1_8652:
	s_or_b64 exec, exec, s[6:7]
	v_lshrrev_b32_e32 v3, 8, v4
	s_movk_i32 s4, 0x7f
	v_cmp_gt_i16_sdwa s[6:7], v3, s4 src0_sel:BYTE_0 src1_sel:DWORD
	s_mov_b64 s[4:5], 0
                                        ; implicit-def: $sgpr10
	s_and_saveexec_b64 s[8:9], s[6:7]
	s_xor_b64 s[6:7], exec, s[8:9]
	s_cbranch_execz .LBB1_8653
; %bb.44493:
	s_getpc_b64 s[14:15]
.Lpost_getpc7910:
	s_add_u32 s14, s14, (.LBB1_22989-.Lpost_getpc7910)&4294967295
	s_addc_u32 s15, s15, (.LBB1_22989-.Lpost_getpc7910)>>32
	s_setpc_b64 s[14:15]
.LBB1_8653:
	s_or_saveexec_b64 s[6:7], s[6:7]
	v_mov_b32_e32 v6, s10
	s_xor_b64 exec, exec, s[6:7]
	s_cbranch_execz .LBB1_8654
; %bb.44495:
	s_getpc_b64 s[14:15]
.Lpost_getpc7911:
	s_add_u32 s14, s14, (.LBB1_22992-.Lpost_getpc7911)&4294967295
	s_addc_u32 s15, s15, (.LBB1_22992-.Lpost_getpc7911)>>32
	s_setpc_b64 s[14:15]
.LBB1_8654:
	s_or_b64 exec, exec, s[6:7]
	s_and_saveexec_b64 s[6:7], s[4:5]
	s_cbranch_execz .LBB1_8656
.LBB1_8655:
	v_bfe_u32 v6, v4, 8, 3
	v_ffbh_u32_e32 v12, v6
	v_min_u32_e32 v12, 32, v12
	v_lshrrev_b16_e32 v7, 3, v3
	v_subrev_u32_e32 v13, 28, v12
	v_and_b32_e32 v7, 15, v7
	v_lshlrev_b32_e32 v3, v13, v3
	v_sub_u32_e32 v12, 29, v12
	v_and_b32_e32 v3, 7, v3
	v_cmp_eq_u16_e32 vcc, 0, v7
	v_cndmask_b32_e32 v3, v6, v3, vcc
	v_cndmask_b32_e32 v6, v7, v12, vcc
	v_lshlrev_b32_e32 v7, 16, v4
	v_mov_b32_e32 v12, 0x3b800000
	v_lshlrev_b32_e32 v3, 20, v3
	v_and_b32_e32 v7, 0x80000000, v7
	v_lshl_add_u32 v6, v6, 23, v12
	v_or3_b32 v6, v7, v6, v3
.LBB1_8656:
	s_or_b64 exec, exec, s[6:7]
	s_nop 0
	v_mfma_f32_16x16x4f32 a[0:3], v2, v6, a[0:3]
	s_movk_i32 s4, 0xff
	v_and_b32_sdwa v3, v8, s4 dst_sel:DWORD dst_unused:UNUSED_PAD src0_sel:WORD_1 src1_sel:DWORD
	s_movk_i32 s4, 0x7f
	v_cmp_lt_i16_e32 vcc, s4, v3
	s_mov_b64 s[4:5], 0
                                        ; implicit-def: $sgpr10
	s_and_saveexec_b64 s[6:7], vcc
	s_xor_b64 s[6:7], exec, s[6:7]
	s_cbranch_execz .LBB1_8657
; %bb.44497:
	s_getpc_b64 s[14:15]
.Lpost_getpc7912:
	s_add_u32 s14, s14, (.LBB1_22993-.Lpost_getpc7912)&4294967295
	s_addc_u32 s15, s15, (.LBB1_22993-.Lpost_getpc7912)>>32
	s_setpc_b64 s[14:15]
.LBB1_8657:
	s_or_saveexec_b64 s[6:7], s[6:7]
	v_mov_b32_e32 v2, s10
	s_xor_b64 exec, exec, s[6:7]
	s_cbranch_execz .LBB1_8658
; %bb.44499:
	s_getpc_b64 s[14:15]
.Lpost_getpc7913:
	s_add_u32 s14, s14, (.LBB1_22996-.Lpost_getpc7913)&4294967295
	s_addc_u32 s15, s15, (.LBB1_22996-.Lpost_getpc7913)>>32
	s_setpc_b64 s[14:15]
.LBB1_8658:
	s_or_b64 exec, exec, s[6:7]
	s_and_saveexec_b64 s[6:7], s[4:5]
	s_cbranch_execz .LBB1_8660
.LBB1_8659:
	v_bfe_u32 v2, v8, 16, 3
	v_ffbh_u32_e32 v7, v2
	v_min_u32_e32 v7, 32, v7
	v_lshrrev_b32_e32 v3, 19, v8
	v_subrev_u32_e32 v12, 28, v7
	v_and_b32_e32 v3, 15, v3
	v_lshlrev_b32_sdwa v12, v12, v8 dst_sel:DWORD dst_unused:UNUSED_PAD src0_sel:DWORD src1_sel:WORD_1
	v_bfe_u32 v6, v8, 19, 4
	v_sub_u32_e32 v7, 29, v7
	v_and_b32_e32 v12, 7, v12
	v_cmp_eq_u16_e32 vcc, 0, v3
	v_cndmask_b32_e32 v2, v2, v12, vcc
	v_cndmask_b32_e32 v3, v6, v7, vcc
	v_lshlrev_b32_e32 v6, 8, v8
	v_mov_b32_e32 v7, 0x3b800000
	v_lshlrev_b32_e32 v2, 20, v2
	v_and_b32_e32 v6, 0x80000000, v6
	v_lshl_add_u32 v3, v3, 23, v7
	v_or3_b32 v2, v6, v3, v2
.LBB1_8660:
	s_or_b64 exec, exec, s[6:7]
	s_movk_i32 s4, 0xff
	v_and_b32_sdwa v3, v4, s4 dst_sel:DWORD dst_unused:UNUSED_PAD src0_sel:WORD_1 src1_sel:DWORD
	s_movk_i32 s4, 0x7f
	v_cmp_lt_i16_e32 vcc, s4, v3
	s_mov_b64 s[4:5], 0
                                        ; implicit-def: $sgpr10
	s_and_saveexec_b64 s[6:7], vcc
	s_xor_b64 s[6:7], exec, s[6:7]
	s_cbranch_execz .LBB1_8661
; %bb.44501:
	s_getpc_b64 s[14:15]
.Lpost_getpc7914:
	s_add_u32 s14, s14, (.LBB1_22997-.Lpost_getpc7914)&4294967295
	s_addc_u32 s15, s15, (.LBB1_22997-.Lpost_getpc7914)>>32
	s_setpc_b64 s[14:15]
.LBB1_8661:
	s_or_saveexec_b64 s[6:7], s[6:7]
	v_mov_b32_e32 v6, s10
	s_xor_b64 exec, exec, s[6:7]
	s_cbranch_execz .LBB1_8662
; %bb.44503:
	s_getpc_b64 s[14:15]
.Lpost_getpc7915:
	s_add_u32 s14, s14, (.LBB1_23000-.Lpost_getpc7915)&4294967295
	s_addc_u32 s15, s15, (.LBB1_23000-.Lpost_getpc7915)>>32
	s_setpc_b64 s[14:15]
.LBB1_8662:
	s_or_b64 exec, exec, s[6:7]
	s_and_saveexec_b64 s[6:7], s[4:5]
	s_cbranch_execz .LBB1_8664
.LBB1_8663:
	v_bfe_u32 v3, v4, 16, 3
	v_ffbh_u32_e32 v12, v3
	v_min_u32_e32 v12, 32, v12
	v_lshrrev_b32_e32 v6, 19, v4
	v_subrev_u32_e32 v13, 28, v12
	v_and_b32_e32 v6, 15, v6
	v_lshlrev_b32_sdwa v13, v13, v4 dst_sel:DWORD dst_unused:UNUSED_PAD src0_sel:DWORD src1_sel:WORD_1
	v_bfe_u32 v7, v4, 19, 4
	v_sub_u32_e32 v12, 29, v12
	v_and_b32_e32 v13, 7, v13
	v_cmp_eq_u16_e32 vcc, 0, v6
	v_cndmask_b32_e32 v3, v3, v13, vcc
	v_cndmask_b32_e32 v6, v7, v12, vcc
	v_lshlrev_b32_e32 v7, 8, v4
	v_mov_b32_e32 v12, 0x3b800000
	v_lshlrev_b32_e32 v3, 20, v3
	v_and_b32_e32 v7, 0x80000000, v7
	v_lshl_add_u32 v6, v6, 23, v12
	v_or3_b32 v6, v7, v6, v3
.LBB1_8664:
	s_or_b64 exec, exec, s[6:7]
	s_nop 0
	v_mfma_f32_16x16x4f32 a[0:3], v2, v6, a[0:3]
	s_movk_i32 s4, 0x7f
	v_cmp_gt_i16_sdwa s[6:7], v8, s4 src0_sel:BYTE_3 src1_sel:DWORD
	s_mov_b64 s[4:5], 0
                                        ; implicit-def: $sgpr10
	s_and_saveexec_b64 s[8:9], s[6:7]
	s_xor_b64 s[6:7], exec, s[8:9]
	s_cbranch_execz .LBB1_8665
; %bb.44505:
	s_getpc_b64 s[14:15]
.Lpost_getpc7916:
	s_add_u32 s14, s14, (.LBB1_23001-.Lpost_getpc7916)&4294967295
	s_addc_u32 s15, s15, (.LBB1_23001-.Lpost_getpc7916)>>32
	s_setpc_b64 s[14:15]
.LBB1_8665:
	s_or_saveexec_b64 s[6:7], s[6:7]
	v_mov_b32_e32 v2, s10
	s_xor_b64 exec, exec, s[6:7]
	s_cbranch_execz .LBB1_8666
; %bb.44507:
	s_getpc_b64 s[14:15]
.Lpost_getpc7917:
	s_add_u32 s14, s14, (.LBB1_23004-.Lpost_getpc7917)&4294967295
	s_addc_u32 s15, s15, (.LBB1_23004-.Lpost_getpc7917)>>32
	s_setpc_b64 s[14:15]
.LBB1_8666:
	s_or_b64 exec, exec, s[6:7]
	s_and_saveexec_b64 s[6:7], s[4:5]
	s_cbranch_execz .LBB1_8668
.LBB1_8667:
	v_bfe_u32 v2, v8, 24, 3
	v_ffbh_u32_e32 v12, v2
	v_min_u32_e32 v12, 32, v12
	v_lshrrev_b32_e32 v6, 27, v8
	v_subrev_u32_e32 v13, 28, v12
	v_and_b32_e32 v3, 0x80000000, v8
	v_and_b32_e32 v6, 15, v6
	v_bfe_u32 v7, v8, 27, 4
	v_lshlrev_b32_sdwa v8, v13, v8 dst_sel:DWORD dst_unused:UNUSED_PAD src0_sel:DWORD src1_sel:BYTE_3
	v_sub_u32_e32 v12, 29, v12
	v_and_b32_e32 v8, 7, v8
	v_cmp_eq_u16_e32 vcc, 0, v6
	v_cndmask_b32_e32 v2, v2, v8, vcc
	v_cndmask_b32_e32 v6, v7, v12, vcc
	v_mov_b32_e32 v7, 0x3b800000
	v_lshlrev_b32_e32 v2, 20, v2
	v_lshl_add_u32 v6, v6, 23, v7
	v_or3_b32 v2, v3, v6, v2
.LBB1_8668:
	s_or_b64 exec, exec, s[6:7]
	s_movk_i32 s4, 0x7f
	v_cmp_gt_i16_sdwa s[6:7], v4, s4 src0_sel:BYTE_3 src1_sel:DWORD
	s_mov_b64 s[4:5], 0
                                        ; implicit-def: $sgpr10
	s_and_saveexec_b64 s[8:9], s[6:7]
	s_xor_b64 s[6:7], exec, s[8:9]
	s_cbranch_execz .LBB1_8669
; %bb.44509:
	s_getpc_b64 s[14:15]
.Lpost_getpc7918:
	s_add_u32 s14, s14, (.LBB1_23005-.Lpost_getpc7918)&4294967295
	s_addc_u32 s15, s15, (.LBB1_23005-.Lpost_getpc7918)>>32
	s_setpc_b64 s[14:15]
.LBB1_8669:
	s_or_saveexec_b64 s[6:7], s[6:7]
	v_mov_b32_e32 v3, s10
	s_xor_b64 exec, exec, s[6:7]
	s_cbranch_execz .LBB1_8670
; %bb.44511:
	s_getpc_b64 s[14:15]
.Lpost_getpc7919:
	s_add_u32 s14, s14, (.LBB1_23008-.Lpost_getpc7919)&4294967295
	s_addc_u32 s15, s15, (.LBB1_23008-.Lpost_getpc7919)>>32
	s_setpc_b64 s[14:15]
.LBB1_8670:
	s_or_b64 exec, exec, s[6:7]
	s_and_saveexec_b64 s[6:7], s[4:5]
	s_cbranch_execz .LBB1_8672
.LBB1_8671:
	v_bfe_u32 v3, v4, 24, 3
	v_ffbh_u32_e32 v12, v3
	v_min_u32_e32 v12, 32, v12
	v_lshrrev_b32_e32 v7, 27, v4
	v_subrev_u32_e32 v13, 28, v12
	v_and_b32_e32 v6, 0x80000000, v4
	v_and_b32_e32 v7, 15, v7
	v_bfe_u32 v8, v4, 27, 4
	v_lshlrev_b32_sdwa v4, v13, v4 dst_sel:DWORD dst_unused:UNUSED_PAD src0_sel:DWORD src1_sel:BYTE_3
	v_sub_u32_e32 v12, 29, v12
	v_and_b32_e32 v4, 7, v4
	v_cmp_eq_u16_e32 vcc, 0, v7
	v_cndmask_b32_e32 v3, v3, v4, vcc
	v_cndmask_b32_e32 v4, v8, v12, vcc
	v_mov_b32_e32 v7, 0x3b800000
	v_lshlrev_b32_e32 v3, 20, v3
	v_lshl_add_u32 v4, v4, 23, v7
	v_or3_b32 v3, v6, v4, v3
.LBB1_8672:
	s_or_b64 exec, exec, s[6:7]
	s_nop 0
	v_mfma_f32_16x16x4f32 a[0:3], v2, v3, a[0:3]
	s_movk_i32 s4, 0x7f
	v_cmp_gt_i16_sdwa s[6:7], v9, s4 src0_sel:BYTE_0 src1_sel:DWORD
	s_mov_b64 s[4:5], 0
                                        ; implicit-def: $sgpr10
	s_and_saveexec_b64 s[8:9], s[6:7]
	s_xor_b64 s[6:7], exec, s[8:9]
	s_cbranch_execz .LBB1_8673
; %bb.44513:
	s_getpc_b64 s[14:15]
.Lpost_getpc7920:
	s_add_u32 s14, s14, (.LBB1_23009-.Lpost_getpc7920)&4294967295
	s_addc_u32 s15, s15, (.LBB1_23009-.Lpost_getpc7920)>>32
	s_setpc_b64 s[14:15]
.LBB1_8673:
	s_or_saveexec_b64 s[6:7], s[6:7]
	v_mov_b32_e32 v2, s10
	s_xor_b64 exec, exec, s[6:7]
	s_cbranch_execz .LBB1_8674
; %bb.44515:
	s_getpc_b64 s[14:15]
.Lpost_getpc7921:
	s_add_u32 s14, s14, (.LBB1_23012-.Lpost_getpc7921)&4294967295
	s_addc_u32 s15, s15, (.LBB1_23012-.Lpost_getpc7921)>>32
	s_setpc_b64 s[14:15]
.LBB1_8674:
	s_or_b64 exec, exec, s[6:7]
	s_and_saveexec_b64 s[6:7], s[4:5]
	s_cbranch_execz .LBB1_8676
.LBB1_8675:
	v_mov_b32_e32 v2, 8
	v_and_b32_e32 v3, 7, v9
	v_lshrrev_b32_sdwa v2, v2, v9 dst_sel:BYTE_1 dst_unused:UNUSED_PAD src0_sel:DWORD src1_sel:DWORD
	v_ffbh_u32_e32 v4, v3
	v_or_b32_sdwa v2, v9, v2 dst_sel:DWORD dst_unused:UNUSED_PAD src0_sel:BYTE_0 src1_sel:DWORD
	v_min_u32_e32 v4, 32, v4
	v_lshrrev_b16_e32 v2, 3, v2
	v_subrev_u32_e32 v6, 28, v4
	v_and_b32_e32 v2, 15, v2
	v_lshlrev_b32_e32 v6, v6, v9
	v_sub_u32_e32 v4, 29, v4
	v_and_b32_e32 v6, 7, v6
	v_cmp_eq_u16_e32 vcc, 0, v2
	v_cndmask_b32_e32 v3, v3, v6, vcc
	v_cndmask_b32_e32 v2, v2, v4, vcc
	v_lshlrev_b32_e32 v4, 24, v9
	v_mov_b32_e32 v6, 0x3b800000
	v_lshlrev_b32_e32 v3, 20, v3
	v_and_b32_e32 v4, 0x80000000, v4
	v_lshl_add_u32 v2, v2, 23, v6
	v_or3_b32 v2, v4, v2, v3
.LBB1_8676:
	s_or_b64 exec, exec, s[6:7]
	s_movk_i32 s4, 0x7f
	v_cmp_gt_i16_sdwa s[6:7], v5, s4 src0_sel:BYTE_0 src1_sel:DWORD
	s_mov_b64 s[4:5], 0
                                        ; implicit-def: $sgpr10
	s_and_saveexec_b64 s[8:9], s[6:7]
	s_xor_b64 s[6:7], exec, s[8:9]
	s_cbranch_execz .LBB1_8677
; %bb.44517:
	s_getpc_b64 s[14:15]
.Lpost_getpc7922:
	s_add_u32 s14, s14, (.LBB1_23013-.Lpost_getpc7922)&4294967295
	s_addc_u32 s15, s15, (.LBB1_23013-.Lpost_getpc7922)>>32
	s_setpc_b64 s[14:15]
.LBB1_8677:
	s_or_saveexec_b64 s[6:7], s[6:7]
	v_mov_b32_e32 v3, s10
	s_xor_b64 exec, exec, s[6:7]
	s_cbranch_execz .LBB1_8678
; %bb.44519:
	s_getpc_b64 s[14:15]
.Lpost_getpc7923:
	s_add_u32 s14, s14, (.LBB1_23016-.Lpost_getpc7923)&4294967295
	s_addc_u32 s15, s15, (.LBB1_23016-.Lpost_getpc7923)>>32
	s_setpc_b64 s[14:15]
.LBB1_8678:
	s_or_b64 exec, exec, s[6:7]
	s_and_saveexec_b64 s[6:7], s[4:5]
	s_cbranch_execz .LBB1_8680
.LBB1_8679:
	v_mov_b32_e32 v3, 8
	v_and_b32_e32 v4, 7, v5
	v_lshrrev_b32_sdwa v3, v3, v5 dst_sel:BYTE_1 dst_unused:UNUSED_PAD src0_sel:DWORD src1_sel:DWORD
	v_ffbh_u32_e32 v6, v4
	v_or_b32_sdwa v3, v5, v3 dst_sel:DWORD dst_unused:UNUSED_PAD src0_sel:BYTE_0 src1_sel:DWORD
	v_min_u32_e32 v6, 32, v6
	v_lshrrev_b16_e32 v3, 3, v3
	v_subrev_u32_e32 v7, 28, v6
	v_and_b32_e32 v3, 15, v3
	v_lshlrev_b32_e32 v7, v7, v5
	v_sub_u32_e32 v6, 29, v6
	v_and_b32_e32 v7, 7, v7
	v_cmp_eq_u16_e32 vcc, 0, v3
	v_cndmask_b32_e32 v4, v4, v7, vcc
	v_cndmask_b32_e32 v3, v3, v6, vcc
	v_lshlrev_b32_e32 v6, 24, v5
	v_mov_b32_e32 v7, 0x3b800000
	v_lshlrev_b32_e32 v4, 20, v4
	v_and_b32_e32 v6, 0x80000000, v6
	v_lshl_add_u32 v3, v3, 23, v7
	v_or3_b32 v3, v6, v3, v4
.LBB1_8680:
	s_or_b64 exec, exec, s[6:7]
	s_nop 0
	v_mfma_f32_16x16x4f32 a[0:3], v2, v3, a[0:3]
	v_lshrrev_b32_e32 v3, 8, v9
	s_movk_i32 s4, 0x7f
	v_cmp_gt_i16_sdwa s[6:7], v3, s4 src0_sel:BYTE_0 src1_sel:DWORD
	s_mov_b64 s[4:5], 0
                                        ; implicit-def: $sgpr10
	s_and_saveexec_b64 s[8:9], s[6:7]
	s_xor_b64 s[6:7], exec, s[8:9]
	s_cbranch_execz .LBB1_8681
; %bb.44521:
	s_getpc_b64 s[14:15]
.Lpost_getpc7924:
	s_add_u32 s14, s14, (.LBB1_23017-.Lpost_getpc7924)&4294967295
	s_addc_u32 s15, s15, (.LBB1_23017-.Lpost_getpc7924)>>32
	s_setpc_b64 s[14:15]
.LBB1_8681:
	s_or_saveexec_b64 s[6:7], s[6:7]
	v_mov_b32_e32 v2, s10
	s_xor_b64 exec, exec, s[6:7]
	s_cbranch_execz .LBB1_8682
; %bb.44523:
	s_getpc_b64 s[14:15]
.Lpost_getpc7925:
	s_add_u32 s14, s14, (.LBB1_23020-.Lpost_getpc7925)&4294967295
	s_addc_u32 s15, s15, (.LBB1_23020-.Lpost_getpc7925)>>32
	s_setpc_b64 s[14:15]
.LBB1_8682:
	s_or_b64 exec, exec, s[6:7]
	s_and_saveexec_b64 s[6:7], s[4:5]
	s_cbranch_execz .LBB1_8684
.LBB1_8683:
	v_bfe_u32 v2, v9, 8, 3
	v_ffbh_u32_e32 v6, v2
	v_min_u32_e32 v6, 32, v6
	v_lshrrev_b16_e32 v4, 3, v3
	v_subrev_u32_e32 v7, 28, v6
	v_and_b32_e32 v4, 15, v4
	v_lshlrev_b32_e32 v3, v7, v3
	v_sub_u32_e32 v6, 29, v6
	v_and_b32_e32 v3, 7, v3
	v_cmp_eq_u16_e32 vcc, 0, v4
	v_cndmask_b32_e32 v2, v2, v3, vcc
	v_cndmask_b32_e32 v3, v4, v6, vcc
	v_lshlrev_b32_e32 v4, 16, v9
	v_mov_b32_e32 v6, 0x3b800000
	v_lshlrev_b32_e32 v2, 20, v2
	v_and_b32_e32 v4, 0x80000000, v4
	v_lshl_add_u32 v3, v3, 23, v6
	v_or3_b32 v2, v4, v3, v2
.LBB1_8684:
	s_or_b64 exec, exec, s[6:7]
	v_lshrrev_b32_e32 v3, 8, v5
	s_movk_i32 s4, 0x7f
	v_cmp_gt_i16_sdwa s[6:7], v3, s4 src0_sel:BYTE_0 src1_sel:DWORD
	s_mov_b64 s[4:5], 0
                                        ; implicit-def: $sgpr10
	s_and_saveexec_b64 s[8:9], s[6:7]
	s_xor_b64 s[6:7], exec, s[8:9]
	s_cbranch_execz .LBB1_8685
; %bb.44525:
	s_getpc_b64 s[14:15]
.Lpost_getpc7926:
	s_add_u32 s14, s14, (.LBB1_23021-.Lpost_getpc7926)&4294967295
	s_addc_u32 s15, s15, (.LBB1_23021-.Lpost_getpc7926)>>32
	s_setpc_b64 s[14:15]
.LBB1_8685:
	s_or_saveexec_b64 s[6:7], s[6:7]
	v_mov_b32_e32 v4, s10
	s_xor_b64 exec, exec, s[6:7]
	s_cbranch_execz .LBB1_8686
; %bb.44527:
	s_getpc_b64 s[14:15]
.Lpost_getpc7927:
	s_add_u32 s14, s14, (.LBB1_23024-.Lpost_getpc7927)&4294967295
	s_addc_u32 s15, s15, (.LBB1_23024-.Lpost_getpc7927)>>32
	s_setpc_b64 s[14:15]
.LBB1_8686:
	s_or_b64 exec, exec, s[6:7]
	s_and_saveexec_b64 s[6:7], s[4:5]
	s_cbranch_execz .LBB1_8688
.LBB1_8687:
	v_bfe_u32 v4, v5, 8, 3
	v_ffbh_u32_e32 v7, v4
	v_min_u32_e32 v7, 32, v7
	v_lshrrev_b16_e32 v6, 3, v3
	v_subrev_u32_e32 v8, 28, v7
	v_and_b32_e32 v6, 15, v6
	v_lshlrev_b32_e32 v3, v8, v3
	v_sub_u32_e32 v7, 29, v7
	v_and_b32_e32 v3, 7, v3
	v_cmp_eq_u16_e32 vcc, 0, v6
	v_cndmask_b32_e32 v3, v4, v3, vcc
	v_cndmask_b32_e32 v4, v6, v7, vcc
	v_lshlrev_b32_e32 v6, 16, v5
	v_mov_b32_e32 v7, 0x3b800000
	v_lshlrev_b32_e32 v3, 20, v3
	v_and_b32_e32 v6, 0x80000000, v6
	v_lshl_add_u32 v4, v4, 23, v7
	v_or3_b32 v4, v6, v4, v3
.LBB1_8688:
	s_or_b64 exec, exec, s[6:7]
	s_nop 0
	v_mfma_f32_16x16x4f32 a[0:3], v2, v4, a[0:3]
	s_movk_i32 s4, 0xff
	v_and_b32_sdwa v3, v9, s4 dst_sel:DWORD dst_unused:UNUSED_PAD src0_sel:WORD_1 src1_sel:DWORD
	s_movk_i32 s4, 0x7f
	v_cmp_lt_i16_e32 vcc, s4, v3
	s_mov_b64 s[4:5], 0
                                        ; implicit-def: $sgpr10
	s_and_saveexec_b64 s[6:7], vcc
	s_xor_b64 s[6:7], exec, s[6:7]
	s_cbranch_execz .LBB1_8689
; %bb.44529:
	s_getpc_b64 s[14:15]
.Lpost_getpc7928:
	s_add_u32 s14, s14, (.LBB1_23025-.Lpost_getpc7928)&4294967295
	s_addc_u32 s15, s15, (.LBB1_23025-.Lpost_getpc7928)>>32
	s_setpc_b64 s[14:15]
.LBB1_8689:
	s_or_saveexec_b64 s[6:7], s[6:7]
	v_mov_b32_e32 v2, s10
	s_xor_b64 exec, exec, s[6:7]
	s_cbranch_execz .LBB1_8690
; %bb.44531:
	s_getpc_b64 s[14:15]
.Lpost_getpc7929:
	s_add_u32 s14, s14, (.LBB1_23028-.Lpost_getpc7929)&4294967295
	s_addc_u32 s15, s15, (.LBB1_23028-.Lpost_getpc7929)>>32
	s_setpc_b64 s[14:15]
.LBB1_8690:
	s_or_b64 exec, exec, s[6:7]
	s_and_saveexec_b64 s[6:7], s[4:5]
	s_cbranch_execz .LBB1_8692
.LBB1_8691:
	v_bfe_u32 v2, v9, 16, 3
	v_ffbh_u32_e32 v6, v2
	v_min_u32_e32 v6, 32, v6
	v_lshrrev_b32_e32 v3, 19, v9
	v_subrev_u32_e32 v7, 28, v6
	v_and_b32_e32 v3, 15, v3
	v_lshlrev_b32_sdwa v7, v7, v9 dst_sel:DWORD dst_unused:UNUSED_PAD src0_sel:DWORD src1_sel:WORD_1
	v_bfe_u32 v4, v9, 19, 4
	v_sub_u32_e32 v6, 29, v6
	v_and_b32_e32 v7, 7, v7
	v_cmp_eq_u16_e32 vcc, 0, v3
	v_cndmask_b32_e32 v2, v2, v7, vcc
	v_cndmask_b32_e32 v3, v4, v6, vcc
	v_lshlrev_b32_e32 v4, 8, v9
	v_mov_b32_e32 v6, 0x3b800000
	v_lshlrev_b32_e32 v2, 20, v2
	v_and_b32_e32 v4, 0x80000000, v4
	v_lshl_add_u32 v3, v3, 23, v6
	v_or3_b32 v2, v4, v3, v2
.LBB1_8692:
	s_or_b64 exec, exec, s[6:7]
	s_movk_i32 s4, 0xff
	v_and_b32_sdwa v3, v5, s4 dst_sel:DWORD dst_unused:UNUSED_PAD src0_sel:WORD_1 src1_sel:DWORD
	s_movk_i32 s4, 0x7f
	v_cmp_lt_i16_e32 vcc, s4, v3
	s_mov_b64 s[4:5], 0
                                        ; implicit-def: $sgpr10
	s_and_saveexec_b64 s[6:7], vcc
	s_xor_b64 s[6:7], exec, s[6:7]
	s_cbranch_execz .LBB1_8693
; %bb.44533:
	s_getpc_b64 s[14:15]
.Lpost_getpc7930:
	s_add_u32 s14, s14, (.LBB1_23029-.Lpost_getpc7930)&4294967295
	s_addc_u32 s15, s15, (.LBB1_23029-.Lpost_getpc7930)>>32
	s_setpc_b64 s[14:15]
.LBB1_8693:
	s_or_saveexec_b64 s[6:7], s[6:7]
	v_mov_b32_e32 v4, s10
	s_xor_b64 exec, exec, s[6:7]
	s_cbranch_execz .LBB1_8694
; %bb.44535:
	s_getpc_b64 s[14:15]
.Lpost_getpc7931:
	s_add_u32 s14, s14, (.LBB1_23032-.Lpost_getpc7931)&4294967295
	s_addc_u32 s15, s15, (.LBB1_23032-.Lpost_getpc7931)>>32
	s_setpc_b64 s[14:15]
.LBB1_8694:
	s_or_b64 exec, exec, s[6:7]
	s_and_saveexec_b64 s[6:7], s[4:5]
	s_cbranch_execz .LBB1_8696
.LBB1_8695:
	v_bfe_u32 v3, v5, 16, 3
	v_ffbh_u32_e32 v7, v3
	v_min_u32_e32 v7, 32, v7
	v_lshrrev_b32_e32 v4, 19, v5
	v_subrev_u32_e32 v8, 28, v7
	v_and_b32_e32 v4, 15, v4
	v_lshlrev_b32_sdwa v8, v8, v5 dst_sel:DWORD dst_unused:UNUSED_PAD src0_sel:DWORD src1_sel:WORD_1
	v_bfe_u32 v6, v5, 19, 4
	v_sub_u32_e32 v7, 29, v7
	v_and_b32_e32 v8, 7, v8
	v_cmp_eq_u16_e32 vcc, 0, v4
	v_cndmask_b32_e32 v3, v3, v8, vcc
	v_cndmask_b32_e32 v4, v6, v7, vcc
	v_lshlrev_b32_e32 v6, 8, v5
	v_mov_b32_e32 v7, 0x3b800000
	v_lshlrev_b32_e32 v3, 20, v3
	v_and_b32_e32 v6, 0x80000000, v6
	v_lshl_add_u32 v4, v4, 23, v7
	v_or3_b32 v4, v6, v4, v3
.LBB1_8696:
	s_or_b64 exec, exec, s[6:7]
	s_nop 0
	v_mfma_f32_16x16x4f32 a[0:3], v2, v4, a[0:3]
	s_movk_i32 s4, 0x7f
	v_cmp_gt_i16_sdwa s[6:7], v9, s4 src0_sel:BYTE_3 src1_sel:DWORD
	s_mov_b64 s[4:5], 0
                                        ; implicit-def: $sgpr10
	s_and_saveexec_b64 s[8:9], s[6:7]
	s_xor_b64 s[6:7], exec, s[8:9]
	s_cbranch_execz .LBB1_8697
; %bb.44537:
	s_getpc_b64 s[14:15]
.Lpost_getpc7932:
	s_add_u32 s14, s14, (.LBB1_23033-.Lpost_getpc7932)&4294967295
	s_addc_u32 s15, s15, (.LBB1_23033-.Lpost_getpc7932)>>32
	s_setpc_b64 s[14:15]
.LBB1_8697:
	s_or_saveexec_b64 s[6:7], s[6:7]
	v_mov_b32_e32 v2, s10
	s_xor_b64 exec, exec, s[6:7]
	s_cbranch_execz .LBB1_8698
; %bb.44539:
	s_getpc_b64 s[14:15]
.Lpost_getpc7933:
	s_add_u32 s14, s14, (.LBB1_23036-.Lpost_getpc7933)&4294967295
	s_addc_u32 s15, s15, (.LBB1_23036-.Lpost_getpc7933)>>32
	s_setpc_b64 s[14:15]
.LBB1_8698:
	s_or_b64 exec, exec, s[6:7]
	s_and_saveexec_b64 s[6:7], s[4:5]
	s_cbranch_execz .LBB1_8700
.LBB1_8699:
	v_bfe_u32 v2, v9, 24, 3
	v_ffbh_u32_e32 v7, v2
	v_min_u32_e32 v7, 32, v7
	v_lshrrev_b32_e32 v4, 27, v9
	v_subrev_u32_e32 v8, 28, v7
	v_and_b32_e32 v4, 15, v4
	v_lshlrev_b32_sdwa v8, v8, v9 dst_sel:DWORD dst_unused:UNUSED_PAD src0_sel:DWORD src1_sel:BYTE_3
	v_bfe_u32 v6, v9, 27, 4
	v_sub_u32_e32 v7, 29, v7
	v_and_b32_e32 v8, 7, v8
	v_cmp_eq_u16_e32 vcc, 0, v4
	v_cndmask_b32_e32 v2, v2, v8, vcc
	v_cndmask_b32_e32 v4, v6, v7, vcc
	v_mov_b32_e32 v6, 0x3b800000
	v_and_b32_e32 v3, 0x80000000, v9
	v_lshlrev_b32_e32 v2, 20, v2
	v_lshl_add_u32 v4, v4, 23, v6
	v_or3_b32 v2, v3, v4, v2
.LBB1_8700:
	s_or_b64 exec, exec, s[6:7]
	s_movk_i32 s4, 0x7f
	v_cmp_gt_i16_sdwa s[6:7], v5, s4 src0_sel:BYTE_3 src1_sel:DWORD
	s_mov_b64 s[4:5], 0
                                        ; implicit-def: $sgpr10
	s_and_saveexec_b64 s[8:9], s[6:7]
	s_xor_b64 s[6:7], exec, s[8:9]
	s_cbranch_execz .LBB1_8701
; %bb.44541:
	s_getpc_b64 s[14:15]
.Lpost_getpc7934:
	s_add_u32 s14, s14, (.LBB1_23037-.Lpost_getpc7934)&4294967295
	s_addc_u32 s15, s15, (.LBB1_23037-.Lpost_getpc7934)>>32
	s_setpc_b64 s[14:15]
.LBB1_8701:
	s_or_saveexec_b64 s[6:7], s[6:7]
	v_mov_b32_e32 v3, s10
	s_xor_b64 exec, exec, s[6:7]
	s_cbranch_execz .LBB1_8702
; %bb.44543:
	s_getpc_b64 s[14:15]
.Lpost_getpc7935:
	s_add_u32 s14, s14, (.LBB1_23040-.Lpost_getpc7935)&4294967295
	s_addc_u32 s15, s15, (.LBB1_23040-.Lpost_getpc7935)>>32
	s_setpc_b64 s[14:15]
.LBB1_8702:
	s_or_b64 exec, exec, s[6:7]
	s_and_saveexec_b64 s[6:7], s[4:5]
	s_cbranch_execz .LBB1_8704
.LBB1_8703:
	v_bfe_u32 v3, v5, 24, 3
	v_ffbh_u32_e32 v8, v3
	v_min_u32_e32 v8, 32, v8
	v_lshrrev_b32_e32 v6, 27, v5
	v_subrev_u32_e32 v9, 28, v8
	v_and_b32_e32 v4, 0x80000000, v5
	v_and_b32_e32 v6, 15, v6
	v_bfe_u32 v7, v5, 27, 4
	v_lshlrev_b32_sdwa v5, v9, v5 dst_sel:DWORD dst_unused:UNUSED_PAD src0_sel:DWORD src1_sel:BYTE_3
	v_sub_u32_e32 v8, 29, v8
	v_and_b32_e32 v5, 7, v5
	v_cmp_eq_u16_e32 vcc, 0, v6
	v_cndmask_b32_e32 v3, v3, v5, vcc
	v_cndmask_b32_e32 v5, v7, v8, vcc
	v_mov_b32_e32 v6, 0x3b800000
	v_lshlrev_b32_e32 v3, 20, v3
	v_lshl_add_u32 v5, v5, 23, v6
	v_or3_b32 v3, v4, v5, v3
.LBB1_8704:
	s_or_b64 exec, exec, s[6:7]
	s_nop 0
	v_mfma_f32_16x16x4f32 a[0:3], v2, v3, a[0:3]
	s_movk_i32 s4, 0x7f
                                        ; implicit-def: $sgpr10
	s_nop 7
	s_nop 1
	flat_store_dwordx4 v[10:11], a[0:3] offset:176
	flat_load_dwordx4 v[12:15], v[0:1]
	s_nop 0
	flat_load_dwordx2 v[10:11], v[0:1] offset:16
	s_waitcnt vmcnt(0) lgkmcnt(0)
	flat_load_dwordx4 v[6:9], v[12:13] offset:128
	flat_load_dwordx4 v[2:5], v[14:15] offset:192
	s_waitcnt vmcnt(0) lgkmcnt(0)
	v_cmp_gt_i16_sdwa s[6:7], v6, s4 src0_sel:BYTE_0 src1_sel:DWORD
	s_mov_b64 s[4:5], 0
	s_and_saveexec_b64 s[8:9], s[6:7]
	s_xor_b64 s[6:7], exec, s[8:9]
	s_cbranch_execz .LBB1_8705
; %bb.44545:
	s_getpc_b64 s[14:15]
.Lpost_getpc7936:
	s_add_u32 s14, s14, (.LBB1_23041-.Lpost_getpc7936)&4294967295
	s_addc_u32 s15, s15, (.LBB1_23041-.Lpost_getpc7936)>>32
	s_setpc_b64 s[14:15]
.LBB1_8705:
	s_or_saveexec_b64 s[6:7], s[6:7]
	v_mov_b32_e32 v12, s10
	s_xor_b64 exec, exec, s[6:7]
	s_cbranch_execz .LBB1_8706
; %bb.44547:
	s_getpc_b64 s[14:15]
.Lpost_getpc7937:
	s_add_u32 s14, s14, (.LBB1_23044-.Lpost_getpc7937)&4294967295
	s_addc_u32 s15, s15, (.LBB1_23044-.Lpost_getpc7937)>>32
	s_setpc_b64 s[14:15]
.LBB1_8706:
	s_or_b64 exec, exec, s[6:7]
	s_and_saveexec_b64 s[6:7], s[4:5]
	s_cbranch_execz .LBB1_8708
.LBB1_8707:
	v_and_b32_e32 v12, 7, v6
	v_ffbh_u32_e32 v14, v12
	v_min_u32_e32 v14, 32, v14
	v_lshrrev_b16_e32 v13, 3, v6
	v_subrev_u32_e32 v15, 28, v14
	v_and_b32_e32 v13, 15, v13
	v_lshlrev_b32_e32 v15, v15, v6
	v_sub_u32_e32 v14, 29, v14
	v_and_b32_e32 v15, 7, v15
	v_cmp_eq_u16_e32 vcc, 0, v13
	v_cndmask_b32_e32 v12, v12, v15, vcc
	v_cndmask_b32_e32 v13, v13, v14, vcc
	v_lshlrev_b32_e32 v14, 24, v6
	v_mov_b32_e32 v15, 0x3b800000
	v_lshlrev_b32_e32 v12, 20, v12
	v_and_b32_e32 v14, 0x80000000, v14
	v_lshl_add_u32 v13, v13, 23, v15
	v_or3_b32 v12, v14, v13, v12
.LBB1_8708:
	s_or_b64 exec, exec, s[6:7]
	s_movk_i32 s4, 0x7f
	v_cmp_gt_i16_sdwa s[6:7], v2, s4 src0_sel:BYTE_0 src1_sel:DWORD
	s_mov_b64 s[4:5], 0
                                        ; implicit-def: $sgpr10
	s_and_saveexec_b64 s[8:9], s[6:7]
	s_xor_b64 s[6:7], exec, s[8:9]
	s_cbranch_execz .LBB1_8709
; %bb.44549:
	s_getpc_b64 s[14:15]
.Lpost_getpc7938:
	s_add_u32 s14, s14, (.LBB1_23045-.Lpost_getpc7938)&4294967295
	s_addc_u32 s15, s15, (.LBB1_23045-.Lpost_getpc7938)>>32
	s_setpc_b64 s[14:15]
.LBB1_8709:
	s_or_saveexec_b64 s[6:7], s[6:7]
	v_mov_b32_e32 v13, s10
	s_xor_b64 exec, exec, s[6:7]
	s_cbranch_execz .LBB1_8710
; %bb.44551:
	s_getpc_b64 s[14:15]
.Lpost_getpc7939:
	s_add_u32 s14, s14, (.LBB1_23048-.Lpost_getpc7939)&4294967295
	s_addc_u32 s15, s15, (.LBB1_23048-.Lpost_getpc7939)>>32
	s_setpc_b64 s[14:15]
.LBB1_8710:
	s_or_b64 exec, exec, s[6:7]
	s_and_saveexec_b64 s[6:7], s[4:5]
	s_cbranch_execz .LBB1_8712
.LBB1_8711:
	v_and_b32_e32 v13, 7, v2
	v_ffbh_u32_e32 v15, v13
	v_min_u32_e32 v15, 32, v15
	v_lshrrev_b16_e32 v14, 3, v2
	v_subrev_u32_e32 v16, 28, v15
	v_and_b32_e32 v14, 15, v14
	v_lshlrev_b32_e32 v16, v16, v2
	v_sub_u32_e32 v15, 29, v15
	v_and_b32_e32 v16, 7, v16
	v_cmp_eq_u16_e32 vcc, 0, v14
	v_cndmask_b32_e32 v13, v13, v16, vcc
	v_cndmask_b32_e32 v14, v14, v15, vcc
	v_lshlrev_b32_e32 v15, 24, v2
	v_mov_b32_e32 v16, 0x3b800000
	v_lshlrev_b32_e32 v13, 20, v13
	v_and_b32_e32 v15, 0x80000000, v15
	v_lshl_add_u32 v14, v14, 23, v16
	v_or3_b32 v13, v15, v14, v13
.LBB1_8712:
	s_or_b64 exec, exec, s[6:7]
	flat_load_dwordx4 a[0:3], v[10:11] offset:192
	s_movk_i32 s4, 0x7f
                                        ; implicit-def: $sgpr10
	s_waitcnt vmcnt(0) lgkmcnt(0)
	v_mfma_f32_16x16x4f32 a[0:3], v12, v13, a[0:3]
	v_lshrrev_b32_e32 v13, 8, v6
	v_cmp_gt_i16_sdwa s[6:7], v13, s4 src0_sel:BYTE_0 src1_sel:DWORD
	s_mov_b64 s[4:5], 0
	s_and_saveexec_b64 s[8:9], s[6:7]
	s_xor_b64 s[6:7], exec, s[8:9]
	s_cbranch_execz .LBB1_8713
; %bb.44553:
	s_getpc_b64 s[14:15]
.Lpost_getpc7940:
	s_add_u32 s14, s14, (.LBB1_23049-.Lpost_getpc7940)&4294967295
	s_addc_u32 s15, s15, (.LBB1_23049-.Lpost_getpc7940)>>32
	s_setpc_b64 s[14:15]
.LBB1_8713:
	s_or_saveexec_b64 s[6:7], s[6:7]
	v_mov_b32_e32 v12, s10
	s_xor_b64 exec, exec, s[6:7]
	s_cbranch_execz .LBB1_8714
; %bb.44555:
	s_getpc_b64 s[14:15]
.Lpost_getpc7941:
	s_add_u32 s14, s14, (.LBB1_23052-.Lpost_getpc7941)&4294967295
	s_addc_u32 s15, s15, (.LBB1_23052-.Lpost_getpc7941)>>32
	s_setpc_b64 s[14:15]
.LBB1_8714:
	s_or_b64 exec, exec, s[6:7]
	s_and_saveexec_b64 s[6:7], s[4:5]
	s_cbranch_execz .LBB1_8716
.LBB1_8715:
	v_bfe_u32 v12, v6, 8, 3
	v_ffbh_u32_e32 v15, v12
	v_min_u32_e32 v15, 32, v15
	v_lshrrev_b16_e32 v14, 3, v13
	v_subrev_u32_e32 v16, 28, v15
	v_and_b32_e32 v14, 15, v14
	v_lshlrev_b32_e32 v13, v16, v13
	v_sub_u32_e32 v15, 29, v15
	v_and_b32_e32 v13, 7, v13
	v_cmp_eq_u16_e32 vcc, 0, v14
	v_cndmask_b32_e32 v12, v12, v13, vcc
	v_cndmask_b32_e32 v13, v14, v15, vcc
	v_lshlrev_b32_e32 v14, 16, v6
	v_mov_b32_e32 v15, 0x3b800000
	v_lshlrev_b32_e32 v12, 20, v12
	v_and_b32_e32 v14, 0x80000000, v14
	v_lshl_add_u32 v13, v13, 23, v15
	v_or3_b32 v12, v14, v13, v12
.LBB1_8716:
	s_or_b64 exec, exec, s[6:7]
	v_lshrrev_b32_e32 v13, 8, v2
	s_movk_i32 s4, 0x7f
	v_cmp_gt_i16_sdwa s[6:7], v13, s4 src0_sel:BYTE_0 src1_sel:DWORD
	s_mov_b64 s[4:5], 0
                                        ; implicit-def: $sgpr10
	s_and_saveexec_b64 s[8:9], s[6:7]
	s_xor_b64 s[6:7], exec, s[8:9]
	s_cbranch_execz .LBB1_8717
; %bb.44557:
	s_getpc_b64 s[14:15]
.Lpost_getpc7942:
	s_add_u32 s14, s14, (.LBB1_23053-.Lpost_getpc7942)&4294967295
	s_addc_u32 s15, s15, (.LBB1_23053-.Lpost_getpc7942)>>32
	s_setpc_b64 s[14:15]
.LBB1_8717:
	s_or_saveexec_b64 s[6:7], s[6:7]
	v_mov_b32_e32 v14, s10
	s_xor_b64 exec, exec, s[6:7]
	s_cbranch_execz .LBB1_8718
; %bb.44559:
	s_getpc_b64 s[14:15]
.Lpost_getpc7943:
	s_add_u32 s14, s14, (.LBB1_23056-.Lpost_getpc7943)&4294967295
	s_addc_u32 s15, s15, (.LBB1_23056-.Lpost_getpc7943)>>32
	s_setpc_b64 s[14:15]
.LBB1_8718:
	s_or_b64 exec, exec, s[6:7]
	s_and_saveexec_b64 s[6:7], s[4:5]
	s_cbranch_execz .LBB1_8720
.LBB1_8719:
	v_bfe_u32 v14, v2, 8, 3
	v_ffbh_u32_e32 v16, v14
	v_min_u32_e32 v16, 32, v16
	v_lshrrev_b16_e32 v15, 3, v13
	v_subrev_u32_e32 v17, 28, v16
	v_and_b32_e32 v15, 15, v15
	v_lshlrev_b32_e32 v13, v17, v13
	v_sub_u32_e32 v16, 29, v16
	v_and_b32_e32 v13, 7, v13
	v_cmp_eq_u16_e32 vcc, 0, v15
	v_cndmask_b32_e32 v13, v14, v13, vcc
	v_cndmask_b32_e32 v14, v15, v16, vcc
	v_lshlrev_b32_e32 v15, 16, v2
	v_mov_b32_e32 v16, 0x3b800000
	v_lshlrev_b32_e32 v13, 20, v13
	v_and_b32_e32 v15, 0x80000000, v15
	v_lshl_add_u32 v14, v14, 23, v16
	v_or3_b32 v14, v15, v14, v13
.LBB1_8720:
	s_or_b64 exec, exec, s[6:7]
	s_nop 0
	v_mfma_f32_16x16x4f32 a[0:3], v12, v14, a[0:3]
	s_movk_i32 s4, 0xff
	v_and_b32_sdwa v13, v6, s4 dst_sel:DWORD dst_unused:UNUSED_PAD src0_sel:WORD_1 src1_sel:DWORD
	s_movk_i32 s4, 0x7f
	v_cmp_lt_i16_e32 vcc, s4, v13
	s_mov_b64 s[4:5], 0
                                        ; implicit-def: $sgpr10
	s_and_saveexec_b64 s[6:7], vcc
	s_xor_b64 s[6:7], exec, s[6:7]
	s_cbranch_execz .LBB1_8721
; %bb.44561:
	s_getpc_b64 s[14:15]
.Lpost_getpc7944:
	s_add_u32 s14, s14, (.LBB1_23057-.Lpost_getpc7944)&4294967295
	s_addc_u32 s15, s15, (.LBB1_23057-.Lpost_getpc7944)>>32
	s_setpc_b64 s[14:15]
.LBB1_8721:
	s_or_saveexec_b64 s[6:7], s[6:7]
	v_mov_b32_e32 v12, s10
	s_xor_b64 exec, exec, s[6:7]
	s_cbranch_execz .LBB1_8722
; %bb.44563:
	s_getpc_b64 s[14:15]
.Lpost_getpc7945:
	s_add_u32 s14, s14, (.LBB1_23060-.Lpost_getpc7945)&4294967295
	s_addc_u32 s15, s15, (.LBB1_23060-.Lpost_getpc7945)>>32
	s_setpc_b64 s[14:15]
.LBB1_8722:
	s_or_b64 exec, exec, s[6:7]
	s_and_saveexec_b64 s[6:7], s[4:5]
	s_cbranch_execz .LBB1_8724
.LBB1_8723:
	v_bfe_u32 v12, v6, 16, 3
	v_ffbh_u32_e32 v15, v12
	v_min_u32_e32 v15, 32, v15
	v_lshrrev_b32_e32 v13, 19, v6
	v_subrev_u32_e32 v16, 28, v15
	v_and_b32_e32 v13, 15, v13
	v_lshlrev_b32_sdwa v16, v16, v6 dst_sel:DWORD dst_unused:UNUSED_PAD src0_sel:DWORD src1_sel:WORD_1
	v_bfe_u32 v14, v6, 19, 4
	v_sub_u32_e32 v15, 29, v15
	v_and_b32_e32 v16, 7, v16
	v_cmp_eq_u16_e32 vcc, 0, v13
	v_cndmask_b32_e32 v12, v12, v16, vcc
	v_cndmask_b32_e32 v13, v14, v15, vcc
	v_lshlrev_b32_e32 v14, 8, v6
	v_mov_b32_e32 v15, 0x3b800000
	v_lshlrev_b32_e32 v12, 20, v12
	v_and_b32_e32 v14, 0x80000000, v14
	v_lshl_add_u32 v13, v13, 23, v15
	v_or3_b32 v12, v14, v13, v12
.LBB1_8724:
	s_or_b64 exec, exec, s[6:7]
	s_movk_i32 s4, 0xff
	v_and_b32_sdwa v13, v2, s4 dst_sel:DWORD dst_unused:UNUSED_PAD src0_sel:WORD_1 src1_sel:DWORD
	s_movk_i32 s4, 0x7f
	v_cmp_lt_i16_e32 vcc, s4, v13
	s_mov_b64 s[4:5], 0
                                        ; implicit-def: $sgpr10
	s_and_saveexec_b64 s[6:7], vcc
	s_xor_b64 s[6:7], exec, s[6:7]
	s_cbranch_execz .LBB1_8725
; %bb.44565:
	s_getpc_b64 s[14:15]
.Lpost_getpc7946:
	s_add_u32 s14, s14, (.LBB1_23061-.Lpost_getpc7946)&4294967295
	s_addc_u32 s15, s15, (.LBB1_23061-.Lpost_getpc7946)>>32
	s_setpc_b64 s[14:15]
.LBB1_8725:
	s_or_saveexec_b64 s[6:7], s[6:7]
	v_mov_b32_e32 v14, s10
	s_xor_b64 exec, exec, s[6:7]
	s_cbranch_execz .LBB1_8726
; %bb.44567:
	s_getpc_b64 s[14:15]
.Lpost_getpc7947:
	s_add_u32 s14, s14, (.LBB1_23064-.Lpost_getpc7947)&4294967295
	s_addc_u32 s15, s15, (.LBB1_23064-.Lpost_getpc7947)>>32
	s_setpc_b64 s[14:15]
.LBB1_8726:
	s_or_b64 exec, exec, s[6:7]
	s_and_saveexec_b64 s[6:7], s[4:5]
	s_cbranch_execz .LBB1_8728
.LBB1_8727:
	v_bfe_u32 v13, v2, 16, 3
	v_ffbh_u32_e32 v16, v13
	v_min_u32_e32 v16, 32, v16
	v_lshrrev_b32_e32 v14, 19, v2
	v_subrev_u32_e32 v17, 28, v16
	v_and_b32_e32 v14, 15, v14
	v_lshlrev_b32_sdwa v17, v17, v2 dst_sel:DWORD dst_unused:UNUSED_PAD src0_sel:DWORD src1_sel:WORD_1
	v_bfe_u32 v15, v2, 19, 4
	v_sub_u32_e32 v16, 29, v16
	v_and_b32_e32 v17, 7, v17
	v_cmp_eq_u16_e32 vcc, 0, v14
	v_cndmask_b32_e32 v13, v13, v17, vcc
	v_cndmask_b32_e32 v14, v15, v16, vcc
	v_lshlrev_b32_e32 v15, 8, v2
	v_mov_b32_e32 v16, 0x3b800000
	v_lshlrev_b32_e32 v13, 20, v13
	v_and_b32_e32 v15, 0x80000000, v15
	v_lshl_add_u32 v14, v14, 23, v16
	v_or3_b32 v14, v15, v14, v13
.LBB1_8728:
	s_or_b64 exec, exec, s[6:7]
	s_nop 0
	v_mfma_f32_16x16x4f32 a[0:3], v12, v14, a[0:3]
	s_movk_i32 s4, 0x7f
	v_cmp_gt_i16_sdwa s[6:7], v6, s4 src0_sel:BYTE_3 src1_sel:DWORD
	s_mov_b64 s[4:5], 0
                                        ; implicit-def: $sgpr10
	s_and_saveexec_b64 s[8:9], s[6:7]
	s_xor_b64 s[6:7], exec, s[8:9]
	s_cbranch_execz .LBB1_8729
; %bb.44569:
	s_getpc_b64 s[14:15]
.Lpost_getpc7948:
	s_add_u32 s14, s14, (.LBB1_23065-.Lpost_getpc7948)&4294967295
	s_addc_u32 s15, s15, (.LBB1_23065-.Lpost_getpc7948)>>32
	s_setpc_b64 s[14:15]
.LBB1_8729:
	s_or_saveexec_b64 s[6:7], s[6:7]
	v_mov_b32_e32 v12, s10
	s_xor_b64 exec, exec, s[6:7]
	s_cbranch_execz .LBB1_8730
; %bb.44571:
	s_getpc_b64 s[14:15]
.Lpost_getpc7949:
	s_add_u32 s14, s14, (.LBB1_23068-.Lpost_getpc7949)&4294967295
	s_addc_u32 s15, s15, (.LBB1_23068-.Lpost_getpc7949)>>32
	s_setpc_b64 s[14:15]
.LBB1_8730:
	s_or_b64 exec, exec, s[6:7]
	s_and_saveexec_b64 s[6:7], s[4:5]
	s_cbranch_execz .LBB1_8732
.LBB1_8731:
	v_bfe_u32 v12, v6, 24, 3
	v_ffbh_u32_e32 v16, v12
	v_min_u32_e32 v16, 32, v16
	v_lshrrev_b32_e32 v14, 27, v6
	v_subrev_u32_e32 v17, 28, v16
	v_and_b32_e32 v13, 0x80000000, v6
	v_and_b32_e32 v14, 15, v14
	v_bfe_u32 v15, v6, 27, 4
	v_lshlrev_b32_sdwa v6, v17, v6 dst_sel:DWORD dst_unused:UNUSED_PAD src0_sel:DWORD src1_sel:BYTE_3
	v_sub_u32_e32 v16, 29, v16
	v_and_b32_e32 v6, 7, v6
	v_cmp_eq_u16_e32 vcc, 0, v14
	v_cndmask_b32_e32 v6, v12, v6, vcc
	v_cndmask_b32_e32 v12, v15, v16, vcc
	v_mov_b32_e32 v14, 0x3b800000
	v_lshlrev_b32_e32 v6, 20, v6
	v_lshl_add_u32 v12, v12, 23, v14
	v_or3_b32 v12, v13, v12, v6
.LBB1_8732:
	s_or_b64 exec, exec, s[6:7]
	s_movk_i32 s4, 0x7f
	v_cmp_gt_i16_sdwa s[6:7], v2, s4 src0_sel:BYTE_3 src1_sel:DWORD
	s_mov_b64 s[4:5], 0
                                        ; implicit-def: $sgpr10
	s_and_saveexec_b64 s[8:9], s[6:7]
	s_xor_b64 s[6:7], exec, s[8:9]
	s_cbranch_execz .LBB1_8733
; %bb.44573:
	s_getpc_b64 s[14:15]
.Lpost_getpc7950:
	s_add_u32 s14, s14, (.LBB1_23069-.Lpost_getpc7950)&4294967295
	s_addc_u32 s15, s15, (.LBB1_23069-.Lpost_getpc7950)>>32
	s_setpc_b64 s[14:15]
.LBB1_8733:
	s_or_saveexec_b64 s[6:7], s[6:7]
	v_mov_b32_e32 v6, s10
	s_xor_b64 exec, exec, s[6:7]
	s_cbranch_execz .LBB1_8734
; %bb.44575:
	s_getpc_b64 s[14:15]
.Lpost_getpc7951:
	s_add_u32 s14, s14, (.LBB1_23072-.Lpost_getpc7951)&4294967295
	s_addc_u32 s15, s15, (.LBB1_23072-.Lpost_getpc7951)>>32
	s_setpc_b64 s[14:15]
.LBB1_8734:
	s_or_b64 exec, exec, s[6:7]
	s_and_saveexec_b64 s[6:7], s[4:5]
	s_cbranch_execz .LBB1_8736
.LBB1_8735:
	v_bfe_u32 v6, v2, 24, 3
	v_ffbh_u32_e32 v16, v6
	v_min_u32_e32 v16, 32, v16
	v_lshrrev_b32_e32 v14, 27, v2
	v_subrev_u32_e32 v17, 28, v16
	v_and_b32_e32 v13, 0x80000000, v2
	v_and_b32_e32 v14, 15, v14
	v_bfe_u32 v15, v2, 27, 4
	v_lshlrev_b32_sdwa v2, v17, v2 dst_sel:DWORD dst_unused:UNUSED_PAD src0_sel:DWORD src1_sel:BYTE_3
	v_sub_u32_e32 v16, 29, v16
	v_and_b32_e32 v2, 7, v2
	v_cmp_eq_u16_e32 vcc, 0, v14
	v_cndmask_b32_e32 v2, v6, v2, vcc
	v_cndmask_b32_e32 v6, v15, v16, vcc
	v_mov_b32_e32 v14, 0x3b800000
	v_lshlrev_b32_e32 v2, 20, v2
	v_lshl_add_u32 v6, v6, 23, v14
	v_or3_b32 v6, v13, v6, v2
.LBB1_8736:
	s_or_b64 exec, exec, s[6:7]
	s_nop 0
	v_mfma_f32_16x16x4f32 a[0:3], v12, v6, a[0:3]
	s_movk_i32 s4, 0x7f
	v_cmp_gt_i16_sdwa s[6:7], v7, s4 src0_sel:BYTE_0 src1_sel:DWORD
	s_mov_b64 s[4:5], 0
                                        ; implicit-def: $sgpr10
	s_and_saveexec_b64 s[8:9], s[6:7]
	s_xor_b64 s[6:7], exec, s[8:9]
	s_cbranch_execz .LBB1_8737
; %bb.44577:
	s_getpc_b64 s[14:15]
.Lpost_getpc7952:
	s_add_u32 s14, s14, (.LBB1_23073-.Lpost_getpc7952)&4294967295
	s_addc_u32 s15, s15, (.LBB1_23073-.Lpost_getpc7952)>>32
	s_setpc_b64 s[14:15]
.LBB1_8737:
	s_or_saveexec_b64 s[6:7], s[6:7]
	v_mov_b32_e32 v2, s10
	s_xor_b64 exec, exec, s[6:7]
	s_cbranch_execz .LBB1_8738
; %bb.44579:
	s_getpc_b64 s[14:15]
.Lpost_getpc7953:
	s_add_u32 s14, s14, (.LBB1_23076-.Lpost_getpc7953)&4294967295
	s_addc_u32 s15, s15, (.LBB1_23076-.Lpost_getpc7953)>>32
	s_setpc_b64 s[14:15]
.LBB1_8738:
	s_or_b64 exec, exec, s[6:7]
	s_and_saveexec_b64 s[6:7], s[4:5]
	s_cbranch_execz .LBB1_8740
.LBB1_8739:
	v_and_b32_e32 v2, 7, v7
	v_ffbh_u32_e32 v12, v2
	v_min_u32_e32 v12, 32, v12
	v_lshrrev_b16_e32 v6, 3, v7
	v_subrev_u32_e32 v13, 28, v12
	v_and_b32_e32 v6, 15, v6
	v_lshlrev_b32_e32 v13, v13, v7
	v_sub_u32_e32 v12, 29, v12
	v_and_b32_e32 v13, 7, v13
	v_cmp_eq_u16_e32 vcc, 0, v6
	v_cndmask_b32_e32 v2, v2, v13, vcc
	v_cndmask_b32_e32 v6, v6, v12, vcc
	v_lshlrev_b32_e32 v12, 24, v7
	v_mov_b32_e32 v13, 0x3b800000
	v_lshlrev_b32_e32 v2, 20, v2
	v_and_b32_e32 v12, 0x80000000, v12
	v_lshl_add_u32 v6, v6, 23, v13
	v_or3_b32 v2, v12, v6, v2
.LBB1_8740:
	s_or_b64 exec, exec, s[6:7]
	s_movk_i32 s4, 0x7f
	v_cmp_gt_i16_sdwa s[6:7], v3, s4 src0_sel:BYTE_0 src1_sel:DWORD
	s_mov_b64 s[4:5], 0
                                        ; implicit-def: $sgpr10
	s_and_saveexec_b64 s[8:9], s[6:7]
	s_xor_b64 s[6:7], exec, s[8:9]
	s_cbranch_execz .LBB1_8741
; %bb.44581:
	s_getpc_b64 s[14:15]
.Lpost_getpc7954:
	s_add_u32 s14, s14, (.LBB1_23077-.Lpost_getpc7954)&4294967295
	s_addc_u32 s15, s15, (.LBB1_23077-.Lpost_getpc7954)>>32
	s_setpc_b64 s[14:15]
.LBB1_8741:
	s_or_saveexec_b64 s[6:7], s[6:7]
	v_mov_b32_e32 v6, s10
	s_xor_b64 exec, exec, s[6:7]
	s_cbranch_execz .LBB1_8742
; %bb.44583:
	s_getpc_b64 s[14:15]
.Lpost_getpc7955:
	s_add_u32 s14, s14, (.LBB1_23080-.Lpost_getpc7955)&4294967295
	s_addc_u32 s15, s15, (.LBB1_23080-.Lpost_getpc7955)>>32
	s_setpc_b64 s[14:15]
.LBB1_8742:
	s_or_b64 exec, exec, s[6:7]
	s_and_saveexec_b64 s[6:7], s[4:5]
	s_cbranch_execz .LBB1_8744
.LBB1_8743:
	v_and_b32_e32 v6, 7, v3
	v_ffbh_u32_e32 v13, v6
	v_min_u32_e32 v13, 32, v13
	v_lshrrev_b16_e32 v12, 3, v3
	v_subrev_u32_e32 v14, 28, v13
	v_and_b32_e32 v12, 15, v12
	v_lshlrev_b32_e32 v14, v14, v3
	v_sub_u32_e32 v13, 29, v13
	v_and_b32_e32 v14, 7, v14
	v_cmp_eq_u16_e32 vcc, 0, v12
	v_cndmask_b32_e32 v6, v6, v14, vcc
	v_cndmask_b32_e32 v12, v12, v13, vcc
	v_lshlrev_b32_e32 v13, 24, v3
	v_mov_b32_e32 v14, 0x3b800000
	v_lshlrev_b32_e32 v6, 20, v6
	v_and_b32_e32 v13, 0x80000000, v13
	v_lshl_add_u32 v12, v12, 23, v14
	v_or3_b32 v6, v13, v12, v6
.LBB1_8744:
	s_or_b64 exec, exec, s[6:7]
	s_nop 0
	v_mfma_f32_16x16x4f32 a[0:3], v2, v6, a[0:3]
	v_lshrrev_b32_e32 v6, 8, v7
	s_movk_i32 s4, 0x7f
	v_cmp_gt_i16_sdwa s[6:7], v6, s4 src0_sel:BYTE_0 src1_sel:DWORD
	s_mov_b64 s[4:5], 0
                                        ; implicit-def: $sgpr10
	s_and_saveexec_b64 s[8:9], s[6:7]
	s_xor_b64 s[6:7], exec, s[8:9]
	s_cbranch_execz .LBB1_8745
; %bb.44585:
	s_getpc_b64 s[14:15]
.Lpost_getpc7956:
	s_add_u32 s14, s14, (.LBB1_23081-.Lpost_getpc7956)&4294967295
	s_addc_u32 s15, s15, (.LBB1_23081-.Lpost_getpc7956)>>32
	s_setpc_b64 s[14:15]
.LBB1_8745:
	s_or_saveexec_b64 s[6:7], s[6:7]
	v_mov_b32_e32 v2, s10
	s_xor_b64 exec, exec, s[6:7]
	s_cbranch_execz .LBB1_8746
; %bb.44587:
	s_getpc_b64 s[14:15]
.Lpost_getpc7957:
	s_add_u32 s14, s14, (.LBB1_23084-.Lpost_getpc7957)&4294967295
	s_addc_u32 s15, s15, (.LBB1_23084-.Lpost_getpc7957)>>32
	s_setpc_b64 s[14:15]
.LBB1_8746:
	s_or_b64 exec, exec, s[6:7]
	s_and_saveexec_b64 s[6:7], s[4:5]
	s_cbranch_execz .LBB1_8748
.LBB1_8747:
	v_bfe_u32 v2, v7, 8, 3
	v_ffbh_u32_e32 v13, v2
	v_min_u32_e32 v13, 32, v13
	v_lshrrev_b16_e32 v12, 3, v6
	v_subrev_u32_e32 v14, 28, v13
	v_and_b32_e32 v12, 15, v12
	v_lshlrev_b32_e32 v6, v14, v6
	v_sub_u32_e32 v13, 29, v13
	v_and_b32_e32 v6, 7, v6
	v_cmp_eq_u16_e32 vcc, 0, v12
	v_cndmask_b32_e32 v2, v2, v6, vcc
	v_cndmask_b32_e32 v6, v12, v13, vcc
	v_lshlrev_b32_e32 v12, 16, v7
	v_mov_b32_e32 v13, 0x3b800000
	v_lshlrev_b32_e32 v2, 20, v2
	v_and_b32_e32 v12, 0x80000000, v12
	v_lshl_add_u32 v6, v6, 23, v13
	v_or3_b32 v2, v12, v6, v2
.LBB1_8748:
	s_or_b64 exec, exec, s[6:7]
	v_lshrrev_b32_e32 v6, 8, v3
	s_movk_i32 s4, 0x7f
	v_cmp_gt_i16_sdwa s[6:7], v6, s4 src0_sel:BYTE_0 src1_sel:DWORD
	s_mov_b64 s[4:5], 0
                                        ; implicit-def: $sgpr10
	s_and_saveexec_b64 s[8:9], s[6:7]
	s_xor_b64 s[6:7], exec, s[8:9]
	s_cbranch_execz .LBB1_8749
; %bb.44589:
	s_getpc_b64 s[14:15]
.Lpost_getpc7958:
	s_add_u32 s14, s14, (.LBB1_23085-.Lpost_getpc7958)&4294967295
	s_addc_u32 s15, s15, (.LBB1_23085-.Lpost_getpc7958)>>32
	s_setpc_b64 s[14:15]
.LBB1_8749:
	s_or_saveexec_b64 s[6:7], s[6:7]
	v_mov_b32_e32 v12, s10
	s_xor_b64 exec, exec, s[6:7]
	s_cbranch_execz .LBB1_8750
; %bb.44591:
	s_getpc_b64 s[14:15]
.Lpost_getpc7959:
	s_add_u32 s14, s14, (.LBB1_23088-.Lpost_getpc7959)&4294967295
	s_addc_u32 s15, s15, (.LBB1_23088-.Lpost_getpc7959)>>32
	s_setpc_b64 s[14:15]
.LBB1_8750:
	s_or_b64 exec, exec, s[6:7]
	s_and_saveexec_b64 s[6:7], s[4:5]
	s_cbranch_execz .LBB1_8752
.LBB1_8751:
	v_bfe_u32 v12, v3, 8, 3
	v_ffbh_u32_e32 v14, v12
	v_min_u32_e32 v14, 32, v14
	v_lshrrev_b16_e32 v13, 3, v6
	v_subrev_u32_e32 v15, 28, v14
	v_and_b32_e32 v13, 15, v13
	v_lshlrev_b32_e32 v6, v15, v6
	v_sub_u32_e32 v14, 29, v14
	v_and_b32_e32 v6, 7, v6
	v_cmp_eq_u16_e32 vcc, 0, v13
	v_cndmask_b32_e32 v6, v12, v6, vcc
	v_cndmask_b32_e32 v12, v13, v14, vcc
	v_lshlrev_b32_e32 v13, 16, v3
	v_mov_b32_e32 v14, 0x3b800000
	v_lshlrev_b32_e32 v6, 20, v6
	v_and_b32_e32 v13, 0x80000000, v13
	v_lshl_add_u32 v12, v12, 23, v14
	v_or3_b32 v12, v13, v12, v6
.LBB1_8752:
	s_or_b64 exec, exec, s[6:7]
	s_nop 0
	v_mfma_f32_16x16x4f32 a[0:3], v2, v12, a[0:3]
	s_movk_i32 s4, 0xff
	v_and_b32_sdwa v6, v7, s4 dst_sel:DWORD dst_unused:UNUSED_PAD src0_sel:WORD_1 src1_sel:DWORD
	s_movk_i32 s4, 0x7f
	v_cmp_lt_i16_e32 vcc, s4, v6
	s_mov_b64 s[4:5], 0
                                        ; implicit-def: $sgpr10
	s_and_saveexec_b64 s[6:7], vcc
	s_xor_b64 s[6:7], exec, s[6:7]
	s_cbranch_execz .LBB1_8753
; %bb.44593:
	s_getpc_b64 s[14:15]
.Lpost_getpc7960:
	s_add_u32 s14, s14, (.LBB1_23089-.Lpost_getpc7960)&4294967295
	s_addc_u32 s15, s15, (.LBB1_23089-.Lpost_getpc7960)>>32
	s_setpc_b64 s[14:15]
.LBB1_8753:
	s_or_saveexec_b64 s[6:7], s[6:7]
	v_mov_b32_e32 v2, s10
	s_xor_b64 exec, exec, s[6:7]
	s_cbranch_execz .LBB1_8754
; %bb.44595:
	s_getpc_b64 s[14:15]
.Lpost_getpc7961:
	s_add_u32 s14, s14, (.LBB1_23092-.Lpost_getpc7961)&4294967295
	s_addc_u32 s15, s15, (.LBB1_23092-.Lpost_getpc7961)>>32
	s_setpc_b64 s[14:15]
.LBB1_8754:
	s_or_b64 exec, exec, s[6:7]
	s_and_saveexec_b64 s[6:7], s[4:5]
	s_cbranch_execz .LBB1_8756
.LBB1_8755:
	v_bfe_u32 v2, v7, 16, 3
	v_ffbh_u32_e32 v13, v2
	v_min_u32_e32 v13, 32, v13
	v_lshrrev_b32_e32 v6, 19, v7
	v_subrev_u32_e32 v14, 28, v13
	v_and_b32_e32 v6, 15, v6
	v_lshlrev_b32_sdwa v14, v14, v7 dst_sel:DWORD dst_unused:UNUSED_PAD src0_sel:DWORD src1_sel:WORD_1
	v_bfe_u32 v12, v7, 19, 4
	v_sub_u32_e32 v13, 29, v13
	v_and_b32_e32 v14, 7, v14
	v_cmp_eq_u16_e32 vcc, 0, v6
	v_cndmask_b32_e32 v2, v2, v14, vcc
	v_cndmask_b32_e32 v6, v12, v13, vcc
	v_lshlrev_b32_e32 v12, 8, v7
	v_mov_b32_e32 v13, 0x3b800000
	v_lshlrev_b32_e32 v2, 20, v2
	v_and_b32_e32 v12, 0x80000000, v12
	v_lshl_add_u32 v6, v6, 23, v13
	v_or3_b32 v2, v12, v6, v2
.LBB1_8756:
	s_or_b64 exec, exec, s[6:7]
	s_movk_i32 s4, 0xff
	v_and_b32_sdwa v6, v3, s4 dst_sel:DWORD dst_unused:UNUSED_PAD src0_sel:WORD_1 src1_sel:DWORD
	s_movk_i32 s4, 0x7f
	v_cmp_lt_i16_e32 vcc, s4, v6
	s_mov_b64 s[4:5], 0
                                        ; implicit-def: $sgpr10
	s_and_saveexec_b64 s[6:7], vcc
	s_xor_b64 s[6:7], exec, s[6:7]
	s_cbranch_execz .LBB1_8757
; %bb.44597:
	s_getpc_b64 s[14:15]
.Lpost_getpc7962:
	s_add_u32 s14, s14, (.LBB1_23093-.Lpost_getpc7962)&4294967295
	s_addc_u32 s15, s15, (.LBB1_23093-.Lpost_getpc7962)>>32
	s_setpc_b64 s[14:15]
.LBB1_8757:
	s_or_saveexec_b64 s[6:7], s[6:7]
	v_mov_b32_e32 v12, s10
	s_xor_b64 exec, exec, s[6:7]
	s_cbranch_execz .LBB1_8758
; %bb.44599:
	s_getpc_b64 s[14:15]
.Lpost_getpc7963:
	s_add_u32 s14, s14, (.LBB1_23096-.Lpost_getpc7963)&4294967295
	s_addc_u32 s15, s15, (.LBB1_23096-.Lpost_getpc7963)>>32
	s_setpc_b64 s[14:15]
.LBB1_8758:
	s_or_b64 exec, exec, s[6:7]
	s_and_saveexec_b64 s[6:7], s[4:5]
	s_cbranch_execz .LBB1_8760
.LBB1_8759:
	v_bfe_u32 v6, v3, 16, 3
	v_ffbh_u32_e32 v14, v6
	v_min_u32_e32 v14, 32, v14
	v_lshrrev_b32_e32 v12, 19, v3
	v_subrev_u32_e32 v15, 28, v14
	v_and_b32_e32 v12, 15, v12
	v_lshlrev_b32_sdwa v15, v15, v3 dst_sel:DWORD dst_unused:UNUSED_PAD src0_sel:DWORD src1_sel:WORD_1
	v_bfe_u32 v13, v3, 19, 4
	v_sub_u32_e32 v14, 29, v14
	v_and_b32_e32 v15, 7, v15
	v_cmp_eq_u16_e32 vcc, 0, v12
	v_cndmask_b32_e32 v6, v6, v15, vcc
	v_cndmask_b32_e32 v12, v13, v14, vcc
	v_lshlrev_b32_e32 v13, 8, v3
	v_mov_b32_e32 v14, 0x3b800000
	v_lshlrev_b32_e32 v6, 20, v6
	v_and_b32_e32 v13, 0x80000000, v13
	v_lshl_add_u32 v12, v12, 23, v14
	v_or3_b32 v12, v13, v12, v6
.LBB1_8760:
	s_or_b64 exec, exec, s[6:7]
	s_nop 0
	v_mfma_f32_16x16x4f32 a[0:3], v2, v12, a[0:3]
	s_movk_i32 s4, 0x7f
	v_cmp_gt_i16_sdwa s[6:7], v7, s4 src0_sel:BYTE_3 src1_sel:DWORD
	s_mov_b64 s[4:5], 0
                                        ; implicit-def: $sgpr10
	s_and_saveexec_b64 s[8:9], s[6:7]
	s_xor_b64 s[6:7], exec, s[8:9]
	s_cbranch_execz .LBB1_8761
; %bb.44601:
	s_getpc_b64 s[14:15]
.Lpost_getpc7964:
	s_add_u32 s14, s14, (.LBB1_23097-.Lpost_getpc7964)&4294967295
	s_addc_u32 s15, s15, (.LBB1_23097-.Lpost_getpc7964)>>32
	s_setpc_b64 s[14:15]
.LBB1_8761:
	s_or_saveexec_b64 s[6:7], s[6:7]
	v_mov_b32_e32 v2, s10
	s_xor_b64 exec, exec, s[6:7]
	s_cbranch_execz .LBB1_8762
; %bb.44603:
	s_getpc_b64 s[14:15]
.Lpost_getpc7965:
	s_add_u32 s14, s14, (.LBB1_23100-.Lpost_getpc7965)&4294967295
	s_addc_u32 s15, s15, (.LBB1_23100-.Lpost_getpc7965)>>32
	s_setpc_b64 s[14:15]
.LBB1_8762:
	s_or_b64 exec, exec, s[6:7]
	s_and_saveexec_b64 s[6:7], s[4:5]
	s_cbranch_execz .LBB1_8764
.LBB1_8763:
	v_bfe_u32 v2, v7, 24, 3
	v_ffbh_u32_e32 v14, v2
	v_min_u32_e32 v14, 32, v14
	v_lshrrev_b32_e32 v12, 27, v7
	v_subrev_u32_e32 v15, 28, v14
	v_and_b32_e32 v6, 0x80000000, v7
	v_and_b32_e32 v12, 15, v12
	v_bfe_u32 v13, v7, 27, 4
	v_lshlrev_b32_sdwa v7, v15, v7 dst_sel:DWORD dst_unused:UNUSED_PAD src0_sel:DWORD src1_sel:BYTE_3
	v_sub_u32_e32 v14, 29, v14
	v_and_b32_e32 v7, 7, v7
	v_cmp_eq_u16_e32 vcc, 0, v12
	v_cndmask_b32_e32 v2, v2, v7, vcc
	v_cndmask_b32_e32 v7, v13, v14, vcc
	v_mov_b32_e32 v12, 0x3b800000
	v_lshlrev_b32_e32 v2, 20, v2
	v_lshl_add_u32 v7, v7, 23, v12
	v_or3_b32 v2, v6, v7, v2
.LBB1_8764:
	s_or_b64 exec, exec, s[6:7]
	s_movk_i32 s4, 0x7f
	v_cmp_gt_i16_sdwa s[6:7], v3, s4 src0_sel:BYTE_3 src1_sel:DWORD
	s_mov_b64 s[4:5], 0
                                        ; implicit-def: $sgpr10
	s_and_saveexec_b64 s[8:9], s[6:7]
	s_xor_b64 s[6:7], exec, s[8:9]
	s_cbranch_execz .LBB1_8765
; %bb.44605:
	s_getpc_b64 s[14:15]
.Lpost_getpc7966:
	s_add_u32 s14, s14, (.LBB1_23101-.Lpost_getpc7966)&4294967295
	s_addc_u32 s15, s15, (.LBB1_23101-.Lpost_getpc7966)>>32
	s_setpc_b64 s[14:15]
.LBB1_8765:
	s_or_saveexec_b64 s[6:7], s[6:7]
	v_mov_b32_e32 v6, s10
	s_xor_b64 exec, exec, s[6:7]
	s_cbranch_execz .LBB1_8766
; %bb.44607:
	s_getpc_b64 s[14:15]
.Lpost_getpc7967:
	s_add_u32 s14, s14, (.LBB1_23104-.Lpost_getpc7967)&4294967295
	s_addc_u32 s15, s15, (.LBB1_23104-.Lpost_getpc7967)>>32
	s_setpc_b64 s[14:15]
.LBB1_8766:
	s_or_b64 exec, exec, s[6:7]
	s_and_saveexec_b64 s[6:7], s[4:5]
	s_cbranch_execz .LBB1_8768
.LBB1_8767:
	v_bfe_u32 v6, v3, 24, 3
	v_ffbh_u32_e32 v14, v6
	v_min_u32_e32 v14, 32, v14
	v_lshrrev_b32_e32 v12, 27, v3
	v_subrev_u32_e32 v15, 28, v14
	v_and_b32_e32 v7, 0x80000000, v3
	v_and_b32_e32 v12, 15, v12
	v_bfe_u32 v13, v3, 27, 4
	v_lshlrev_b32_sdwa v3, v15, v3 dst_sel:DWORD dst_unused:UNUSED_PAD src0_sel:DWORD src1_sel:BYTE_3
	v_sub_u32_e32 v14, 29, v14
	v_and_b32_e32 v3, 7, v3
	v_cmp_eq_u16_e32 vcc, 0, v12
	v_cndmask_b32_e32 v3, v6, v3, vcc
	v_cndmask_b32_e32 v6, v13, v14, vcc
	v_mov_b32_e32 v12, 0x3b800000
	v_lshlrev_b32_e32 v3, 20, v3
	v_lshl_add_u32 v6, v6, 23, v12
	v_or3_b32 v6, v7, v6, v3
.LBB1_8768:
	s_or_b64 exec, exec, s[6:7]
	s_nop 0
	v_mfma_f32_16x16x4f32 a[0:3], v2, v6, a[0:3]
	s_movk_i32 s4, 0x7f
	v_cmp_gt_i16_sdwa s[6:7], v8, s4 src0_sel:BYTE_0 src1_sel:DWORD
	s_mov_b64 s[4:5], 0
                                        ; implicit-def: $sgpr10
	s_and_saveexec_b64 s[8:9], s[6:7]
	s_xor_b64 s[6:7], exec, s[8:9]
	s_cbranch_execz .LBB1_8769
; %bb.44609:
	s_getpc_b64 s[14:15]
.Lpost_getpc7968:
	s_add_u32 s14, s14, (.LBB1_23105-.Lpost_getpc7968)&4294967295
	s_addc_u32 s15, s15, (.LBB1_23105-.Lpost_getpc7968)>>32
	s_setpc_b64 s[14:15]
.LBB1_8769:
	s_or_saveexec_b64 s[6:7], s[6:7]
	v_mov_b32_e32 v2, s10
	s_xor_b64 exec, exec, s[6:7]
	s_cbranch_execz .LBB1_8770
; %bb.44611:
	s_getpc_b64 s[14:15]
.Lpost_getpc7969:
	s_add_u32 s14, s14, (.LBB1_23108-.Lpost_getpc7969)&4294967295
	s_addc_u32 s15, s15, (.LBB1_23108-.Lpost_getpc7969)>>32
	s_setpc_b64 s[14:15]
.LBB1_8770:
	s_or_b64 exec, exec, s[6:7]
	s_and_saveexec_b64 s[6:7], s[4:5]
	s_cbranch_execz .LBB1_8772
.LBB1_8771:
	v_and_b32_e32 v2, 7, v8
	v_ffbh_u32_e32 v6, v2
	v_min_u32_e32 v6, 32, v6
	v_lshrrev_b16_e32 v3, 3, v8
	v_subrev_u32_e32 v7, 28, v6
	v_and_b32_e32 v3, 15, v3
	v_lshlrev_b32_e32 v7, v7, v8
	v_sub_u32_e32 v6, 29, v6
	v_and_b32_e32 v7, 7, v7
	v_cmp_eq_u16_e32 vcc, 0, v3
	v_cndmask_b32_e32 v2, v2, v7, vcc
	v_cndmask_b32_e32 v3, v3, v6, vcc
	v_lshlrev_b32_e32 v6, 24, v8
	v_mov_b32_e32 v7, 0x3b800000
	v_lshlrev_b32_e32 v2, 20, v2
	v_and_b32_e32 v6, 0x80000000, v6
	v_lshl_add_u32 v3, v3, 23, v7
	v_or3_b32 v2, v6, v3, v2
.LBB1_8772:
	s_or_b64 exec, exec, s[6:7]
	s_movk_i32 s4, 0x7f
	v_cmp_gt_i16_sdwa s[6:7], v4, s4 src0_sel:BYTE_0 src1_sel:DWORD
	s_mov_b64 s[4:5], 0
                                        ; implicit-def: $sgpr10
	s_and_saveexec_b64 s[8:9], s[6:7]
	s_xor_b64 s[6:7], exec, s[8:9]
	s_cbranch_execz .LBB1_8773
; %bb.44613:
	s_getpc_b64 s[14:15]
.Lpost_getpc7970:
	s_add_u32 s14, s14, (.LBB1_23109-.Lpost_getpc7970)&4294967295
	s_addc_u32 s15, s15, (.LBB1_23109-.Lpost_getpc7970)>>32
	s_setpc_b64 s[14:15]
.LBB1_8773:
	s_or_saveexec_b64 s[6:7], s[6:7]
	v_mov_b32_e32 v3, s10
	s_xor_b64 exec, exec, s[6:7]
	s_cbranch_execz .LBB1_8774
; %bb.44615:
	s_getpc_b64 s[14:15]
.Lpost_getpc7971:
	s_add_u32 s14, s14, (.LBB1_23112-.Lpost_getpc7971)&4294967295
	s_addc_u32 s15, s15, (.LBB1_23112-.Lpost_getpc7971)>>32
	s_setpc_b64 s[14:15]
.LBB1_8774:
	s_or_b64 exec, exec, s[6:7]
	s_and_saveexec_b64 s[6:7], s[4:5]
	s_cbranch_execz .LBB1_8776
.LBB1_8775:
	v_and_b32_e32 v3, 7, v4
	v_ffbh_u32_e32 v7, v3
	v_min_u32_e32 v7, 32, v7
	v_lshrrev_b16_e32 v6, 3, v4
	v_subrev_u32_e32 v12, 28, v7
	v_and_b32_e32 v6, 15, v6
	v_lshlrev_b32_e32 v12, v12, v4
	v_sub_u32_e32 v7, 29, v7
	v_and_b32_e32 v12, 7, v12
	v_cmp_eq_u16_e32 vcc, 0, v6
	v_cndmask_b32_e32 v3, v3, v12, vcc
	v_cndmask_b32_e32 v6, v6, v7, vcc
	v_lshlrev_b32_e32 v7, 24, v4
	v_mov_b32_e32 v12, 0x3b800000
	v_lshlrev_b32_e32 v3, 20, v3
	v_and_b32_e32 v7, 0x80000000, v7
	v_lshl_add_u32 v6, v6, 23, v12
	v_or3_b32 v3, v7, v6, v3
.LBB1_8776:
	s_or_b64 exec, exec, s[6:7]
	s_nop 0
	v_mfma_f32_16x16x4f32 a[0:3], v2, v3, a[0:3]
	v_lshrrev_b32_e32 v3, 8, v8
	s_movk_i32 s4, 0x7f
	v_cmp_gt_i16_sdwa s[6:7], v3, s4 src0_sel:BYTE_0 src1_sel:DWORD
	s_mov_b64 s[4:5], 0
                                        ; implicit-def: $sgpr10
	s_and_saveexec_b64 s[8:9], s[6:7]
	s_xor_b64 s[6:7], exec, s[8:9]
	s_cbranch_execz .LBB1_8777
; %bb.44617:
	s_getpc_b64 s[14:15]
.Lpost_getpc7972:
	s_add_u32 s14, s14, (.LBB1_23113-.Lpost_getpc7972)&4294967295
	s_addc_u32 s15, s15, (.LBB1_23113-.Lpost_getpc7972)>>32
	s_setpc_b64 s[14:15]
.LBB1_8777:
	s_or_saveexec_b64 s[6:7], s[6:7]
	v_mov_b32_e32 v2, s10
	s_xor_b64 exec, exec, s[6:7]
	s_cbranch_execz .LBB1_8778
; %bb.44619:
	s_getpc_b64 s[14:15]
.Lpost_getpc7973:
	s_add_u32 s14, s14, (.LBB1_23116-.Lpost_getpc7973)&4294967295
	s_addc_u32 s15, s15, (.LBB1_23116-.Lpost_getpc7973)>>32
	s_setpc_b64 s[14:15]
.LBB1_8778:
	s_or_b64 exec, exec, s[6:7]
	s_and_saveexec_b64 s[6:7], s[4:5]
	s_cbranch_execz .LBB1_8780
.LBB1_8779:
	v_bfe_u32 v2, v8, 8, 3
	v_ffbh_u32_e32 v7, v2
	v_min_u32_e32 v7, 32, v7
	v_lshrrev_b16_e32 v6, 3, v3
	v_subrev_u32_e32 v12, 28, v7
	v_and_b32_e32 v6, 15, v6
	v_lshlrev_b32_e32 v3, v12, v3
	v_sub_u32_e32 v7, 29, v7
	v_and_b32_e32 v3, 7, v3
	v_cmp_eq_u16_e32 vcc, 0, v6
	v_cndmask_b32_e32 v2, v2, v3, vcc
	v_cndmask_b32_e32 v3, v6, v7, vcc
	v_lshlrev_b32_e32 v6, 16, v8
	v_mov_b32_e32 v7, 0x3b800000
	v_lshlrev_b32_e32 v2, 20, v2
	v_and_b32_e32 v6, 0x80000000, v6
	v_lshl_add_u32 v3, v3, 23, v7
	v_or3_b32 v2, v6, v3, v2
.LBB1_8780:
	s_or_b64 exec, exec, s[6:7]
	v_lshrrev_b32_e32 v3, 8, v4
	s_movk_i32 s4, 0x7f
	v_cmp_gt_i16_sdwa s[6:7], v3, s4 src0_sel:BYTE_0 src1_sel:DWORD
	s_mov_b64 s[4:5], 0
                                        ; implicit-def: $sgpr10
	s_and_saveexec_b64 s[8:9], s[6:7]
	s_xor_b64 s[6:7], exec, s[8:9]
	s_cbranch_execz .LBB1_8781
; %bb.44621:
	s_getpc_b64 s[14:15]
.Lpost_getpc7974:
	s_add_u32 s14, s14, (.LBB1_23117-.Lpost_getpc7974)&4294967295
	s_addc_u32 s15, s15, (.LBB1_23117-.Lpost_getpc7974)>>32
	s_setpc_b64 s[14:15]
.LBB1_8781:
	s_or_saveexec_b64 s[6:7], s[6:7]
	v_mov_b32_e32 v6, s10
	s_xor_b64 exec, exec, s[6:7]
	s_cbranch_execz .LBB1_8782
; %bb.44623:
	s_getpc_b64 s[14:15]
.Lpost_getpc7975:
	s_add_u32 s14, s14, (.LBB1_23120-.Lpost_getpc7975)&4294967295
	s_addc_u32 s15, s15, (.LBB1_23120-.Lpost_getpc7975)>>32
	s_setpc_b64 s[14:15]
.LBB1_8782:
	s_or_b64 exec, exec, s[6:7]
	s_and_saveexec_b64 s[6:7], s[4:5]
	s_cbranch_execz .LBB1_8784
.LBB1_8783:
	v_bfe_u32 v6, v4, 8, 3
	v_ffbh_u32_e32 v12, v6
	v_min_u32_e32 v12, 32, v12
	v_lshrrev_b16_e32 v7, 3, v3
	v_subrev_u32_e32 v13, 28, v12
	v_and_b32_e32 v7, 15, v7
	v_lshlrev_b32_e32 v3, v13, v3
	v_sub_u32_e32 v12, 29, v12
	v_and_b32_e32 v3, 7, v3
	v_cmp_eq_u16_e32 vcc, 0, v7
	v_cndmask_b32_e32 v3, v6, v3, vcc
	v_cndmask_b32_e32 v6, v7, v12, vcc
	v_lshlrev_b32_e32 v7, 16, v4
	v_mov_b32_e32 v12, 0x3b800000
	v_lshlrev_b32_e32 v3, 20, v3
	v_and_b32_e32 v7, 0x80000000, v7
	v_lshl_add_u32 v6, v6, 23, v12
	v_or3_b32 v6, v7, v6, v3
.LBB1_8784:
	s_or_b64 exec, exec, s[6:7]
	s_nop 0
	v_mfma_f32_16x16x4f32 a[0:3], v2, v6, a[0:3]
	s_movk_i32 s4, 0xff
	v_and_b32_sdwa v3, v8, s4 dst_sel:DWORD dst_unused:UNUSED_PAD src0_sel:WORD_1 src1_sel:DWORD
	s_movk_i32 s4, 0x7f
	v_cmp_lt_i16_e32 vcc, s4, v3
	s_mov_b64 s[4:5], 0
                                        ; implicit-def: $sgpr10
	s_and_saveexec_b64 s[6:7], vcc
	s_xor_b64 s[6:7], exec, s[6:7]
	s_cbranch_execz .LBB1_8785
; %bb.44625:
	s_getpc_b64 s[14:15]
.Lpost_getpc7976:
	s_add_u32 s14, s14, (.LBB1_23121-.Lpost_getpc7976)&4294967295
	s_addc_u32 s15, s15, (.LBB1_23121-.Lpost_getpc7976)>>32
	s_setpc_b64 s[14:15]
.LBB1_8785:
	s_or_saveexec_b64 s[6:7], s[6:7]
	v_mov_b32_e32 v2, s10
	s_xor_b64 exec, exec, s[6:7]
	s_cbranch_execz .LBB1_8786
; %bb.44627:
	s_getpc_b64 s[14:15]
.Lpost_getpc7977:
	s_add_u32 s14, s14, (.LBB1_23124-.Lpost_getpc7977)&4294967295
	s_addc_u32 s15, s15, (.LBB1_23124-.Lpost_getpc7977)>>32
	s_setpc_b64 s[14:15]
.LBB1_8786:
	s_or_b64 exec, exec, s[6:7]
	s_and_saveexec_b64 s[6:7], s[4:5]
	s_cbranch_execz .LBB1_8788
.LBB1_8787:
	v_bfe_u32 v2, v8, 16, 3
	v_ffbh_u32_e32 v7, v2
	v_min_u32_e32 v7, 32, v7
	v_lshrrev_b32_e32 v3, 19, v8
	v_subrev_u32_e32 v12, 28, v7
	v_and_b32_e32 v3, 15, v3
	v_lshlrev_b32_sdwa v12, v12, v8 dst_sel:DWORD dst_unused:UNUSED_PAD src0_sel:DWORD src1_sel:WORD_1
	v_bfe_u32 v6, v8, 19, 4
	v_sub_u32_e32 v7, 29, v7
	v_and_b32_e32 v12, 7, v12
	v_cmp_eq_u16_e32 vcc, 0, v3
	v_cndmask_b32_e32 v2, v2, v12, vcc
	v_cndmask_b32_e32 v3, v6, v7, vcc
	v_lshlrev_b32_e32 v6, 8, v8
	v_mov_b32_e32 v7, 0x3b800000
	v_lshlrev_b32_e32 v2, 20, v2
	v_and_b32_e32 v6, 0x80000000, v6
	v_lshl_add_u32 v3, v3, 23, v7
	v_or3_b32 v2, v6, v3, v2
.LBB1_8788:
	s_or_b64 exec, exec, s[6:7]
	s_movk_i32 s4, 0xff
	v_and_b32_sdwa v3, v4, s4 dst_sel:DWORD dst_unused:UNUSED_PAD src0_sel:WORD_1 src1_sel:DWORD
	s_movk_i32 s4, 0x7f
	v_cmp_lt_i16_e32 vcc, s4, v3
	s_mov_b64 s[4:5], 0
                                        ; implicit-def: $sgpr10
	s_and_saveexec_b64 s[6:7], vcc
	s_xor_b64 s[6:7], exec, s[6:7]
	s_cbranch_execz .LBB1_8789
; %bb.44629:
	s_getpc_b64 s[14:15]
.Lpost_getpc7978:
	s_add_u32 s14, s14, (.LBB1_23125-.Lpost_getpc7978)&4294967295
	s_addc_u32 s15, s15, (.LBB1_23125-.Lpost_getpc7978)>>32
	s_setpc_b64 s[14:15]
.LBB1_8789:
	s_or_saveexec_b64 s[6:7], s[6:7]
	v_mov_b32_e32 v6, s10
	s_xor_b64 exec, exec, s[6:7]
	s_cbranch_execz .LBB1_8790
; %bb.44631:
	s_getpc_b64 s[14:15]
.Lpost_getpc7979:
	s_add_u32 s14, s14, (.LBB1_23128-.Lpost_getpc7979)&4294967295
	s_addc_u32 s15, s15, (.LBB1_23128-.Lpost_getpc7979)>>32
	s_setpc_b64 s[14:15]
.LBB1_8790:
	s_or_b64 exec, exec, s[6:7]
	s_and_saveexec_b64 s[6:7], s[4:5]
	s_cbranch_execz .LBB1_8792
.LBB1_8791:
	v_bfe_u32 v3, v4, 16, 3
	v_ffbh_u32_e32 v12, v3
	v_min_u32_e32 v12, 32, v12
	v_lshrrev_b32_e32 v6, 19, v4
	v_subrev_u32_e32 v13, 28, v12
	v_and_b32_e32 v6, 15, v6
	v_lshlrev_b32_sdwa v13, v13, v4 dst_sel:DWORD dst_unused:UNUSED_PAD src0_sel:DWORD src1_sel:WORD_1
	v_bfe_u32 v7, v4, 19, 4
	v_sub_u32_e32 v12, 29, v12
	v_and_b32_e32 v13, 7, v13
	v_cmp_eq_u16_e32 vcc, 0, v6
	v_cndmask_b32_e32 v3, v3, v13, vcc
	v_cndmask_b32_e32 v6, v7, v12, vcc
	v_lshlrev_b32_e32 v7, 8, v4
	v_mov_b32_e32 v12, 0x3b800000
	v_lshlrev_b32_e32 v3, 20, v3
	v_and_b32_e32 v7, 0x80000000, v7
	v_lshl_add_u32 v6, v6, 23, v12
	v_or3_b32 v6, v7, v6, v3
.LBB1_8792:
	s_or_b64 exec, exec, s[6:7]
	s_nop 0
	v_mfma_f32_16x16x4f32 a[0:3], v2, v6, a[0:3]
	s_movk_i32 s4, 0x7f
	v_cmp_gt_i16_sdwa s[6:7], v8, s4 src0_sel:BYTE_3 src1_sel:DWORD
	s_mov_b64 s[4:5], 0
                                        ; implicit-def: $sgpr10
	s_and_saveexec_b64 s[8:9], s[6:7]
	s_xor_b64 s[6:7], exec, s[8:9]
	s_cbranch_execz .LBB1_8793
; %bb.44633:
	s_getpc_b64 s[14:15]
.Lpost_getpc7980:
	s_add_u32 s14, s14, (.LBB1_23129-.Lpost_getpc7980)&4294967295
	s_addc_u32 s15, s15, (.LBB1_23129-.Lpost_getpc7980)>>32
	s_setpc_b64 s[14:15]
.LBB1_8793:
	s_or_saveexec_b64 s[6:7], s[6:7]
	v_mov_b32_e32 v2, s10
	s_xor_b64 exec, exec, s[6:7]
	s_cbranch_execz .LBB1_8794
; %bb.44635:
	s_getpc_b64 s[14:15]
.Lpost_getpc7981:
	s_add_u32 s14, s14, (.LBB1_23132-.Lpost_getpc7981)&4294967295
	s_addc_u32 s15, s15, (.LBB1_23132-.Lpost_getpc7981)>>32
	s_setpc_b64 s[14:15]
.LBB1_8794:
	s_or_b64 exec, exec, s[6:7]
	s_and_saveexec_b64 s[6:7], s[4:5]
	s_cbranch_execz .LBB1_8796
.LBB1_8795:
	v_bfe_u32 v2, v8, 24, 3
	v_ffbh_u32_e32 v12, v2
	v_min_u32_e32 v12, 32, v12
	v_lshrrev_b32_e32 v6, 27, v8
	v_subrev_u32_e32 v13, 28, v12
	v_and_b32_e32 v3, 0x80000000, v8
	v_and_b32_e32 v6, 15, v6
	v_bfe_u32 v7, v8, 27, 4
	v_lshlrev_b32_sdwa v8, v13, v8 dst_sel:DWORD dst_unused:UNUSED_PAD src0_sel:DWORD src1_sel:BYTE_3
	v_sub_u32_e32 v12, 29, v12
	v_and_b32_e32 v8, 7, v8
	v_cmp_eq_u16_e32 vcc, 0, v6
	v_cndmask_b32_e32 v2, v2, v8, vcc
	v_cndmask_b32_e32 v6, v7, v12, vcc
	v_mov_b32_e32 v7, 0x3b800000
	v_lshlrev_b32_e32 v2, 20, v2
	v_lshl_add_u32 v6, v6, 23, v7
	v_or3_b32 v2, v3, v6, v2
.LBB1_8796:
	s_or_b64 exec, exec, s[6:7]
	s_movk_i32 s4, 0x7f
	v_cmp_gt_i16_sdwa s[6:7], v4, s4 src0_sel:BYTE_3 src1_sel:DWORD
	s_mov_b64 s[4:5], 0
                                        ; implicit-def: $sgpr10
	s_and_saveexec_b64 s[8:9], s[6:7]
	s_xor_b64 s[6:7], exec, s[8:9]
	s_cbranch_execz .LBB1_8797
; %bb.44637:
	s_getpc_b64 s[14:15]
.Lpost_getpc7982:
	s_add_u32 s14, s14, (.LBB1_23133-.Lpost_getpc7982)&4294967295
	s_addc_u32 s15, s15, (.LBB1_23133-.Lpost_getpc7982)>>32
	s_setpc_b64 s[14:15]
.LBB1_8797:
	s_or_saveexec_b64 s[6:7], s[6:7]
	v_mov_b32_e32 v3, s10
	s_xor_b64 exec, exec, s[6:7]
	s_cbranch_execz .LBB1_8798
; %bb.44639:
	s_getpc_b64 s[14:15]
.Lpost_getpc7983:
	s_add_u32 s14, s14, (.LBB1_23136-.Lpost_getpc7983)&4294967295
	s_addc_u32 s15, s15, (.LBB1_23136-.Lpost_getpc7983)>>32
	s_setpc_b64 s[14:15]
.LBB1_8798:
	s_or_b64 exec, exec, s[6:7]
	s_and_saveexec_b64 s[6:7], s[4:5]
	s_cbranch_execz .LBB1_8800
.LBB1_8799:
	v_bfe_u32 v3, v4, 24, 3
	v_ffbh_u32_e32 v12, v3
	v_min_u32_e32 v12, 32, v12
	v_lshrrev_b32_e32 v7, 27, v4
	v_subrev_u32_e32 v13, 28, v12
	v_and_b32_e32 v6, 0x80000000, v4
	v_and_b32_e32 v7, 15, v7
	v_bfe_u32 v8, v4, 27, 4
	v_lshlrev_b32_sdwa v4, v13, v4 dst_sel:DWORD dst_unused:UNUSED_PAD src0_sel:DWORD src1_sel:BYTE_3
	v_sub_u32_e32 v12, 29, v12
	v_and_b32_e32 v4, 7, v4
	v_cmp_eq_u16_e32 vcc, 0, v7
	v_cndmask_b32_e32 v3, v3, v4, vcc
	v_cndmask_b32_e32 v4, v8, v12, vcc
	v_mov_b32_e32 v7, 0x3b800000
	v_lshlrev_b32_e32 v3, 20, v3
	v_lshl_add_u32 v4, v4, 23, v7
	v_or3_b32 v3, v6, v4, v3
.LBB1_8800:
	s_or_b64 exec, exec, s[6:7]
	s_nop 0
	v_mfma_f32_16x16x4f32 a[0:3], v2, v3, a[0:3]
	s_movk_i32 s4, 0x7f
	v_cmp_gt_i16_sdwa s[6:7], v9, s4 src0_sel:BYTE_0 src1_sel:DWORD
	s_mov_b64 s[4:5], 0
                                        ; implicit-def: $sgpr10
	s_and_saveexec_b64 s[8:9], s[6:7]
	s_xor_b64 s[6:7], exec, s[8:9]
	s_cbranch_execz .LBB1_8801
; %bb.44641:
	s_getpc_b64 s[14:15]
.Lpost_getpc7984:
	s_add_u32 s14, s14, (.LBB1_23137-.Lpost_getpc7984)&4294967295
	s_addc_u32 s15, s15, (.LBB1_23137-.Lpost_getpc7984)>>32
	s_setpc_b64 s[14:15]
.LBB1_8801:
	s_or_saveexec_b64 s[6:7], s[6:7]
	v_mov_b32_e32 v2, s10
	s_xor_b64 exec, exec, s[6:7]
	s_cbranch_execz .LBB1_8802
; %bb.44643:
	s_getpc_b64 s[14:15]
.Lpost_getpc7985:
	s_add_u32 s14, s14, (.LBB1_23140-.Lpost_getpc7985)&4294967295
	s_addc_u32 s15, s15, (.LBB1_23140-.Lpost_getpc7985)>>32
	s_setpc_b64 s[14:15]
.LBB1_8802:
	s_or_b64 exec, exec, s[6:7]
	s_and_saveexec_b64 s[6:7], s[4:5]
	s_cbranch_execz .LBB1_8804
.LBB1_8803:
	v_mov_b32_e32 v2, 8
	v_and_b32_e32 v3, 7, v9
	v_lshrrev_b32_sdwa v2, v2, v9 dst_sel:BYTE_1 dst_unused:UNUSED_PAD src0_sel:DWORD src1_sel:DWORD
	v_ffbh_u32_e32 v4, v3
	v_or_b32_sdwa v2, v9, v2 dst_sel:DWORD dst_unused:UNUSED_PAD src0_sel:BYTE_0 src1_sel:DWORD
	v_min_u32_e32 v4, 32, v4
	v_lshrrev_b16_e32 v2, 3, v2
	v_subrev_u32_e32 v6, 28, v4
	v_and_b32_e32 v2, 15, v2
	v_lshlrev_b32_e32 v6, v6, v9
	v_sub_u32_e32 v4, 29, v4
	v_and_b32_e32 v6, 7, v6
	v_cmp_eq_u16_e32 vcc, 0, v2
	v_cndmask_b32_e32 v3, v3, v6, vcc
	v_cndmask_b32_e32 v2, v2, v4, vcc
	v_lshlrev_b32_e32 v4, 24, v9
	v_mov_b32_e32 v6, 0x3b800000
	v_lshlrev_b32_e32 v3, 20, v3
	v_and_b32_e32 v4, 0x80000000, v4
	v_lshl_add_u32 v2, v2, 23, v6
	v_or3_b32 v2, v4, v2, v3
.LBB1_8804:
	s_or_b64 exec, exec, s[6:7]
	s_movk_i32 s4, 0x7f
	v_cmp_gt_i16_sdwa s[6:7], v5, s4 src0_sel:BYTE_0 src1_sel:DWORD
	s_mov_b64 s[4:5], 0
                                        ; implicit-def: $sgpr10
	s_and_saveexec_b64 s[8:9], s[6:7]
	s_xor_b64 s[6:7], exec, s[8:9]
	s_cbranch_execz .LBB1_8805
; %bb.44645:
	s_getpc_b64 s[14:15]
.Lpost_getpc7986:
	s_add_u32 s14, s14, (.LBB1_23141-.Lpost_getpc7986)&4294967295
	s_addc_u32 s15, s15, (.LBB1_23141-.Lpost_getpc7986)>>32
	s_setpc_b64 s[14:15]
.LBB1_8805:
	s_or_saveexec_b64 s[6:7], s[6:7]
	v_mov_b32_e32 v3, s10
	s_xor_b64 exec, exec, s[6:7]
	s_cbranch_execz .LBB1_8806
; %bb.44647:
	s_getpc_b64 s[14:15]
.Lpost_getpc7987:
	s_add_u32 s14, s14, (.LBB1_23144-.Lpost_getpc7987)&4294967295
	s_addc_u32 s15, s15, (.LBB1_23144-.Lpost_getpc7987)>>32
	s_setpc_b64 s[14:15]
.LBB1_8806:
	s_or_b64 exec, exec, s[6:7]
	s_and_saveexec_b64 s[6:7], s[4:5]
	s_cbranch_execz .LBB1_8808
.LBB1_8807:
	v_mov_b32_e32 v3, 8
	v_and_b32_e32 v4, 7, v5
	v_lshrrev_b32_sdwa v3, v3, v5 dst_sel:BYTE_1 dst_unused:UNUSED_PAD src0_sel:DWORD src1_sel:DWORD
	v_ffbh_u32_e32 v6, v4
	v_or_b32_sdwa v3, v5, v3 dst_sel:DWORD dst_unused:UNUSED_PAD src0_sel:BYTE_0 src1_sel:DWORD
	v_min_u32_e32 v6, 32, v6
	v_lshrrev_b16_e32 v3, 3, v3
	v_subrev_u32_e32 v7, 28, v6
	v_and_b32_e32 v3, 15, v3
	v_lshlrev_b32_e32 v7, v7, v5
	v_sub_u32_e32 v6, 29, v6
	v_and_b32_e32 v7, 7, v7
	v_cmp_eq_u16_e32 vcc, 0, v3
	v_cndmask_b32_e32 v4, v4, v7, vcc
	v_cndmask_b32_e32 v3, v3, v6, vcc
	v_lshlrev_b32_e32 v6, 24, v5
	v_mov_b32_e32 v7, 0x3b800000
	v_lshlrev_b32_e32 v4, 20, v4
	v_and_b32_e32 v6, 0x80000000, v6
	v_lshl_add_u32 v3, v3, 23, v7
	v_or3_b32 v3, v6, v3, v4
.LBB1_8808:
	s_or_b64 exec, exec, s[6:7]
	s_nop 0
	v_mfma_f32_16x16x4f32 a[0:3], v2, v3, a[0:3]
	v_lshrrev_b32_e32 v3, 8, v9
	s_movk_i32 s4, 0x7f
	v_cmp_gt_i16_sdwa s[6:7], v3, s4 src0_sel:BYTE_0 src1_sel:DWORD
	s_mov_b64 s[4:5], 0
                                        ; implicit-def: $sgpr10
	s_and_saveexec_b64 s[8:9], s[6:7]
	s_xor_b64 s[6:7], exec, s[8:9]
	s_cbranch_execz .LBB1_8809
; %bb.44649:
	s_getpc_b64 s[14:15]
.Lpost_getpc7988:
	s_add_u32 s14, s14, (.LBB1_23145-.Lpost_getpc7988)&4294967295
	s_addc_u32 s15, s15, (.LBB1_23145-.Lpost_getpc7988)>>32
	s_setpc_b64 s[14:15]
.LBB1_8809:
	s_or_saveexec_b64 s[6:7], s[6:7]
	v_mov_b32_e32 v2, s10
	s_xor_b64 exec, exec, s[6:7]
	s_cbranch_execz .LBB1_8810
; %bb.44651:
	s_getpc_b64 s[14:15]
.Lpost_getpc7989:
	s_add_u32 s14, s14, (.LBB1_23148-.Lpost_getpc7989)&4294967295
	s_addc_u32 s15, s15, (.LBB1_23148-.Lpost_getpc7989)>>32
	s_setpc_b64 s[14:15]
.LBB1_8810:
	s_or_b64 exec, exec, s[6:7]
	s_and_saveexec_b64 s[6:7], s[4:5]
	s_cbranch_execz .LBB1_8812
.LBB1_8811:
	v_bfe_u32 v2, v9, 8, 3
	v_ffbh_u32_e32 v6, v2
	v_min_u32_e32 v6, 32, v6
	v_lshrrev_b16_e32 v4, 3, v3
	v_subrev_u32_e32 v7, 28, v6
	v_and_b32_e32 v4, 15, v4
	v_lshlrev_b32_e32 v3, v7, v3
	v_sub_u32_e32 v6, 29, v6
	v_and_b32_e32 v3, 7, v3
	v_cmp_eq_u16_e32 vcc, 0, v4
	v_cndmask_b32_e32 v2, v2, v3, vcc
	v_cndmask_b32_e32 v3, v4, v6, vcc
	v_lshlrev_b32_e32 v4, 16, v9
	v_mov_b32_e32 v6, 0x3b800000
	v_lshlrev_b32_e32 v2, 20, v2
	v_and_b32_e32 v4, 0x80000000, v4
	v_lshl_add_u32 v3, v3, 23, v6
	v_or3_b32 v2, v4, v3, v2
.LBB1_8812:
	s_or_b64 exec, exec, s[6:7]
	v_lshrrev_b32_e32 v3, 8, v5
	s_movk_i32 s4, 0x7f
	v_cmp_gt_i16_sdwa s[6:7], v3, s4 src0_sel:BYTE_0 src1_sel:DWORD
	s_mov_b64 s[4:5], 0
                                        ; implicit-def: $sgpr10
	s_and_saveexec_b64 s[8:9], s[6:7]
	s_xor_b64 s[6:7], exec, s[8:9]
	s_cbranch_execz .LBB1_8813
; %bb.44653:
	s_getpc_b64 s[14:15]
.Lpost_getpc7990:
	s_add_u32 s14, s14, (.LBB1_23149-.Lpost_getpc7990)&4294967295
	s_addc_u32 s15, s15, (.LBB1_23149-.Lpost_getpc7990)>>32
	s_setpc_b64 s[14:15]
.LBB1_8813:
	s_or_saveexec_b64 s[6:7], s[6:7]
	v_mov_b32_e32 v4, s10
	s_xor_b64 exec, exec, s[6:7]
	s_cbranch_execz .LBB1_8814
; %bb.44655:
	s_getpc_b64 s[14:15]
.Lpost_getpc7991:
	s_add_u32 s14, s14, (.LBB1_23152-.Lpost_getpc7991)&4294967295
	s_addc_u32 s15, s15, (.LBB1_23152-.Lpost_getpc7991)>>32
	s_setpc_b64 s[14:15]
.LBB1_8814:
	s_or_b64 exec, exec, s[6:7]
	s_and_saveexec_b64 s[6:7], s[4:5]
	s_cbranch_execz .LBB1_8816
.LBB1_8815:
	v_bfe_u32 v4, v5, 8, 3
	v_ffbh_u32_e32 v7, v4
	v_min_u32_e32 v7, 32, v7
	v_lshrrev_b16_e32 v6, 3, v3
	v_subrev_u32_e32 v8, 28, v7
	v_and_b32_e32 v6, 15, v6
	v_lshlrev_b32_e32 v3, v8, v3
	v_sub_u32_e32 v7, 29, v7
	v_and_b32_e32 v3, 7, v3
	v_cmp_eq_u16_e32 vcc, 0, v6
	v_cndmask_b32_e32 v3, v4, v3, vcc
	v_cndmask_b32_e32 v4, v6, v7, vcc
	v_lshlrev_b32_e32 v6, 16, v5
	v_mov_b32_e32 v7, 0x3b800000
	v_lshlrev_b32_e32 v3, 20, v3
	v_and_b32_e32 v6, 0x80000000, v6
	v_lshl_add_u32 v4, v4, 23, v7
	v_or3_b32 v4, v6, v4, v3
.LBB1_8816:
	s_or_b64 exec, exec, s[6:7]
	s_nop 0
	v_mfma_f32_16x16x4f32 a[0:3], v2, v4, a[0:3]
	s_movk_i32 s4, 0xff
	v_and_b32_sdwa v3, v9, s4 dst_sel:DWORD dst_unused:UNUSED_PAD src0_sel:WORD_1 src1_sel:DWORD
	s_movk_i32 s4, 0x7f
	v_cmp_lt_i16_e32 vcc, s4, v3
	s_mov_b64 s[4:5], 0
                                        ; implicit-def: $sgpr10
	s_and_saveexec_b64 s[6:7], vcc
	s_xor_b64 s[6:7], exec, s[6:7]
	s_cbranch_execz .LBB1_8817
; %bb.44657:
	s_getpc_b64 s[14:15]
.Lpost_getpc7992:
	s_add_u32 s14, s14, (.LBB1_23153-.Lpost_getpc7992)&4294967295
	s_addc_u32 s15, s15, (.LBB1_23153-.Lpost_getpc7992)>>32
	s_setpc_b64 s[14:15]
.LBB1_8817:
	s_or_saveexec_b64 s[6:7], s[6:7]
	v_mov_b32_e32 v2, s10
	s_xor_b64 exec, exec, s[6:7]
	s_cbranch_execz .LBB1_8818
; %bb.44659:
	s_getpc_b64 s[14:15]
.Lpost_getpc7993:
	s_add_u32 s14, s14, (.LBB1_23156-.Lpost_getpc7993)&4294967295
	s_addc_u32 s15, s15, (.LBB1_23156-.Lpost_getpc7993)>>32
	s_setpc_b64 s[14:15]
.LBB1_8818:
	s_or_b64 exec, exec, s[6:7]
	s_and_saveexec_b64 s[6:7], s[4:5]
	s_cbranch_execz .LBB1_8820
.LBB1_8819:
	v_bfe_u32 v2, v9, 16, 3
	v_ffbh_u32_e32 v6, v2
	v_min_u32_e32 v6, 32, v6
	v_lshrrev_b32_e32 v3, 19, v9
	v_subrev_u32_e32 v7, 28, v6
	v_and_b32_e32 v3, 15, v3
	v_lshlrev_b32_sdwa v7, v7, v9 dst_sel:DWORD dst_unused:UNUSED_PAD src0_sel:DWORD src1_sel:WORD_1
	v_bfe_u32 v4, v9, 19, 4
	v_sub_u32_e32 v6, 29, v6
	v_and_b32_e32 v7, 7, v7
	v_cmp_eq_u16_e32 vcc, 0, v3
	v_cndmask_b32_e32 v2, v2, v7, vcc
	v_cndmask_b32_e32 v3, v4, v6, vcc
	v_lshlrev_b32_e32 v4, 8, v9
	v_mov_b32_e32 v6, 0x3b800000
	v_lshlrev_b32_e32 v2, 20, v2
	v_and_b32_e32 v4, 0x80000000, v4
	v_lshl_add_u32 v3, v3, 23, v6
	v_or3_b32 v2, v4, v3, v2
.LBB1_8820:
	s_or_b64 exec, exec, s[6:7]
	s_movk_i32 s4, 0xff
	v_and_b32_sdwa v3, v5, s4 dst_sel:DWORD dst_unused:UNUSED_PAD src0_sel:WORD_1 src1_sel:DWORD
	s_movk_i32 s4, 0x7f
	v_cmp_lt_i16_e32 vcc, s4, v3
	s_mov_b64 s[4:5], 0
                                        ; implicit-def: $sgpr10
	s_and_saveexec_b64 s[6:7], vcc
	s_xor_b64 s[6:7], exec, s[6:7]
	s_cbranch_execz .LBB1_8821
; %bb.44661:
	s_getpc_b64 s[14:15]
.Lpost_getpc7994:
	s_add_u32 s14, s14, (.LBB1_23157-.Lpost_getpc7994)&4294967295
	s_addc_u32 s15, s15, (.LBB1_23157-.Lpost_getpc7994)>>32
	s_setpc_b64 s[14:15]
.LBB1_8821:
	s_or_saveexec_b64 s[6:7], s[6:7]
	v_mov_b32_e32 v4, s10
	s_xor_b64 exec, exec, s[6:7]
	s_cbranch_execz .LBB1_8822
; %bb.44663:
	s_getpc_b64 s[14:15]
.Lpost_getpc7995:
	s_add_u32 s14, s14, (.LBB1_23160-.Lpost_getpc7995)&4294967295
	s_addc_u32 s15, s15, (.LBB1_23160-.Lpost_getpc7995)>>32
	s_setpc_b64 s[14:15]
.LBB1_8822:
	s_or_b64 exec, exec, s[6:7]
	s_and_saveexec_b64 s[6:7], s[4:5]
	s_cbranch_execz .LBB1_8824
.LBB1_8823:
	v_bfe_u32 v3, v5, 16, 3
	v_ffbh_u32_e32 v7, v3
	v_min_u32_e32 v7, 32, v7
	v_lshrrev_b32_e32 v4, 19, v5
	v_subrev_u32_e32 v8, 28, v7
	v_and_b32_e32 v4, 15, v4
	v_lshlrev_b32_sdwa v8, v8, v5 dst_sel:DWORD dst_unused:UNUSED_PAD src0_sel:DWORD src1_sel:WORD_1
	v_bfe_u32 v6, v5, 19, 4
	v_sub_u32_e32 v7, 29, v7
	v_and_b32_e32 v8, 7, v8
	v_cmp_eq_u16_e32 vcc, 0, v4
	v_cndmask_b32_e32 v3, v3, v8, vcc
	v_cndmask_b32_e32 v4, v6, v7, vcc
	v_lshlrev_b32_e32 v6, 8, v5
	v_mov_b32_e32 v7, 0x3b800000
	v_lshlrev_b32_e32 v3, 20, v3
	v_and_b32_e32 v6, 0x80000000, v6
	v_lshl_add_u32 v4, v4, 23, v7
	v_or3_b32 v4, v6, v4, v3
.LBB1_8824:
	s_or_b64 exec, exec, s[6:7]
	s_nop 0
	v_mfma_f32_16x16x4f32 a[0:3], v2, v4, a[0:3]
	s_movk_i32 s4, 0x7f
	v_cmp_gt_i16_sdwa s[6:7], v9, s4 src0_sel:BYTE_3 src1_sel:DWORD
	s_mov_b64 s[4:5], 0
                                        ; implicit-def: $sgpr10
	s_and_saveexec_b64 s[8:9], s[6:7]
	s_xor_b64 s[6:7], exec, s[8:9]
	s_cbranch_execz .LBB1_8825
; %bb.44665:
	s_getpc_b64 s[14:15]
.Lpost_getpc7996:
	s_add_u32 s14, s14, (.LBB1_23161-.Lpost_getpc7996)&4294967295
	s_addc_u32 s15, s15, (.LBB1_23161-.Lpost_getpc7996)>>32
	s_setpc_b64 s[14:15]
.LBB1_8825:
	s_or_saveexec_b64 s[6:7], s[6:7]
	v_mov_b32_e32 v2, s10
	s_xor_b64 exec, exec, s[6:7]
	s_cbranch_execz .LBB1_8826
; %bb.44667:
	s_getpc_b64 s[14:15]
.Lpost_getpc7997:
	s_add_u32 s14, s14, (.LBB1_23164-.Lpost_getpc7997)&4294967295
	s_addc_u32 s15, s15, (.LBB1_23164-.Lpost_getpc7997)>>32
	s_setpc_b64 s[14:15]
.LBB1_8826:
	s_or_b64 exec, exec, s[6:7]
	s_and_saveexec_b64 s[6:7], s[4:5]
	s_cbranch_execz .LBB1_8828
.LBB1_8827:
	v_bfe_u32 v2, v9, 24, 3
	v_ffbh_u32_e32 v7, v2
	v_min_u32_e32 v7, 32, v7
	v_lshrrev_b32_e32 v4, 27, v9
	v_subrev_u32_e32 v8, 28, v7
	v_and_b32_e32 v4, 15, v4
	v_lshlrev_b32_sdwa v8, v8, v9 dst_sel:DWORD dst_unused:UNUSED_PAD src0_sel:DWORD src1_sel:BYTE_3
	v_bfe_u32 v6, v9, 27, 4
	v_sub_u32_e32 v7, 29, v7
	v_and_b32_e32 v8, 7, v8
	v_cmp_eq_u16_e32 vcc, 0, v4
	v_cndmask_b32_e32 v2, v2, v8, vcc
	v_cndmask_b32_e32 v4, v6, v7, vcc
	v_mov_b32_e32 v6, 0x3b800000
	v_and_b32_e32 v3, 0x80000000, v9
	v_lshlrev_b32_e32 v2, 20, v2
	v_lshl_add_u32 v4, v4, 23, v6
	v_or3_b32 v2, v3, v4, v2
.LBB1_8828:
	s_or_b64 exec, exec, s[6:7]
	s_movk_i32 s4, 0x7f
	v_cmp_gt_i16_sdwa s[6:7], v5, s4 src0_sel:BYTE_3 src1_sel:DWORD
	s_mov_b64 s[4:5], 0
                                        ; implicit-def: $sgpr10
	s_and_saveexec_b64 s[8:9], s[6:7]
	s_xor_b64 s[6:7], exec, s[8:9]
	s_cbranch_execz .LBB1_8829
; %bb.44669:
	s_getpc_b64 s[14:15]
.Lpost_getpc7998:
	s_add_u32 s14, s14, (.LBB1_23165-.Lpost_getpc7998)&4294967295
	s_addc_u32 s15, s15, (.LBB1_23165-.Lpost_getpc7998)>>32
	s_setpc_b64 s[14:15]
.LBB1_8829:
	s_or_saveexec_b64 s[6:7], s[6:7]
	v_mov_b32_e32 v3, s10
	s_xor_b64 exec, exec, s[6:7]
	s_cbranch_execz .LBB1_8830
; %bb.44671:
	s_getpc_b64 s[14:15]
.Lpost_getpc7999:
	s_add_u32 s14, s14, (.LBB1_23168-.Lpost_getpc7999)&4294967295
	s_addc_u32 s15, s15, (.LBB1_23168-.Lpost_getpc7999)>>32
	s_setpc_b64 s[14:15]
.LBB1_8830:
	s_or_b64 exec, exec, s[6:7]
	s_and_saveexec_b64 s[6:7], s[4:5]
	s_cbranch_execz .LBB1_8832
.LBB1_8831:
	v_bfe_u32 v3, v5, 24, 3
	v_ffbh_u32_e32 v8, v3
	v_min_u32_e32 v8, 32, v8
	v_lshrrev_b32_e32 v6, 27, v5
	v_subrev_u32_e32 v9, 28, v8
	v_and_b32_e32 v4, 0x80000000, v5
	v_and_b32_e32 v6, 15, v6
	v_bfe_u32 v7, v5, 27, 4
	v_lshlrev_b32_sdwa v5, v9, v5 dst_sel:DWORD dst_unused:UNUSED_PAD src0_sel:DWORD src1_sel:BYTE_3
	v_sub_u32_e32 v8, 29, v8
	v_and_b32_e32 v5, 7, v5
	v_cmp_eq_u16_e32 vcc, 0, v6
	v_cndmask_b32_e32 v3, v3, v5, vcc
	v_cndmask_b32_e32 v5, v7, v8, vcc
	v_mov_b32_e32 v6, 0x3b800000
	v_lshlrev_b32_e32 v3, 20, v3
	v_lshl_add_u32 v5, v5, 23, v6
	v_or3_b32 v3, v4, v5, v3
.LBB1_8832:
	s_or_b64 exec, exec, s[6:7]
	s_nop 0
	v_mfma_f32_16x16x4f32 a[0:3], v2, v3, a[0:3]
	s_movk_i32 s4, 0x7f
                                        ; implicit-def: $sgpr10
	s_nop 7
	s_nop 1
	flat_store_dwordx4 v[10:11], a[0:3] offset:192
	flat_load_dwordx4 v[12:15], v[0:1]
	s_nop 0
	flat_load_dwordx2 v[10:11], v[0:1] offset:16
	s_waitcnt vmcnt(0) lgkmcnt(0)
	flat_load_dwordx4 v[6:9], v[12:13] offset:128
	flat_load_dwordx4 v[2:5], v[14:15] offset:208
	s_waitcnt vmcnt(0) lgkmcnt(0)
	v_cmp_gt_i16_sdwa s[6:7], v6, s4 src0_sel:BYTE_0 src1_sel:DWORD
	s_mov_b64 s[4:5], 0
	s_and_saveexec_b64 s[8:9], s[6:7]
	s_xor_b64 s[6:7], exec, s[8:9]
	s_cbranch_execz .LBB1_8833
; %bb.44673:
	s_getpc_b64 s[14:15]
.Lpost_getpc8000:
	s_add_u32 s14, s14, (.LBB1_23169-.Lpost_getpc8000)&4294967295
	s_addc_u32 s15, s15, (.LBB1_23169-.Lpost_getpc8000)>>32
	s_setpc_b64 s[14:15]
.LBB1_8833:
	s_or_saveexec_b64 s[6:7], s[6:7]
	v_mov_b32_e32 v12, s10
	s_xor_b64 exec, exec, s[6:7]
	s_cbranch_execz .LBB1_8834
; %bb.44675:
	s_getpc_b64 s[14:15]
.Lpost_getpc8001:
	s_add_u32 s14, s14, (.LBB1_23172-.Lpost_getpc8001)&4294967295
	s_addc_u32 s15, s15, (.LBB1_23172-.Lpost_getpc8001)>>32
	s_setpc_b64 s[14:15]
.LBB1_8834:
	s_or_b64 exec, exec, s[6:7]
	s_and_saveexec_b64 s[6:7], s[4:5]
	s_cbranch_execz .LBB1_8836
.LBB1_8835:
	v_and_b32_e32 v12, 7, v6
	v_ffbh_u32_e32 v14, v12
	v_min_u32_e32 v14, 32, v14
	v_lshrrev_b16_e32 v13, 3, v6
	v_subrev_u32_e32 v15, 28, v14
	v_and_b32_e32 v13, 15, v13
	v_lshlrev_b32_e32 v15, v15, v6
	v_sub_u32_e32 v14, 29, v14
	v_and_b32_e32 v15, 7, v15
	v_cmp_eq_u16_e32 vcc, 0, v13
	v_cndmask_b32_e32 v12, v12, v15, vcc
	v_cndmask_b32_e32 v13, v13, v14, vcc
	v_lshlrev_b32_e32 v14, 24, v6
	v_mov_b32_e32 v15, 0x3b800000
	v_lshlrev_b32_e32 v12, 20, v12
	v_and_b32_e32 v14, 0x80000000, v14
	v_lshl_add_u32 v13, v13, 23, v15
	v_or3_b32 v12, v14, v13, v12
.LBB1_8836:
	s_or_b64 exec, exec, s[6:7]
	s_movk_i32 s4, 0x7f
	v_cmp_gt_i16_sdwa s[6:7], v2, s4 src0_sel:BYTE_0 src1_sel:DWORD
	s_mov_b64 s[4:5], 0
                                        ; implicit-def: $sgpr10
	s_and_saveexec_b64 s[8:9], s[6:7]
	s_xor_b64 s[6:7], exec, s[8:9]
	s_cbranch_execz .LBB1_8837
; %bb.44677:
	s_getpc_b64 s[14:15]
.Lpost_getpc8002:
	s_add_u32 s14, s14, (.LBB1_23173-.Lpost_getpc8002)&4294967295
	s_addc_u32 s15, s15, (.LBB1_23173-.Lpost_getpc8002)>>32
	s_setpc_b64 s[14:15]
.LBB1_8837:
	s_or_saveexec_b64 s[6:7], s[6:7]
	v_mov_b32_e32 v13, s10
	s_xor_b64 exec, exec, s[6:7]
	s_cbranch_execz .LBB1_8838
; %bb.44679:
	s_getpc_b64 s[14:15]
.Lpost_getpc8003:
	s_add_u32 s14, s14, (.LBB1_23176-.Lpost_getpc8003)&4294967295
	s_addc_u32 s15, s15, (.LBB1_23176-.Lpost_getpc8003)>>32
	s_setpc_b64 s[14:15]
.LBB1_8838:
	s_or_b64 exec, exec, s[6:7]
	s_and_saveexec_b64 s[6:7], s[4:5]
	s_cbranch_execz .LBB1_8840
.LBB1_8839:
	v_and_b32_e32 v13, 7, v2
	v_ffbh_u32_e32 v15, v13
	v_min_u32_e32 v15, 32, v15
	v_lshrrev_b16_e32 v14, 3, v2
	v_subrev_u32_e32 v16, 28, v15
	v_and_b32_e32 v14, 15, v14
	v_lshlrev_b32_e32 v16, v16, v2
	v_sub_u32_e32 v15, 29, v15
	v_and_b32_e32 v16, 7, v16
	v_cmp_eq_u16_e32 vcc, 0, v14
	v_cndmask_b32_e32 v13, v13, v16, vcc
	v_cndmask_b32_e32 v14, v14, v15, vcc
	v_lshlrev_b32_e32 v15, 24, v2
	v_mov_b32_e32 v16, 0x3b800000
	v_lshlrev_b32_e32 v13, 20, v13
	v_and_b32_e32 v15, 0x80000000, v15
	v_lshl_add_u32 v14, v14, 23, v16
	v_or3_b32 v13, v15, v14, v13
.LBB1_8840:
	s_or_b64 exec, exec, s[6:7]
	flat_load_dwordx4 a[0:3], v[10:11] offset:208
	s_movk_i32 s4, 0x7f
                                        ; implicit-def: $sgpr10
	s_waitcnt vmcnt(0) lgkmcnt(0)
	v_mfma_f32_16x16x4f32 a[0:3], v12, v13, a[0:3]
	v_lshrrev_b32_e32 v13, 8, v6
	v_cmp_gt_i16_sdwa s[6:7], v13, s4 src0_sel:BYTE_0 src1_sel:DWORD
	s_mov_b64 s[4:5], 0
	s_and_saveexec_b64 s[8:9], s[6:7]
	s_xor_b64 s[6:7], exec, s[8:9]
	s_cbranch_execz .LBB1_8841
; %bb.44681:
	s_getpc_b64 s[14:15]
.Lpost_getpc8004:
	s_add_u32 s14, s14, (.LBB1_23177-.Lpost_getpc8004)&4294967295
	s_addc_u32 s15, s15, (.LBB1_23177-.Lpost_getpc8004)>>32
	s_setpc_b64 s[14:15]
.LBB1_8841:
	s_or_saveexec_b64 s[6:7], s[6:7]
	v_mov_b32_e32 v12, s10
	s_xor_b64 exec, exec, s[6:7]
	s_cbranch_execz .LBB1_8842
; %bb.44683:
	s_getpc_b64 s[14:15]
.Lpost_getpc8005:
	s_add_u32 s14, s14, (.LBB1_23180-.Lpost_getpc8005)&4294967295
	s_addc_u32 s15, s15, (.LBB1_23180-.Lpost_getpc8005)>>32
	s_setpc_b64 s[14:15]
.LBB1_8842:
	s_or_b64 exec, exec, s[6:7]
	s_and_saveexec_b64 s[6:7], s[4:5]
	s_cbranch_execz .LBB1_8844
.LBB1_8843:
	v_bfe_u32 v12, v6, 8, 3
	v_ffbh_u32_e32 v15, v12
	v_min_u32_e32 v15, 32, v15
	v_lshrrev_b16_e32 v14, 3, v13
	v_subrev_u32_e32 v16, 28, v15
	v_and_b32_e32 v14, 15, v14
	v_lshlrev_b32_e32 v13, v16, v13
	v_sub_u32_e32 v15, 29, v15
	v_and_b32_e32 v13, 7, v13
	v_cmp_eq_u16_e32 vcc, 0, v14
	v_cndmask_b32_e32 v12, v12, v13, vcc
	v_cndmask_b32_e32 v13, v14, v15, vcc
	v_lshlrev_b32_e32 v14, 16, v6
	v_mov_b32_e32 v15, 0x3b800000
	v_lshlrev_b32_e32 v12, 20, v12
	v_and_b32_e32 v14, 0x80000000, v14
	v_lshl_add_u32 v13, v13, 23, v15
	v_or3_b32 v12, v14, v13, v12
.LBB1_8844:
	s_or_b64 exec, exec, s[6:7]
	v_lshrrev_b32_e32 v13, 8, v2
	s_movk_i32 s4, 0x7f
	v_cmp_gt_i16_sdwa s[6:7], v13, s4 src0_sel:BYTE_0 src1_sel:DWORD
	s_mov_b64 s[4:5], 0
                                        ; implicit-def: $sgpr10
	s_and_saveexec_b64 s[8:9], s[6:7]
	s_xor_b64 s[6:7], exec, s[8:9]
	s_cbranch_execz .LBB1_8845
; %bb.44685:
	s_getpc_b64 s[14:15]
.Lpost_getpc8006:
	s_add_u32 s14, s14, (.LBB1_23181-.Lpost_getpc8006)&4294967295
	s_addc_u32 s15, s15, (.LBB1_23181-.Lpost_getpc8006)>>32
	s_setpc_b64 s[14:15]
.LBB1_8845:
	s_or_saveexec_b64 s[6:7], s[6:7]
	v_mov_b32_e32 v14, s10
	s_xor_b64 exec, exec, s[6:7]
	s_cbranch_execz .LBB1_8846
; %bb.44687:
	s_getpc_b64 s[14:15]
.Lpost_getpc8007:
	s_add_u32 s14, s14, (.LBB1_23184-.Lpost_getpc8007)&4294967295
	s_addc_u32 s15, s15, (.LBB1_23184-.Lpost_getpc8007)>>32
	s_setpc_b64 s[14:15]
.LBB1_8846:
	s_or_b64 exec, exec, s[6:7]
	s_and_saveexec_b64 s[6:7], s[4:5]
	s_cbranch_execz .LBB1_8848
.LBB1_8847:
	v_bfe_u32 v14, v2, 8, 3
	v_ffbh_u32_e32 v16, v14
	v_min_u32_e32 v16, 32, v16
	v_lshrrev_b16_e32 v15, 3, v13
	v_subrev_u32_e32 v17, 28, v16
	v_and_b32_e32 v15, 15, v15
	v_lshlrev_b32_e32 v13, v17, v13
	v_sub_u32_e32 v16, 29, v16
	v_and_b32_e32 v13, 7, v13
	v_cmp_eq_u16_e32 vcc, 0, v15
	v_cndmask_b32_e32 v13, v14, v13, vcc
	v_cndmask_b32_e32 v14, v15, v16, vcc
	v_lshlrev_b32_e32 v15, 16, v2
	v_mov_b32_e32 v16, 0x3b800000
	v_lshlrev_b32_e32 v13, 20, v13
	v_and_b32_e32 v15, 0x80000000, v15
	v_lshl_add_u32 v14, v14, 23, v16
	v_or3_b32 v14, v15, v14, v13
.LBB1_8848:
	s_or_b64 exec, exec, s[6:7]
	s_nop 0
	v_mfma_f32_16x16x4f32 a[0:3], v12, v14, a[0:3]
	s_movk_i32 s4, 0xff
	v_and_b32_sdwa v13, v6, s4 dst_sel:DWORD dst_unused:UNUSED_PAD src0_sel:WORD_1 src1_sel:DWORD
	s_movk_i32 s4, 0x7f
	v_cmp_lt_i16_e32 vcc, s4, v13
	s_mov_b64 s[4:5], 0
                                        ; implicit-def: $sgpr10
	s_and_saveexec_b64 s[6:7], vcc
	s_xor_b64 s[6:7], exec, s[6:7]
	s_cbranch_execz .LBB1_8849
; %bb.44689:
	s_getpc_b64 s[14:15]
.Lpost_getpc8008:
	s_add_u32 s14, s14, (.LBB1_23185-.Lpost_getpc8008)&4294967295
	s_addc_u32 s15, s15, (.LBB1_23185-.Lpost_getpc8008)>>32
	s_setpc_b64 s[14:15]
.LBB1_8849:
	s_or_saveexec_b64 s[6:7], s[6:7]
	v_mov_b32_e32 v12, s10
	s_xor_b64 exec, exec, s[6:7]
	s_cbranch_execz .LBB1_8850
; %bb.44691:
	s_getpc_b64 s[14:15]
.Lpost_getpc8009:
	s_add_u32 s14, s14, (.LBB1_23188-.Lpost_getpc8009)&4294967295
	s_addc_u32 s15, s15, (.LBB1_23188-.Lpost_getpc8009)>>32
	s_setpc_b64 s[14:15]
.LBB1_8850:
	s_or_b64 exec, exec, s[6:7]
	s_and_saveexec_b64 s[6:7], s[4:5]
	s_cbranch_execz .LBB1_8852
.LBB1_8851:
	v_bfe_u32 v12, v6, 16, 3
	v_ffbh_u32_e32 v15, v12
	v_min_u32_e32 v15, 32, v15
	v_lshrrev_b32_e32 v13, 19, v6
	v_subrev_u32_e32 v16, 28, v15
	v_and_b32_e32 v13, 15, v13
	v_lshlrev_b32_sdwa v16, v16, v6 dst_sel:DWORD dst_unused:UNUSED_PAD src0_sel:DWORD src1_sel:WORD_1
	v_bfe_u32 v14, v6, 19, 4
	v_sub_u32_e32 v15, 29, v15
	v_and_b32_e32 v16, 7, v16
	v_cmp_eq_u16_e32 vcc, 0, v13
	v_cndmask_b32_e32 v12, v12, v16, vcc
	v_cndmask_b32_e32 v13, v14, v15, vcc
	v_lshlrev_b32_e32 v14, 8, v6
	v_mov_b32_e32 v15, 0x3b800000
	v_lshlrev_b32_e32 v12, 20, v12
	v_and_b32_e32 v14, 0x80000000, v14
	v_lshl_add_u32 v13, v13, 23, v15
	v_or3_b32 v12, v14, v13, v12
.LBB1_8852:
	s_or_b64 exec, exec, s[6:7]
	s_movk_i32 s4, 0xff
	v_and_b32_sdwa v13, v2, s4 dst_sel:DWORD dst_unused:UNUSED_PAD src0_sel:WORD_1 src1_sel:DWORD
	s_movk_i32 s4, 0x7f
	v_cmp_lt_i16_e32 vcc, s4, v13
	s_mov_b64 s[4:5], 0
                                        ; implicit-def: $sgpr10
	s_and_saveexec_b64 s[6:7], vcc
	s_xor_b64 s[6:7], exec, s[6:7]
	s_cbranch_execz .LBB1_8853
; %bb.44693:
	s_getpc_b64 s[14:15]
.Lpost_getpc8010:
	s_add_u32 s14, s14, (.LBB1_23189-.Lpost_getpc8010)&4294967295
	s_addc_u32 s15, s15, (.LBB1_23189-.Lpost_getpc8010)>>32
	s_setpc_b64 s[14:15]
.LBB1_8853:
	s_or_saveexec_b64 s[6:7], s[6:7]
	v_mov_b32_e32 v14, s10
	s_xor_b64 exec, exec, s[6:7]
	s_cbranch_execz .LBB1_8854
; %bb.44695:
	s_getpc_b64 s[14:15]
.Lpost_getpc8011:
	s_add_u32 s14, s14, (.LBB1_23192-.Lpost_getpc8011)&4294967295
	s_addc_u32 s15, s15, (.LBB1_23192-.Lpost_getpc8011)>>32
	s_setpc_b64 s[14:15]
.LBB1_8854:
	s_or_b64 exec, exec, s[6:7]
	s_and_saveexec_b64 s[6:7], s[4:5]
	s_cbranch_execz .LBB1_8856
.LBB1_8855:
	v_bfe_u32 v13, v2, 16, 3
	v_ffbh_u32_e32 v16, v13
	v_min_u32_e32 v16, 32, v16
	v_lshrrev_b32_e32 v14, 19, v2
	v_subrev_u32_e32 v17, 28, v16
	v_and_b32_e32 v14, 15, v14
	v_lshlrev_b32_sdwa v17, v17, v2 dst_sel:DWORD dst_unused:UNUSED_PAD src0_sel:DWORD src1_sel:WORD_1
	v_bfe_u32 v15, v2, 19, 4
	v_sub_u32_e32 v16, 29, v16
	v_and_b32_e32 v17, 7, v17
	v_cmp_eq_u16_e32 vcc, 0, v14
	v_cndmask_b32_e32 v13, v13, v17, vcc
	v_cndmask_b32_e32 v14, v15, v16, vcc
	v_lshlrev_b32_e32 v15, 8, v2
	v_mov_b32_e32 v16, 0x3b800000
	v_lshlrev_b32_e32 v13, 20, v13
	v_and_b32_e32 v15, 0x80000000, v15
	v_lshl_add_u32 v14, v14, 23, v16
	v_or3_b32 v14, v15, v14, v13
.LBB1_8856:
	s_or_b64 exec, exec, s[6:7]
	s_nop 0
	v_mfma_f32_16x16x4f32 a[0:3], v12, v14, a[0:3]
	s_movk_i32 s4, 0x7f
	v_cmp_gt_i16_sdwa s[6:7], v6, s4 src0_sel:BYTE_3 src1_sel:DWORD
	s_mov_b64 s[4:5], 0
                                        ; implicit-def: $sgpr10
	s_and_saveexec_b64 s[8:9], s[6:7]
	s_xor_b64 s[6:7], exec, s[8:9]
	s_cbranch_execz .LBB1_8857
; %bb.44697:
	s_getpc_b64 s[14:15]
.Lpost_getpc8012:
	s_add_u32 s14, s14, (.LBB1_23193-.Lpost_getpc8012)&4294967295
	s_addc_u32 s15, s15, (.LBB1_23193-.Lpost_getpc8012)>>32
	s_setpc_b64 s[14:15]
.LBB1_8857:
	s_or_saveexec_b64 s[6:7], s[6:7]
	v_mov_b32_e32 v12, s10
	s_xor_b64 exec, exec, s[6:7]
	s_cbranch_execz .LBB1_8858
; %bb.44699:
	s_getpc_b64 s[14:15]
.Lpost_getpc8013:
	s_add_u32 s14, s14, (.LBB1_23196-.Lpost_getpc8013)&4294967295
	s_addc_u32 s15, s15, (.LBB1_23196-.Lpost_getpc8013)>>32
	s_setpc_b64 s[14:15]
.LBB1_8858:
	s_or_b64 exec, exec, s[6:7]
	s_and_saveexec_b64 s[6:7], s[4:5]
	s_cbranch_execz .LBB1_8860
.LBB1_8859:
	v_bfe_u32 v12, v6, 24, 3
	v_ffbh_u32_e32 v16, v12
	v_min_u32_e32 v16, 32, v16
	v_lshrrev_b32_e32 v14, 27, v6
	v_subrev_u32_e32 v17, 28, v16
	v_and_b32_e32 v13, 0x80000000, v6
	v_and_b32_e32 v14, 15, v14
	v_bfe_u32 v15, v6, 27, 4
	v_lshlrev_b32_sdwa v6, v17, v6 dst_sel:DWORD dst_unused:UNUSED_PAD src0_sel:DWORD src1_sel:BYTE_3
	v_sub_u32_e32 v16, 29, v16
	v_and_b32_e32 v6, 7, v6
	v_cmp_eq_u16_e32 vcc, 0, v14
	v_cndmask_b32_e32 v6, v12, v6, vcc
	v_cndmask_b32_e32 v12, v15, v16, vcc
	v_mov_b32_e32 v14, 0x3b800000
	v_lshlrev_b32_e32 v6, 20, v6
	v_lshl_add_u32 v12, v12, 23, v14
	v_or3_b32 v12, v13, v12, v6
.LBB1_8860:
	s_or_b64 exec, exec, s[6:7]
	s_movk_i32 s4, 0x7f
	v_cmp_gt_i16_sdwa s[6:7], v2, s4 src0_sel:BYTE_3 src1_sel:DWORD
	s_mov_b64 s[4:5], 0
                                        ; implicit-def: $sgpr10
	s_and_saveexec_b64 s[8:9], s[6:7]
	s_xor_b64 s[6:7], exec, s[8:9]
	s_cbranch_execz .LBB1_8861
; %bb.44701:
	s_getpc_b64 s[14:15]
.Lpost_getpc8014:
	s_add_u32 s14, s14, (.LBB1_23197-.Lpost_getpc8014)&4294967295
	s_addc_u32 s15, s15, (.LBB1_23197-.Lpost_getpc8014)>>32
	s_setpc_b64 s[14:15]
.LBB1_8861:
	s_or_saveexec_b64 s[6:7], s[6:7]
	v_mov_b32_e32 v6, s10
	s_xor_b64 exec, exec, s[6:7]
	s_cbranch_execz .LBB1_8862
; %bb.44703:
	s_getpc_b64 s[14:15]
.Lpost_getpc8015:
	s_add_u32 s14, s14, (.LBB1_23200-.Lpost_getpc8015)&4294967295
	s_addc_u32 s15, s15, (.LBB1_23200-.Lpost_getpc8015)>>32
	s_setpc_b64 s[14:15]
.LBB1_8862:
	s_or_b64 exec, exec, s[6:7]
	s_and_saveexec_b64 s[6:7], s[4:5]
	s_cbranch_execz .LBB1_8864
.LBB1_8863:
	v_bfe_u32 v6, v2, 24, 3
	v_ffbh_u32_e32 v16, v6
	v_min_u32_e32 v16, 32, v16
	v_lshrrev_b32_e32 v14, 27, v2
	v_subrev_u32_e32 v17, 28, v16
	v_and_b32_e32 v13, 0x80000000, v2
	v_and_b32_e32 v14, 15, v14
	v_bfe_u32 v15, v2, 27, 4
	v_lshlrev_b32_sdwa v2, v17, v2 dst_sel:DWORD dst_unused:UNUSED_PAD src0_sel:DWORD src1_sel:BYTE_3
	v_sub_u32_e32 v16, 29, v16
	v_and_b32_e32 v2, 7, v2
	v_cmp_eq_u16_e32 vcc, 0, v14
	v_cndmask_b32_e32 v2, v6, v2, vcc
	v_cndmask_b32_e32 v6, v15, v16, vcc
	v_mov_b32_e32 v14, 0x3b800000
	v_lshlrev_b32_e32 v2, 20, v2
	v_lshl_add_u32 v6, v6, 23, v14
	v_or3_b32 v6, v13, v6, v2
.LBB1_8864:
	s_or_b64 exec, exec, s[6:7]
	s_nop 0
	v_mfma_f32_16x16x4f32 a[0:3], v12, v6, a[0:3]
	s_movk_i32 s4, 0x7f
	v_cmp_gt_i16_sdwa s[6:7], v7, s4 src0_sel:BYTE_0 src1_sel:DWORD
	s_mov_b64 s[4:5], 0
                                        ; implicit-def: $sgpr10
	s_and_saveexec_b64 s[8:9], s[6:7]
	s_xor_b64 s[6:7], exec, s[8:9]
	s_cbranch_execz .LBB1_8865
; %bb.44705:
	s_getpc_b64 s[14:15]
.Lpost_getpc8016:
	s_add_u32 s14, s14, (.LBB1_23201-.Lpost_getpc8016)&4294967295
	s_addc_u32 s15, s15, (.LBB1_23201-.Lpost_getpc8016)>>32
	s_setpc_b64 s[14:15]
.LBB1_8865:
	s_or_saveexec_b64 s[6:7], s[6:7]
	v_mov_b32_e32 v2, s10
	s_xor_b64 exec, exec, s[6:7]
	s_cbranch_execz .LBB1_8866
; %bb.44707:
	s_getpc_b64 s[14:15]
.Lpost_getpc8017:
	s_add_u32 s14, s14, (.LBB1_23204-.Lpost_getpc8017)&4294967295
	s_addc_u32 s15, s15, (.LBB1_23204-.Lpost_getpc8017)>>32
	s_setpc_b64 s[14:15]
.LBB1_8866:
	s_or_b64 exec, exec, s[6:7]
	s_and_saveexec_b64 s[6:7], s[4:5]
	s_cbranch_execz .LBB1_8868
.LBB1_8867:
	v_and_b32_e32 v2, 7, v7
	v_ffbh_u32_e32 v12, v2
	v_min_u32_e32 v12, 32, v12
	v_lshrrev_b16_e32 v6, 3, v7
	v_subrev_u32_e32 v13, 28, v12
	v_and_b32_e32 v6, 15, v6
	v_lshlrev_b32_e32 v13, v13, v7
	v_sub_u32_e32 v12, 29, v12
	v_and_b32_e32 v13, 7, v13
	v_cmp_eq_u16_e32 vcc, 0, v6
	v_cndmask_b32_e32 v2, v2, v13, vcc
	v_cndmask_b32_e32 v6, v6, v12, vcc
	v_lshlrev_b32_e32 v12, 24, v7
	v_mov_b32_e32 v13, 0x3b800000
	v_lshlrev_b32_e32 v2, 20, v2
	v_and_b32_e32 v12, 0x80000000, v12
	v_lshl_add_u32 v6, v6, 23, v13
	v_or3_b32 v2, v12, v6, v2
.LBB1_8868:
	s_or_b64 exec, exec, s[6:7]
	s_movk_i32 s4, 0x7f
	v_cmp_gt_i16_sdwa s[6:7], v3, s4 src0_sel:BYTE_0 src1_sel:DWORD
	s_mov_b64 s[4:5], 0
                                        ; implicit-def: $sgpr10
	s_and_saveexec_b64 s[8:9], s[6:7]
	s_xor_b64 s[6:7], exec, s[8:9]
	s_cbranch_execz .LBB1_8869
; %bb.44709:
	s_getpc_b64 s[14:15]
.Lpost_getpc8018:
	s_add_u32 s14, s14, (.LBB1_23205-.Lpost_getpc8018)&4294967295
	s_addc_u32 s15, s15, (.LBB1_23205-.Lpost_getpc8018)>>32
	s_setpc_b64 s[14:15]
.LBB1_8869:
	s_or_saveexec_b64 s[6:7], s[6:7]
	v_mov_b32_e32 v6, s10
	s_xor_b64 exec, exec, s[6:7]
	s_cbranch_execz .LBB1_8870
; %bb.44711:
	s_getpc_b64 s[14:15]
.Lpost_getpc8019:
	s_add_u32 s14, s14, (.LBB1_23208-.Lpost_getpc8019)&4294967295
	s_addc_u32 s15, s15, (.LBB1_23208-.Lpost_getpc8019)>>32
	s_setpc_b64 s[14:15]
.LBB1_8870:
	s_or_b64 exec, exec, s[6:7]
	s_and_saveexec_b64 s[6:7], s[4:5]
	s_cbranch_execz .LBB1_8872
.LBB1_8871:
	v_and_b32_e32 v6, 7, v3
	v_ffbh_u32_e32 v13, v6
	v_min_u32_e32 v13, 32, v13
	v_lshrrev_b16_e32 v12, 3, v3
	v_subrev_u32_e32 v14, 28, v13
	v_and_b32_e32 v12, 15, v12
	v_lshlrev_b32_e32 v14, v14, v3
	v_sub_u32_e32 v13, 29, v13
	v_and_b32_e32 v14, 7, v14
	v_cmp_eq_u16_e32 vcc, 0, v12
	v_cndmask_b32_e32 v6, v6, v14, vcc
	v_cndmask_b32_e32 v12, v12, v13, vcc
	v_lshlrev_b32_e32 v13, 24, v3
	v_mov_b32_e32 v14, 0x3b800000
	v_lshlrev_b32_e32 v6, 20, v6
	v_and_b32_e32 v13, 0x80000000, v13
	v_lshl_add_u32 v12, v12, 23, v14
	v_or3_b32 v6, v13, v12, v6
.LBB1_8872:
	s_or_b64 exec, exec, s[6:7]
	s_nop 0
	v_mfma_f32_16x16x4f32 a[0:3], v2, v6, a[0:3]
	v_lshrrev_b32_e32 v6, 8, v7
	s_movk_i32 s4, 0x7f
	v_cmp_gt_i16_sdwa s[6:7], v6, s4 src0_sel:BYTE_0 src1_sel:DWORD
	s_mov_b64 s[4:5], 0
                                        ; implicit-def: $sgpr10
	s_and_saveexec_b64 s[8:9], s[6:7]
	s_xor_b64 s[6:7], exec, s[8:9]
	s_cbranch_execz .LBB1_8873
; %bb.44713:
	s_getpc_b64 s[14:15]
.Lpost_getpc8020:
	s_add_u32 s14, s14, (.LBB1_23209-.Lpost_getpc8020)&4294967295
	s_addc_u32 s15, s15, (.LBB1_23209-.Lpost_getpc8020)>>32
	s_setpc_b64 s[14:15]
.LBB1_8873:
	s_or_saveexec_b64 s[6:7], s[6:7]
	v_mov_b32_e32 v2, s10
	s_xor_b64 exec, exec, s[6:7]
	s_cbranch_execz .LBB1_8874
; %bb.44715:
	s_getpc_b64 s[14:15]
.Lpost_getpc8021:
	s_add_u32 s14, s14, (.LBB1_23212-.Lpost_getpc8021)&4294967295
	s_addc_u32 s15, s15, (.LBB1_23212-.Lpost_getpc8021)>>32
	s_setpc_b64 s[14:15]
.LBB1_8874:
	s_or_b64 exec, exec, s[6:7]
	s_and_saveexec_b64 s[6:7], s[4:5]
	s_cbranch_execz .LBB1_8876
.LBB1_8875:
	v_bfe_u32 v2, v7, 8, 3
	v_ffbh_u32_e32 v13, v2
	v_min_u32_e32 v13, 32, v13
	v_lshrrev_b16_e32 v12, 3, v6
	v_subrev_u32_e32 v14, 28, v13
	v_and_b32_e32 v12, 15, v12
	v_lshlrev_b32_e32 v6, v14, v6
	v_sub_u32_e32 v13, 29, v13
	v_and_b32_e32 v6, 7, v6
	v_cmp_eq_u16_e32 vcc, 0, v12
	v_cndmask_b32_e32 v2, v2, v6, vcc
	v_cndmask_b32_e32 v6, v12, v13, vcc
	v_lshlrev_b32_e32 v12, 16, v7
	v_mov_b32_e32 v13, 0x3b800000
	v_lshlrev_b32_e32 v2, 20, v2
	v_and_b32_e32 v12, 0x80000000, v12
	v_lshl_add_u32 v6, v6, 23, v13
	v_or3_b32 v2, v12, v6, v2
.LBB1_8876:
	s_or_b64 exec, exec, s[6:7]
	v_lshrrev_b32_e32 v6, 8, v3
	s_movk_i32 s4, 0x7f
	v_cmp_gt_i16_sdwa s[6:7], v6, s4 src0_sel:BYTE_0 src1_sel:DWORD
	s_mov_b64 s[4:5], 0
                                        ; implicit-def: $sgpr10
	s_and_saveexec_b64 s[8:9], s[6:7]
	s_xor_b64 s[6:7], exec, s[8:9]
	s_cbranch_execz .LBB1_8877
; %bb.44717:
	s_getpc_b64 s[14:15]
.Lpost_getpc8022:
	s_add_u32 s14, s14, (.LBB1_23213-.Lpost_getpc8022)&4294967295
	s_addc_u32 s15, s15, (.LBB1_23213-.Lpost_getpc8022)>>32
	s_setpc_b64 s[14:15]
.LBB1_8877:
	s_or_saveexec_b64 s[6:7], s[6:7]
	v_mov_b32_e32 v12, s10
	s_xor_b64 exec, exec, s[6:7]
	s_cbranch_execz .LBB1_8878
; %bb.44719:
	s_getpc_b64 s[14:15]
.Lpost_getpc8023:
	s_add_u32 s14, s14, (.LBB1_23216-.Lpost_getpc8023)&4294967295
	s_addc_u32 s15, s15, (.LBB1_23216-.Lpost_getpc8023)>>32
	s_setpc_b64 s[14:15]
.LBB1_8878:
	s_or_b64 exec, exec, s[6:7]
	s_and_saveexec_b64 s[6:7], s[4:5]
	s_cbranch_execz .LBB1_8880
.LBB1_8879:
	v_bfe_u32 v12, v3, 8, 3
	v_ffbh_u32_e32 v14, v12
	v_min_u32_e32 v14, 32, v14
	v_lshrrev_b16_e32 v13, 3, v6
	v_subrev_u32_e32 v15, 28, v14
	v_and_b32_e32 v13, 15, v13
	v_lshlrev_b32_e32 v6, v15, v6
	v_sub_u32_e32 v14, 29, v14
	v_and_b32_e32 v6, 7, v6
	v_cmp_eq_u16_e32 vcc, 0, v13
	v_cndmask_b32_e32 v6, v12, v6, vcc
	v_cndmask_b32_e32 v12, v13, v14, vcc
	v_lshlrev_b32_e32 v13, 16, v3
	v_mov_b32_e32 v14, 0x3b800000
	v_lshlrev_b32_e32 v6, 20, v6
	v_and_b32_e32 v13, 0x80000000, v13
	v_lshl_add_u32 v12, v12, 23, v14
	v_or3_b32 v12, v13, v12, v6
.LBB1_8880:
	s_or_b64 exec, exec, s[6:7]
	s_nop 0
	v_mfma_f32_16x16x4f32 a[0:3], v2, v12, a[0:3]
	s_movk_i32 s4, 0xff
	v_and_b32_sdwa v6, v7, s4 dst_sel:DWORD dst_unused:UNUSED_PAD src0_sel:WORD_1 src1_sel:DWORD
	s_movk_i32 s4, 0x7f
	v_cmp_lt_i16_e32 vcc, s4, v6
	s_mov_b64 s[4:5], 0
                                        ; implicit-def: $sgpr10
	s_and_saveexec_b64 s[6:7], vcc
	s_xor_b64 s[6:7], exec, s[6:7]
	s_cbranch_execz .LBB1_8881
; %bb.44721:
	s_getpc_b64 s[14:15]
.Lpost_getpc8024:
	s_add_u32 s14, s14, (.LBB1_23217-.Lpost_getpc8024)&4294967295
	s_addc_u32 s15, s15, (.LBB1_23217-.Lpost_getpc8024)>>32
	s_setpc_b64 s[14:15]
.LBB1_8881:
	s_or_saveexec_b64 s[6:7], s[6:7]
	v_mov_b32_e32 v2, s10
	s_xor_b64 exec, exec, s[6:7]
	s_cbranch_execz .LBB1_8882
; %bb.44723:
	s_getpc_b64 s[14:15]
.Lpost_getpc8025:
	s_add_u32 s14, s14, (.LBB1_23220-.Lpost_getpc8025)&4294967295
	s_addc_u32 s15, s15, (.LBB1_23220-.Lpost_getpc8025)>>32
	s_setpc_b64 s[14:15]
.LBB1_8882:
	s_or_b64 exec, exec, s[6:7]
	s_and_saveexec_b64 s[6:7], s[4:5]
	s_cbranch_execz .LBB1_8884
.LBB1_8883:
	v_bfe_u32 v2, v7, 16, 3
	v_ffbh_u32_e32 v13, v2
	v_min_u32_e32 v13, 32, v13
	v_lshrrev_b32_e32 v6, 19, v7
	v_subrev_u32_e32 v14, 28, v13
	v_and_b32_e32 v6, 15, v6
	v_lshlrev_b32_sdwa v14, v14, v7 dst_sel:DWORD dst_unused:UNUSED_PAD src0_sel:DWORD src1_sel:WORD_1
	v_bfe_u32 v12, v7, 19, 4
	v_sub_u32_e32 v13, 29, v13
	v_and_b32_e32 v14, 7, v14
	v_cmp_eq_u16_e32 vcc, 0, v6
	v_cndmask_b32_e32 v2, v2, v14, vcc
	v_cndmask_b32_e32 v6, v12, v13, vcc
	v_lshlrev_b32_e32 v12, 8, v7
	v_mov_b32_e32 v13, 0x3b800000
	v_lshlrev_b32_e32 v2, 20, v2
	v_and_b32_e32 v12, 0x80000000, v12
	v_lshl_add_u32 v6, v6, 23, v13
	v_or3_b32 v2, v12, v6, v2
.LBB1_8884:
	s_or_b64 exec, exec, s[6:7]
	s_movk_i32 s4, 0xff
	v_and_b32_sdwa v6, v3, s4 dst_sel:DWORD dst_unused:UNUSED_PAD src0_sel:WORD_1 src1_sel:DWORD
	s_movk_i32 s4, 0x7f
	v_cmp_lt_i16_e32 vcc, s4, v6
	s_mov_b64 s[4:5], 0
                                        ; implicit-def: $sgpr10
	s_and_saveexec_b64 s[6:7], vcc
	s_xor_b64 s[6:7], exec, s[6:7]
	s_cbranch_execz .LBB1_8885
; %bb.44725:
	s_getpc_b64 s[14:15]
.Lpost_getpc8026:
	s_add_u32 s14, s14, (.LBB1_23221-.Lpost_getpc8026)&4294967295
	s_addc_u32 s15, s15, (.LBB1_23221-.Lpost_getpc8026)>>32
	s_setpc_b64 s[14:15]
.LBB1_8885:
	s_or_saveexec_b64 s[6:7], s[6:7]
	v_mov_b32_e32 v12, s10
	s_xor_b64 exec, exec, s[6:7]
	s_cbranch_execz .LBB1_8886
; %bb.44727:
	s_getpc_b64 s[14:15]
.Lpost_getpc8027:
	s_add_u32 s14, s14, (.LBB1_23224-.Lpost_getpc8027)&4294967295
	s_addc_u32 s15, s15, (.LBB1_23224-.Lpost_getpc8027)>>32
	s_setpc_b64 s[14:15]
.LBB1_8886:
	s_or_b64 exec, exec, s[6:7]
	s_and_saveexec_b64 s[6:7], s[4:5]
	s_cbranch_execz .LBB1_8888
.LBB1_8887:
	v_bfe_u32 v6, v3, 16, 3
	v_ffbh_u32_e32 v14, v6
	v_min_u32_e32 v14, 32, v14
	v_lshrrev_b32_e32 v12, 19, v3
	v_subrev_u32_e32 v15, 28, v14
	v_and_b32_e32 v12, 15, v12
	v_lshlrev_b32_sdwa v15, v15, v3 dst_sel:DWORD dst_unused:UNUSED_PAD src0_sel:DWORD src1_sel:WORD_1
	v_bfe_u32 v13, v3, 19, 4
	v_sub_u32_e32 v14, 29, v14
	v_and_b32_e32 v15, 7, v15
	v_cmp_eq_u16_e32 vcc, 0, v12
	v_cndmask_b32_e32 v6, v6, v15, vcc
	v_cndmask_b32_e32 v12, v13, v14, vcc
	v_lshlrev_b32_e32 v13, 8, v3
	v_mov_b32_e32 v14, 0x3b800000
	v_lshlrev_b32_e32 v6, 20, v6
	v_and_b32_e32 v13, 0x80000000, v13
	v_lshl_add_u32 v12, v12, 23, v14
	v_or3_b32 v12, v13, v12, v6
.LBB1_8888:
	s_or_b64 exec, exec, s[6:7]
	s_nop 0
	v_mfma_f32_16x16x4f32 a[0:3], v2, v12, a[0:3]
	s_movk_i32 s4, 0x7f
	v_cmp_gt_i16_sdwa s[6:7], v7, s4 src0_sel:BYTE_3 src1_sel:DWORD
	s_mov_b64 s[4:5], 0
                                        ; implicit-def: $sgpr10
	s_and_saveexec_b64 s[8:9], s[6:7]
	s_xor_b64 s[6:7], exec, s[8:9]
	s_cbranch_execz .LBB1_8889
; %bb.44729:
	s_getpc_b64 s[14:15]
.Lpost_getpc8028:
	s_add_u32 s14, s14, (.LBB1_23225-.Lpost_getpc8028)&4294967295
	s_addc_u32 s15, s15, (.LBB1_23225-.Lpost_getpc8028)>>32
	s_setpc_b64 s[14:15]
.LBB1_8889:
	s_or_saveexec_b64 s[6:7], s[6:7]
	v_mov_b32_e32 v2, s10
	s_xor_b64 exec, exec, s[6:7]
	s_cbranch_execz .LBB1_8890
; %bb.44731:
	s_getpc_b64 s[14:15]
.Lpost_getpc8029:
	s_add_u32 s14, s14, (.LBB1_23228-.Lpost_getpc8029)&4294967295
	s_addc_u32 s15, s15, (.LBB1_23228-.Lpost_getpc8029)>>32
	s_setpc_b64 s[14:15]
.LBB1_8890:
	s_or_b64 exec, exec, s[6:7]
	s_and_saveexec_b64 s[6:7], s[4:5]
	s_cbranch_execz .LBB1_8892
.LBB1_8891:
	v_bfe_u32 v2, v7, 24, 3
	v_ffbh_u32_e32 v14, v2
	v_min_u32_e32 v14, 32, v14
	v_lshrrev_b32_e32 v12, 27, v7
	v_subrev_u32_e32 v15, 28, v14
	v_and_b32_e32 v6, 0x80000000, v7
	v_and_b32_e32 v12, 15, v12
	v_bfe_u32 v13, v7, 27, 4
	v_lshlrev_b32_sdwa v7, v15, v7 dst_sel:DWORD dst_unused:UNUSED_PAD src0_sel:DWORD src1_sel:BYTE_3
	v_sub_u32_e32 v14, 29, v14
	v_and_b32_e32 v7, 7, v7
	v_cmp_eq_u16_e32 vcc, 0, v12
	v_cndmask_b32_e32 v2, v2, v7, vcc
	v_cndmask_b32_e32 v7, v13, v14, vcc
	v_mov_b32_e32 v12, 0x3b800000
	v_lshlrev_b32_e32 v2, 20, v2
	v_lshl_add_u32 v7, v7, 23, v12
	v_or3_b32 v2, v6, v7, v2
.LBB1_8892:
	s_or_b64 exec, exec, s[6:7]
	s_movk_i32 s4, 0x7f
	v_cmp_gt_i16_sdwa s[6:7], v3, s4 src0_sel:BYTE_3 src1_sel:DWORD
	s_mov_b64 s[4:5], 0
                                        ; implicit-def: $sgpr10
	s_and_saveexec_b64 s[8:9], s[6:7]
	s_xor_b64 s[6:7], exec, s[8:9]
	s_cbranch_execz .LBB1_8893
; %bb.44733:
	s_getpc_b64 s[14:15]
.Lpost_getpc8030:
	s_add_u32 s14, s14, (.LBB1_23229-.Lpost_getpc8030)&4294967295
	s_addc_u32 s15, s15, (.LBB1_23229-.Lpost_getpc8030)>>32
	s_setpc_b64 s[14:15]
.LBB1_8893:
	s_or_saveexec_b64 s[6:7], s[6:7]
	v_mov_b32_e32 v6, s10
	s_xor_b64 exec, exec, s[6:7]
	s_cbranch_execz .LBB1_8894
; %bb.44735:
	s_getpc_b64 s[14:15]
.Lpost_getpc8031:
	s_add_u32 s14, s14, (.LBB1_23232-.Lpost_getpc8031)&4294967295
	s_addc_u32 s15, s15, (.LBB1_23232-.Lpost_getpc8031)>>32
	s_setpc_b64 s[14:15]
.LBB1_8894:
	s_or_b64 exec, exec, s[6:7]
	s_and_saveexec_b64 s[6:7], s[4:5]
	s_cbranch_execz .LBB1_8896
.LBB1_8895:
	v_bfe_u32 v6, v3, 24, 3
	v_ffbh_u32_e32 v14, v6
	v_min_u32_e32 v14, 32, v14
	v_lshrrev_b32_e32 v12, 27, v3
	v_subrev_u32_e32 v15, 28, v14
	v_and_b32_e32 v7, 0x80000000, v3
	v_and_b32_e32 v12, 15, v12
	v_bfe_u32 v13, v3, 27, 4
	v_lshlrev_b32_sdwa v3, v15, v3 dst_sel:DWORD dst_unused:UNUSED_PAD src0_sel:DWORD src1_sel:BYTE_3
	v_sub_u32_e32 v14, 29, v14
	v_and_b32_e32 v3, 7, v3
	v_cmp_eq_u16_e32 vcc, 0, v12
	v_cndmask_b32_e32 v3, v6, v3, vcc
	v_cndmask_b32_e32 v6, v13, v14, vcc
	v_mov_b32_e32 v12, 0x3b800000
	v_lshlrev_b32_e32 v3, 20, v3
	v_lshl_add_u32 v6, v6, 23, v12
	v_or3_b32 v6, v7, v6, v3
.LBB1_8896:
	s_or_b64 exec, exec, s[6:7]
	s_nop 0
	v_mfma_f32_16x16x4f32 a[0:3], v2, v6, a[0:3]
	s_movk_i32 s4, 0x7f
	v_cmp_gt_i16_sdwa s[6:7], v8, s4 src0_sel:BYTE_0 src1_sel:DWORD
	s_mov_b64 s[4:5], 0
                                        ; implicit-def: $sgpr10
	s_and_saveexec_b64 s[8:9], s[6:7]
	s_xor_b64 s[6:7], exec, s[8:9]
	s_cbranch_execz .LBB1_8897
; %bb.44737:
	s_getpc_b64 s[14:15]
.Lpost_getpc8032:
	s_add_u32 s14, s14, (.LBB1_23233-.Lpost_getpc8032)&4294967295
	s_addc_u32 s15, s15, (.LBB1_23233-.Lpost_getpc8032)>>32
	s_setpc_b64 s[14:15]
.LBB1_8897:
	s_or_saveexec_b64 s[6:7], s[6:7]
	v_mov_b32_e32 v2, s10
	s_xor_b64 exec, exec, s[6:7]
	s_cbranch_execz .LBB1_8898
; %bb.44739:
	s_getpc_b64 s[14:15]
.Lpost_getpc8033:
	s_add_u32 s14, s14, (.LBB1_23236-.Lpost_getpc8033)&4294967295
	s_addc_u32 s15, s15, (.LBB1_23236-.Lpost_getpc8033)>>32
	s_setpc_b64 s[14:15]
.LBB1_8898:
	s_or_b64 exec, exec, s[6:7]
	s_and_saveexec_b64 s[6:7], s[4:5]
	s_cbranch_execz .LBB1_8900
.LBB1_8899:
	v_and_b32_e32 v2, 7, v8
	v_ffbh_u32_e32 v6, v2
	v_min_u32_e32 v6, 32, v6
	v_lshrrev_b16_e32 v3, 3, v8
	v_subrev_u32_e32 v7, 28, v6
	v_and_b32_e32 v3, 15, v3
	v_lshlrev_b32_e32 v7, v7, v8
	v_sub_u32_e32 v6, 29, v6
	v_and_b32_e32 v7, 7, v7
	v_cmp_eq_u16_e32 vcc, 0, v3
	v_cndmask_b32_e32 v2, v2, v7, vcc
	v_cndmask_b32_e32 v3, v3, v6, vcc
	v_lshlrev_b32_e32 v6, 24, v8
	v_mov_b32_e32 v7, 0x3b800000
	v_lshlrev_b32_e32 v2, 20, v2
	v_and_b32_e32 v6, 0x80000000, v6
	v_lshl_add_u32 v3, v3, 23, v7
	v_or3_b32 v2, v6, v3, v2
.LBB1_8900:
	s_or_b64 exec, exec, s[6:7]
	s_movk_i32 s4, 0x7f
	v_cmp_gt_i16_sdwa s[6:7], v4, s4 src0_sel:BYTE_0 src1_sel:DWORD
	s_mov_b64 s[4:5], 0
                                        ; implicit-def: $sgpr10
	s_and_saveexec_b64 s[8:9], s[6:7]
	s_xor_b64 s[6:7], exec, s[8:9]
	s_cbranch_execz .LBB1_8901
; %bb.44741:
	s_getpc_b64 s[14:15]
.Lpost_getpc8034:
	s_add_u32 s14, s14, (.LBB1_23237-.Lpost_getpc8034)&4294967295
	s_addc_u32 s15, s15, (.LBB1_23237-.Lpost_getpc8034)>>32
	s_setpc_b64 s[14:15]
.LBB1_8901:
	s_or_saveexec_b64 s[6:7], s[6:7]
	v_mov_b32_e32 v3, s10
	s_xor_b64 exec, exec, s[6:7]
	s_cbranch_execz .LBB1_8902
; %bb.44743:
	s_getpc_b64 s[14:15]
.Lpost_getpc8035:
	s_add_u32 s14, s14, (.LBB1_23240-.Lpost_getpc8035)&4294967295
	s_addc_u32 s15, s15, (.LBB1_23240-.Lpost_getpc8035)>>32
	s_setpc_b64 s[14:15]
.LBB1_8902:
	s_or_b64 exec, exec, s[6:7]
	s_and_saveexec_b64 s[6:7], s[4:5]
	s_cbranch_execz .LBB1_8904
.LBB1_8903:
	v_and_b32_e32 v3, 7, v4
	v_ffbh_u32_e32 v7, v3
	v_min_u32_e32 v7, 32, v7
	v_lshrrev_b16_e32 v6, 3, v4
	v_subrev_u32_e32 v12, 28, v7
	v_and_b32_e32 v6, 15, v6
	v_lshlrev_b32_e32 v12, v12, v4
	v_sub_u32_e32 v7, 29, v7
	v_and_b32_e32 v12, 7, v12
	v_cmp_eq_u16_e32 vcc, 0, v6
	v_cndmask_b32_e32 v3, v3, v12, vcc
	v_cndmask_b32_e32 v6, v6, v7, vcc
	v_lshlrev_b32_e32 v7, 24, v4
	v_mov_b32_e32 v12, 0x3b800000
	v_lshlrev_b32_e32 v3, 20, v3
	v_and_b32_e32 v7, 0x80000000, v7
	v_lshl_add_u32 v6, v6, 23, v12
	v_or3_b32 v3, v7, v6, v3
.LBB1_8904:
	s_or_b64 exec, exec, s[6:7]
	s_nop 0
	v_mfma_f32_16x16x4f32 a[0:3], v2, v3, a[0:3]
	v_lshrrev_b32_e32 v3, 8, v8
	s_movk_i32 s4, 0x7f
	v_cmp_gt_i16_sdwa s[6:7], v3, s4 src0_sel:BYTE_0 src1_sel:DWORD
	s_mov_b64 s[4:5], 0
                                        ; implicit-def: $sgpr10
	s_and_saveexec_b64 s[8:9], s[6:7]
	s_xor_b64 s[6:7], exec, s[8:9]
	s_cbranch_execz .LBB1_8905
; %bb.44745:
	s_getpc_b64 s[14:15]
.Lpost_getpc8036:
	s_add_u32 s14, s14, (.LBB1_23241-.Lpost_getpc8036)&4294967295
	s_addc_u32 s15, s15, (.LBB1_23241-.Lpost_getpc8036)>>32
	s_setpc_b64 s[14:15]
.LBB1_8905:
	s_or_saveexec_b64 s[6:7], s[6:7]
	v_mov_b32_e32 v2, s10
	s_xor_b64 exec, exec, s[6:7]
	s_cbranch_execz .LBB1_8906
; %bb.44747:
	s_getpc_b64 s[14:15]
.Lpost_getpc8037:
	s_add_u32 s14, s14, (.LBB1_23244-.Lpost_getpc8037)&4294967295
	s_addc_u32 s15, s15, (.LBB1_23244-.Lpost_getpc8037)>>32
	s_setpc_b64 s[14:15]
.LBB1_8906:
	s_or_b64 exec, exec, s[6:7]
	s_and_saveexec_b64 s[6:7], s[4:5]
	s_cbranch_execz .LBB1_8908
.LBB1_8907:
	v_bfe_u32 v2, v8, 8, 3
	v_ffbh_u32_e32 v7, v2
	v_min_u32_e32 v7, 32, v7
	v_lshrrev_b16_e32 v6, 3, v3
	v_subrev_u32_e32 v12, 28, v7
	v_and_b32_e32 v6, 15, v6
	v_lshlrev_b32_e32 v3, v12, v3
	v_sub_u32_e32 v7, 29, v7
	v_and_b32_e32 v3, 7, v3
	v_cmp_eq_u16_e32 vcc, 0, v6
	v_cndmask_b32_e32 v2, v2, v3, vcc
	v_cndmask_b32_e32 v3, v6, v7, vcc
	v_lshlrev_b32_e32 v6, 16, v8
	v_mov_b32_e32 v7, 0x3b800000
	v_lshlrev_b32_e32 v2, 20, v2
	v_and_b32_e32 v6, 0x80000000, v6
	v_lshl_add_u32 v3, v3, 23, v7
	v_or3_b32 v2, v6, v3, v2
.LBB1_8908:
	s_or_b64 exec, exec, s[6:7]
	v_lshrrev_b32_e32 v3, 8, v4
	s_movk_i32 s4, 0x7f
	v_cmp_gt_i16_sdwa s[6:7], v3, s4 src0_sel:BYTE_0 src1_sel:DWORD
	s_mov_b64 s[4:5], 0
                                        ; implicit-def: $sgpr10
	s_and_saveexec_b64 s[8:9], s[6:7]
	s_xor_b64 s[6:7], exec, s[8:9]
	s_cbranch_execz .LBB1_8909
; %bb.44749:
	s_getpc_b64 s[14:15]
.Lpost_getpc8038:
	s_add_u32 s14, s14, (.LBB1_23245-.Lpost_getpc8038)&4294967295
	s_addc_u32 s15, s15, (.LBB1_23245-.Lpost_getpc8038)>>32
	s_setpc_b64 s[14:15]
.LBB1_8909:
	s_or_saveexec_b64 s[6:7], s[6:7]
	v_mov_b32_e32 v6, s10
	s_xor_b64 exec, exec, s[6:7]
	s_cbranch_execz .LBB1_8910
; %bb.44751:
	s_getpc_b64 s[14:15]
.Lpost_getpc8039:
	s_add_u32 s14, s14, (.LBB1_23248-.Lpost_getpc8039)&4294967295
	s_addc_u32 s15, s15, (.LBB1_23248-.Lpost_getpc8039)>>32
	s_setpc_b64 s[14:15]
.LBB1_8910:
	s_or_b64 exec, exec, s[6:7]
	s_and_saveexec_b64 s[6:7], s[4:5]
	s_cbranch_execz .LBB1_8912
.LBB1_8911:
	v_bfe_u32 v6, v4, 8, 3
	v_ffbh_u32_e32 v12, v6
	v_min_u32_e32 v12, 32, v12
	v_lshrrev_b16_e32 v7, 3, v3
	v_subrev_u32_e32 v13, 28, v12
	v_and_b32_e32 v7, 15, v7
	v_lshlrev_b32_e32 v3, v13, v3
	v_sub_u32_e32 v12, 29, v12
	v_and_b32_e32 v3, 7, v3
	v_cmp_eq_u16_e32 vcc, 0, v7
	v_cndmask_b32_e32 v3, v6, v3, vcc
	v_cndmask_b32_e32 v6, v7, v12, vcc
	v_lshlrev_b32_e32 v7, 16, v4
	v_mov_b32_e32 v12, 0x3b800000
	v_lshlrev_b32_e32 v3, 20, v3
	v_and_b32_e32 v7, 0x80000000, v7
	v_lshl_add_u32 v6, v6, 23, v12
	v_or3_b32 v6, v7, v6, v3
.LBB1_8912:
	s_or_b64 exec, exec, s[6:7]
	s_nop 0
	v_mfma_f32_16x16x4f32 a[0:3], v2, v6, a[0:3]
	s_movk_i32 s4, 0xff
	v_and_b32_sdwa v3, v8, s4 dst_sel:DWORD dst_unused:UNUSED_PAD src0_sel:WORD_1 src1_sel:DWORD
	s_movk_i32 s4, 0x7f
	v_cmp_lt_i16_e32 vcc, s4, v3
	s_mov_b64 s[4:5], 0
                                        ; implicit-def: $sgpr10
	s_and_saveexec_b64 s[6:7], vcc
	s_xor_b64 s[6:7], exec, s[6:7]
	s_cbranch_execz .LBB1_8913
; %bb.44753:
	s_getpc_b64 s[14:15]
.Lpost_getpc8040:
	s_add_u32 s14, s14, (.LBB1_23249-.Lpost_getpc8040)&4294967295
	s_addc_u32 s15, s15, (.LBB1_23249-.Lpost_getpc8040)>>32
	s_setpc_b64 s[14:15]
.LBB1_8913:
	s_or_saveexec_b64 s[6:7], s[6:7]
	v_mov_b32_e32 v2, s10
	s_xor_b64 exec, exec, s[6:7]
	s_cbranch_execz .LBB1_8914
; %bb.44755:
	s_getpc_b64 s[14:15]
.Lpost_getpc8041:
	s_add_u32 s14, s14, (.LBB1_23252-.Lpost_getpc8041)&4294967295
	s_addc_u32 s15, s15, (.LBB1_23252-.Lpost_getpc8041)>>32
	s_setpc_b64 s[14:15]
.LBB1_8914:
	s_or_b64 exec, exec, s[6:7]
	s_and_saveexec_b64 s[6:7], s[4:5]
	s_cbranch_execz .LBB1_8916
.LBB1_8915:
	v_bfe_u32 v2, v8, 16, 3
	v_ffbh_u32_e32 v7, v2
	v_min_u32_e32 v7, 32, v7
	v_lshrrev_b32_e32 v3, 19, v8
	v_subrev_u32_e32 v12, 28, v7
	v_and_b32_e32 v3, 15, v3
	v_lshlrev_b32_sdwa v12, v12, v8 dst_sel:DWORD dst_unused:UNUSED_PAD src0_sel:DWORD src1_sel:WORD_1
	v_bfe_u32 v6, v8, 19, 4
	v_sub_u32_e32 v7, 29, v7
	v_and_b32_e32 v12, 7, v12
	v_cmp_eq_u16_e32 vcc, 0, v3
	v_cndmask_b32_e32 v2, v2, v12, vcc
	v_cndmask_b32_e32 v3, v6, v7, vcc
	v_lshlrev_b32_e32 v6, 8, v8
	v_mov_b32_e32 v7, 0x3b800000
	v_lshlrev_b32_e32 v2, 20, v2
	v_and_b32_e32 v6, 0x80000000, v6
	v_lshl_add_u32 v3, v3, 23, v7
	v_or3_b32 v2, v6, v3, v2
.LBB1_8916:
	s_or_b64 exec, exec, s[6:7]
	s_movk_i32 s4, 0xff
	v_and_b32_sdwa v3, v4, s4 dst_sel:DWORD dst_unused:UNUSED_PAD src0_sel:WORD_1 src1_sel:DWORD
	s_movk_i32 s4, 0x7f
	v_cmp_lt_i16_e32 vcc, s4, v3
	s_mov_b64 s[4:5], 0
                                        ; implicit-def: $sgpr10
	s_and_saveexec_b64 s[6:7], vcc
	s_xor_b64 s[6:7], exec, s[6:7]
	s_cbranch_execz .LBB1_8917
; %bb.44757:
	s_getpc_b64 s[14:15]
.Lpost_getpc8042:
	s_add_u32 s14, s14, (.LBB1_23253-.Lpost_getpc8042)&4294967295
	s_addc_u32 s15, s15, (.LBB1_23253-.Lpost_getpc8042)>>32
	s_setpc_b64 s[14:15]
.LBB1_8917:
	s_or_saveexec_b64 s[6:7], s[6:7]
	v_mov_b32_e32 v6, s10
	s_xor_b64 exec, exec, s[6:7]
	s_cbranch_execz .LBB1_8918
; %bb.44759:
	s_getpc_b64 s[14:15]
.Lpost_getpc8043:
	s_add_u32 s14, s14, (.LBB1_23256-.Lpost_getpc8043)&4294967295
	s_addc_u32 s15, s15, (.LBB1_23256-.Lpost_getpc8043)>>32
	s_setpc_b64 s[14:15]
.LBB1_8918:
	s_or_b64 exec, exec, s[6:7]
	s_and_saveexec_b64 s[6:7], s[4:5]
	s_cbranch_execz .LBB1_8920
.LBB1_8919:
	v_bfe_u32 v3, v4, 16, 3
	v_ffbh_u32_e32 v12, v3
	v_min_u32_e32 v12, 32, v12
	v_lshrrev_b32_e32 v6, 19, v4
	v_subrev_u32_e32 v13, 28, v12
	v_and_b32_e32 v6, 15, v6
	v_lshlrev_b32_sdwa v13, v13, v4 dst_sel:DWORD dst_unused:UNUSED_PAD src0_sel:DWORD src1_sel:WORD_1
	v_bfe_u32 v7, v4, 19, 4
	v_sub_u32_e32 v12, 29, v12
	v_and_b32_e32 v13, 7, v13
	v_cmp_eq_u16_e32 vcc, 0, v6
	v_cndmask_b32_e32 v3, v3, v13, vcc
	v_cndmask_b32_e32 v6, v7, v12, vcc
	v_lshlrev_b32_e32 v7, 8, v4
	v_mov_b32_e32 v12, 0x3b800000
	v_lshlrev_b32_e32 v3, 20, v3
	v_and_b32_e32 v7, 0x80000000, v7
	v_lshl_add_u32 v6, v6, 23, v12
	v_or3_b32 v6, v7, v6, v3
.LBB1_8920:
	s_or_b64 exec, exec, s[6:7]
	s_nop 0
	v_mfma_f32_16x16x4f32 a[0:3], v2, v6, a[0:3]
	s_movk_i32 s4, 0x7f
	v_cmp_gt_i16_sdwa s[6:7], v8, s4 src0_sel:BYTE_3 src1_sel:DWORD
	s_mov_b64 s[4:5], 0
                                        ; implicit-def: $sgpr10
	s_and_saveexec_b64 s[8:9], s[6:7]
	s_xor_b64 s[6:7], exec, s[8:9]
	s_cbranch_execz .LBB1_8921
; %bb.44761:
	s_getpc_b64 s[14:15]
.Lpost_getpc8044:
	s_add_u32 s14, s14, (.LBB1_23257-.Lpost_getpc8044)&4294967295
	s_addc_u32 s15, s15, (.LBB1_23257-.Lpost_getpc8044)>>32
	s_setpc_b64 s[14:15]
.LBB1_8921:
	s_or_saveexec_b64 s[6:7], s[6:7]
	v_mov_b32_e32 v2, s10
	s_xor_b64 exec, exec, s[6:7]
	s_cbranch_execz .LBB1_8922
; %bb.44763:
	s_getpc_b64 s[14:15]
.Lpost_getpc8045:
	s_add_u32 s14, s14, (.LBB1_23260-.Lpost_getpc8045)&4294967295
	s_addc_u32 s15, s15, (.LBB1_23260-.Lpost_getpc8045)>>32
	s_setpc_b64 s[14:15]
.LBB1_8922:
	s_or_b64 exec, exec, s[6:7]
	s_and_saveexec_b64 s[6:7], s[4:5]
	s_cbranch_execz .LBB1_8924
.LBB1_8923:
	v_bfe_u32 v2, v8, 24, 3
	v_ffbh_u32_e32 v12, v2
	v_min_u32_e32 v12, 32, v12
	v_lshrrev_b32_e32 v6, 27, v8
	v_subrev_u32_e32 v13, 28, v12
	v_and_b32_e32 v3, 0x80000000, v8
	v_and_b32_e32 v6, 15, v6
	v_bfe_u32 v7, v8, 27, 4
	v_lshlrev_b32_sdwa v8, v13, v8 dst_sel:DWORD dst_unused:UNUSED_PAD src0_sel:DWORD src1_sel:BYTE_3
	v_sub_u32_e32 v12, 29, v12
	v_and_b32_e32 v8, 7, v8
	v_cmp_eq_u16_e32 vcc, 0, v6
	v_cndmask_b32_e32 v2, v2, v8, vcc
	v_cndmask_b32_e32 v6, v7, v12, vcc
	v_mov_b32_e32 v7, 0x3b800000
	v_lshlrev_b32_e32 v2, 20, v2
	v_lshl_add_u32 v6, v6, 23, v7
	v_or3_b32 v2, v3, v6, v2
.LBB1_8924:
	s_or_b64 exec, exec, s[6:7]
	s_movk_i32 s4, 0x7f
	v_cmp_gt_i16_sdwa s[6:7], v4, s4 src0_sel:BYTE_3 src1_sel:DWORD
	s_mov_b64 s[4:5], 0
                                        ; implicit-def: $sgpr10
	s_and_saveexec_b64 s[8:9], s[6:7]
	s_xor_b64 s[6:7], exec, s[8:9]
	s_cbranch_execz .LBB1_8925
; %bb.44765:
	s_getpc_b64 s[14:15]
.Lpost_getpc8046:
	s_add_u32 s14, s14, (.LBB1_23261-.Lpost_getpc8046)&4294967295
	s_addc_u32 s15, s15, (.LBB1_23261-.Lpost_getpc8046)>>32
	s_setpc_b64 s[14:15]
.LBB1_8925:
	s_or_saveexec_b64 s[6:7], s[6:7]
	v_mov_b32_e32 v3, s10
	s_xor_b64 exec, exec, s[6:7]
	s_cbranch_execz .LBB1_8926
; %bb.44767:
	s_getpc_b64 s[14:15]
.Lpost_getpc8047:
	s_add_u32 s14, s14, (.LBB1_23264-.Lpost_getpc8047)&4294967295
	s_addc_u32 s15, s15, (.LBB1_23264-.Lpost_getpc8047)>>32
	s_setpc_b64 s[14:15]
.LBB1_8926:
	s_or_b64 exec, exec, s[6:7]
	s_and_saveexec_b64 s[6:7], s[4:5]
	s_cbranch_execz .LBB1_8928
.LBB1_8927:
	v_bfe_u32 v3, v4, 24, 3
	v_ffbh_u32_e32 v12, v3
	v_min_u32_e32 v12, 32, v12
	v_lshrrev_b32_e32 v7, 27, v4
	v_subrev_u32_e32 v13, 28, v12
	v_and_b32_e32 v6, 0x80000000, v4
	v_and_b32_e32 v7, 15, v7
	v_bfe_u32 v8, v4, 27, 4
	v_lshlrev_b32_sdwa v4, v13, v4 dst_sel:DWORD dst_unused:UNUSED_PAD src0_sel:DWORD src1_sel:BYTE_3
	v_sub_u32_e32 v12, 29, v12
	v_and_b32_e32 v4, 7, v4
	v_cmp_eq_u16_e32 vcc, 0, v7
	v_cndmask_b32_e32 v3, v3, v4, vcc
	v_cndmask_b32_e32 v4, v8, v12, vcc
	v_mov_b32_e32 v7, 0x3b800000
	v_lshlrev_b32_e32 v3, 20, v3
	v_lshl_add_u32 v4, v4, 23, v7
	v_or3_b32 v3, v6, v4, v3
.LBB1_8928:
	s_or_b64 exec, exec, s[6:7]
	s_nop 0
	v_mfma_f32_16x16x4f32 a[0:3], v2, v3, a[0:3]
	s_movk_i32 s4, 0x7f
	v_cmp_gt_i16_sdwa s[6:7], v9, s4 src0_sel:BYTE_0 src1_sel:DWORD
	s_mov_b64 s[4:5], 0
                                        ; implicit-def: $sgpr10
	s_and_saveexec_b64 s[8:9], s[6:7]
	s_xor_b64 s[6:7], exec, s[8:9]
	s_cbranch_execz .LBB1_8929
; %bb.44769:
	s_getpc_b64 s[14:15]
.Lpost_getpc8048:
	s_add_u32 s14, s14, (.LBB1_23265-.Lpost_getpc8048)&4294967295
	s_addc_u32 s15, s15, (.LBB1_23265-.Lpost_getpc8048)>>32
	s_setpc_b64 s[14:15]
.LBB1_8929:
	s_or_saveexec_b64 s[6:7], s[6:7]
	v_mov_b32_e32 v2, s10
	s_xor_b64 exec, exec, s[6:7]
	s_cbranch_execz .LBB1_8930
; %bb.44771:
	s_getpc_b64 s[14:15]
.Lpost_getpc8049:
	s_add_u32 s14, s14, (.LBB1_23268-.Lpost_getpc8049)&4294967295
	s_addc_u32 s15, s15, (.LBB1_23268-.Lpost_getpc8049)>>32
	s_setpc_b64 s[14:15]
.LBB1_8930:
	s_or_b64 exec, exec, s[6:7]
	s_and_saveexec_b64 s[6:7], s[4:5]
	s_cbranch_execz .LBB1_8932
.LBB1_8931:
	v_mov_b32_e32 v2, 8
	v_and_b32_e32 v3, 7, v9
	v_lshrrev_b32_sdwa v2, v2, v9 dst_sel:BYTE_1 dst_unused:UNUSED_PAD src0_sel:DWORD src1_sel:DWORD
	v_ffbh_u32_e32 v4, v3
	v_or_b32_sdwa v2, v9, v2 dst_sel:DWORD dst_unused:UNUSED_PAD src0_sel:BYTE_0 src1_sel:DWORD
	v_min_u32_e32 v4, 32, v4
	v_lshrrev_b16_e32 v2, 3, v2
	v_subrev_u32_e32 v6, 28, v4
	v_and_b32_e32 v2, 15, v2
	v_lshlrev_b32_e32 v6, v6, v9
	v_sub_u32_e32 v4, 29, v4
	v_and_b32_e32 v6, 7, v6
	v_cmp_eq_u16_e32 vcc, 0, v2
	v_cndmask_b32_e32 v3, v3, v6, vcc
	v_cndmask_b32_e32 v2, v2, v4, vcc
	v_lshlrev_b32_e32 v4, 24, v9
	v_mov_b32_e32 v6, 0x3b800000
	v_lshlrev_b32_e32 v3, 20, v3
	v_and_b32_e32 v4, 0x80000000, v4
	v_lshl_add_u32 v2, v2, 23, v6
	v_or3_b32 v2, v4, v2, v3
.LBB1_8932:
	s_or_b64 exec, exec, s[6:7]
	s_movk_i32 s4, 0x7f
	v_cmp_gt_i16_sdwa s[6:7], v5, s4 src0_sel:BYTE_0 src1_sel:DWORD
	s_mov_b64 s[4:5], 0
                                        ; implicit-def: $sgpr10
	s_and_saveexec_b64 s[8:9], s[6:7]
	s_xor_b64 s[6:7], exec, s[8:9]
	s_cbranch_execz .LBB1_8933
; %bb.44773:
	s_getpc_b64 s[14:15]
.Lpost_getpc8050:
	s_add_u32 s14, s14, (.LBB1_23269-.Lpost_getpc8050)&4294967295
	s_addc_u32 s15, s15, (.LBB1_23269-.Lpost_getpc8050)>>32
	s_setpc_b64 s[14:15]
.LBB1_8933:
	s_or_saveexec_b64 s[6:7], s[6:7]
	v_mov_b32_e32 v3, s10
	s_xor_b64 exec, exec, s[6:7]
	s_cbranch_execz .LBB1_8934
; %bb.44775:
	s_getpc_b64 s[14:15]
.Lpost_getpc8051:
	s_add_u32 s14, s14, (.LBB1_23272-.Lpost_getpc8051)&4294967295
	s_addc_u32 s15, s15, (.LBB1_23272-.Lpost_getpc8051)>>32
	s_setpc_b64 s[14:15]
.LBB1_8934:
	s_or_b64 exec, exec, s[6:7]
	s_and_saveexec_b64 s[6:7], s[4:5]
	s_cbranch_execz .LBB1_8936
.LBB1_8935:
	v_mov_b32_e32 v3, 8
	v_and_b32_e32 v4, 7, v5
	v_lshrrev_b32_sdwa v3, v3, v5 dst_sel:BYTE_1 dst_unused:UNUSED_PAD src0_sel:DWORD src1_sel:DWORD
	v_ffbh_u32_e32 v6, v4
	v_or_b32_sdwa v3, v5, v3 dst_sel:DWORD dst_unused:UNUSED_PAD src0_sel:BYTE_0 src1_sel:DWORD
	v_min_u32_e32 v6, 32, v6
	v_lshrrev_b16_e32 v3, 3, v3
	v_subrev_u32_e32 v7, 28, v6
	v_and_b32_e32 v3, 15, v3
	v_lshlrev_b32_e32 v7, v7, v5
	v_sub_u32_e32 v6, 29, v6
	v_and_b32_e32 v7, 7, v7
	v_cmp_eq_u16_e32 vcc, 0, v3
	v_cndmask_b32_e32 v4, v4, v7, vcc
	v_cndmask_b32_e32 v3, v3, v6, vcc
	v_lshlrev_b32_e32 v6, 24, v5
	v_mov_b32_e32 v7, 0x3b800000
	v_lshlrev_b32_e32 v4, 20, v4
	v_and_b32_e32 v6, 0x80000000, v6
	v_lshl_add_u32 v3, v3, 23, v7
	v_or3_b32 v3, v6, v3, v4
.LBB1_8936:
	s_or_b64 exec, exec, s[6:7]
	s_nop 0
	v_mfma_f32_16x16x4f32 a[0:3], v2, v3, a[0:3]
	v_lshrrev_b32_e32 v3, 8, v9
	s_movk_i32 s4, 0x7f
	v_cmp_gt_i16_sdwa s[6:7], v3, s4 src0_sel:BYTE_0 src1_sel:DWORD
	s_mov_b64 s[4:5], 0
                                        ; implicit-def: $sgpr10
	s_and_saveexec_b64 s[8:9], s[6:7]
	s_xor_b64 s[6:7], exec, s[8:9]
	s_cbranch_execz .LBB1_8937
; %bb.44777:
	s_getpc_b64 s[14:15]
.Lpost_getpc8052:
	s_add_u32 s14, s14, (.LBB1_23273-.Lpost_getpc8052)&4294967295
	s_addc_u32 s15, s15, (.LBB1_23273-.Lpost_getpc8052)>>32
	s_setpc_b64 s[14:15]
.LBB1_8937:
	s_or_saveexec_b64 s[6:7], s[6:7]
	v_mov_b32_e32 v2, s10
	s_xor_b64 exec, exec, s[6:7]
	s_cbranch_execz .LBB1_8938
; %bb.44779:
	s_getpc_b64 s[14:15]
.Lpost_getpc8053:
	s_add_u32 s14, s14, (.LBB1_23276-.Lpost_getpc8053)&4294967295
	s_addc_u32 s15, s15, (.LBB1_23276-.Lpost_getpc8053)>>32
	s_setpc_b64 s[14:15]
.LBB1_8938:
	s_or_b64 exec, exec, s[6:7]
	s_and_saveexec_b64 s[6:7], s[4:5]
	s_cbranch_execz .LBB1_8940
.LBB1_8939:
	v_bfe_u32 v2, v9, 8, 3
	v_ffbh_u32_e32 v6, v2
	v_min_u32_e32 v6, 32, v6
	v_lshrrev_b16_e32 v4, 3, v3
	v_subrev_u32_e32 v7, 28, v6
	v_and_b32_e32 v4, 15, v4
	v_lshlrev_b32_e32 v3, v7, v3
	v_sub_u32_e32 v6, 29, v6
	v_and_b32_e32 v3, 7, v3
	v_cmp_eq_u16_e32 vcc, 0, v4
	v_cndmask_b32_e32 v2, v2, v3, vcc
	v_cndmask_b32_e32 v3, v4, v6, vcc
	v_lshlrev_b32_e32 v4, 16, v9
	v_mov_b32_e32 v6, 0x3b800000
	v_lshlrev_b32_e32 v2, 20, v2
	v_and_b32_e32 v4, 0x80000000, v4
	v_lshl_add_u32 v3, v3, 23, v6
	v_or3_b32 v2, v4, v3, v2
.LBB1_8940:
	s_or_b64 exec, exec, s[6:7]
	v_lshrrev_b32_e32 v3, 8, v5
	s_movk_i32 s4, 0x7f
	v_cmp_gt_i16_sdwa s[6:7], v3, s4 src0_sel:BYTE_0 src1_sel:DWORD
	s_mov_b64 s[4:5], 0
                                        ; implicit-def: $sgpr10
	s_and_saveexec_b64 s[8:9], s[6:7]
	s_xor_b64 s[6:7], exec, s[8:9]
	s_cbranch_execz .LBB1_8941
; %bb.44781:
	s_getpc_b64 s[14:15]
.Lpost_getpc8054:
	s_add_u32 s14, s14, (.LBB1_23277-.Lpost_getpc8054)&4294967295
	s_addc_u32 s15, s15, (.LBB1_23277-.Lpost_getpc8054)>>32
	s_setpc_b64 s[14:15]
.LBB1_8941:
	s_or_saveexec_b64 s[6:7], s[6:7]
	v_mov_b32_e32 v4, s10
	s_xor_b64 exec, exec, s[6:7]
	s_cbranch_execz .LBB1_8942
; %bb.44783:
	s_getpc_b64 s[14:15]
.Lpost_getpc8055:
	s_add_u32 s14, s14, (.LBB1_23280-.Lpost_getpc8055)&4294967295
	s_addc_u32 s15, s15, (.LBB1_23280-.Lpost_getpc8055)>>32
	s_setpc_b64 s[14:15]
.LBB1_8942:
	s_or_b64 exec, exec, s[6:7]
	s_and_saveexec_b64 s[6:7], s[4:5]
	s_cbranch_execz .LBB1_8944
.LBB1_8943:
	v_bfe_u32 v4, v5, 8, 3
	v_ffbh_u32_e32 v7, v4
	v_min_u32_e32 v7, 32, v7
	v_lshrrev_b16_e32 v6, 3, v3
	v_subrev_u32_e32 v8, 28, v7
	v_and_b32_e32 v6, 15, v6
	v_lshlrev_b32_e32 v3, v8, v3
	v_sub_u32_e32 v7, 29, v7
	v_and_b32_e32 v3, 7, v3
	v_cmp_eq_u16_e32 vcc, 0, v6
	v_cndmask_b32_e32 v3, v4, v3, vcc
	v_cndmask_b32_e32 v4, v6, v7, vcc
	v_lshlrev_b32_e32 v6, 16, v5
	v_mov_b32_e32 v7, 0x3b800000
	v_lshlrev_b32_e32 v3, 20, v3
	v_and_b32_e32 v6, 0x80000000, v6
	v_lshl_add_u32 v4, v4, 23, v7
	v_or3_b32 v4, v6, v4, v3
.LBB1_8944:
	s_or_b64 exec, exec, s[6:7]
	s_nop 0
	v_mfma_f32_16x16x4f32 a[0:3], v2, v4, a[0:3]
	s_movk_i32 s4, 0xff
	v_and_b32_sdwa v3, v9, s4 dst_sel:DWORD dst_unused:UNUSED_PAD src0_sel:WORD_1 src1_sel:DWORD
	s_movk_i32 s4, 0x7f
	v_cmp_lt_i16_e32 vcc, s4, v3
	s_mov_b64 s[4:5], 0
                                        ; implicit-def: $sgpr10
	s_and_saveexec_b64 s[6:7], vcc
	s_xor_b64 s[6:7], exec, s[6:7]
	s_cbranch_execz .LBB1_8945
; %bb.44785:
	s_getpc_b64 s[14:15]
.Lpost_getpc8056:
	s_add_u32 s14, s14, (.LBB1_23281-.Lpost_getpc8056)&4294967295
	s_addc_u32 s15, s15, (.LBB1_23281-.Lpost_getpc8056)>>32
	s_setpc_b64 s[14:15]
.LBB1_8945:
	s_or_saveexec_b64 s[6:7], s[6:7]
	v_mov_b32_e32 v2, s10
	s_xor_b64 exec, exec, s[6:7]
	s_cbranch_execz .LBB1_8946
; %bb.44787:
	s_getpc_b64 s[14:15]
.Lpost_getpc8057:
	s_add_u32 s14, s14, (.LBB1_23284-.Lpost_getpc8057)&4294967295
	s_addc_u32 s15, s15, (.LBB1_23284-.Lpost_getpc8057)>>32
	s_setpc_b64 s[14:15]
.LBB1_8946:
	s_or_b64 exec, exec, s[6:7]
	s_and_saveexec_b64 s[6:7], s[4:5]
	s_cbranch_execz .LBB1_8948
.LBB1_8947:
	v_bfe_u32 v2, v9, 16, 3
	v_ffbh_u32_e32 v6, v2
	v_min_u32_e32 v6, 32, v6
	v_lshrrev_b32_e32 v3, 19, v9
	v_subrev_u32_e32 v7, 28, v6
	v_and_b32_e32 v3, 15, v3
	v_lshlrev_b32_sdwa v7, v7, v9 dst_sel:DWORD dst_unused:UNUSED_PAD src0_sel:DWORD src1_sel:WORD_1
	v_bfe_u32 v4, v9, 19, 4
	v_sub_u32_e32 v6, 29, v6
	v_and_b32_e32 v7, 7, v7
	v_cmp_eq_u16_e32 vcc, 0, v3
	v_cndmask_b32_e32 v2, v2, v7, vcc
	v_cndmask_b32_e32 v3, v4, v6, vcc
	v_lshlrev_b32_e32 v4, 8, v9
	v_mov_b32_e32 v6, 0x3b800000
	v_lshlrev_b32_e32 v2, 20, v2
	v_and_b32_e32 v4, 0x80000000, v4
	v_lshl_add_u32 v3, v3, 23, v6
	v_or3_b32 v2, v4, v3, v2
.LBB1_8948:
	s_or_b64 exec, exec, s[6:7]
	s_movk_i32 s4, 0xff
	v_and_b32_sdwa v3, v5, s4 dst_sel:DWORD dst_unused:UNUSED_PAD src0_sel:WORD_1 src1_sel:DWORD
	s_movk_i32 s4, 0x7f
	v_cmp_lt_i16_e32 vcc, s4, v3
	s_mov_b64 s[4:5], 0
                                        ; implicit-def: $sgpr10
	s_and_saveexec_b64 s[6:7], vcc
	s_xor_b64 s[6:7], exec, s[6:7]
	s_cbranch_execz .LBB1_8949
; %bb.44789:
	s_getpc_b64 s[14:15]
.Lpost_getpc8058:
	s_add_u32 s14, s14, (.LBB1_23285-.Lpost_getpc8058)&4294967295
	s_addc_u32 s15, s15, (.LBB1_23285-.Lpost_getpc8058)>>32
	s_setpc_b64 s[14:15]
.LBB1_8949:
	s_or_saveexec_b64 s[6:7], s[6:7]
	v_mov_b32_e32 v4, s10
	s_xor_b64 exec, exec, s[6:7]
	s_cbranch_execz .LBB1_8950
; %bb.44791:
	s_getpc_b64 s[14:15]
.Lpost_getpc8059:
	s_add_u32 s14, s14, (.LBB1_23288-.Lpost_getpc8059)&4294967295
	s_addc_u32 s15, s15, (.LBB1_23288-.Lpost_getpc8059)>>32
	s_setpc_b64 s[14:15]
.LBB1_8950:
	s_or_b64 exec, exec, s[6:7]
	s_and_saveexec_b64 s[6:7], s[4:5]
	s_cbranch_execz .LBB1_8952
.LBB1_8951:
	v_bfe_u32 v3, v5, 16, 3
	v_ffbh_u32_e32 v7, v3
	v_min_u32_e32 v7, 32, v7
	v_lshrrev_b32_e32 v4, 19, v5
	v_subrev_u32_e32 v8, 28, v7
	v_and_b32_e32 v4, 15, v4
	v_lshlrev_b32_sdwa v8, v8, v5 dst_sel:DWORD dst_unused:UNUSED_PAD src0_sel:DWORD src1_sel:WORD_1
	v_bfe_u32 v6, v5, 19, 4
	v_sub_u32_e32 v7, 29, v7
	v_and_b32_e32 v8, 7, v8
	v_cmp_eq_u16_e32 vcc, 0, v4
	v_cndmask_b32_e32 v3, v3, v8, vcc
	v_cndmask_b32_e32 v4, v6, v7, vcc
	v_lshlrev_b32_e32 v6, 8, v5
	v_mov_b32_e32 v7, 0x3b800000
	v_lshlrev_b32_e32 v3, 20, v3
	v_and_b32_e32 v6, 0x80000000, v6
	v_lshl_add_u32 v4, v4, 23, v7
	v_or3_b32 v4, v6, v4, v3
.LBB1_8952:
	s_or_b64 exec, exec, s[6:7]
	s_nop 0
	v_mfma_f32_16x16x4f32 a[0:3], v2, v4, a[0:3]
	s_movk_i32 s4, 0x7f
	v_cmp_gt_i16_sdwa s[6:7], v9, s4 src0_sel:BYTE_3 src1_sel:DWORD
	s_mov_b64 s[4:5], 0
                                        ; implicit-def: $sgpr10
	s_and_saveexec_b64 s[8:9], s[6:7]
	s_xor_b64 s[6:7], exec, s[8:9]
	s_cbranch_execz .LBB1_8953
; %bb.44793:
	s_getpc_b64 s[14:15]
.Lpost_getpc8060:
	s_add_u32 s14, s14, (.LBB1_23289-.Lpost_getpc8060)&4294967295
	s_addc_u32 s15, s15, (.LBB1_23289-.Lpost_getpc8060)>>32
	s_setpc_b64 s[14:15]
.LBB1_8953:
	s_or_saveexec_b64 s[6:7], s[6:7]
	v_mov_b32_e32 v2, s10
	s_xor_b64 exec, exec, s[6:7]
	s_cbranch_execz .LBB1_8954
; %bb.44795:
	s_getpc_b64 s[14:15]
.Lpost_getpc8061:
	s_add_u32 s14, s14, (.LBB1_23292-.Lpost_getpc8061)&4294967295
	s_addc_u32 s15, s15, (.LBB1_23292-.Lpost_getpc8061)>>32
	s_setpc_b64 s[14:15]
.LBB1_8954:
	s_or_b64 exec, exec, s[6:7]
	s_and_saveexec_b64 s[6:7], s[4:5]
	s_cbranch_execz .LBB1_8956
.LBB1_8955:
	v_bfe_u32 v2, v9, 24, 3
	v_ffbh_u32_e32 v7, v2
	v_min_u32_e32 v7, 32, v7
	v_lshrrev_b32_e32 v4, 27, v9
	v_subrev_u32_e32 v8, 28, v7
	v_and_b32_e32 v4, 15, v4
	v_lshlrev_b32_sdwa v8, v8, v9 dst_sel:DWORD dst_unused:UNUSED_PAD src0_sel:DWORD src1_sel:BYTE_3
	v_bfe_u32 v6, v9, 27, 4
	v_sub_u32_e32 v7, 29, v7
	v_and_b32_e32 v8, 7, v8
	v_cmp_eq_u16_e32 vcc, 0, v4
	v_cndmask_b32_e32 v2, v2, v8, vcc
	v_cndmask_b32_e32 v4, v6, v7, vcc
	v_mov_b32_e32 v6, 0x3b800000
	v_and_b32_e32 v3, 0x80000000, v9
	v_lshlrev_b32_e32 v2, 20, v2
	v_lshl_add_u32 v4, v4, 23, v6
	v_or3_b32 v2, v3, v4, v2
.LBB1_8956:
	s_or_b64 exec, exec, s[6:7]
	s_movk_i32 s4, 0x7f
	v_cmp_gt_i16_sdwa s[6:7], v5, s4 src0_sel:BYTE_3 src1_sel:DWORD
	s_mov_b64 s[4:5], 0
                                        ; implicit-def: $sgpr10
	s_and_saveexec_b64 s[8:9], s[6:7]
	s_xor_b64 s[6:7], exec, s[8:9]
	s_cbranch_execz .LBB1_8957
; %bb.44797:
	s_getpc_b64 s[14:15]
.Lpost_getpc8062:
	s_add_u32 s14, s14, (.LBB1_23293-.Lpost_getpc8062)&4294967295
	s_addc_u32 s15, s15, (.LBB1_23293-.Lpost_getpc8062)>>32
	s_setpc_b64 s[14:15]
.LBB1_8957:
	s_or_saveexec_b64 s[6:7], s[6:7]
	v_mov_b32_e32 v3, s10
	s_xor_b64 exec, exec, s[6:7]
	s_cbranch_execz .LBB1_8958
; %bb.44799:
	s_getpc_b64 s[14:15]
.Lpost_getpc8063:
	s_add_u32 s14, s14, (.LBB1_23296-.Lpost_getpc8063)&4294967295
	s_addc_u32 s15, s15, (.LBB1_23296-.Lpost_getpc8063)>>32
	s_setpc_b64 s[14:15]
.LBB1_8958:
	s_or_b64 exec, exec, s[6:7]
	s_and_saveexec_b64 s[6:7], s[4:5]
	s_cbranch_execz .LBB1_8960
.LBB1_8959:
	v_bfe_u32 v3, v5, 24, 3
	v_ffbh_u32_e32 v8, v3
	v_min_u32_e32 v8, 32, v8
	v_lshrrev_b32_e32 v6, 27, v5
	v_subrev_u32_e32 v9, 28, v8
	v_and_b32_e32 v4, 0x80000000, v5
	v_and_b32_e32 v6, 15, v6
	v_bfe_u32 v7, v5, 27, 4
	v_lshlrev_b32_sdwa v5, v9, v5 dst_sel:DWORD dst_unused:UNUSED_PAD src0_sel:DWORD src1_sel:BYTE_3
	v_sub_u32_e32 v8, 29, v8
	v_and_b32_e32 v5, 7, v5
	v_cmp_eq_u16_e32 vcc, 0, v6
	v_cndmask_b32_e32 v3, v3, v5, vcc
	v_cndmask_b32_e32 v5, v7, v8, vcc
	v_mov_b32_e32 v6, 0x3b800000
	v_lshlrev_b32_e32 v3, 20, v3
	v_lshl_add_u32 v5, v5, 23, v6
	v_or3_b32 v3, v4, v5, v3
.LBB1_8960:
	s_or_b64 exec, exec, s[6:7]
	s_nop 0
	v_mfma_f32_16x16x4f32 a[0:3], v2, v3, a[0:3]
	s_movk_i32 s4, 0x7f
                                        ; implicit-def: $sgpr10
	s_nop 7
	s_nop 1
	flat_store_dwordx4 v[10:11], a[0:3] offset:208
	flat_load_dwordx4 v[12:15], v[0:1]
	s_nop 0
	flat_load_dwordx2 v[10:11], v[0:1] offset:16
	s_waitcnt vmcnt(0) lgkmcnt(0)
	flat_load_dwordx4 v[6:9], v[12:13] offset:128
	flat_load_dwordx4 v[2:5], v[14:15] offset:224
	s_waitcnt vmcnt(0) lgkmcnt(0)
	v_cmp_gt_i16_sdwa s[6:7], v6, s4 src0_sel:BYTE_0 src1_sel:DWORD
	s_mov_b64 s[4:5], 0
	s_and_saveexec_b64 s[8:9], s[6:7]
	s_xor_b64 s[6:7], exec, s[8:9]
	s_cbranch_execz .LBB1_8961
; %bb.44801:
	s_getpc_b64 s[14:15]
.Lpost_getpc8064:
	s_add_u32 s14, s14, (.LBB1_23297-.Lpost_getpc8064)&4294967295
	s_addc_u32 s15, s15, (.LBB1_23297-.Lpost_getpc8064)>>32
	s_setpc_b64 s[14:15]
.LBB1_8961:
	s_or_saveexec_b64 s[6:7], s[6:7]
	v_mov_b32_e32 v12, s10
	s_xor_b64 exec, exec, s[6:7]
	s_cbranch_execz .LBB1_8962
; %bb.44803:
	s_getpc_b64 s[14:15]
.Lpost_getpc8065:
	s_add_u32 s14, s14, (.LBB1_23300-.Lpost_getpc8065)&4294967295
	s_addc_u32 s15, s15, (.LBB1_23300-.Lpost_getpc8065)>>32
	s_setpc_b64 s[14:15]
.LBB1_8962:
	s_or_b64 exec, exec, s[6:7]
	s_and_saveexec_b64 s[6:7], s[4:5]
	s_cbranch_execz .LBB1_8964
.LBB1_8963:
	v_and_b32_e32 v12, 7, v6
	v_ffbh_u32_e32 v14, v12
	v_min_u32_e32 v14, 32, v14
	v_lshrrev_b16_e32 v13, 3, v6
	v_subrev_u32_e32 v15, 28, v14
	v_and_b32_e32 v13, 15, v13
	v_lshlrev_b32_e32 v15, v15, v6
	v_sub_u32_e32 v14, 29, v14
	v_and_b32_e32 v15, 7, v15
	v_cmp_eq_u16_e32 vcc, 0, v13
	v_cndmask_b32_e32 v12, v12, v15, vcc
	v_cndmask_b32_e32 v13, v13, v14, vcc
	v_lshlrev_b32_e32 v14, 24, v6
	v_mov_b32_e32 v15, 0x3b800000
	v_lshlrev_b32_e32 v12, 20, v12
	v_and_b32_e32 v14, 0x80000000, v14
	v_lshl_add_u32 v13, v13, 23, v15
	v_or3_b32 v12, v14, v13, v12
.LBB1_8964:
	s_or_b64 exec, exec, s[6:7]
	s_movk_i32 s4, 0x7f
	v_cmp_gt_i16_sdwa s[6:7], v2, s4 src0_sel:BYTE_0 src1_sel:DWORD
	s_mov_b64 s[4:5], 0
                                        ; implicit-def: $sgpr10
	s_and_saveexec_b64 s[8:9], s[6:7]
	s_xor_b64 s[6:7], exec, s[8:9]
	s_cbranch_execz .LBB1_8965
; %bb.44805:
	s_getpc_b64 s[14:15]
.Lpost_getpc8066:
	s_add_u32 s14, s14, (.LBB1_23301-.Lpost_getpc8066)&4294967295
	s_addc_u32 s15, s15, (.LBB1_23301-.Lpost_getpc8066)>>32
	s_setpc_b64 s[14:15]
.LBB1_8965:
	s_or_saveexec_b64 s[6:7], s[6:7]
	v_mov_b32_e32 v13, s10
	s_xor_b64 exec, exec, s[6:7]
	s_cbranch_execz .LBB1_8966
; %bb.44807:
	s_getpc_b64 s[14:15]
.Lpost_getpc8067:
	s_add_u32 s14, s14, (.LBB1_23304-.Lpost_getpc8067)&4294967295
	s_addc_u32 s15, s15, (.LBB1_23304-.Lpost_getpc8067)>>32
	s_setpc_b64 s[14:15]
.LBB1_8966:
	s_or_b64 exec, exec, s[6:7]
	s_and_saveexec_b64 s[6:7], s[4:5]
	s_cbranch_execz .LBB1_8968
.LBB1_8967:
	v_and_b32_e32 v13, 7, v2
	v_ffbh_u32_e32 v15, v13
	v_min_u32_e32 v15, 32, v15
	v_lshrrev_b16_e32 v14, 3, v2
	v_subrev_u32_e32 v16, 28, v15
	v_and_b32_e32 v14, 15, v14
	v_lshlrev_b32_e32 v16, v16, v2
	v_sub_u32_e32 v15, 29, v15
	v_and_b32_e32 v16, 7, v16
	v_cmp_eq_u16_e32 vcc, 0, v14
	v_cndmask_b32_e32 v13, v13, v16, vcc
	v_cndmask_b32_e32 v14, v14, v15, vcc
	v_lshlrev_b32_e32 v15, 24, v2
	v_mov_b32_e32 v16, 0x3b800000
	v_lshlrev_b32_e32 v13, 20, v13
	v_and_b32_e32 v15, 0x80000000, v15
	v_lshl_add_u32 v14, v14, 23, v16
	v_or3_b32 v13, v15, v14, v13
.LBB1_8968:
	s_or_b64 exec, exec, s[6:7]
	flat_load_dwordx4 a[0:3], v[10:11] offset:224
	s_movk_i32 s4, 0x7f
                                        ; implicit-def: $sgpr10
	s_waitcnt vmcnt(0) lgkmcnt(0)
	v_mfma_f32_16x16x4f32 a[0:3], v12, v13, a[0:3]
	v_lshrrev_b32_e32 v13, 8, v6
	v_cmp_gt_i16_sdwa s[6:7], v13, s4 src0_sel:BYTE_0 src1_sel:DWORD
	s_mov_b64 s[4:5], 0
	s_and_saveexec_b64 s[8:9], s[6:7]
	s_xor_b64 s[6:7], exec, s[8:9]
	s_cbranch_execz .LBB1_8969
; %bb.44809:
	s_getpc_b64 s[14:15]
.Lpost_getpc8068:
	s_add_u32 s14, s14, (.LBB1_23305-.Lpost_getpc8068)&4294967295
	s_addc_u32 s15, s15, (.LBB1_23305-.Lpost_getpc8068)>>32
	s_setpc_b64 s[14:15]
.LBB1_8969:
	s_or_saveexec_b64 s[6:7], s[6:7]
	v_mov_b32_e32 v12, s10
	s_xor_b64 exec, exec, s[6:7]
	s_cbranch_execz .LBB1_8970
; %bb.44811:
	s_getpc_b64 s[14:15]
.Lpost_getpc8069:
	s_add_u32 s14, s14, (.LBB1_23308-.Lpost_getpc8069)&4294967295
	s_addc_u32 s15, s15, (.LBB1_23308-.Lpost_getpc8069)>>32
	s_setpc_b64 s[14:15]
.LBB1_8970:
	s_or_b64 exec, exec, s[6:7]
	s_and_saveexec_b64 s[6:7], s[4:5]
	s_cbranch_execz .LBB1_8972
.LBB1_8971:
	v_bfe_u32 v12, v6, 8, 3
	v_ffbh_u32_e32 v15, v12
	v_min_u32_e32 v15, 32, v15
	v_lshrrev_b16_e32 v14, 3, v13
	v_subrev_u32_e32 v16, 28, v15
	v_and_b32_e32 v14, 15, v14
	v_lshlrev_b32_e32 v13, v16, v13
	v_sub_u32_e32 v15, 29, v15
	v_and_b32_e32 v13, 7, v13
	v_cmp_eq_u16_e32 vcc, 0, v14
	v_cndmask_b32_e32 v12, v12, v13, vcc
	v_cndmask_b32_e32 v13, v14, v15, vcc
	v_lshlrev_b32_e32 v14, 16, v6
	v_mov_b32_e32 v15, 0x3b800000
	v_lshlrev_b32_e32 v12, 20, v12
	v_and_b32_e32 v14, 0x80000000, v14
	v_lshl_add_u32 v13, v13, 23, v15
	v_or3_b32 v12, v14, v13, v12
.LBB1_8972:
	s_or_b64 exec, exec, s[6:7]
	v_lshrrev_b32_e32 v13, 8, v2
	s_movk_i32 s4, 0x7f
	v_cmp_gt_i16_sdwa s[6:7], v13, s4 src0_sel:BYTE_0 src1_sel:DWORD
	s_mov_b64 s[4:5], 0
                                        ; implicit-def: $sgpr10
	s_and_saveexec_b64 s[8:9], s[6:7]
	s_xor_b64 s[6:7], exec, s[8:9]
	s_cbranch_execz .LBB1_8973
; %bb.44813:
	s_getpc_b64 s[14:15]
.Lpost_getpc8070:
	s_add_u32 s14, s14, (.LBB1_23309-.Lpost_getpc8070)&4294967295
	s_addc_u32 s15, s15, (.LBB1_23309-.Lpost_getpc8070)>>32
	s_setpc_b64 s[14:15]
.LBB1_8973:
	s_or_saveexec_b64 s[6:7], s[6:7]
	v_mov_b32_e32 v14, s10
	s_xor_b64 exec, exec, s[6:7]
	s_cbranch_execz .LBB1_8974
; %bb.44815:
	s_getpc_b64 s[14:15]
.Lpost_getpc8071:
	s_add_u32 s14, s14, (.LBB1_23312-.Lpost_getpc8071)&4294967295
	s_addc_u32 s15, s15, (.LBB1_23312-.Lpost_getpc8071)>>32
	s_setpc_b64 s[14:15]
.LBB1_8974:
	s_or_b64 exec, exec, s[6:7]
	s_and_saveexec_b64 s[6:7], s[4:5]
	s_cbranch_execz .LBB1_8976
.LBB1_8975:
	v_bfe_u32 v14, v2, 8, 3
	v_ffbh_u32_e32 v16, v14
	v_min_u32_e32 v16, 32, v16
	v_lshrrev_b16_e32 v15, 3, v13
	v_subrev_u32_e32 v17, 28, v16
	v_and_b32_e32 v15, 15, v15
	v_lshlrev_b32_e32 v13, v17, v13
	v_sub_u32_e32 v16, 29, v16
	v_and_b32_e32 v13, 7, v13
	v_cmp_eq_u16_e32 vcc, 0, v15
	v_cndmask_b32_e32 v13, v14, v13, vcc
	v_cndmask_b32_e32 v14, v15, v16, vcc
	v_lshlrev_b32_e32 v15, 16, v2
	v_mov_b32_e32 v16, 0x3b800000
	v_lshlrev_b32_e32 v13, 20, v13
	v_and_b32_e32 v15, 0x80000000, v15
	v_lshl_add_u32 v14, v14, 23, v16
	v_or3_b32 v14, v15, v14, v13
.LBB1_8976:
	s_or_b64 exec, exec, s[6:7]
	s_nop 0
	v_mfma_f32_16x16x4f32 a[0:3], v12, v14, a[0:3]
	s_movk_i32 s4, 0xff
	v_and_b32_sdwa v13, v6, s4 dst_sel:DWORD dst_unused:UNUSED_PAD src0_sel:WORD_1 src1_sel:DWORD
	s_movk_i32 s4, 0x7f
	v_cmp_lt_i16_e32 vcc, s4, v13
	s_mov_b64 s[4:5], 0
                                        ; implicit-def: $sgpr10
	s_and_saveexec_b64 s[6:7], vcc
	s_xor_b64 s[6:7], exec, s[6:7]
	s_cbranch_execz .LBB1_8977
; %bb.44817:
	s_getpc_b64 s[14:15]
.Lpost_getpc8072:
	s_add_u32 s14, s14, (.LBB1_23313-.Lpost_getpc8072)&4294967295
	s_addc_u32 s15, s15, (.LBB1_23313-.Lpost_getpc8072)>>32
	s_setpc_b64 s[14:15]
.LBB1_8977:
	s_or_saveexec_b64 s[6:7], s[6:7]
	v_mov_b32_e32 v12, s10
	s_xor_b64 exec, exec, s[6:7]
	s_cbranch_execz .LBB1_8978
; %bb.44819:
	s_getpc_b64 s[14:15]
.Lpost_getpc8073:
	s_add_u32 s14, s14, (.LBB1_23316-.Lpost_getpc8073)&4294967295
	s_addc_u32 s15, s15, (.LBB1_23316-.Lpost_getpc8073)>>32
	s_setpc_b64 s[14:15]
.LBB1_8978:
	s_or_b64 exec, exec, s[6:7]
	s_and_saveexec_b64 s[6:7], s[4:5]
	s_cbranch_execz .LBB1_8980
.LBB1_8979:
	v_bfe_u32 v12, v6, 16, 3
	v_ffbh_u32_e32 v15, v12
	v_min_u32_e32 v15, 32, v15
	v_lshrrev_b32_e32 v13, 19, v6
	v_subrev_u32_e32 v16, 28, v15
	v_and_b32_e32 v13, 15, v13
	v_lshlrev_b32_sdwa v16, v16, v6 dst_sel:DWORD dst_unused:UNUSED_PAD src0_sel:DWORD src1_sel:WORD_1
	v_bfe_u32 v14, v6, 19, 4
	v_sub_u32_e32 v15, 29, v15
	v_and_b32_e32 v16, 7, v16
	v_cmp_eq_u16_e32 vcc, 0, v13
	v_cndmask_b32_e32 v12, v12, v16, vcc
	v_cndmask_b32_e32 v13, v14, v15, vcc
	v_lshlrev_b32_e32 v14, 8, v6
	v_mov_b32_e32 v15, 0x3b800000
	v_lshlrev_b32_e32 v12, 20, v12
	v_and_b32_e32 v14, 0x80000000, v14
	v_lshl_add_u32 v13, v13, 23, v15
	v_or3_b32 v12, v14, v13, v12
.LBB1_8980:
	s_or_b64 exec, exec, s[6:7]
	s_movk_i32 s4, 0xff
	v_and_b32_sdwa v13, v2, s4 dst_sel:DWORD dst_unused:UNUSED_PAD src0_sel:WORD_1 src1_sel:DWORD
	s_movk_i32 s4, 0x7f
	v_cmp_lt_i16_e32 vcc, s4, v13
	s_mov_b64 s[4:5], 0
                                        ; implicit-def: $sgpr10
	s_and_saveexec_b64 s[6:7], vcc
	s_xor_b64 s[6:7], exec, s[6:7]
	s_cbranch_execz .LBB1_8981
; %bb.44821:
	s_getpc_b64 s[14:15]
.Lpost_getpc8074:
	s_add_u32 s14, s14, (.LBB1_23317-.Lpost_getpc8074)&4294967295
	s_addc_u32 s15, s15, (.LBB1_23317-.Lpost_getpc8074)>>32
	s_setpc_b64 s[14:15]
.LBB1_8981:
	s_or_saveexec_b64 s[6:7], s[6:7]
	v_mov_b32_e32 v14, s10
	s_xor_b64 exec, exec, s[6:7]
	s_cbranch_execz .LBB1_8982
; %bb.44823:
	s_getpc_b64 s[14:15]
.Lpost_getpc8075:
	s_add_u32 s14, s14, (.LBB1_23320-.Lpost_getpc8075)&4294967295
	s_addc_u32 s15, s15, (.LBB1_23320-.Lpost_getpc8075)>>32
	s_setpc_b64 s[14:15]
.LBB1_8982:
	s_or_b64 exec, exec, s[6:7]
	s_and_saveexec_b64 s[6:7], s[4:5]
	s_cbranch_execz .LBB1_8984
.LBB1_8983:
	v_bfe_u32 v13, v2, 16, 3
	v_ffbh_u32_e32 v16, v13
	v_min_u32_e32 v16, 32, v16
	v_lshrrev_b32_e32 v14, 19, v2
	v_subrev_u32_e32 v17, 28, v16
	v_and_b32_e32 v14, 15, v14
	v_lshlrev_b32_sdwa v17, v17, v2 dst_sel:DWORD dst_unused:UNUSED_PAD src0_sel:DWORD src1_sel:WORD_1
	v_bfe_u32 v15, v2, 19, 4
	v_sub_u32_e32 v16, 29, v16
	v_and_b32_e32 v17, 7, v17
	v_cmp_eq_u16_e32 vcc, 0, v14
	v_cndmask_b32_e32 v13, v13, v17, vcc
	v_cndmask_b32_e32 v14, v15, v16, vcc
	v_lshlrev_b32_e32 v15, 8, v2
	v_mov_b32_e32 v16, 0x3b800000
	v_lshlrev_b32_e32 v13, 20, v13
	v_and_b32_e32 v15, 0x80000000, v15
	v_lshl_add_u32 v14, v14, 23, v16
	v_or3_b32 v14, v15, v14, v13
.LBB1_8984:
	s_or_b64 exec, exec, s[6:7]
	s_nop 0
	v_mfma_f32_16x16x4f32 a[0:3], v12, v14, a[0:3]
	s_movk_i32 s4, 0x7f
	v_cmp_gt_i16_sdwa s[6:7], v6, s4 src0_sel:BYTE_3 src1_sel:DWORD
	s_mov_b64 s[4:5], 0
                                        ; implicit-def: $sgpr10
	s_and_saveexec_b64 s[8:9], s[6:7]
	s_xor_b64 s[6:7], exec, s[8:9]
	s_cbranch_execz .LBB1_8985
; %bb.44825:
	s_getpc_b64 s[14:15]
.Lpost_getpc8076:
	s_add_u32 s14, s14, (.LBB1_23321-.Lpost_getpc8076)&4294967295
	s_addc_u32 s15, s15, (.LBB1_23321-.Lpost_getpc8076)>>32
	s_setpc_b64 s[14:15]
.LBB1_8985:
	s_or_saveexec_b64 s[6:7], s[6:7]
	v_mov_b32_e32 v12, s10
	s_xor_b64 exec, exec, s[6:7]
	s_cbranch_execz .LBB1_8986
; %bb.44827:
	s_getpc_b64 s[14:15]
.Lpost_getpc8077:
	s_add_u32 s14, s14, (.LBB1_23324-.Lpost_getpc8077)&4294967295
	s_addc_u32 s15, s15, (.LBB1_23324-.Lpost_getpc8077)>>32
	s_setpc_b64 s[14:15]
.LBB1_8986:
	s_or_b64 exec, exec, s[6:7]
	s_and_saveexec_b64 s[6:7], s[4:5]
	s_cbranch_execz .LBB1_8988
.LBB1_8987:
	v_bfe_u32 v12, v6, 24, 3
	v_ffbh_u32_e32 v16, v12
	v_min_u32_e32 v16, 32, v16
	v_lshrrev_b32_e32 v14, 27, v6
	v_subrev_u32_e32 v17, 28, v16
	v_and_b32_e32 v13, 0x80000000, v6
	v_and_b32_e32 v14, 15, v14
	v_bfe_u32 v15, v6, 27, 4
	v_lshlrev_b32_sdwa v6, v17, v6 dst_sel:DWORD dst_unused:UNUSED_PAD src0_sel:DWORD src1_sel:BYTE_3
	v_sub_u32_e32 v16, 29, v16
	v_and_b32_e32 v6, 7, v6
	v_cmp_eq_u16_e32 vcc, 0, v14
	v_cndmask_b32_e32 v6, v12, v6, vcc
	v_cndmask_b32_e32 v12, v15, v16, vcc
	v_mov_b32_e32 v14, 0x3b800000
	v_lshlrev_b32_e32 v6, 20, v6
	v_lshl_add_u32 v12, v12, 23, v14
	v_or3_b32 v12, v13, v12, v6
.LBB1_8988:
	s_or_b64 exec, exec, s[6:7]
	s_movk_i32 s4, 0x7f
	v_cmp_gt_i16_sdwa s[6:7], v2, s4 src0_sel:BYTE_3 src1_sel:DWORD
	s_mov_b64 s[4:5], 0
                                        ; implicit-def: $sgpr10
	s_and_saveexec_b64 s[8:9], s[6:7]
	s_xor_b64 s[6:7], exec, s[8:9]
	s_cbranch_execz .LBB1_8989
; %bb.44829:
	s_getpc_b64 s[14:15]
.Lpost_getpc8078:
	s_add_u32 s14, s14, (.LBB1_23325-.Lpost_getpc8078)&4294967295
	s_addc_u32 s15, s15, (.LBB1_23325-.Lpost_getpc8078)>>32
	s_setpc_b64 s[14:15]
.LBB1_8989:
	s_or_saveexec_b64 s[6:7], s[6:7]
	v_mov_b32_e32 v6, s10
	s_xor_b64 exec, exec, s[6:7]
	s_cbranch_execz .LBB1_8990
; %bb.44831:
	s_getpc_b64 s[14:15]
.Lpost_getpc8079:
	s_add_u32 s14, s14, (.LBB1_23328-.Lpost_getpc8079)&4294967295
	s_addc_u32 s15, s15, (.LBB1_23328-.Lpost_getpc8079)>>32
	s_setpc_b64 s[14:15]
.LBB1_8990:
	s_or_b64 exec, exec, s[6:7]
	s_and_saveexec_b64 s[6:7], s[4:5]
	s_cbranch_execz .LBB1_8992
.LBB1_8991:
	v_bfe_u32 v6, v2, 24, 3
	v_ffbh_u32_e32 v16, v6
	v_min_u32_e32 v16, 32, v16
	v_lshrrev_b32_e32 v14, 27, v2
	v_subrev_u32_e32 v17, 28, v16
	v_and_b32_e32 v13, 0x80000000, v2
	v_and_b32_e32 v14, 15, v14
	v_bfe_u32 v15, v2, 27, 4
	v_lshlrev_b32_sdwa v2, v17, v2 dst_sel:DWORD dst_unused:UNUSED_PAD src0_sel:DWORD src1_sel:BYTE_3
	v_sub_u32_e32 v16, 29, v16
	v_and_b32_e32 v2, 7, v2
	v_cmp_eq_u16_e32 vcc, 0, v14
	v_cndmask_b32_e32 v2, v6, v2, vcc
	v_cndmask_b32_e32 v6, v15, v16, vcc
	v_mov_b32_e32 v14, 0x3b800000
	v_lshlrev_b32_e32 v2, 20, v2
	v_lshl_add_u32 v6, v6, 23, v14
	v_or3_b32 v6, v13, v6, v2
.LBB1_8992:
	s_or_b64 exec, exec, s[6:7]
	s_nop 0
	v_mfma_f32_16x16x4f32 a[0:3], v12, v6, a[0:3]
	s_movk_i32 s4, 0x7f
	v_cmp_gt_i16_sdwa s[6:7], v7, s4 src0_sel:BYTE_0 src1_sel:DWORD
	s_mov_b64 s[4:5], 0
                                        ; implicit-def: $sgpr10
	s_and_saveexec_b64 s[8:9], s[6:7]
	s_xor_b64 s[6:7], exec, s[8:9]
	s_cbranch_execz .LBB1_8993
; %bb.44833:
	s_getpc_b64 s[14:15]
.Lpost_getpc8080:
	s_add_u32 s14, s14, (.LBB1_23329-.Lpost_getpc8080)&4294967295
	s_addc_u32 s15, s15, (.LBB1_23329-.Lpost_getpc8080)>>32
	s_setpc_b64 s[14:15]
.LBB1_8993:
	s_or_saveexec_b64 s[6:7], s[6:7]
	v_mov_b32_e32 v2, s10
	s_xor_b64 exec, exec, s[6:7]
	s_cbranch_execz .LBB1_8994
; %bb.44835:
	s_getpc_b64 s[14:15]
.Lpost_getpc8081:
	s_add_u32 s14, s14, (.LBB1_23332-.Lpost_getpc8081)&4294967295
	s_addc_u32 s15, s15, (.LBB1_23332-.Lpost_getpc8081)>>32
	s_setpc_b64 s[14:15]
.LBB1_8994:
	s_or_b64 exec, exec, s[6:7]
	s_and_saveexec_b64 s[6:7], s[4:5]
	s_cbranch_execz .LBB1_8996
.LBB1_8995:
	v_and_b32_e32 v2, 7, v7
	v_ffbh_u32_e32 v12, v2
	v_min_u32_e32 v12, 32, v12
	v_lshrrev_b16_e32 v6, 3, v7
	v_subrev_u32_e32 v13, 28, v12
	v_and_b32_e32 v6, 15, v6
	v_lshlrev_b32_e32 v13, v13, v7
	v_sub_u32_e32 v12, 29, v12
	v_and_b32_e32 v13, 7, v13
	v_cmp_eq_u16_e32 vcc, 0, v6
	v_cndmask_b32_e32 v2, v2, v13, vcc
	v_cndmask_b32_e32 v6, v6, v12, vcc
	v_lshlrev_b32_e32 v12, 24, v7
	v_mov_b32_e32 v13, 0x3b800000
	v_lshlrev_b32_e32 v2, 20, v2
	v_and_b32_e32 v12, 0x80000000, v12
	v_lshl_add_u32 v6, v6, 23, v13
	v_or3_b32 v2, v12, v6, v2
.LBB1_8996:
	s_or_b64 exec, exec, s[6:7]
	s_movk_i32 s4, 0x7f
	v_cmp_gt_i16_sdwa s[6:7], v3, s4 src0_sel:BYTE_0 src1_sel:DWORD
	s_mov_b64 s[4:5], 0
                                        ; implicit-def: $sgpr10
	s_and_saveexec_b64 s[8:9], s[6:7]
	s_xor_b64 s[6:7], exec, s[8:9]
	s_cbranch_execz .LBB1_8997
; %bb.44837:
	s_getpc_b64 s[14:15]
.Lpost_getpc8082:
	s_add_u32 s14, s14, (.LBB1_23333-.Lpost_getpc8082)&4294967295
	s_addc_u32 s15, s15, (.LBB1_23333-.Lpost_getpc8082)>>32
	s_setpc_b64 s[14:15]
.LBB1_8997:
	s_or_saveexec_b64 s[6:7], s[6:7]
	v_mov_b32_e32 v6, s10
	s_xor_b64 exec, exec, s[6:7]
	s_cbranch_execz .LBB1_8998
; %bb.44839:
	s_getpc_b64 s[14:15]
.Lpost_getpc8083:
	s_add_u32 s14, s14, (.LBB1_23336-.Lpost_getpc8083)&4294967295
	s_addc_u32 s15, s15, (.LBB1_23336-.Lpost_getpc8083)>>32
	s_setpc_b64 s[14:15]
.LBB1_8998:
	s_or_b64 exec, exec, s[6:7]
	s_and_saveexec_b64 s[6:7], s[4:5]
	s_cbranch_execz .LBB1_9000
.LBB1_8999:
	v_and_b32_e32 v6, 7, v3
	v_ffbh_u32_e32 v13, v6
	v_min_u32_e32 v13, 32, v13
	v_lshrrev_b16_e32 v12, 3, v3
	v_subrev_u32_e32 v14, 28, v13
	v_and_b32_e32 v12, 15, v12
	v_lshlrev_b32_e32 v14, v14, v3
	v_sub_u32_e32 v13, 29, v13
	v_and_b32_e32 v14, 7, v14
	v_cmp_eq_u16_e32 vcc, 0, v12
	v_cndmask_b32_e32 v6, v6, v14, vcc
	v_cndmask_b32_e32 v12, v12, v13, vcc
	v_lshlrev_b32_e32 v13, 24, v3
	v_mov_b32_e32 v14, 0x3b800000
	v_lshlrev_b32_e32 v6, 20, v6
	v_and_b32_e32 v13, 0x80000000, v13
	v_lshl_add_u32 v12, v12, 23, v14
	v_or3_b32 v6, v13, v12, v6
.LBB1_9000:
	s_or_b64 exec, exec, s[6:7]
	s_nop 0
	v_mfma_f32_16x16x4f32 a[0:3], v2, v6, a[0:3]
	v_lshrrev_b32_e32 v6, 8, v7
	s_movk_i32 s4, 0x7f
	v_cmp_gt_i16_sdwa s[6:7], v6, s4 src0_sel:BYTE_0 src1_sel:DWORD
	s_mov_b64 s[4:5], 0
                                        ; implicit-def: $sgpr10
	s_and_saveexec_b64 s[8:9], s[6:7]
	s_xor_b64 s[6:7], exec, s[8:9]
	s_cbranch_execz .LBB1_9001
; %bb.44841:
	s_getpc_b64 s[14:15]
.Lpost_getpc8084:
	s_add_u32 s14, s14, (.LBB1_23337-.Lpost_getpc8084)&4294967295
	s_addc_u32 s15, s15, (.LBB1_23337-.Lpost_getpc8084)>>32
	s_setpc_b64 s[14:15]
.LBB1_9001:
	s_or_saveexec_b64 s[6:7], s[6:7]
	v_mov_b32_e32 v2, s10
	s_xor_b64 exec, exec, s[6:7]
	s_cbranch_execz .LBB1_9002
; %bb.44843:
	s_getpc_b64 s[14:15]
.Lpost_getpc8085:
	s_add_u32 s14, s14, (.LBB1_23340-.Lpost_getpc8085)&4294967295
	s_addc_u32 s15, s15, (.LBB1_23340-.Lpost_getpc8085)>>32
	s_setpc_b64 s[14:15]
.LBB1_9002:
	s_or_b64 exec, exec, s[6:7]
	s_and_saveexec_b64 s[6:7], s[4:5]
	s_cbranch_execz .LBB1_9004
.LBB1_9003:
	v_bfe_u32 v2, v7, 8, 3
	v_ffbh_u32_e32 v13, v2
	v_min_u32_e32 v13, 32, v13
	v_lshrrev_b16_e32 v12, 3, v6
	v_subrev_u32_e32 v14, 28, v13
	v_and_b32_e32 v12, 15, v12
	v_lshlrev_b32_e32 v6, v14, v6
	v_sub_u32_e32 v13, 29, v13
	v_and_b32_e32 v6, 7, v6
	v_cmp_eq_u16_e32 vcc, 0, v12
	v_cndmask_b32_e32 v2, v2, v6, vcc
	v_cndmask_b32_e32 v6, v12, v13, vcc
	v_lshlrev_b32_e32 v12, 16, v7
	v_mov_b32_e32 v13, 0x3b800000
	v_lshlrev_b32_e32 v2, 20, v2
	v_and_b32_e32 v12, 0x80000000, v12
	v_lshl_add_u32 v6, v6, 23, v13
	v_or3_b32 v2, v12, v6, v2
.LBB1_9004:
	s_or_b64 exec, exec, s[6:7]
	v_lshrrev_b32_e32 v6, 8, v3
	s_movk_i32 s4, 0x7f
	v_cmp_gt_i16_sdwa s[6:7], v6, s4 src0_sel:BYTE_0 src1_sel:DWORD
	s_mov_b64 s[4:5], 0
                                        ; implicit-def: $sgpr10
	s_and_saveexec_b64 s[8:9], s[6:7]
	s_xor_b64 s[6:7], exec, s[8:9]
	s_cbranch_execz .LBB1_9005
; %bb.44845:
	s_getpc_b64 s[14:15]
.Lpost_getpc8086:
	s_add_u32 s14, s14, (.LBB1_23341-.Lpost_getpc8086)&4294967295
	s_addc_u32 s15, s15, (.LBB1_23341-.Lpost_getpc8086)>>32
	s_setpc_b64 s[14:15]
.LBB1_9005:
	s_or_saveexec_b64 s[6:7], s[6:7]
	v_mov_b32_e32 v12, s10
	s_xor_b64 exec, exec, s[6:7]
	s_cbranch_execz .LBB1_9006
; %bb.44847:
	s_getpc_b64 s[14:15]
.Lpost_getpc8087:
	s_add_u32 s14, s14, (.LBB1_23344-.Lpost_getpc8087)&4294967295
	s_addc_u32 s15, s15, (.LBB1_23344-.Lpost_getpc8087)>>32
	s_setpc_b64 s[14:15]
.LBB1_9006:
	s_or_b64 exec, exec, s[6:7]
	s_and_saveexec_b64 s[6:7], s[4:5]
	s_cbranch_execz .LBB1_9008
.LBB1_9007:
	v_bfe_u32 v12, v3, 8, 3
	v_ffbh_u32_e32 v14, v12
	v_min_u32_e32 v14, 32, v14
	v_lshrrev_b16_e32 v13, 3, v6
	v_subrev_u32_e32 v15, 28, v14
	v_and_b32_e32 v13, 15, v13
	v_lshlrev_b32_e32 v6, v15, v6
	v_sub_u32_e32 v14, 29, v14
	v_and_b32_e32 v6, 7, v6
	v_cmp_eq_u16_e32 vcc, 0, v13
	v_cndmask_b32_e32 v6, v12, v6, vcc
	v_cndmask_b32_e32 v12, v13, v14, vcc
	v_lshlrev_b32_e32 v13, 16, v3
	v_mov_b32_e32 v14, 0x3b800000
	v_lshlrev_b32_e32 v6, 20, v6
	v_and_b32_e32 v13, 0x80000000, v13
	v_lshl_add_u32 v12, v12, 23, v14
	v_or3_b32 v12, v13, v12, v6
.LBB1_9008:
	s_or_b64 exec, exec, s[6:7]
	s_nop 0
	v_mfma_f32_16x16x4f32 a[0:3], v2, v12, a[0:3]
	s_movk_i32 s4, 0xff
	v_and_b32_sdwa v6, v7, s4 dst_sel:DWORD dst_unused:UNUSED_PAD src0_sel:WORD_1 src1_sel:DWORD
	s_movk_i32 s4, 0x7f
	v_cmp_lt_i16_e32 vcc, s4, v6
	s_mov_b64 s[4:5], 0
                                        ; implicit-def: $sgpr10
	s_and_saveexec_b64 s[6:7], vcc
	s_xor_b64 s[6:7], exec, s[6:7]
	s_cbranch_execz .LBB1_9009
; %bb.44849:
	s_getpc_b64 s[14:15]
.Lpost_getpc8088:
	s_add_u32 s14, s14, (.LBB1_23345-.Lpost_getpc8088)&4294967295
	s_addc_u32 s15, s15, (.LBB1_23345-.Lpost_getpc8088)>>32
	s_setpc_b64 s[14:15]
.LBB1_9009:
	s_or_saveexec_b64 s[6:7], s[6:7]
	v_mov_b32_e32 v2, s10
	s_xor_b64 exec, exec, s[6:7]
	s_cbranch_execz .LBB1_9010
; %bb.44851:
	s_getpc_b64 s[14:15]
.Lpost_getpc8089:
	s_add_u32 s14, s14, (.LBB1_23348-.Lpost_getpc8089)&4294967295
	s_addc_u32 s15, s15, (.LBB1_23348-.Lpost_getpc8089)>>32
	s_setpc_b64 s[14:15]
.LBB1_9010:
	s_or_b64 exec, exec, s[6:7]
	s_and_saveexec_b64 s[6:7], s[4:5]
	s_cbranch_execz .LBB1_9012
.LBB1_9011:
	v_bfe_u32 v2, v7, 16, 3
	v_ffbh_u32_e32 v13, v2
	v_min_u32_e32 v13, 32, v13
	v_lshrrev_b32_e32 v6, 19, v7
	v_subrev_u32_e32 v14, 28, v13
	v_and_b32_e32 v6, 15, v6
	v_lshlrev_b32_sdwa v14, v14, v7 dst_sel:DWORD dst_unused:UNUSED_PAD src0_sel:DWORD src1_sel:WORD_1
	v_bfe_u32 v12, v7, 19, 4
	v_sub_u32_e32 v13, 29, v13
	v_and_b32_e32 v14, 7, v14
	v_cmp_eq_u16_e32 vcc, 0, v6
	v_cndmask_b32_e32 v2, v2, v14, vcc
	v_cndmask_b32_e32 v6, v12, v13, vcc
	v_lshlrev_b32_e32 v12, 8, v7
	v_mov_b32_e32 v13, 0x3b800000
	v_lshlrev_b32_e32 v2, 20, v2
	v_and_b32_e32 v12, 0x80000000, v12
	v_lshl_add_u32 v6, v6, 23, v13
	v_or3_b32 v2, v12, v6, v2
.LBB1_9012:
	s_or_b64 exec, exec, s[6:7]
	s_movk_i32 s4, 0xff
	v_and_b32_sdwa v6, v3, s4 dst_sel:DWORD dst_unused:UNUSED_PAD src0_sel:WORD_1 src1_sel:DWORD
	s_movk_i32 s4, 0x7f
	v_cmp_lt_i16_e32 vcc, s4, v6
	s_mov_b64 s[4:5], 0
                                        ; implicit-def: $sgpr10
	s_and_saveexec_b64 s[6:7], vcc
	s_xor_b64 s[6:7], exec, s[6:7]
	s_cbranch_execz .LBB1_9013
; %bb.44853:
	s_getpc_b64 s[14:15]
.Lpost_getpc8090:
	s_add_u32 s14, s14, (.LBB1_23349-.Lpost_getpc8090)&4294967295
	s_addc_u32 s15, s15, (.LBB1_23349-.Lpost_getpc8090)>>32
	s_setpc_b64 s[14:15]
.LBB1_9013:
	s_or_saveexec_b64 s[6:7], s[6:7]
	v_mov_b32_e32 v12, s10
	s_xor_b64 exec, exec, s[6:7]
	s_cbranch_execz .LBB1_9014
; %bb.44855:
	s_getpc_b64 s[14:15]
.Lpost_getpc8091:
	s_add_u32 s14, s14, (.LBB1_23352-.Lpost_getpc8091)&4294967295
	s_addc_u32 s15, s15, (.LBB1_23352-.Lpost_getpc8091)>>32
	s_setpc_b64 s[14:15]
.LBB1_9014:
	s_or_b64 exec, exec, s[6:7]
	s_and_saveexec_b64 s[6:7], s[4:5]
	s_cbranch_execz .LBB1_9016
.LBB1_9015:
	v_bfe_u32 v6, v3, 16, 3
	v_ffbh_u32_e32 v14, v6
	v_min_u32_e32 v14, 32, v14
	v_lshrrev_b32_e32 v12, 19, v3
	v_subrev_u32_e32 v15, 28, v14
	v_and_b32_e32 v12, 15, v12
	v_lshlrev_b32_sdwa v15, v15, v3 dst_sel:DWORD dst_unused:UNUSED_PAD src0_sel:DWORD src1_sel:WORD_1
	v_bfe_u32 v13, v3, 19, 4
	v_sub_u32_e32 v14, 29, v14
	v_and_b32_e32 v15, 7, v15
	v_cmp_eq_u16_e32 vcc, 0, v12
	v_cndmask_b32_e32 v6, v6, v15, vcc
	v_cndmask_b32_e32 v12, v13, v14, vcc
	v_lshlrev_b32_e32 v13, 8, v3
	v_mov_b32_e32 v14, 0x3b800000
	v_lshlrev_b32_e32 v6, 20, v6
	v_and_b32_e32 v13, 0x80000000, v13
	v_lshl_add_u32 v12, v12, 23, v14
	v_or3_b32 v12, v13, v12, v6
.LBB1_9016:
	s_or_b64 exec, exec, s[6:7]
	s_nop 0
	v_mfma_f32_16x16x4f32 a[0:3], v2, v12, a[0:3]
	s_movk_i32 s4, 0x7f
	v_cmp_gt_i16_sdwa s[6:7], v7, s4 src0_sel:BYTE_3 src1_sel:DWORD
	s_mov_b64 s[4:5], 0
                                        ; implicit-def: $sgpr10
	s_and_saveexec_b64 s[8:9], s[6:7]
	s_xor_b64 s[6:7], exec, s[8:9]
	s_cbranch_execz .LBB1_9017
; %bb.44857:
	s_getpc_b64 s[14:15]
.Lpost_getpc8092:
	s_add_u32 s14, s14, (.LBB1_23353-.Lpost_getpc8092)&4294967295
	s_addc_u32 s15, s15, (.LBB1_23353-.Lpost_getpc8092)>>32
	s_setpc_b64 s[14:15]
.LBB1_9017:
	s_or_saveexec_b64 s[6:7], s[6:7]
	v_mov_b32_e32 v2, s10
	s_xor_b64 exec, exec, s[6:7]
	s_cbranch_execz .LBB1_9018
; %bb.44859:
	s_getpc_b64 s[14:15]
.Lpost_getpc8093:
	s_add_u32 s14, s14, (.LBB1_23356-.Lpost_getpc8093)&4294967295
	s_addc_u32 s15, s15, (.LBB1_23356-.Lpost_getpc8093)>>32
	s_setpc_b64 s[14:15]
.LBB1_9018:
	s_or_b64 exec, exec, s[6:7]
	s_and_saveexec_b64 s[6:7], s[4:5]
	s_cbranch_execz .LBB1_9020
.LBB1_9019:
	v_bfe_u32 v2, v7, 24, 3
	v_ffbh_u32_e32 v14, v2
	v_min_u32_e32 v14, 32, v14
	v_lshrrev_b32_e32 v12, 27, v7
	v_subrev_u32_e32 v15, 28, v14
	v_and_b32_e32 v6, 0x80000000, v7
	v_and_b32_e32 v12, 15, v12
	v_bfe_u32 v13, v7, 27, 4
	v_lshlrev_b32_sdwa v7, v15, v7 dst_sel:DWORD dst_unused:UNUSED_PAD src0_sel:DWORD src1_sel:BYTE_3
	v_sub_u32_e32 v14, 29, v14
	v_and_b32_e32 v7, 7, v7
	v_cmp_eq_u16_e32 vcc, 0, v12
	v_cndmask_b32_e32 v2, v2, v7, vcc
	v_cndmask_b32_e32 v7, v13, v14, vcc
	v_mov_b32_e32 v12, 0x3b800000
	v_lshlrev_b32_e32 v2, 20, v2
	v_lshl_add_u32 v7, v7, 23, v12
	v_or3_b32 v2, v6, v7, v2
.LBB1_9020:
	s_or_b64 exec, exec, s[6:7]
	s_movk_i32 s4, 0x7f
	v_cmp_gt_i16_sdwa s[6:7], v3, s4 src0_sel:BYTE_3 src1_sel:DWORD
	s_mov_b64 s[4:5], 0
                                        ; implicit-def: $sgpr10
	s_and_saveexec_b64 s[8:9], s[6:7]
	s_xor_b64 s[6:7], exec, s[8:9]
	s_cbranch_execz .LBB1_9021
; %bb.44861:
	s_getpc_b64 s[14:15]
.Lpost_getpc8094:
	s_add_u32 s14, s14, (.LBB1_23357-.Lpost_getpc8094)&4294967295
	s_addc_u32 s15, s15, (.LBB1_23357-.Lpost_getpc8094)>>32
	s_setpc_b64 s[14:15]
.LBB1_9021:
	s_or_saveexec_b64 s[6:7], s[6:7]
	v_mov_b32_e32 v6, s10
	s_xor_b64 exec, exec, s[6:7]
	s_cbranch_execz .LBB1_9022
; %bb.44863:
	s_getpc_b64 s[14:15]
.Lpost_getpc8095:
	s_add_u32 s14, s14, (.LBB1_23360-.Lpost_getpc8095)&4294967295
	s_addc_u32 s15, s15, (.LBB1_23360-.Lpost_getpc8095)>>32
	s_setpc_b64 s[14:15]
.LBB1_9022:
	s_or_b64 exec, exec, s[6:7]
	s_and_saveexec_b64 s[6:7], s[4:5]
	s_cbranch_execz .LBB1_9024
.LBB1_9023:
	v_bfe_u32 v6, v3, 24, 3
	v_ffbh_u32_e32 v14, v6
	v_min_u32_e32 v14, 32, v14
	v_lshrrev_b32_e32 v12, 27, v3
	v_subrev_u32_e32 v15, 28, v14
	v_and_b32_e32 v7, 0x80000000, v3
	v_and_b32_e32 v12, 15, v12
	v_bfe_u32 v13, v3, 27, 4
	v_lshlrev_b32_sdwa v3, v15, v3 dst_sel:DWORD dst_unused:UNUSED_PAD src0_sel:DWORD src1_sel:BYTE_3
	v_sub_u32_e32 v14, 29, v14
	v_and_b32_e32 v3, 7, v3
	v_cmp_eq_u16_e32 vcc, 0, v12
	v_cndmask_b32_e32 v3, v6, v3, vcc
	v_cndmask_b32_e32 v6, v13, v14, vcc
	v_mov_b32_e32 v12, 0x3b800000
	v_lshlrev_b32_e32 v3, 20, v3
	v_lshl_add_u32 v6, v6, 23, v12
	v_or3_b32 v6, v7, v6, v3
.LBB1_9024:
	s_or_b64 exec, exec, s[6:7]
	s_nop 0
	v_mfma_f32_16x16x4f32 a[0:3], v2, v6, a[0:3]
	s_movk_i32 s4, 0x7f
	v_cmp_gt_i16_sdwa s[6:7], v8, s4 src0_sel:BYTE_0 src1_sel:DWORD
	s_mov_b64 s[4:5], 0
                                        ; implicit-def: $sgpr10
	s_and_saveexec_b64 s[8:9], s[6:7]
	s_xor_b64 s[6:7], exec, s[8:9]
	s_cbranch_execz .LBB1_9025
; %bb.44865:
	s_getpc_b64 s[14:15]
.Lpost_getpc8096:
	s_add_u32 s14, s14, (.LBB1_23361-.Lpost_getpc8096)&4294967295
	s_addc_u32 s15, s15, (.LBB1_23361-.Lpost_getpc8096)>>32
	s_setpc_b64 s[14:15]
.LBB1_9025:
	s_or_saveexec_b64 s[6:7], s[6:7]
	v_mov_b32_e32 v2, s10
	s_xor_b64 exec, exec, s[6:7]
	s_cbranch_execz .LBB1_9026
; %bb.44867:
	s_getpc_b64 s[14:15]
.Lpost_getpc8097:
	s_add_u32 s14, s14, (.LBB1_23364-.Lpost_getpc8097)&4294967295
	s_addc_u32 s15, s15, (.LBB1_23364-.Lpost_getpc8097)>>32
	s_setpc_b64 s[14:15]
.LBB1_9026:
	s_or_b64 exec, exec, s[6:7]
	s_and_saveexec_b64 s[6:7], s[4:5]
	s_cbranch_execz .LBB1_9028
.LBB1_9027:
	v_and_b32_e32 v2, 7, v8
	v_ffbh_u32_e32 v6, v2
	v_min_u32_e32 v6, 32, v6
	v_lshrrev_b16_e32 v3, 3, v8
	v_subrev_u32_e32 v7, 28, v6
	v_and_b32_e32 v3, 15, v3
	v_lshlrev_b32_e32 v7, v7, v8
	v_sub_u32_e32 v6, 29, v6
	v_and_b32_e32 v7, 7, v7
	v_cmp_eq_u16_e32 vcc, 0, v3
	v_cndmask_b32_e32 v2, v2, v7, vcc
	v_cndmask_b32_e32 v3, v3, v6, vcc
	v_lshlrev_b32_e32 v6, 24, v8
	v_mov_b32_e32 v7, 0x3b800000
	v_lshlrev_b32_e32 v2, 20, v2
	v_and_b32_e32 v6, 0x80000000, v6
	v_lshl_add_u32 v3, v3, 23, v7
	v_or3_b32 v2, v6, v3, v2
.LBB1_9028:
	s_or_b64 exec, exec, s[6:7]
	s_movk_i32 s4, 0x7f
	v_cmp_gt_i16_sdwa s[6:7], v4, s4 src0_sel:BYTE_0 src1_sel:DWORD
	s_mov_b64 s[4:5], 0
                                        ; implicit-def: $sgpr10
	s_and_saveexec_b64 s[8:9], s[6:7]
	s_xor_b64 s[6:7], exec, s[8:9]
	s_cbranch_execz .LBB1_9029
; %bb.44869:
	s_getpc_b64 s[14:15]
.Lpost_getpc8098:
	s_add_u32 s14, s14, (.LBB1_23365-.Lpost_getpc8098)&4294967295
	s_addc_u32 s15, s15, (.LBB1_23365-.Lpost_getpc8098)>>32
	s_setpc_b64 s[14:15]
.LBB1_9029:
	s_or_saveexec_b64 s[6:7], s[6:7]
	v_mov_b32_e32 v3, s10
	s_xor_b64 exec, exec, s[6:7]
	s_cbranch_execz .LBB1_9030
; %bb.44871:
	s_getpc_b64 s[14:15]
.Lpost_getpc8099:
	s_add_u32 s14, s14, (.LBB1_23368-.Lpost_getpc8099)&4294967295
	s_addc_u32 s15, s15, (.LBB1_23368-.Lpost_getpc8099)>>32
	s_setpc_b64 s[14:15]
.LBB1_9030:
	s_or_b64 exec, exec, s[6:7]
	s_and_saveexec_b64 s[6:7], s[4:5]
	s_cbranch_execz .LBB1_9032
.LBB1_9031:
	v_and_b32_e32 v3, 7, v4
	v_ffbh_u32_e32 v7, v3
	v_min_u32_e32 v7, 32, v7
	v_lshrrev_b16_e32 v6, 3, v4
	v_subrev_u32_e32 v12, 28, v7
	v_and_b32_e32 v6, 15, v6
	v_lshlrev_b32_e32 v12, v12, v4
	v_sub_u32_e32 v7, 29, v7
	v_and_b32_e32 v12, 7, v12
	v_cmp_eq_u16_e32 vcc, 0, v6
	v_cndmask_b32_e32 v3, v3, v12, vcc
	v_cndmask_b32_e32 v6, v6, v7, vcc
	v_lshlrev_b32_e32 v7, 24, v4
	v_mov_b32_e32 v12, 0x3b800000
	v_lshlrev_b32_e32 v3, 20, v3
	v_and_b32_e32 v7, 0x80000000, v7
	v_lshl_add_u32 v6, v6, 23, v12
	v_or3_b32 v3, v7, v6, v3
.LBB1_9032:
	s_or_b64 exec, exec, s[6:7]
	s_nop 0
	v_mfma_f32_16x16x4f32 a[0:3], v2, v3, a[0:3]
	v_lshrrev_b32_e32 v3, 8, v8
	s_movk_i32 s4, 0x7f
	v_cmp_gt_i16_sdwa s[6:7], v3, s4 src0_sel:BYTE_0 src1_sel:DWORD
	s_mov_b64 s[4:5], 0
                                        ; implicit-def: $sgpr10
	s_and_saveexec_b64 s[8:9], s[6:7]
	s_xor_b64 s[6:7], exec, s[8:9]
	s_cbranch_execz .LBB1_9033
; %bb.44873:
	s_getpc_b64 s[14:15]
.Lpost_getpc8100:
	s_add_u32 s14, s14, (.LBB1_23369-.Lpost_getpc8100)&4294967295
	s_addc_u32 s15, s15, (.LBB1_23369-.Lpost_getpc8100)>>32
	s_setpc_b64 s[14:15]
.LBB1_9033:
	s_or_saveexec_b64 s[6:7], s[6:7]
	v_mov_b32_e32 v2, s10
	s_xor_b64 exec, exec, s[6:7]
	s_cbranch_execz .LBB1_9034
; %bb.44875:
	s_getpc_b64 s[14:15]
.Lpost_getpc8101:
	s_add_u32 s14, s14, (.LBB1_23372-.Lpost_getpc8101)&4294967295
	s_addc_u32 s15, s15, (.LBB1_23372-.Lpost_getpc8101)>>32
	s_setpc_b64 s[14:15]
.LBB1_9034:
	s_or_b64 exec, exec, s[6:7]
	s_and_saveexec_b64 s[6:7], s[4:5]
	s_cbranch_execz .LBB1_9036
.LBB1_9035:
	v_bfe_u32 v2, v8, 8, 3
	v_ffbh_u32_e32 v7, v2
	v_min_u32_e32 v7, 32, v7
	v_lshrrev_b16_e32 v6, 3, v3
	v_subrev_u32_e32 v12, 28, v7
	v_and_b32_e32 v6, 15, v6
	v_lshlrev_b32_e32 v3, v12, v3
	v_sub_u32_e32 v7, 29, v7
	v_and_b32_e32 v3, 7, v3
	v_cmp_eq_u16_e32 vcc, 0, v6
	v_cndmask_b32_e32 v2, v2, v3, vcc
	v_cndmask_b32_e32 v3, v6, v7, vcc
	v_lshlrev_b32_e32 v6, 16, v8
	v_mov_b32_e32 v7, 0x3b800000
	v_lshlrev_b32_e32 v2, 20, v2
	v_and_b32_e32 v6, 0x80000000, v6
	v_lshl_add_u32 v3, v3, 23, v7
	v_or3_b32 v2, v6, v3, v2
.LBB1_9036:
	s_or_b64 exec, exec, s[6:7]
	v_lshrrev_b32_e32 v3, 8, v4
	s_movk_i32 s4, 0x7f
	v_cmp_gt_i16_sdwa s[6:7], v3, s4 src0_sel:BYTE_0 src1_sel:DWORD
	s_mov_b64 s[4:5], 0
                                        ; implicit-def: $sgpr10
	s_and_saveexec_b64 s[8:9], s[6:7]
	s_xor_b64 s[6:7], exec, s[8:9]
	s_cbranch_execz .LBB1_9037
; %bb.44877:
	s_getpc_b64 s[14:15]
.Lpost_getpc8102:
	s_add_u32 s14, s14, (.LBB1_23373-.Lpost_getpc8102)&4294967295
	s_addc_u32 s15, s15, (.LBB1_23373-.Lpost_getpc8102)>>32
	s_setpc_b64 s[14:15]
.LBB1_9037:
	s_or_saveexec_b64 s[6:7], s[6:7]
	v_mov_b32_e32 v6, s10
	s_xor_b64 exec, exec, s[6:7]
	s_cbranch_execz .LBB1_9038
; %bb.44879:
	s_getpc_b64 s[14:15]
.Lpost_getpc8103:
	s_add_u32 s14, s14, (.LBB1_23376-.Lpost_getpc8103)&4294967295
	s_addc_u32 s15, s15, (.LBB1_23376-.Lpost_getpc8103)>>32
	s_setpc_b64 s[14:15]
.LBB1_9038:
	s_or_b64 exec, exec, s[6:7]
	s_and_saveexec_b64 s[6:7], s[4:5]
	s_cbranch_execz .LBB1_9040
.LBB1_9039:
	v_bfe_u32 v6, v4, 8, 3
	v_ffbh_u32_e32 v12, v6
	v_min_u32_e32 v12, 32, v12
	v_lshrrev_b16_e32 v7, 3, v3
	v_subrev_u32_e32 v13, 28, v12
	v_and_b32_e32 v7, 15, v7
	v_lshlrev_b32_e32 v3, v13, v3
	v_sub_u32_e32 v12, 29, v12
	v_and_b32_e32 v3, 7, v3
	v_cmp_eq_u16_e32 vcc, 0, v7
	v_cndmask_b32_e32 v3, v6, v3, vcc
	v_cndmask_b32_e32 v6, v7, v12, vcc
	v_lshlrev_b32_e32 v7, 16, v4
	v_mov_b32_e32 v12, 0x3b800000
	v_lshlrev_b32_e32 v3, 20, v3
	v_and_b32_e32 v7, 0x80000000, v7
	v_lshl_add_u32 v6, v6, 23, v12
	v_or3_b32 v6, v7, v6, v3
.LBB1_9040:
	s_or_b64 exec, exec, s[6:7]
	s_nop 0
	v_mfma_f32_16x16x4f32 a[0:3], v2, v6, a[0:3]
	s_movk_i32 s4, 0xff
	v_and_b32_sdwa v3, v8, s4 dst_sel:DWORD dst_unused:UNUSED_PAD src0_sel:WORD_1 src1_sel:DWORD
	s_movk_i32 s4, 0x7f
	v_cmp_lt_i16_e32 vcc, s4, v3
	s_mov_b64 s[4:5], 0
                                        ; implicit-def: $sgpr10
	s_and_saveexec_b64 s[6:7], vcc
	s_xor_b64 s[6:7], exec, s[6:7]
	s_cbranch_execz .LBB1_9041
; %bb.44881:
	s_getpc_b64 s[14:15]
.Lpost_getpc8104:
	s_add_u32 s14, s14, (.LBB1_23377-.Lpost_getpc8104)&4294967295
	s_addc_u32 s15, s15, (.LBB1_23377-.Lpost_getpc8104)>>32
	s_setpc_b64 s[14:15]
.LBB1_9041:
	s_or_saveexec_b64 s[6:7], s[6:7]
	v_mov_b32_e32 v2, s10
	s_xor_b64 exec, exec, s[6:7]
	s_cbranch_execz .LBB1_9042
; %bb.44883:
	s_getpc_b64 s[14:15]
.Lpost_getpc8105:
	s_add_u32 s14, s14, (.LBB1_23380-.Lpost_getpc8105)&4294967295
	s_addc_u32 s15, s15, (.LBB1_23380-.Lpost_getpc8105)>>32
	s_setpc_b64 s[14:15]
.LBB1_9042:
	s_or_b64 exec, exec, s[6:7]
	s_and_saveexec_b64 s[6:7], s[4:5]
	s_cbranch_execz .LBB1_9044
.LBB1_9043:
	v_bfe_u32 v2, v8, 16, 3
	v_ffbh_u32_e32 v7, v2
	v_min_u32_e32 v7, 32, v7
	v_lshrrev_b32_e32 v3, 19, v8
	v_subrev_u32_e32 v12, 28, v7
	v_and_b32_e32 v3, 15, v3
	v_lshlrev_b32_sdwa v12, v12, v8 dst_sel:DWORD dst_unused:UNUSED_PAD src0_sel:DWORD src1_sel:WORD_1
	v_bfe_u32 v6, v8, 19, 4
	v_sub_u32_e32 v7, 29, v7
	v_and_b32_e32 v12, 7, v12
	v_cmp_eq_u16_e32 vcc, 0, v3
	v_cndmask_b32_e32 v2, v2, v12, vcc
	v_cndmask_b32_e32 v3, v6, v7, vcc
	v_lshlrev_b32_e32 v6, 8, v8
	v_mov_b32_e32 v7, 0x3b800000
	v_lshlrev_b32_e32 v2, 20, v2
	v_and_b32_e32 v6, 0x80000000, v6
	v_lshl_add_u32 v3, v3, 23, v7
	v_or3_b32 v2, v6, v3, v2
.LBB1_9044:
	s_or_b64 exec, exec, s[6:7]
	s_movk_i32 s4, 0xff
	v_and_b32_sdwa v3, v4, s4 dst_sel:DWORD dst_unused:UNUSED_PAD src0_sel:WORD_1 src1_sel:DWORD
	s_movk_i32 s4, 0x7f
	v_cmp_lt_i16_e32 vcc, s4, v3
	s_mov_b64 s[4:5], 0
                                        ; implicit-def: $sgpr10
	s_and_saveexec_b64 s[6:7], vcc
	s_xor_b64 s[6:7], exec, s[6:7]
	s_cbranch_execz .LBB1_9045
; %bb.44885:
	s_getpc_b64 s[14:15]
.Lpost_getpc8106:
	s_add_u32 s14, s14, (.LBB1_23381-.Lpost_getpc8106)&4294967295
	s_addc_u32 s15, s15, (.LBB1_23381-.Lpost_getpc8106)>>32
	s_setpc_b64 s[14:15]
.LBB1_9045:
	s_or_saveexec_b64 s[6:7], s[6:7]
	v_mov_b32_e32 v6, s10
	s_xor_b64 exec, exec, s[6:7]
	s_cbranch_execz .LBB1_9046
; %bb.44887:
	s_getpc_b64 s[14:15]
.Lpost_getpc8107:
	s_add_u32 s14, s14, (.LBB1_23384-.Lpost_getpc8107)&4294967295
	s_addc_u32 s15, s15, (.LBB1_23384-.Lpost_getpc8107)>>32
	s_setpc_b64 s[14:15]
.LBB1_9046:
	s_or_b64 exec, exec, s[6:7]
	s_and_saveexec_b64 s[6:7], s[4:5]
	s_cbranch_execz .LBB1_9048
.LBB1_9047:
	v_bfe_u32 v3, v4, 16, 3
	v_ffbh_u32_e32 v12, v3
	v_min_u32_e32 v12, 32, v12
	v_lshrrev_b32_e32 v6, 19, v4
	v_subrev_u32_e32 v13, 28, v12
	v_and_b32_e32 v6, 15, v6
	v_lshlrev_b32_sdwa v13, v13, v4 dst_sel:DWORD dst_unused:UNUSED_PAD src0_sel:DWORD src1_sel:WORD_1
	v_bfe_u32 v7, v4, 19, 4
	v_sub_u32_e32 v12, 29, v12
	v_and_b32_e32 v13, 7, v13
	v_cmp_eq_u16_e32 vcc, 0, v6
	v_cndmask_b32_e32 v3, v3, v13, vcc
	v_cndmask_b32_e32 v6, v7, v12, vcc
	v_lshlrev_b32_e32 v7, 8, v4
	v_mov_b32_e32 v12, 0x3b800000
	v_lshlrev_b32_e32 v3, 20, v3
	v_and_b32_e32 v7, 0x80000000, v7
	v_lshl_add_u32 v6, v6, 23, v12
	v_or3_b32 v6, v7, v6, v3
.LBB1_9048:
	s_or_b64 exec, exec, s[6:7]
	s_nop 0
	v_mfma_f32_16x16x4f32 a[0:3], v2, v6, a[0:3]
	s_movk_i32 s4, 0x7f
	v_cmp_gt_i16_sdwa s[6:7], v8, s4 src0_sel:BYTE_3 src1_sel:DWORD
	s_mov_b64 s[4:5], 0
                                        ; implicit-def: $sgpr10
	s_and_saveexec_b64 s[8:9], s[6:7]
	s_xor_b64 s[6:7], exec, s[8:9]
	s_cbranch_execz .LBB1_9049
; %bb.44889:
	s_getpc_b64 s[14:15]
.Lpost_getpc8108:
	s_add_u32 s14, s14, (.LBB1_23385-.Lpost_getpc8108)&4294967295
	s_addc_u32 s15, s15, (.LBB1_23385-.Lpost_getpc8108)>>32
	s_setpc_b64 s[14:15]
.LBB1_9049:
	s_or_saveexec_b64 s[6:7], s[6:7]
	v_mov_b32_e32 v2, s10
	s_xor_b64 exec, exec, s[6:7]
	s_cbranch_execz .LBB1_9050
; %bb.44891:
	s_getpc_b64 s[14:15]
.Lpost_getpc8109:
	s_add_u32 s14, s14, (.LBB1_23388-.Lpost_getpc8109)&4294967295
	s_addc_u32 s15, s15, (.LBB1_23388-.Lpost_getpc8109)>>32
	s_setpc_b64 s[14:15]
.LBB1_9050:
	s_or_b64 exec, exec, s[6:7]
	s_and_saveexec_b64 s[6:7], s[4:5]
	s_cbranch_execz .LBB1_9052
.LBB1_9051:
	v_bfe_u32 v2, v8, 24, 3
	v_ffbh_u32_e32 v12, v2
	v_min_u32_e32 v12, 32, v12
	v_lshrrev_b32_e32 v6, 27, v8
	v_subrev_u32_e32 v13, 28, v12
	v_and_b32_e32 v3, 0x80000000, v8
	v_and_b32_e32 v6, 15, v6
	v_bfe_u32 v7, v8, 27, 4
	v_lshlrev_b32_sdwa v8, v13, v8 dst_sel:DWORD dst_unused:UNUSED_PAD src0_sel:DWORD src1_sel:BYTE_3
	v_sub_u32_e32 v12, 29, v12
	v_and_b32_e32 v8, 7, v8
	v_cmp_eq_u16_e32 vcc, 0, v6
	v_cndmask_b32_e32 v2, v2, v8, vcc
	v_cndmask_b32_e32 v6, v7, v12, vcc
	v_mov_b32_e32 v7, 0x3b800000
	v_lshlrev_b32_e32 v2, 20, v2
	v_lshl_add_u32 v6, v6, 23, v7
	v_or3_b32 v2, v3, v6, v2
.LBB1_9052:
	s_or_b64 exec, exec, s[6:7]
	s_movk_i32 s4, 0x7f
	v_cmp_gt_i16_sdwa s[6:7], v4, s4 src0_sel:BYTE_3 src1_sel:DWORD
	s_mov_b64 s[4:5], 0
                                        ; implicit-def: $sgpr10
	s_and_saveexec_b64 s[8:9], s[6:7]
	s_xor_b64 s[6:7], exec, s[8:9]
	s_cbranch_execz .LBB1_9053
; %bb.44893:
	s_getpc_b64 s[14:15]
.Lpost_getpc8110:
	s_add_u32 s14, s14, (.LBB1_23389-.Lpost_getpc8110)&4294967295
	s_addc_u32 s15, s15, (.LBB1_23389-.Lpost_getpc8110)>>32
	s_setpc_b64 s[14:15]
.LBB1_9053:
	s_or_saveexec_b64 s[6:7], s[6:7]
	v_mov_b32_e32 v3, s10
	s_xor_b64 exec, exec, s[6:7]
	s_cbranch_execz .LBB1_9054
; %bb.44895:
	s_getpc_b64 s[14:15]
.Lpost_getpc8111:
	s_add_u32 s14, s14, (.LBB1_23392-.Lpost_getpc8111)&4294967295
	s_addc_u32 s15, s15, (.LBB1_23392-.Lpost_getpc8111)>>32
	s_setpc_b64 s[14:15]
.LBB1_9054:
	s_or_b64 exec, exec, s[6:7]
	s_and_saveexec_b64 s[6:7], s[4:5]
	s_cbranch_execz .LBB1_9056
.LBB1_9055:
	v_bfe_u32 v3, v4, 24, 3
	v_ffbh_u32_e32 v12, v3
	v_min_u32_e32 v12, 32, v12
	v_lshrrev_b32_e32 v7, 27, v4
	v_subrev_u32_e32 v13, 28, v12
	v_and_b32_e32 v6, 0x80000000, v4
	v_and_b32_e32 v7, 15, v7
	v_bfe_u32 v8, v4, 27, 4
	v_lshlrev_b32_sdwa v4, v13, v4 dst_sel:DWORD dst_unused:UNUSED_PAD src0_sel:DWORD src1_sel:BYTE_3
	v_sub_u32_e32 v12, 29, v12
	v_and_b32_e32 v4, 7, v4
	v_cmp_eq_u16_e32 vcc, 0, v7
	v_cndmask_b32_e32 v3, v3, v4, vcc
	v_cndmask_b32_e32 v4, v8, v12, vcc
	v_mov_b32_e32 v7, 0x3b800000
	v_lshlrev_b32_e32 v3, 20, v3
	v_lshl_add_u32 v4, v4, 23, v7
	v_or3_b32 v3, v6, v4, v3
.LBB1_9056:
	s_or_b64 exec, exec, s[6:7]
	s_nop 0
	v_mfma_f32_16x16x4f32 a[0:3], v2, v3, a[0:3]
	s_movk_i32 s4, 0x7f
	v_cmp_gt_i16_sdwa s[6:7], v9, s4 src0_sel:BYTE_0 src1_sel:DWORD
	s_mov_b64 s[4:5], 0
                                        ; implicit-def: $sgpr10
	s_and_saveexec_b64 s[8:9], s[6:7]
	s_xor_b64 s[6:7], exec, s[8:9]
	s_cbranch_execz .LBB1_9057
; %bb.44897:
	s_getpc_b64 s[14:15]
.Lpost_getpc8112:
	s_add_u32 s14, s14, (.LBB1_23393-.Lpost_getpc8112)&4294967295
	s_addc_u32 s15, s15, (.LBB1_23393-.Lpost_getpc8112)>>32
	s_setpc_b64 s[14:15]
.LBB1_9057:
	s_or_saveexec_b64 s[6:7], s[6:7]
	v_mov_b32_e32 v2, s10
	s_xor_b64 exec, exec, s[6:7]
	s_cbranch_execz .LBB1_9058
; %bb.44899:
	s_getpc_b64 s[14:15]
.Lpost_getpc8113:
	s_add_u32 s14, s14, (.LBB1_23396-.Lpost_getpc8113)&4294967295
	s_addc_u32 s15, s15, (.LBB1_23396-.Lpost_getpc8113)>>32
	s_setpc_b64 s[14:15]
.LBB1_9058:
	s_or_b64 exec, exec, s[6:7]
	s_and_saveexec_b64 s[6:7], s[4:5]
	s_cbranch_execz .LBB1_9060
.LBB1_9059:
	v_mov_b32_e32 v2, 8
	v_and_b32_e32 v3, 7, v9
	v_lshrrev_b32_sdwa v2, v2, v9 dst_sel:BYTE_1 dst_unused:UNUSED_PAD src0_sel:DWORD src1_sel:DWORD
	v_ffbh_u32_e32 v4, v3
	v_or_b32_sdwa v2, v9, v2 dst_sel:DWORD dst_unused:UNUSED_PAD src0_sel:BYTE_0 src1_sel:DWORD
	v_min_u32_e32 v4, 32, v4
	v_lshrrev_b16_e32 v2, 3, v2
	v_subrev_u32_e32 v6, 28, v4
	v_and_b32_e32 v2, 15, v2
	v_lshlrev_b32_e32 v6, v6, v9
	v_sub_u32_e32 v4, 29, v4
	v_and_b32_e32 v6, 7, v6
	v_cmp_eq_u16_e32 vcc, 0, v2
	v_cndmask_b32_e32 v3, v3, v6, vcc
	v_cndmask_b32_e32 v2, v2, v4, vcc
	v_lshlrev_b32_e32 v4, 24, v9
	v_mov_b32_e32 v6, 0x3b800000
	v_lshlrev_b32_e32 v3, 20, v3
	v_and_b32_e32 v4, 0x80000000, v4
	v_lshl_add_u32 v2, v2, 23, v6
	v_or3_b32 v2, v4, v2, v3
.LBB1_9060:
	s_or_b64 exec, exec, s[6:7]
	s_movk_i32 s4, 0x7f
	v_cmp_gt_i16_sdwa s[6:7], v5, s4 src0_sel:BYTE_0 src1_sel:DWORD
	s_mov_b64 s[4:5], 0
                                        ; implicit-def: $sgpr10
	s_and_saveexec_b64 s[8:9], s[6:7]
	s_xor_b64 s[6:7], exec, s[8:9]
	s_cbranch_execz .LBB1_9061
; %bb.44901:
	s_getpc_b64 s[14:15]
.Lpost_getpc8114:
	s_add_u32 s14, s14, (.LBB1_23397-.Lpost_getpc8114)&4294967295
	s_addc_u32 s15, s15, (.LBB1_23397-.Lpost_getpc8114)>>32
	s_setpc_b64 s[14:15]
.LBB1_9061:
	s_or_saveexec_b64 s[6:7], s[6:7]
	v_mov_b32_e32 v3, s10
	s_xor_b64 exec, exec, s[6:7]
	s_cbranch_execz .LBB1_9062
; %bb.44903:
	s_getpc_b64 s[14:15]
.Lpost_getpc8115:
	s_add_u32 s14, s14, (.LBB1_23400-.Lpost_getpc8115)&4294967295
	s_addc_u32 s15, s15, (.LBB1_23400-.Lpost_getpc8115)>>32
	s_setpc_b64 s[14:15]
.LBB1_9062:
	s_or_b64 exec, exec, s[6:7]
	s_and_saveexec_b64 s[6:7], s[4:5]
	s_cbranch_execz .LBB1_9064
.LBB1_9063:
	v_mov_b32_e32 v3, 8
	v_and_b32_e32 v4, 7, v5
	v_lshrrev_b32_sdwa v3, v3, v5 dst_sel:BYTE_1 dst_unused:UNUSED_PAD src0_sel:DWORD src1_sel:DWORD
	v_ffbh_u32_e32 v6, v4
	v_or_b32_sdwa v3, v5, v3 dst_sel:DWORD dst_unused:UNUSED_PAD src0_sel:BYTE_0 src1_sel:DWORD
	v_min_u32_e32 v6, 32, v6
	v_lshrrev_b16_e32 v3, 3, v3
	v_subrev_u32_e32 v7, 28, v6
	v_and_b32_e32 v3, 15, v3
	v_lshlrev_b32_e32 v7, v7, v5
	v_sub_u32_e32 v6, 29, v6
	v_and_b32_e32 v7, 7, v7
	v_cmp_eq_u16_e32 vcc, 0, v3
	v_cndmask_b32_e32 v4, v4, v7, vcc
	v_cndmask_b32_e32 v3, v3, v6, vcc
	v_lshlrev_b32_e32 v6, 24, v5
	v_mov_b32_e32 v7, 0x3b800000
	v_lshlrev_b32_e32 v4, 20, v4
	v_and_b32_e32 v6, 0x80000000, v6
	v_lshl_add_u32 v3, v3, 23, v7
	v_or3_b32 v3, v6, v3, v4
.LBB1_9064:
	s_or_b64 exec, exec, s[6:7]
	s_nop 0
	v_mfma_f32_16x16x4f32 a[0:3], v2, v3, a[0:3]
	v_lshrrev_b32_e32 v3, 8, v9
	s_movk_i32 s4, 0x7f
	v_cmp_gt_i16_sdwa s[6:7], v3, s4 src0_sel:BYTE_0 src1_sel:DWORD
	s_mov_b64 s[4:5], 0
                                        ; implicit-def: $sgpr10
	s_and_saveexec_b64 s[8:9], s[6:7]
	s_xor_b64 s[6:7], exec, s[8:9]
	s_cbranch_execz .LBB1_9065
; %bb.44905:
	s_getpc_b64 s[14:15]
.Lpost_getpc8116:
	s_add_u32 s14, s14, (.LBB1_23401-.Lpost_getpc8116)&4294967295
	s_addc_u32 s15, s15, (.LBB1_23401-.Lpost_getpc8116)>>32
	s_setpc_b64 s[14:15]
.LBB1_9065:
	s_or_saveexec_b64 s[6:7], s[6:7]
	v_mov_b32_e32 v2, s10
	s_xor_b64 exec, exec, s[6:7]
	s_cbranch_execz .LBB1_9066
; %bb.44907:
	s_getpc_b64 s[14:15]
.Lpost_getpc8117:
	s_add_u32 s14, s14, (.LBB1_23404-.Lpost_getpc8117)&4294967295
	s_addc_u32 s15, s15, (.LBB1_23404-.Lpost_getpc8117)>>32
	s_setpc_b64 s[14:15]
.LBB1_9066:
	s_or_b64 exec, exec, s[6:7]
	s_and_saveexec_b64 s[6:7], s[4:5]
	s_cbranch_execz .LBB1_9068
.LBB1_9067:
	v_bfe_u32 v2, v9, 8, 3
	v_ffbh_u32_e32 v6, v2
	v_min_u32_e32 v6, 32, v6
	v_lshrrev_b16_e32 v4, 3, v3
	v_subrev_u32_e32 v7, 28, v6
	v_and_b32_e32 v4, 15, v4
	v_lshlrev_b32_e32 v3, v7, v3
	v_sub_u32_e32 v6, 29, v6
	v_and_b32_e32 v3, 7, v3
	v_cmp_eq_u16_e32 vcc, 0, v4
	v_cndmask_b32_e32 v2, v2, v3, vcc
	v_cndmask_b32_e32 v3, v4, v6, vcc
	v_lshlrev_b32_e32 v4, 16, v9
	v_mov_b32_e32 v6, 0x3b800000
	v_lshlrev_b32_e32 v2, 20, v2
	v_and_b32_e32 v4, 0x80000000, v4
	v_lshl_add_u32 v3, v3, 23, v6
	v_or3_b32 v2, v4, v3, v2
.LBB1_9068:
	s_or_b64 exec, exec, s[6:7]
	v_lshrrev_b32_e32 v3, 8, v5
	s_movk_i32 s4, 0x7f
	v_cmp_gt_i16_sdwa s[6:7], v3, s4 src0_sel:BYTE_0 src1_sel:DWORD
	s_mov_b64 s[4:5], 0
                                        ; implicit-def: $sgpr10
	s_and_saveexec_b64 s[8:9], s[6:7]
	s_xor_b64 s[6:7], exec, s[8:9]
	s_cbranch_execz .LBB1_9069
; %bb.44909:
	s_getpc_b64 s[14:15]
.Lpost_getpc8118:
	s_add_u32 s14, s14, (.LBB1_23405-.Lpost_getpc8118)&4294967295
	s_addc_u32 s15, s15, (.LBB1_23405-.Lpost_getpc8118)>>32
	s_setpc_b64 s[14:15]
.LBB1_9069:
	s_or_saveexec_b64 s[6:7], s[6:7]
	v_mov_b32_e32 v4, s10
	s_xor_b64 exec, exec, s[6:7]
	s_cbranch_execz .LBB1_9070
; %bb.44911:
	s_getpc_b64 s[14:15]
.Lpost_getpc8119:
	s_add_u32 s14, s14, (.LBB1_23408-.Lpost_getpc8119)&4294967295
	s_addc_u32 s15, s15, (.LBB1_23408-.Lpost_getpc8119)>>32
	s_setpc_b64 s[14:15]
.LBB1_9070:
	s_or_b64 exec, exec, s[6:7]
	s_and_saveexec_b64 s[6:7], s[4:5]
	s_cbranch_execz .LBB1_9072
.LBB1_9071:
	v_bfe_u32 v4, v5, 8, 3
	v_ffbh_u32_e32 v7, v4
	v_min_u32_e32 v7, 32, v7
	v_lshrrev_b16_e32 v6, 3, v3
	v_subrev_u32_e32 v8, 28, v7
	v_and_b32_e32 v6, 15, v6
	v_lshlrev_b32_e32 v3, v8, v3
	v_sub_u32_e32 v7, 29, v7
	v_and_b32_e32 v3, 7, v3
	v_cmp_eq_u16_e32 vcc, 0, v6
	v_cndmask_b32_e32 v3, v4, v3, vcc
	v_cndmask_b32_e32 v4, v6, v7, vcc
	v_lshlrev_b32_e32 v6, 16, v5
	v_mov_b32_e32 v7, 0x3b800000
	v_lshlrev_b32_e32 v3, 20, v3
	v_and_b32_e32 v6, 0x80000000, v6
	v_lshl_add_u32 v4, v4, 23, v7
	v_or3_b32 v4, v6, v4, v3
.LBB1_9072:
	s_or_b64 exec, exec, s[6:7]
	s_nop 0
	v_mfma_f32_16x16x4f32 a[0:3], v2, v4, a[0:3]
	s_movk_i32 s4, 0xff
	v_and_b32_sdwa v3, v9, s4 dst_sel:DWORD dst_unused:UNUSED_PAD src0_sel:WORD_1 src1_sel:DWORD
	s_movk_i32 s4, 0x7f
	v_cmp_lt_i16_e32 vcc, s4, v3
	s_mov_b64 s[4:5], 0
                                        ; implicit-def: $sgpr10
	s_and_saveexec_b64 s[6:7], vcc
	s_xor_b64 s[6:7], exec, s[6:7]
	s_cbranch_execz .LBB1_9073
; %bb.44913:
	s_getpc_b64 s[14:15]
.Lpost_getpc8120:
	s_add_u32 s14, s14, (.LBB1_23409-.Lpost_getpc8120)&4294967295
	s_addc_u32 s15, s15, (.LBB1_23409-.Lpost_getpc8120)>>32
	s_setpc_b64 s[14:15]
.LBB1_9073:
	s_or_saveexec_b64 s[6:7], s[6:7]
	v_mov_b32_e32 v2, s10
	s_xor_b64 exec, exec, s[6:7]
	s_cbranch_execz .LBB1_9074
; %bb.44915:
	s_getpc_b64 s[14:15]
.Lpost_getpc8121:
	s_add_u32 s14, s14, (.LBB1_23412-.Lpost_getpc8121)&4294967295
	s_addc_u32 s15, s15, (.LBB1_23412-.Lpost_getpc8121)>>32
	s_setpc_b64 s[14:15]
.LBB1_9074:
	s_or_b64 exec, exec, s[6:7]
	s_and_saveexec_b64 s[6:7], s[4:5]
	s_cbranch_execz .LBB1_9076
.LBB1_9075:
	v_bfe_u32 v2, v9, 16, 3
	v_ffbh_u32_e32 v6, v2
	v_min_u32_e32 v6, 32, v6
	v_lshrrev_b32_e32 v3, 19, v9
	v_subrev_u32_e32 v7, 28, v6
	v_and_b32_e32 v3, 15, v3
	v_lshlrev_b32_sdwa v7, v7, v9 dst_sel:DWORD dst_unused:UNUSED_PAD src0_sel:DWORD src1_sel:WORD_1
	v_bfe_u32 v4, v9, 19, 4
	v_sub_u32_e32 v6, 29, v6
	v_and_b32_e32 v7, 7, v7
	v_cmp_eq_u16_e32 vcc, 0, v3
	v_cndmask_b32_e32 v2, v2, v7, vcc
	v_cndmask_b32_e32 v3, v4, v6, vcc
	v_lshlrev_b32_e32 v4, 8, v9
	v_mov_b32_e32 v6, 0x3b800000
	v_lshlrev_b32_e32 v2, 20, v2
	v_and_b32_e32 v4, 0x80000000, v4
	v_lshl_add_u32 v3, v3, 23, v6
	v_or3_b32 v2, v4, v3, v2
.LBB1_9076:
	s_or_b64 exec, exec, s[6:7]
	s_movk_i32 s4, 0xff
	v_and_b32_sdwa v3, v5, s4 dst_sel:DWORD dst_unused:UNUSED_PAD src0_sel:WORD_1 src1_sel:DWORD
	s_movk_i32 s4, 0x7f
	v_cmp_lt_i16_e32 vcc, s4, v3
	s_mov_b64 s[4:5], 0
                                        ; implicit-def: $sgpr10
	s_and_saveexec_b64 s[6:7], vcc
	s_xor_b64 s[6:7], exec, s[6:7]
	s_cbranch_execz .LBB1_9077
; %bb.44917:
	s_getpc_b64 s[14:15]
.Lpost_getpc8122:
	s_add_u32 s14, s14, (.LBB1_23413-.Lpost_getpc8122)&4294967295
	s_addc_u32 s15, s15, (.LBB1_23413-.Lpost_getpc8122)>>32
	s_setpc_b64 s[14:15]
.LBB1_9077:
	s_or_saveexec_b64 s[6:7], s[6:7]
	v_mov_b32_e32 v4, s10
	s_xor_b64 exec, exec, s[6:7]
	s_cbranch_execz .LBB1_9078
; %bb.44919:
	s_getpc_b64 s[14:15]
.Lpost_getpc8123:
	s_add_u32 s14, s14, (.LBB1_23416-.Lpost_getpc8123)&4294967295
	s_addc_u32 s15, s15, (.LBB1_23416-.Lpost_getpc8123)>>32
	s_setpc_b64 s[14:15]
.LBB1_9078:
	s_or_b64 exec, exec, s[6:7]
	s_and_saveexec_b64 s[6:7], s[4:5]
	s_cbranch_execz .LBB1_9080
.LBB1_9079:
	v_bfe_u32 v3, v5, 16, 3
	v_ffbh_u32_e32 v7, v3
	v_min_u32_e32 v7, 32, v7
	v_lshrrev_b32_e32 v4, 19, v5
	v_subrev_u32_e32 v8, 28, v7
	v_and_b32_e32 v4, 15, v4
	v_lshlrev_b32_sdwa v8, v8, v5 dst_sel:DWORD dst_unused:UNUSED_PAD src0_sel:DWORD src1_sel:WORD_1
	v_bfe_u32 v6, v5, 19, 4
	v_sub_u32_e32 v7, 29, v7
	v_and_b32_e32 v8, 7, v8
	v_cmp_eq_u16_e32 vcc, 0, v4
	v_cndmask_b32_e32 v3, v3, v8, vcc
	v_cndmask_b32_e32 v4, v6, v7, vcc
	v_lshlrev_b32_e32 v6, 8, v5
	v_mov_b32_e32 v7, 0x3b800000
	v_lshlrev_b32_e32 v3, 20, v3
	v_and_b32_e32 v6, 0x80000000, v6
	v_lshl_add_u32 v4, v4, 23, v7
	v_or3_b32 v4, v6, v4, v3
.LBB1_9080:
	s_or_b64 exec, exec, s[6:7]
	s_nop 0
	v_mfma_f32_16x16x4f32 a[0:3], v2, v4, a[0:3]
	s_movk_i32 s4, 0x7f
	v_cmp_gt_i16_sdwa s[6:7], v9, s4 src0_sel:BYTE_3 src1_sel:DWORD
	s_mov_b64 s[4:5], 0
                                        ; implicit-def: $sgpr10
	s_and_saveexec_b64 s[8:9], s[6:7]
	s_xor_b64 s[6:7], exec, s[8:9]
	s_cbranch_execz .LBB1_9081
; %bb.44921:
	s_getpc_b64 s[14:15]
.Lpost_getpc8124:
	s_add_u32 s14, s14, (.LBB1_23417-.Lpost_getpc8124)&4294967295
	s_addc_u32 s15, s15, (.LBB1_23417-.Lpost_getpc8124)>>32
	s_setpc_b64 s[14:15]
.LBB1_9081:
	s_or_saveexec_b64 s[6:7], s[6:7]
	v_mov_b32_e32 v2, s10
	s_xor_b64 exec, exec, s[6:7]
	s_cbranch_execz .LBB1_9082
; %bb.44923:
	s_getpc_b64 s[14:15]
.Lpost_getpc8125:
	s_add_u32 s14, s14, (.LBB1_23420-.Lpost_getpc8125)&4294967295
	s_addc_u32 s15, s15, (.LBB1_23420-.Lpost_getpc8125)>>32
	s_setpc_b64 s[14:15]
.LBB1_9082:
	s_or_b64 exec, exec, s[6:7]
	s_and_saveexec_b64 s[6:7], s[4:5]
	s_cbranch_execz .LBB1_9084
.LBB1_9083:
	v_bfe_u32 v2, v9, 24, 3
	v_ffbh_u32_e32 v7, v2
	v_min_u32_e32 v7, 32, v7
	v_lshrrev_b32_e32 v4, 27, v9
	v_subrev_u32_e32 v8, 28, v7
	v_and_b32_e32 v4, 15, v4
	v_lshlrev_b32_sdwa v8, v8, v9 dst_sel:DWORD dst_unused:UNUSED_PAD src0_sel:DWORD src1_sel:BYTE_3
	v_bfe_u32 v6, v9, 27, 4
	v_sub_u32_e32 v7, 29, v7
	v_and_b32_e32 v8, 7, v8
	v_cmp_eq_u16_e32 vcc, 0, v4
	v_cndmask_b32_e32 v2, v2, v8, vcc
	v_cndmask_b32_e32 v4, v6, v7, vcc
	v_mov_b32_e32 v6, 0x3b800000
	v_and_b32_e32 v3, 0x80000000, v9
	v_lshlrev_b32_e32 v2, 20, v2
	v_lshl_add_u32 v4, v4, 23, v6
	v_or3_b32 v2, v3, v4, v2
.LBB1_9084:
	s_or_b64 exec, exec, s[6:7]
	s_movk_i32 s4, 0x7f
	v_cmp_gt_i16_sdwa s[6:7], v5, s4 src0_sel:BYTE_3 src1_sel:DWORD
	s_mov_b64 s[4:5], 0
                                        ; implicit-def: $sgpr10
	s_and_saveexec_b64 s[8:9], s[6:7]
	s_xor_b64 s[6:7], exec, s[8:9]
	s_cbranch_execz .LBB1_9085
; %bb.44925:
	s_getpc_b64 s[14:15]
.Lpost_getpc8126:
	s_add_u32 s14, s14, (.LBB1_23421-.Lpost_getpc8126)&4294967295
	s_addc_u32 s15, s15, (.LBB1_23421-.Lpost_getpc8126)>>32
	s_setpc_b64 s[14:15]
.LBB1_9085:
	s_or_saveexec_b64 s[6:7], s[6:7]
	v_mov_b32_e32 v3, s10
	s_xor_b64 exec, exec, s[6:7]
	s_cbranch_execz .LBB1_9086
; %bb.44927:
	s_getpc_b64 s[14:15]
.Lpost_getpc8127:
	s_add_u32 s14, s14, (.LBB1_23424-.Lpost_getpc8127)&4294967295
	s_addc_u32 s15, s15, (.LBB1_23424-.Lpost_getpc8127)>>32
	s_setpc_b64 s[14:15]
.LBB1_9086:
	s_or_b64 exec, exec, s[6:7]
	s_and_saveexec_b64 s[6:7], s[4:5]
	s_cbranch_execz .LBB1_9088
.LBB1_9087:
	v_bfe_u32 v3, v5, 24, 3
	v_ffbh_u32_e32 v8, v3
	v_min_u32_e32 v8, 32, v8
	v_lshrrev_b32_e32 v6, 27, v5
	v_subrev_u32_e32 v9, 28, v8
	v_and_b32_e32 v4, 0x80000000, v5
	v_and_b32_e32 v6, 15, v6
	v_bfe_u32 v7, v5, 27, 4
	v_lshlrev_b32_sdwa v5, v9, v5 dst_sel:DWORD dst_unused:UNUSED_PAD src0_sel:DWORD src1_sel:BYTE_3
	v_sub_u32_e32 v8, 29, v8
	v_and_b32_e32 v5, 7, v5
	v_cmp_eq_u16_e32 vcc, 0, v6
	v_cndmask_b32_e32 v3, v3, v5, vcc
	v_cndmask_b32_e32 v5, v7, v8, vcc
	v_mov_b32_e32 v6, 0x3b800000
	v_lshlrev_b32_e32 v3, 20, v3
	v_lshl_add_u32 v5, v5, 23, v6
	v_or3_b32 v3, v4, v5, v3
.LBB1_9088:
	s_or_b64 exec, exec, s[6:7]
	s_nop 0
	v_mfma_f32_16x16x4f32 a[0:3], v2, v3, a[0:3]
	s_movk_i32 s4, 0x7f
                                        ; implicit-def: $sgpr10
	s_nop 7
	s_nop 1
	flat_store_dwordx4 v[10:11], a[0:3] offset:224
	flat_load_dwordx4 v[12:15], v[0:1]
	s_nop 0
	flat_load_dwordx2 v[10:11], v[0:1] offset:16
	s_waitcnt vmcnt(0) lgkmcnt(0)
	flat_load_dwordx4 v[6:9], v[12:13] offset:128
	flat_load_dwordx4 v[2:5], v[14:15] offset:240
	s_waitcnt vmcnt(0) lgkmcnt(0)
	v_cmp_gt_i16_sdwa s[6:7], v6, s4 src0_sel:BYTE_0 src1_sel:DWORD
	s_mov_b64 s[4:5], 0
	s_and_saveexec_b64 s[8:9], s[6:7]
	s_xor_b64 s[6:7], exec, s[8:9]
	s_cbranch_execz .LBB1_9089
; %bb.44929:
	s_getpc_b64 s[14:15]
.Lpost_getpc8128:
	s_add_u32 s14, s14, (.LBB1_23425-.Lpost_getpc8128)&4294967295
	s_addc_u32 s15, s15, (.LBB1_23425-.Lpost_getpc8128)>>32
	s_setpc_b64 s[14:15]
.LBB1_9089:
	s_or_saveexec_b64 s[6:7], s[6:7]
	v_mov_b32_e32 v12, s10
	s_xor_b64 exec, exec, s[6:7]
	s_cbranch_execz .LBB1_9090
; %bb.44931:
	s_getpc_b64 s[14:15]
.Lpost_getpc8129:
	s_add_u32 s14, s14, (.LBB1_23428-.Lpost_getpc8129)&4294967295
	s_addc_u32 s15, s15, (.LBB1_23428-.Lpost_getpc8129)>>32
	s_setpc_b64 s[14:15]
.LBB1_9090:
	s_or_b64 exec, exec, s[6:7]
	s_and_saveexec_b64 s[6:7], s[4:5]
	s_cbranch_execz .LBB1_9092
.LBB1_9091:
	v_and_b32_e32 v12, 7, v6
	v_ffbh_u32_e32 v14, v12
	v_min_u32_e32 v14, 32, v14
	v_lshrrev_b16_e32 v13, 3, v6
	v_subrev_u32_e32 v15, 28, v14
	v_and_b32_e32 v13, 15, v13
	v_lshlrev_b32_e32 v15, v15, v6
	v_sub_u32_e32 v14, 29, v14
	v_and_b32_e32 v15, 7, v15
	v_cmp_eq_u16_e32 vcc, 0, v13
	v_cndmask_b32_e32 v12, v12, v15, vcc
	v_cndmask_b32_e32 v13, v13, v14, vcc
	v_lshlrev_b32_e32 v14, 24, v6
	v_mov_b32_e32 v15, 0x3b800000
	v_lshlrev_b32_e32 v12, 20, v12
	v_and_b32_e32 v14, 0x80000000, v14
	v_lshl_add_u32 v13, v13, 23, v15
	v_or3_b32 v12, v14, v13, v12
.LBB1_9092:
	s_or_b64 exec, exec, s[6:7]
	s_movk_i32 s4, 0x7f
	v_cmp_gt_i16_sdwa s[6:7], v2, s4 src0_sel:BYTE_0 src1_sel:DWORD
	s_mov_b64 s[4:5], 0
                                        ; implicit-def: $sgpr10
	s_and_saveexec_b64 s[8:9], s[6:7]
	s_xor_b64 s[6:7], exec, s[8:9]
	s_cbranch_execz .LBB1_9093
; %bb.44933:
	s_getpc_b64 s[14:15]
.Lpost_getpc8130:
	s_add_u32 s14, s14, (.LBB1_23429-.Lpost_getpc8130)&4294967295
	s_addc_u32 s15, s15, (.LBB1_23429-.Lpost_getpc8130)>>32
	s_setpc_b64 s[14:15]
.LBB1_9093:
	s_or_saveexec_b64 s[6:7], s[6:7]
	v_mov_b32_e32 v13, s10
	s_xor_b64 exec, exec, s[6:7]
	s_cbranch_execz .LBB1_9094
; %bb.44935:
	s_getpc_b64 s[14:15]
.Lpost_getpc8131:
	s_add_u32 s14, s14, (.LBB1_23432-.Lpost_getpc8131)&4294967295
	s_addc_u32 s15, s15, (.LBB1_23432-.Lpost_getpc8131)>>32
	s_setpc_b64 s[14:15]
.LBB1_9094:
	s_or_b64 exec, exec, s[6:7]
	s_and_saveexec_b64 s[6:7], s[4:5]
	s_cbranch_execz .LBB1_9096
.LBB1_9095:
	v_and_b32_e32 v13, 7, v2
	v_ffbh_u32_e32 v15, v13
	v_min_u32_e32 v15, 32, v15
	v_lshrrev_b16_e32 v14, 3, v2
	v_subrev_u32_e32 v16, 28, v15
	v_and_b32_e32 v14, 15, v14
	v_lshlrev_b32_e32 v16, v16, v2
	v_sub_u32_e32 v15, 29, v15
	v_and_b32_e32 v16, 7, v16
	v_cmp_eq_u16_e32 vcc, 0, v14
	v_cndmask_b32_e32 v13, v13, v16, vcc
	v_cndmask_b32_e32 v14, v14, v15, vcc
	v_lshlrev_b32_e32 v15, 24, v2
	v_mov_b32_e32 v16, 0x3b800000
	v_lshlrev_b32_e32 v13, 20, v13
	v_and_b32_e32 v15, 0x80000000, v15
	v_lshl_add_u32 v14, v14, 23, v16
	v_or3_b32 v13, v15, v14, v13
.LBB1_9096:
	s_or_b64 exec, exec, s[6:7]
	flat_load_dwordx4 a[0:3], v[10:11] offset:240
	s_movk_i32 s4, 0x7f
                                        ; implicit-def: $sgpr10
	s_waitcnt vmcnt(0) lgkmcnt(0)
	v_mfma_f32_16x16x4f32 a[0:3], v12, v13, a[0:3]
	v_lshrrev_b32_e32 v13, 8, v6
	v_cmp_gt_i16_sdwa s[6:7], v13, s4 src0_sel:BYTE_0 src1_sel:DWORD
	s_mov_b64 s[4:5], 0
	s_and_saveexec_b64 s[8:9], s[6:7]
	s_xor_b64 s[6:7], exec, s[8:9]
	s_cbranch_execz .LBB1_9097
; %bb.44937:
	s_getpc_b64 s[14:15]
.Lpost_getpc8132:
	s_add_u32 s14, s14, (.LBB1_23433-.Lpost_getpc8132)&4294967295
	s_addc_u32 s15, s15, (.LBB1_23433-.Lpost_getpc8132)>>32
	s_setpc_b64 s[14:15]
.LBB1_9097:
	s_or_saveexec_b64 s[6:7], s[6:7]
	v_mov_b32_e32 v12, s10
	s_xor_b64 exec, exec, s[6:7]
	s_cbranch_execz .LBB1_9098
; %bb.44939:
	s_getpc_b64 s[14:15]
.Lpost_getpc8133:
	s_add_u32 s14, s14, (.LBB1_23436-.Lpost_getpc8133)&4294967295
	s_addc_u32 s15, s15, (.LBB1_23436-.Lpost_getpc8133)>>32
	s_setpc_b64 s[14:15]
.LBB1_9098:
	s_or_b64 exec, exec, s[6:7]
	s_and_saveexec_b64 s[6:7], s[4:5]
	s_cbranch_execz .LBB1_9100
.LBB1_9099:
	v_bfe_u32 v12, v6, 8, 3
	v_ffbh_u32_e32 v15, v12
	v_min_u32_e32 v15, 32, v15
	v_lshrrev_b16_e32 v14, 3, v13
	v_subrev_u32_e32 v16, 28, v15
	v_and_b32_e32 v14, 15, v14
	v_lshlrev_b32_e32 v13, v16, v13
	v_sub_u32_e32 v15, 29, v15
	v_and_b32_e32 v13, 7, v13
	v_cmp_eq_u16_e32 vcc, 0, v14
	v_cndmask_b32_e32 v12, v12, v13, vcc
	v_cndmask_b32_e32 v13, v14, v15, vcc
	v_lshlrev_b32_e32 v14, 16, v6
	v_mov_b32_e32 v15, 0x3b800000
	v_lshlrev_b32_e32 v12, 20, v12
	v_and_b32_e32 v14, 0x80000000, v14
	v_lshl_add_u32 v13, v13, 23, v15
	v_or3_b32 v12, v14, v13, v12
.LBB1_9100:
	s_or_b64 exec, exec, s[6:7]
	v_lshrrev_b32_e32 v13, 8, v2
	s_movk_i32 s4, 0x7f
	v_cmp_gt_i16_sdwa s[6:7], v13, s4 src0_sel:BYTE_0 src1_sel:DWORD
	s_mov_b64 s[4:5], 0
                                        ; implicit-def: $sgpr10
	s_and_saveexec_b64 s[8:9], s[6:7]
	s_xor_b64 s[6:7], exec, s[8:9]
	s_cbranch_execz .LBB1_9101
; %bb.44941:
	s_getpc_b64 s[14:15]
.Lpost_getpc8134:
	s_add_u32 s14, s14, (.LBB1_23437-.Lpost_getpc8134)&4294967295
	s_addc_u32 s15, s15, (.LBB1_23437-.Lpost_getpc8134)>>32
	s_setpc_b64 s[14:15]
.LBB1_9101:
	s_or_saveexec_b64 s[6:7], s[6:7]
	v_mov_b32_e32 v14, s10
	s_xor_b64 exec, exec, s[6:7]
	s_cbranch_execz .LBB1_9102
; %bb.44943:
	s_getpc_b64 s[14:15]
.Lpost_getpc8135:
	s_add_u32 s14, s14, (.LBB1_23440-.Lpost_getpc8135)&4294967295
	s_addc_u32 s15, s15, (.LBB1_23440-.Lpost_getpc8135)>>32
	s_setpc_b64 s[14:15]
.LBB1_9102:
	s_or_b64 exec, exec, s[6:7]
	s_and_saveexec_b64 s[6:7], s[4:5]
	s_cbranch_execz .LBB1_9104
.LBB1_9103:
	v_bfe_u32 v14, v2, 8, 3
	v_ffbh_u32_e32 v16, v14
	v_min_u32_e32 v16, 32, v16
	v_lshrrev_b16_e32 v15, 3, v13
	v_subrev_u32_e32 v17, 28, v16
	v_and_b32_e32 v15, 15, v15
	v_lshlrev_b32_e32 v13, v17, v13
	v_sub_u32_e32 v16, 29, v16
	v_and_b32_e32 v13, 7, v13
	v_cmp_eq_u16_e32 vcc, 0, v15
	v_cndmask_b32_e32 v13, v14, v13, vcc
	v_cndmask_b32_e32 v14, v15, v16, vcc
	v_lshlrev_b32_e32 v15, 16, v2
	v_mov_b32_e32 v16, 0x3b800000
	v_lshlrev_b32_e32 v13, 20, v13
	v_and_b32_e32 v15, 0x80000000, v15
	v_lshl_add_u32 v14, v14, 23, v16
	v_or3_b32 v14, v15, v14, v13
.LBB1_9104:
	s_or_b64 exec, exec, s[6:7]
	s_nop 0
	v_mfma_f32_16x16x4f32 a[0:3], v12, v14, a[0:3]
	s_movk_i32 s4, 0xff
	v_and_b32_sdwa v13, v6, s4 dst_sel:DWORD dst_unused:UNUSED_PAD src0_sel:WORD_1 src1_sel:DWORD
	s_movk_i32 s4, 0x7f
	v_cmp_lt_i16_e32 vcc, s4, v13
	s_mov_b64 s[4:5], 0
                                        ; implicit-def: $sgpr10
	s_and_saveexec_b64 s[6:7], vcc
	s_xor_b64 s[6:7], exec, s[6:7]
	s_cbranch_execz .LBB1_9105
; %bb.44945:
	s_getpc_b64 s[14:15]
.Lpost_getpc8136:
	s_add_u32 s14, s14, (.LBB1_23441-.Lpost_getpc8136)&4294967295
	s_addc_u32 s15, s15, (.LBB1_23441-.Lpost_getpc8136)>>32
	s_setpc_b64 s[14:15]
.LBB1_9105:
	s_or_saveexec_b64 s[6:7], s[6:7]
	v_mov_b32_e32 v12, s10
	s_xor_b64 exec, exec, s[6:7]
	s_cbranch_execz .LBB1_9106
; %bb.44947:
	s_getpc_b64 s[14:15]
.Lpost_getpc8137:
	s_add_u32 s14, s14, (.LBB1_23444-.Lpost_getpc8137)&4294967295
	s_addc_u32 s15, s15, (.LBB1_23444-.Lpost_getpc8137)>>32
	s_setpc_b64 s[14:15]
.LBB1_9106:
	s_or_b64 exec, exec, s[6:7]
	s_and_saveexec_b64 s[6:7], s[4:5]
	s_cbranch_execz .LBB1_9108
.LBB1_9107:
	v_bfe_u32 v12, v6, 16, 3
	v_ffbh_u32_e32 v15, v12
	v_min_u32_e32 v15, 32, v15
	v_lshrrev_b32_e32 v13, 19, v6
	v_subrev_u32_e32 v16, 28, v15
	v_and_b32_e32 v13, 15, v13
	v_lshlrev_b32_sdwa v16, v16, v6 dst_sel:DWORD dst_unused:UNUSED_PAD src0_sel:DWORD src1_sel:WORD_1
	v_bfe_u32 v14, v6, 19, 4
	v_sub_u32_e32 v15, 29, v15
	v_and_b32_e32 v16, 7, v16
	v_cmp_eq_u16_e32 vcc, 0, v13
	v_cndmask_b32_e32 v12, v12, v16, vcc
	v_cndmask_b32_e32 v13, v14, v15, vcc
	v_lshlrev_b32_e32 v14, 8, v6
	v_mov_b32_e32 v15, 0x3b800000
	v_lshlrev_b32_e32 v12, 20, v12
	v_and_b32_e32 v14, 0x80000000, v14
	v_lshl_add_u32 v13, v13, 23, v15
	v_or3_b32 v12, v14, v13, v12
.LBB1_9108:
	s_or_b64 exec, exec, s[6:7]
	s_movk_i32 s4, 0xff
	v_and_b32_sdwa v13, v2, s4 dst_sel:DWORD dst_unused:UNUSED_PAD src0_sel:WORD_1 src1_sel:DWORD
	s_movk_i32 s4, 0x7f
	v_cmp_lt_i16_e32 vcc, s4, v13
	s_mov_b64 s[4:5], 0
                                        ; implicit-def: $sgpr10
	s_and_saveexec_b64 s[6:7], vcc
	s_xor_b64 s[6:7], exec, s[6:7]
	s_cbranch_execz .LBB1_9109
; %bb.44949:
	s_getpc_b64 s[14:15]
.Lpost_getpc8138:
	s_add_u32 s14, s14, (.LBB1_23445-.Lpost_getpc8138)&4294967295
	s_addc_u32 s15, s15, (.LBB1_23445-.Lpost_getpc8138)>>32
	s_setpc_b64 s[14:15]
.LBB1_9109:
	s_or_saveexec_b64 s[6:7], s[6:7]
	v_mov_b32_e32 v14, s10
	s_xor_b64 exec, exec, s[6:7]
	s_cbranch_execz .LBB1_9110
; %bb.44951:
	s_getpc_b64 s[14:15]
.Lpost_getpc8139:
	s_add_u32 s14, s14, (.LBB1_23448-.Lpost_getpc8139)&4294967295
	s_addc_u32 s15, s15, (.LBB1_23448-.Lpost_getpc8139)>>32
	s_setpc_b64 s[14:15]
.LBB1_9110:
	s_or_b64 exec, exec, s[6:7]
	s_and_saveexec_b64 s[6:7], s[4:5]
	s_cbranch_execz .LBB1_9112
.LBB1_9111:
	v_bfe_u32 v13, v2, 16, 3
	v_ffbh_u32_e32 v16, v13
	v_min_u32_e32 v16, 32, v16
	v_lshrrev_b32_e32 v14, 19, v2
	v_subrev_u32_e32 v17, 28, v16
	v_and_b32_e32 v14, 15, v14
	v_lshlrev_b32_sdwa v17, v17, v2 dst_sel:DWORD dst_unused:UNUSED_PAD src0_sel:DWORD src1_sel:WORD_1
	v_bfe_u32 v15, v2, 19, 4
	v_sub_u32_e32 v16, 29, v16
	v_and_b32_e32 v17, 7, v17
	v_cmp_eq_u16_e32 vcc, 0, v14
	v_cndmask_b32_e32 v13, v13, v17, vcc
	v_cndmask_b32_e32 v14, v15, v16, vcc
	v_lshlrev_b32_e32 v15, 8, v2
	v_mov_b32_e32 v16, 0x3b800000
	v_lshlrev_b32_e32 v13, 20, v13
	v_and_b32_e32 v15, 0x80000000, v15
	v_lshl_add_u32 v14, v14, 23, v16
	v_or3_b32 v14, v15, v14, v13
.LBB1_9112:
	s_or_b64 exec, exec, s[6:7]
	s_nop 0
	v_mfma_f32_16x16x4f32 a[0:3], v12, v14, a[0:3]
	s_movk_i32 s4, 0x7f
	v_cmp_gt_i16_sdwa s[6:7], v6, s4 src0_sel:BYTE_3 src1_sel:DWORD
	s_mov_b64 s[4:5], 0
                                        ; implicit-def: $sgpr10
	s_and_saveexec_b64 s[8:9], s[6:7]
	s_xor_b64 s[6:7], exec, s[8:9]
	s_cbranch_execz .LBB1_9113
; %bb.44953:
	s_getpc_b64 s[14:15]
.Lpost_getpc8140:
	s_add_u32 s14, s14, (.LBB1_23449-.Lpost_getpc8140)&4294967295
	s_addc_u32 s15, s15, (.LBB1_23449-.Lpost_getpc8140)>>32
	s_setpc_b64 s[14:15]
.LBB1_9113:
	s_or_saveexec_b64 s[6:7], s[6:7]
	v_mov_b32_e32 v12, s10
	s_xor_b64 exec, exec, s[6:7]
	s_cbranch_execz .LBB1_9114
; %bb.44955:
	s_getpc_b64 s[14:15]
.Lpost_getpc8141:
	s_add_u32 s14, s14, (.LBB1_23452-.Lpost_getpc8141)&4294967295
	s_addc_u32 s15, s15, (.LBB1_23452-.Lpost_getpc8141)>>32
	s_setpc_b64 s[14:15]
.LBB1_9114:
	s_or_b64 exec, exec, s[6:7]
	s_and_saveexec_b64 s[6:7], s[4:5]
	s_cbranch_execz .LBB1_9116
.LBB1_9115:
	v_bfe_u32 v12, v6, 24, 3
	v_ffbh_u32_e32 v16, v12
	v_min_u32_e32 v16, 32, v16
	v_lshrrev_b32_e32 v14, 27, v6
	v_subrev_u32_e32 v17, 28, v16
	v_and_b32_e32 v13, 0x80000000, v6
	v_and_b32_e32 v14, 15, v14
	v_bfe_u32 v15, v6, 27, 4
	v_lshlrev_b32_sdwa v6, v17, v6 dst_sel:DWORD dst_unused:UNUSED_PAD src0_sel:DWORD src1_sel:BYTE_3
	v_sub_u32_e32 v16, 29, v16
	v_and_b32_e32 v6, 7, v6
	v_cmp_eq_u16_e32 vcc, 0, v14
	v_cndmask_b32_e32 v6, v12, v6, vcc
	v_cndmask_b32_e32 v12, v15, v16, vcc
	v_mov_b32_e32 v14, 0x3b800000
	v_lshlrev_b32_e32 v6, 20, v6
	v_lshl_add_u32 v12, v12, 23, v14
	v_or3_b32 v12, v13, v12, v6
.LBB1_9116:
	s_or_b64 exec, exec, s[6:7]
	s_movk_i32 s4, 0x7f
	v_cmp_gt_i16_sdwa s[6:7], v2, s4 src0_sel:BYTE_3 src1_sel:DWORD
	s_mov_b64 s[4:5], 0
                                        ; implicit-def: $sgpr10
	s_and_saveexec_b64 s[8:9], s[6:7]
	s_xor_b64 s[6:7], exec, s[8:9]
	s_cbranch_execz .LBB1_9117
; %bb.44957:
	s_getpc_b64 s[14:15]
.Lpost_getpc8142:
	s_add_u32 s14, s14, (.LBB1_23453-.Lpost_getpc8142)&4294967295
	s_addc_u32 s15, s15, (.LBB1_23453-.Lpost_getpc8142)>>32
	s_setpc_b64 s[14:15]
.LBB1_9117:
	s_or_saveexec_b64 s[6:7], s[6:7]
	v_mov_b32_e32 v6, s10
	s_xor_b64 exec, exec, s[6:7]
	s_cbranch_execz .LBB1_9118
; %bb.44959:
	s_getpc_b64 s[14:15]
.Lpost_getpc8143:
	s_add_u32 s14, s14, (.LBB1_23456-.Lpost_getpc8143)&4294967295
	s_addc_u32 s15, s15, (.LBB1_23456-.Lpost_getpc8143)>>32
	s_setpc_b64 s[14:15]
.LBB1_9118:
	s_or_b64 exec, exec, s[6:7]
	s_and_saveexec_b64 s[6:7], s[4:5]
	s_cbranch_execz .LBB1_9120
.LBB1_9119:
	v_bfe_u32 v6, v2, 24, 3
	v_ffbh_u32_e32 v16, v6
	v_min_u32_e32 v16, 32, v16
	v_lshrrev_b32_e32 v14, 27, v2
	v_subrev_u32_e32 v17, 28, v16
	v_and_b32_e32 v13, 0x80000000, v2
	v_and_b32_e32 v14, 15, v14
	v_bfe_u32 v15, v2, 27, 4
	v_lshlrev_b32_sdwa v2, v17, v2 dst_sel:DWORD dst_unused:UNUSED_PAD src0_sel:DWORD src1_sel:BYTE_3
	v_sub_u32_e32 v16, 29, v16
	v_and_b32_e32 v2, 7, v2
	v_cmp_eq_u16_e32 vcc, 0, v14
	v_cndmask_b32_e32 v2, v6, v2, vcc
	v_cndmask_b32_e32 v6, v15, v16, vcc
	v_mov_b32_e32 v14, 0x3b800000
	v_lshlrev_b32_e32 v2, 20, v2
	v_lshl_add_u32 v6, v6, 23, v14
	v_or3_b32 v6, v13, v6, v2
.LBB1_9120:
	s_or_b64 exec, exec, s[6:7]
	s_nop 0
	v_mfma_f32_16x16x4f32 a[0:3], v12, v6, a[0:3]
	s_movk_i32 s4, 0x7f
	v_cmp_gt_i16_sdwa s[6:7], v7, s4 src0_sel:BYTE_0 src1_sel:DWORD
	s_mov_b64 s[4:5], 0
                                        ; implicit-def: $sgpr10
	s_and_saveexec_b64 s[8:9], s[6:7]
	s_xor_b64 s[6:7], exec, s[8:9]
	s_cbranch_execz .LBB1_9121
; %bb.44961:
	s_getpc_b64 s[14:15]
.Lpost_getpc8144:
	s_add_u32 s14, s14, (.LBB1_23457-.Lpost_getpc8144)&4294967295
	s_addc_u32 s15, s15, (.LBB1_23457-.Lpost_getpc8144)>>32
	s_setpc_b64 s[14:15]
.LBB1_9121:
	s_or_saveexec_b64 s[6:7], s[6:7]
	v_mov_b32_e32 v2, s10
	s_xor_b64 exec, exec, s[6:7]
	s_cbranch_execz .LBB1_9122
; %bb.44963:
	s_getpc_b64 s[14:15]
.Lpost_getpc8145:
	s_add_u32 s14, s14, (.LBB1_23460-.Lpost_getpc8145)&4294967295
	s_addc_u32 s15, s15, (.LBB1_23460-.Lpost_getpc8145)>>32
	s_setpc_b64 s[14:15]
.LBB1_9122:
	s_or_b64 exec, exec, s[6:7]
	s_and_saveexec_b64 s[6:7], s[4:5]
	s_cbranch_execz .LBB1_9124
.LBB1_9123:
	v_and_b32_e32 v2, 7, v7
	v_ffbh_u32_e32 v12, v2
	v_min_u32_e32 v12, 32, v12
	v_lshrrev_b16_e32 v6, 3, v7
	v_subrev_u32_e32 v13, 28, v12
	v_and_b32_e32 v6, 15, v6
	v_lshlrev_b32_e32 v13, v13, v7
	v_sub_u32_e32 v12, 29, v12
	v_and_b32_e32 v13, 7, v13
	v_cmp_eq_u16_e32 vcc, 0, v6
	v_cndmask_b32_e32 v2, v2, v13, vcc
	v_cndmask_b32_e32 v6, v6, v12, vcc
	v_lshlrev_b32_e32 v12, 24, v7
	v_mov_b32_e32 v13, 0x3b800000
	v_lshlrev_b32_e32 v2, 20, v2
	v_and_b32_e32 v12, 0x80000000, v12
	v_lshl_add_u32 v6, v6, 23, v13
	v_or3_b32 v2, v12, v6, v2
.LBB1_9124:
	s_or_b64 exec, exec, s[6:7]
	s_movk_i32 s4, 0x7f
	v_cmp_gt_i16_sdwa s[6:7], v3, s4 src0_sel:BYTE_0 src1_sel:DWORD
	s_mov_b64 s[4:5], 0
                                        ; implicit-def: $sgpr10
	s_and_saveexec_b64 s[8:9], s[6:7]
	s_xor_b64 s[6:7], exec, s[8:9]
	s_cbranch_execz .LBB1_9125
; %bb.44965:
	s_getpc_b64 s[14:15]
.Lpost_getpc8146:
	s_add_u32 s14, s14, (.LBB1_23461-.Lpost_getpc8146)&4294967295
	s_addc_u32 s15, s15, (.LBB1_23461-.Lpost_getpc8146)>>32
	s_setpc_b64 s[14:15]
.LBB1_9125:
	s_or_saveexec_b64 s[6:7], s[6:7]
	v_mov_b32_e32 v6, s10
	s_xor_b64 exec, exec, s[6:7]
	s_cbranch_execz .LBB1_9126
; %bb.44967:
	s_getpc_b64 s[14:15]
.Lpost_getpc8147:
	s_add_u32 s14, s14, (.LBB1_23464-.Lpost_getpc8147)&4294967295
	s_addc_u32 s15, s15, (.LBB1_23464-.Lpost_getpc8147)>>32
	s_setpc_b64 s[14:15]
.LBB1_9126:
	s_or_b64 exec, exec, s[6:7]
	s_and_saveexec_b64 s[6:7], s[4:5]
	s_cbranch_execz .LBB1_9128
.LBB1_9127:
	v_and_b32_e32 v6, 7, v3
	v_ffbh_u32_e32 v13, v6
	v_min_u32_e32 v13, 32, v13
	v_lshrrev_b16_e32 v12, 3, v3
	v_subrev_u32_e32 v14, 28, v13
	v_and_b32_e32 v12, 15, v12
	v_lshlrev_b32_e32 v14, v14, v3
	v_sub_u32_e32 v13, 29, v13
	v_and_b32_e32 v14, 7, v14
	v_cmp_eq_u16_e32 vcc, 0, v12
	v_cndmask_b32_e32 v6, v6, v14, vcc
	v_cndmask_b32_e32 v12, v12, v13, vcc
	v_lshlrev_b32_e32 v13, 24, v3
	v_mov_b32_e32 v14, 0x3b800000
	v_lshlrev_b32_e32 v6, 20, v6
	v_and_b32_e32 v13, 0x80000000, v13
	v_lshl_add_u32 v12, v12, 23, v14
	v_or3_b32 v6, v13, v12, v6
.LBB1_9128:
	s_or_b64 exec, exec, s[6:7]
	s_nop 0
	v_mfma_f32_16x16x4f32 a[0:3], v2, v6, a[0:3]
	v_lshrrev_b32_e32 v6, 8, v7
	s_movk_i32 s4, 0x7f
	v_cmp_gt_i16_sdwa s[6:7], v6, s4 src0_sel:BYTE_0 src1_sel:DWORD
	s_mov_b64 s[4:5], 0
                                        ; implicit-def: $sgpr10
	s_and_saveexec_b64 s[8:9], s[6:7]
	s_xor_b64 s[6:7], exec, s[8:9]
	s_cbranch_execz .LBB1_9129
; %bb.44969:
	s_getpc_b64 s[14:15]
.Lpost_getpc8148:
	s_add_u32 s14, s14, (.LBB1_23465-.Lpost_getpc8148)&4294967295
	s_addc_u32 s15, s15, (.LBB1_23465-.Lpost_getpc8148)>>32
	s_setpc_b64 s[14:15]
.LBB1_9129:
	s_or_saveexec_b64 s[6:7], s[6:7]
	v_mov_b32_e32 v2, s10
	s_xor_b64 exec, exec, s[6:7]
	s_cbranch_execz .LBB1_9130
; %bb.44971:
	s_getpc_b64 s[14:15]
.Lpost_getpc8149:
	s_add_u32 s14, s14, (.LBB1_23468-.Lpost_getpc8149)&4294967295
	s_addc_u32 s15, s15, (.LBB1_23468-.Lpost_getpc8149)>>32
	s_setpc_b64 s[14:15]
.LBB1_9130:
	s_or_b64 exec, exec, s[6:7]
	s_and_saveexec_b64 s[6:7], s[4:5]
	s_cbranch_execz .LBB1_9132
.LBB1_9131:
	v_bfe_u32 v2, v7, 8, 3
	v_ffbh_u32_e32 v13, v2
	v_min_u32_e32 v13, 32, v13
	v_lshrrev_b16_e32 v12, 3, v6
	v_subrev_u32_e32 v14, 28, v13
	v_and_b32_e32 v12, 15, v12
	v_lshlrev_b32_e32 v6, v14, v6
	v_sub_u32_e32 v13, 29, v13
	v_and_b32_e32 v6, 7, v6
	v_cmp_eq_u16_e32 vcc, 0, v12
	v_cndmask_b32_e32 v2, v2, v6, vcc
	v_cndmask_b32_e32 v6, v12, v13, vcc
	v_lshlrev_b32_e32 v12, 16, v7
	v_mov_b32_e32 v13, 0x3b800000
	v_lshlrev_b32_e32 v2, 20, v2
	v_and_b32_e32 v12, 0x80000000, v12
	v_lshl_add_u32 v6, v6, 23, v13
	v_or3_b32 v2, v12, v6, v2
.LBB1_9132:
	s_or_b64 exec, exec, s[6:7]
	v_lshrrev_b32_e32 v6, 8, v3
	s_movk_i32 s4, 0x7f
	v_cmp_gt_i16_sdwa s[6:7], v6, s4 src0_sel:BYTE_0 src1_sel:DWORD
	s_mov_b64 s[4:5], 0
                                        ; implicit-def: $sgpr10
	s_and_saveexec_b64 s[8:9], s[6:7]
	s_xor_b64 s[6:7], exec, s[8:9]
	s_cbranch_execz .LBB1_9133
; %bb.44973:
	s_getpc_b64 s[14:15]
.Lpost_getpc8150:
	s_add_u32 s14, s14, (.LBB1_23469-.Lpost_getpc8150)&4294967295
	s_addc_u32 s15, s15, (.LBB1_23469-.Lpost_getpc8150)>>32
	s_setpc_b64 s[14:15]
.LBB1_9133:
	s_or_saveexec_b64 s[6:7], s[6:7]
	v_mov_b32_e32 v12, s10
	s_xor_b64 exec, exec, s[6:7]
	s_cbranch_execz .LBB1_9134
; %bb.44975:
	s_getpc_b64 s[14:15]
.Lpost_getpc8151:
	s_add_u32 s14, s14, (.LBB1_23472-.Lpost_getpc8151)&4294967295
	s_addc_u32 s15, s15, (.LBB1_23472-.Lpost_getpc8151)>>32
	s_setpc_b64 s[14:15]
.LBB1_9134:
	s_or_b64 exec, exec, s[6:7]
	s_and_saveexec_b64 s[6:7], s[4:5]
	s_cbranch_execz .LBB1_9136
.LBB1_9135:
	v_bfe_u32 v12, v3, 8, 3
	v_ffbh_u32_e32 v14, v12
	v_min_u32_e32 v14, 32, v14
	v_lshrrev_b16_e32 v13, 3, v6
	v_subrev_u32_e32 v15, 28, v14
	v_and_b32_e32 v13, 15, v13
	v_lshlrev_b32_e32 v6, v15, v6
	v_sub_u32_e32 v14, 29, v14
	v_and_b32_e32 v6, 7, v6
	v_cmp_eq_u16_e32 vcc, 0, v13
	v_cndmask_b32_e32 v6, v12, v6, vcc
	v_cndmask_b32_e32 v12, v13, v14, vcc
	v_lshlrev_b32_e32 v13, 16, v3
	v_mov_b32_e32 v14, 0x3b800000
	v_lshlrev_b32_e32 v6, 20, v6
	v_and_b32_e32 v13, 0x80000000, v13
	v_lshl_add_u32 v12, v12, 23, v14
	v_or3_b32 v12, v13, v12, v6
.LBB1_9136:
	s_or_b64 exec, exec, s[6:7]
	s_nop 0
	v_mfma_f32_16x16x4f32 a[0:3], v2, v12, a[0:3]
	s_movk_i32 s4, 0xff
	v_and_b32_sdwa v6, v7, s4 dst_sel:DWORD dst_unused:UNUSED_PAD src0_sel:WORD_1 src1_sel:DWORD
	s_movk_i32 s4, 0x7f
	v_cmp_lt_i16_e32 vcc, s4, v6
	s_mov_b64 s[4:5], 0
                                        ; implicit-def: $sgpr10
	s_and_saveexec_b64 s[6:7], vcc
	s_xor_b64 s[6:7], exec, s[6:7]
	s_cbranch_execz .LBB1_9137
; %bb.44977:
	s_getpc_b64 s[14:15]
.Lpost_getpc8152:
	s_add_u32 s14, s14, (.LBB1_23473-.Lpost_getpc8152)&4294967295
	s_addc_u32 s15, s15, (.LBB1_23473-.Lpost_getpc8152)>>32
	s_setpc_b64 s[14:15]
.LBB1_9137:
	s_or_saveexec_b64 s[6:7], s[6:7]
	v_mov_b32_e32 v2, s10
	s_xor_b64 exec, exec, s[6:7]
	s_cbranch_execz .LBB1_9138
; %bb.44979:
	s_getpc_b64 s[14:15]
.Lpost_getpc8153:
	s_add_u32 s14, s14, (.LBB1_23476-.Lpost_getpc8153)&4294967295
	s_addc_u32 s15, s15, (.LBB1_23476-.Lpost_getpc8153)>>32
	s_setpc_b64 s[14:15]
.LBB1_9138:
	s_or_b64 exec, exec, s[6:7]
	s_and_saveexec_b64 s[6:7], s[4:5]
	s_cbranch_execz .LBB1_9140
.LBB1_9139:
	v_bfe_u32 v2, v7, 16, 3
	v_ffbh_u32_e32 v13, v2
	v_min_u32_e32 v13, 32, v13
	v_lshrrev_b32_e32 v6, 19, v7
	v_subrev_u32_e32 v14, 28, v13
	v_and_b32_e32 v6, 15, v6
	v_lshlrev_b32_sdwa v14, v14, v7 dst_sel:DWORD dst_unused:UNUSED_PAD src0_sel:DWORD src1_sel:WORD_1
	v_bfe_u32 v12, v7, 19, 4
	v_sub_u32_e32 v13, 29, v13
	v_and_b32_e32 v14, 7, v14
	v_cmp_eq_u16_e32 vcc, 0, v6
	v_cndmask_b32_e32 v2, v2, v14, vcc
	v_cndmask_b32_e32 v6, v12, v13, vcc
	v_lshlrev_b32_e32 v12, 8, v7
	v_mov_b32_e32 v13, 0x3b800000
	v_lshlrev_b32_e32 v2, 20, v2
	v_and_b32_e32 v12, 0x80000000, v12
	v_lshl_add_u32 v6, v6, 23, v13
	v_or3_b32 v2, v12, v6, v2
.LBB1_9140:
	s_or_b64 exec, exec, s[6:7]
	s_movk_i32 s4, 0xff
	v_and_b32_sdwa v6, v3, s4 dst_sel:DWORD dst_unused:UNUSED_PAD src0_sel:WORD_1 src1_sel:DWORD
	s_movk_i32 s4, 0x7f
	v_cmp_lt_i16_e32 vcc, s4, v6
	s_mov_b64 s[4:5], 0
                                        ; implicit-def: $sgpr10
	s_and_saveexec_b64 s[6:7], vcc
	s_xor_b64 s[6:7], exec, s[6:7]
	s_cbranch_execz .LBB1_9141
; %bb.44981:
	s_getpc_b64 s[14:15]
.Lpost_getpc8154:
	s_add_u32 s14, s14, (.LBB1_23477-.Lpost_getpc8154)&4294967295
	s_addc_u32 s15, s15, (.LBB1_23477-.Lpost_getpc8154)>>32
	s_setpc_b64 s[14:15]
.LBB1_9141:
	s_or_saveexec_b64 s[6:7], s[6:7]
	v_mov_b32_e32 v12, s10
	s_xor_b64 exec, exec, s[6:7]
	s_cbranch_execz .LBB1_9142
; %bb.44983:
	s_getpc_b64 s[14:15]
.Lpost_getpc8155:
	s_add_u32 s14, s14, (.LBB1_23480-.Lpost_getpc8155)&4294967295
	s_addc_u32 s15, s15, (.LBB1_23480-.Lpost_getpc8155)>>32
	s_setpc_b64 s[14:15]
.LBB1_9142:
	s_or_b64 exec, exec, s[6:7]
	s_and_saveexec_b64 s[6:7], s[4:5]
	s_cbranch_execz .LBB1_9144
.LBB1_9143:
	v_bfe_u32 v6, v3, 16, 3
	v_ffbh_u32_e32 v14, v6
	v_min_u32_e32 v14, 32, v14
	v_lshrrev_b32_e32 v12, 19, v3
	v_subrev_u32_e32 v15, 28, v14
	v_and_b32_e32 v12, 15, v12
	v_lshlrev_b32_sdwa v15, v15, v3 dst_sel:DWORD dst_unused:UNUSED_PAD src0_sel:DWORD src1_sel:WORD_1
	v_bfe_u32 v13, v3, 19, 4
	v_sub_u32_e32 v14, 29, v14
	v_and_b32_e32 v15, 7, v15
	v_cmp_eq_u16_e32 vcc, 0, v12
	v_cndmask_b32_e32 v6, v6, v15, vcc
	v_cndmask_b32_e32 v12, v13, v14, vcc
	v_lshlrev_b32_e32 v13, 8, v3
	v_mov_b32_e32 v14, 0x3b800000
	v_lshlrev_b32_e32 v6, 20, v6
	v_and_b32_e32 v13, 0x80000000, v13
	v_lshl_add_u32 v12, v12, 23, v14
	v_or3_b32 v12, v13, v12, v6
.LBB1_9144:
	s_or_b64 exec, exec, s[6:7]
	s_nop 0
	v_mfma_f32_16x16x4f32 a[0:3], v2, v12, a[0:3]
	s_movk_i32 s4, 0x7f
	v_cmp_gt_i16_sdwa s[6:7], v7, s4 src0_sel:BYTE_3 src1_sel:DWORD
	s_mov_b64 s[4:5], 0
                                        ; implicit-def: $sgpr10
	s_and_saveexec_b64 s[8:9], s[6:7]
	s_xor_b64 s[6:7], exec, s[8:9]
	s_cbranch_execz .LBB1_9145
; %bb.44985:
	s_getpc_b64 s[14:15]
.Lpost_getpc8156:
	s_add_u32 s14, s14, (.LBB1_23481-.Lpost_getpc8156)&4294967295
	s_addc_u32 s15, s15, (.LBB1_23481-.Lpost_getpc8156)>>32
	s_setpc_b64 s[14:15]
.LBB1_9145:
	s_or_saveexec_b64 s[6:7], s[6:7]
	v_mov_b32_e32 v2, s10
	s_xor_b64 exec, exec, s[6:7]
	s_cbranch_execz .LBB1_9146
; %bb.44987:
	s_getpc_b64 s[14:15]
.Lpost_getpc8157:
	s_add_u32 s14, s14, (.LBB1_23484-.Lpost_getpc8157)&4294967295
	s_addc_u32 s15, s15, (.LBB1_23484-.Lpost_getpc8157)>>32
	s_setpc_b64 s[14:15]
.LBB1_9146:
	s_or_b64 exec, exec, s[6:7]
	s_and_saveexec_b64 s[6:7], s[4:5]
	s_cbranch_execz .LBB1_9148
.LBB1_9147:
	v_bfe_u32 v2, v7, 24, 3
	v_ffbh_u32_e32 v14, v2
	v_min_u32_e32 v14, 32, v14
	v_lshrrev_b32_e32 v12, 27, v7
	v_subrev_u32_e32 v15, 28, v14
	v_and_b32_e32 v6, 0x80000000, v7
	v_and_b32_e32 v12, 15, v12
	v_bfe_u32 v13, v7, 27, 4
	v_lshlrev_b32_sdwa v7, v15, v7 dst_sel:DWORD dst_unused:UNUSED_PAD src0_sel:DWORD src1_sel:BYTE_3
	v_sub_u32_e32 v14, 29, v14
	v_and_b32_e32 v7, 7, v7
	v_cmp_eq_u16_e32 vcc, 0, v12
	v_cndmask_b32_e32 v2, v2, v7, vcc
	v_cndmask_b32_e32 v7, v13, v14, vcc
	v_mov_b32_e32 v12, 0x3b800000
	v_lshlrev_b32_e32 v2, 20, v2
	v_lshl_add_u32 v7, v7, 23, v12
	v_or3_b32 v2, v6, v7, v2
.LBB1_9148:
	s_or_b64 exec, exec, s[6:7]
	s_movk_i32 s4, 0x7f
	v_cmp_gt_i16_sdwa s[6:7], v3, s4 src0_sel:BYTE_3 src1_sel:DWORD
	s_mov_b64 s[4:5], 0
                                        ; implicit-def: $sgpr10
	s_and_saveexec_b64 s[8:9], s[6:7]
	s_xor_b64 s[6:7], exec, s[8:9]
	s_cbranch_execz .LBB1_9149
; %bb.44989:
	s_getpc_b64 s[14:15]
.Lpost_getpc8158:
	s_add_u32 s14, s14, (.LBB1_23485-.Lpost_getpc8158)&4294967295
	s_addc_u32 s15, s15, (.LBB1_23485-.Lpost_getpc8158)>>32
	s_setpc_b64 s[14:15]
.LBB1_9149:
	s_or_saveexec_b64 s[6:7], s[6:7]
	v_mov_b32_e32 v6, s10
	s_xor_b64 exec, exec, s[6:7]
	s_cbranch_execz .LBB1_9150
; %bb.44991:
	s_getpc_b64 s[14:15]
.Lpost_getpc8159:
	s_add_u32 s14, s14, (.LBB1_23488-.Lpost_getpc8159)&4294967295
	s_addc_u32 s15, s15, (.LBB1_23488-.Lpost_getpc8159)>>32
	s_setpc_b64 s[14:15]
.LBB1_9150:
	s_or_b64 exec, exec, s[6:7]
	s_and_saveexec_b64 s[6:7], s[4:5]
	s_cbranch_execz .LBB1_9152
.LBB1_9151:
	v_bfe_u32 v6, v3, 24, 3
	v_ffbh_u32_e32 v14, v6
	v_min_u32_e32 v14, 32, v14
	v_lshrrev_b32_e32 v12, 27, v3
	v_subrev_u32_e32 v15, 28, v14
	v_and_b32_e32 v7, 0x80000000, v3
	v_and_b32_e32 v12, 15, v12
	v_bfe_u32 v13, v3, 27, 4
	v_lshlrev_b32_sdwa v3, v15, v3 dst_sel:DWORD dst_unused:UNUSED_PAD src0_sel:DWORD src1_sel:BYTE_3
	v_sub_u32_e32 v14, 29, v14
	v_and_b32_e32 v3, 7, v3
	v_cmp_eq_u16_e32 vcc, 0, v12
	v_cndmask_b32_e32 v3, v6, v3, vcc
	v_cndmask_b32_e32 v6, v13, v14, vcc
	v_mov_b32_e32 v12, 0x3b800000
	v_lshlrev_b32_e32 v3, 20, v3
	v_lshl_add_u32 v6, v6, 23, v12
	v_or3_b32 v6, v7, v6, v3
.LBB1_9152:
	s_or_b64 exec, exec, s[6:7]
	s_nop 0
	v_mfma_f32_16x16x4f32 a[0:3], v2, v6, a[0:3]
	s_movk_i32 s4, 0x7f
	v_cmp_gt_i16_sdwa s[6:7], v8, s4 src0_sel:BYTE_0 src1_sel:DWORD
	s_mov_b64 s[4:5], 0
                                        ; implicit-def: $sgpr10
	s_and_saveexec_b64 s[8:9], s[6:7]
	s_xor_b64 s[6:7], exec, s[8:9]
	s_cbranch_execz .LBB1_9153
; %bb.44993:
	s_getpc_b64 s[14:15]
.Lpost_getpc8160:
	s_add_u32 s14, s14, (.LBB1_23489-.Lpost_getpc8160)&4294967295
	s_addc_u32 s15, s15, (.LBB1_23489-.Lpost_getpc8160)>>32
	s_setpc_b64 s[14:15]
.LBB1_9153:
	s_or_saveexec_b64 s[6:7], s[6:7]
	v_mov_b32_e32 v2, s10
	s_xor_b64 exec, exec, s[6:7]
	s_cbranch_execz .LBB1_9154
; %bb.44995:
	s_getpc_b64 s[14:15]
.Lpost_getpc8161:
	s_add_u32 s14, s14, (.LBB1_23492-.Lpost_getpc8161)&4294967295
	s_addc_u32 s15, s15, (.LBB1_23492-.Lpost_getpc8161)>>32
	s_setpc_b64 s[14:15]
.LBB1_9154:
	s_or_b64 exec, exec, s[6:7]
	s_and_saveexec_b64 s[6:7], s[4:5]
	s_cbranch_execz .LBB1_9156
.LBB1_9155:
	v_and_b32_e32 v2, 7, v8
	v_ffbh_u32_e32 v6, v2
	v_min_u32_e32 v6, 32, v6
	v_lshrrev_b16_e32 v3, 3, v8
	v_subrev_u32_e32 v7, 28, v6
	v_and_b32_e32 v3, 15, v3
	v_lshlrev_b32_e32 v7, v7, v8
	v_sub_u32_e32 v6, 29, v6
	v_and_b32_e32 v7, 7, v7
	v_cmp_eq_u16_e32 vcc, 0, v3
	v_cndmask_b32_e32 v2, v2, v7, vcc
	v_cndmask_b32_e32 v3, v3, v6, vcc
	v_lshlrev_b32_e32 v6, 24, v8
	v_mov_b32_e32 v7, 0x3b800000
	v_lshlrev_b32_e32 v2, 20, v2
	v_and_b32_e32 v6, 0x80000000, v6
	v_lshl_add_u32 v3, v3, 23, v7
	v_or3_b32 v2, v6, v3, v2
.LBB1_9156:
	s_or_b64 exec, exec, s[6:7]
	s_movk_i32 s4, 0x7f
	v_cmp_gt_i16_sdwa s[6:7], v4, s4 src0_sel:BYTE_0 src1_sel:DWORD
	s_mov_b64 s[4:5], 0
                                        ; implicit-def: $sgpr10
	s_and_saveexec_b64 s[8:9], s[6:7]
	s_xor_b64 s[6:7], exec, s[8:9]
	s_cbranch_execz .LBB1_9157
; %bb.44997:
	s_getpc_b64 s[14:15]
.Lpost_getpc8162:
	s_add_u32 s14, s14, (.LBB1_23493-.Lpost_getpc8162)&4294967295
	s_addc_u32 s15, s15, (.LBB1_23493-.Lpost_getpc8162)>>32
	s_setpc_b64 s[14:15]
.LBB1_9157:
	s_or_saveexec_b64 s[6:7], s[6:7]
	v_mov_b32_e32 v3, s10
	s_xor_b64 exec, exec, s[6:7]
	s_cbranch_execz .LBB1_9158
; %bb.44999:
	s_getpc_b64 s[14:15]
.Lpost_getpc8163:
	s_add_u32 s14, s14, (.LBB1_23496-.Lpost_getpc8163)&4294967295
	s_addc_u32 s15, s15, (.LBB1_23496-.Lpost_getpc8163)>>32
	s_setpc_b64 s[14:15]
.LBB1_9158:
	s_or_b64 exec, exec, s[6:7]
	s_and_saveexec_b64 s[6:7], s[4:5]
	s_cbranch_execz .LBB1_9160
.LBB1_9159:
	v_and_b32_e32 v3, 7, v4
	v_ffbh_u32_e32 v7, v3
	v_min_u32_e32 v7, 32, v7
	v_lshrrev_b16_e32 v6, 3, v4
	v_subrev_u32_e32 v12, 28, v7
	v_and_b32_e32 v6, 15, v6
	v_lshlrev_b32_e32 v12, v12, v4
	v_sub_u32_e32 v7, 29, v7
	v_and_b32_e32 v12, 7, v12
	v_cmp_eq_u16_e32 vcc, 0, v6
	v_cndmask_b32_e32 v3, v3, v12, vcc
	v_cndmask_b32_e32 v6, v6, v7, vcc
	v_lshlrev_b32_e32 v7, 24, v4
	v_mov_b32_e32 v12, 0x3b800000
	v_lshlrev_b32_e32 v3, 20, v3
	v_and_b32_e32 v7, 0x80000000, v7
	v_lshl_add_u32 v6, v6, 23, v12
	v_or3_b32 v3, v7, v6, v3
.LBB1_9160:
	s_or_b64 exec, exec, s[6:7]
	s_nop 0
	v_mfma_f32_16x16x4f32 a[0:3], v2, v3, a[0:3]
	v_lshrrev_b32_e32 v3, 8, v8
	s_movk_i32 s4, 0x7f
	v_cmp_gt_i16_sdwa s[6:7], v3, s4 src0_sel:BYTE_0 src1_sel:DWORD
	s_mov_b64 s[4:5], 0
                                        ; implicit-def: $sgpr10
	s_and_saveexec_b64 s[8:9], s[6:7]
	s_xor_b64 s[6:7], exec, s[8:9]
	s_cbranch_execz .LBB1_9161
; %bb.45001:
	s_getpc_b64 s[14:15]
.Lpost_getpc8164:
	s_add_u32 s14, s14, (.LBB1_23497-.Lpost_getpc8164)&4294967295
	s_addc_u32 s15, s15, (.LBB1_23497-.Lpost_getpc8164)>>32
	s_setpc_b64 s[14:15]
.LBB1_9161:
	s_or_saveexec_b64 s[6:7], s[6:7]
	v_mov_b32_e32 v2, s10
	s_xor_b64 exec, exec, s[6:7]
	s_cbranch_execz .LBB1_9162
; %bb.45003:
	s_getpc_b64 s[14:15]
.Lpost_getpc8165:
	s_add_u32 s14, s14, (.LBB1_23500-.Lpost_getpc8165)&4294967295
	s_addc_u32 s15, s15, (.LBB1_23500-.Lpost_getpc8165)>>32
	s_setpc_b64 s[14:15]
.LBB1_9162:
	s_or_b64 exec, exec, s[6:7]
	s_and_saveexec_b64 s[6:7], s[4:5]
	s_cbranch_execz .LBB1_9164
.LBB1_9163:
	v_bfe_u32 v2, v8, 8, 3
	v_ffbh_u32_e32 v7, v2
	v_min_u32_e32 v7, 32, v7
	v_lshrrev_b16_e32 v6, 3, v3
	v_subrev_u32_e32 v12, 28, v7
	v_and_b32_e32 v6, 15, v6
	v_lshlrev_b32_e32 v3, v12, v3
	v_sub_u32_e32 v7, 29, v7
	v_and_b32_e32 v3, 7, v3
	v_cmp_eq_u16_e32 vcc, 0, v6
	v_cndmask_b32_e32 v2, v2, v3, vcc
	v_cndmask_b32_e32 v3, v6, v7, vcc
	v_lshlrev_b32_e32 v6, 16, v8
	v_mov_b32_e32 v7, 0x3b800000
	v_lshlrev_b32_e32 v2, 20, v2
	v_and_b32_e32 v6, 0x80000000, v6
	v_lshl_add_u32 v3, v3, 23, v7
	v_or3_b32 v2, v6, v3, v2
.LBB1_9164:
	s_or_b64 exec, exec, s[6:7]
	v_lshrrev_b32_e32 v3, 8, v4
	s_movk_i32 s4, 0x7f
	v_cmp_gt_i16_sdwa s[6:7], v3, s4 src0_sel:BYTE_0 src1_sel:DWORD
	s_mov_b64 s[4:5], 0
                                        ; implicit-def: $sgpr10
	s_and_saveexec_b64 s[8:9], s[6:7]
	s_xor_b64 s[6:7], exec, s[8:9]
	s_cbranch_execz .LBB1_9165
; %bb.45005:
	s_getpc_b64 s[14:15]
.Lpost_getpc8166:
	s_add_u32 s14, s14, (.LBB1_23501-.Lpost_getpc8166)&4294967295
	s_addc_u32 s15, s15, (.LBB1_23501-.Lpost_getpc8166)>>32
	s_setpc_b64 s[14:15]
.LBB1_9165:
	s_or_saveexec_b64 s[6:7], s[6:7]
	v_mov_b32_e32 v6, s10
	s_xor_b64 exec, exec, s[6:7]
	s_cbranch_execz .LBB1_9166
; %bb.45007:
	s_getpc_b64 s[14:15]
.Lpost_getpc8167:
	s_add_u32 s14, s14, (.LBB1_23504-.Lpost_getpc8167)&4294967295
	s_addc_u32 s15, s15, (.LBB1_23504-.Lpost_getpc8167)>>32
	s_setpc_b64 s[14:15]
.LBB1_9166:
	s_or_b64 exec, exec, s[6:7]
	s_and_saveexec_b64 s[6:7], s[4:5]
	s_cbranch_execz .LBB1_9168
.LBB1_9167:
	v_bfe_u32 v6, v4, 8, 3
	v_ffbh_u32_e32 v12, v6
	v_min_u32_e32 v12, 32, v12
	v_lshrrev_b16_e32 v7, 3, v3
	v_subrev_u32_e32 v13, 28, v12
	v_and_b32_e32 v7, 15, v7
	v_lshlrev_b32_e32 v3, v13, v3
	v_sub_u32_e32 v12, 29, v12
	v_and_b32_e32 v3, 7, v3
	v_cmp_eq_u16_e32 vcc, 0, v7
	v_cndmask_b32_e32 v3, v6, v3, vcc
	v_cndmask_b32_e32 v6, v7, v12, vcc
	v_lshlrev_b32_e32 v7, 16, v4
	v_mov_b32_e32 v12, 0x3b800000
	v_lshlrev_b32_e32 v3, 20, v3
	v_and_b32_e32 v7, 0x80000000, v7
	v_lshl_add_u32 v6, v6, 23, v12
	v_or3_b32 v6, v7, v6, v3
.LBB1_9168:
	s_or_b64 exec, exec, s[6:7]
	s_nop 0
	v_mfma_f32_16x16x4f32 a[0:3], v2, v6, a[0:3]
	s_movk_i32 s4, 0xff
	v_and_b32_sdwa v3, v8, s4 dst_sel:DWORD dst_unused:UNUSED_PAD src0_sel:WORD_1 src1_sel:DWORD
	s_movk_i32 s4, 0x7f
	v_cmp_lt_i16_e32 vcc, s4, v3
	s_mov_b64 s[4:5], 0
                                        ; implicit-def: $sgpr10
	s_and_saveexec_b64 s[6:7], vcc
	s_xor_b64 s[6:7], exec, s[6:7]
	s_cbranch_execz .LBB1_9169
; %bb.45009:
	s_getpc_b64 s[14:15]
.Lpost_getpc8168:
	s_add_u32 s14, s14, (.LBB1_23505-.Lpost_getpc8168)&4294967295
	s_addc_u32 s15, s15, (.LBB1_23505-.Lpost_getpc8168)>>32
	s_setpc_b64 s[14:15]
.LBB1_9169:
	s_or_saveexec_b64 s[6:7], s[6:7]
	v_mov_b32_e32 v2, s10
	s_xor_b64 exec, exec, s[6:7]
	s_cbranch_execz .LBB1_9170
; %bb.45011:
	s_getpc_b64 s[14:15]
.Lpost_getpc8169:
	s_add_u32 s14, s14, (.LBB1_23508-.Lpost_getpc8169)&4294967295
	s_addc_u32 s15, s15, (.LBB1_23508-.Lpost_getpc8169)>>32
	s_setpc_b64 s[14:15]
.LBB1_9170:
	s_or_b64 exec, exec, s[6:7]
	s_and_saveexec_b64 s[6:7], s[4:5]
	s_cbranch_execz .LBB1_9172
.LBB1_9171:
	v_bfe_u32 v2, v8, 16, 3
	v_ffbh_u32_e32 v7, v2
	v_min_u32_e32 v7, 32, v7
	v_lshrrev_b32_e32 v3, 19, v8
	v_subrev_u32_e32 v12, 28, v7
	v_and_b32_e32 v3, 15, v3
	v_lshlrev_b32_sdwa v12, v12, v8 dst_sel:DWORD dst_unused:UNUSED_PAD src0_sel:DWORD src1_sel:WORD_1
	v_bfe_u32 v6, v8, 19, 4
	v_sub_u32_e32 v7, 29, v7
	v_and_b32_e32 v12, 7, v12
	v_cmp_eq_u16_e32 vcc, 0, v3
	v_cndmask_b32_e32 v2, v2, v12, vcc
	v_cndmask_b32_e32 v3, v6, v7, vcc
	v_lshlrev_b32_e32 v6, 8, v8
	v_mov_b32_e32 v7, 0x3b800000
	v_lshlrev_b32_e32 v2, 20, v2
	v_and_b32_e32 v6, 0x80000000, v6
	v_lshl_add_u32 v3, v3, 23, v7
	v_or3_b32 v2, v6, v3, v2
.LBB1_9172:
	s_or_b64 exec, exec, s[6:7]
	s_movk_i32 s4, 0xff
	v_and_b32_sdwa v3, v4, s4 dst_sel:DWORD dst_unused:UNUSED_PAD src0_sel:WORD_1 src1_sel:DWORD
	s_movk_i32 s4, 0x7f
	v_cmp_lt_i16_e32 vcc, s4, v3
	s_mov_b64 s[4:5], 0
                                        ; implicit-def: $sgpr10
	s_and_saveexec_b64 s[6:7], vcc
	s_xor_b64 s[6:7], exec, s[6:7]
	s_cbranch_execz .LBB1_9173
; %bb.45013:
	s_getpc_b64 s[14:15]
.Lpost_getpc8170:
	s_add_u32 s14, s14, (.LBB1_23509-.Lpost_getpc8170)&4294967295
	s_addc_u32 s15, s15, (.LBB1_23509-.Lpost_getpc8170)>>32
	s_setpc_b64 s[14:15]
.LBB1_9173:
	s_or_saveexec_b64 s[6:7], s[6:7]
	v_mov_b32_e32 v6, s10
	s_xor_b64 exec, exec, s[6:7]
	s_cbranch_execz .LBB1_9174
; %bb.45015:
	s_getpc_b64 s[14:15]
.Lpost_getpc8171:
	s_add_u32 s14, s14, (.LBB1_23512-.Lpost_getpc8171)&4294967295
	s_addc_u32 s15, s15, (.LBB1_23512-.Lpost_getpc8171)>>32
	s_setpc_b64 s[14:15]
.LBB1_9174:
	s_or_b64 exec, exec, s[6:7]
	s_and_saveexec_b64 s[6:7], s[4:5]
	s_cbranch_execz .LBB1_9176
.LBB1_9175:
	v_bfe_u32 v3, v4, 16, 3
	v_ffbh_u32_e32 v12, v3
	v_min_u32_e32 v12, 32, v12
	v_lshrrev_b32_e32 v6, 19, v4
	v_subrev_u32_e32 v13, 28, v12
	v_and_b32_e32 v6, 15, v6
	v_lshlrev_b32_sdwa v13, v13, v4 dst_sel:DWORD dst_unused:UNUSED_PAD src0_sel:DWORD src1_sel:WORD_1
	v_bfe_u32 v7, v4, 19, 4
	v_sub_u32_e32 v12, 29, v12
	v_and_b32_e32 v13, 7, v13
	v_cmp_eq_u16_e32 vcc, 0, v6
	v_cndmask_b32_e32 v3, v3, v13, vcc
	v_cndmask_b32_e32 v6, v7, v12, vcc
	v_lshlrev_b32_e32 v7, 8, v4
	v_mov_b32_e32 v12, 0x3b800000
	v_lshlrev_b32_e32 v3, 20, v3
	v_and_b32_e32 v7, 0x80000000, v7
	v_lshl_add_u32 v6, v6, 23, v12
	v_or3_b32 v6, v7, v6, v3
.LBB1_9176:
	s_or_b64 exec, exec, s[6:7]
	s_nop 0
	v_mfma_f32_16x16x4f32 a[0:3], v2, v6, a[0:3]
	s_movk_i32 s4, 0x7f
	v_cmp_gt_i16_sdwa s[6:7], v8, s4 src0_sel:BYTE_3 src1_sel:DWORD
	s_mov_b64 s[4:5], 0
                                        ; implicit-def: $sgpr10
	s_and_saveexec_b64 s[8:9], s[6:7]
	s_xor_b64 s[6:7], exec, s[8:9]
	s_cbranch_execz .LBB1_9177
; %bb.45017:
	s_getpc_b64 s[14:15]
.Lpost_getpc8172:
	s_add_u32 s14, s14, (.LBB1_23513-.Lpost_getpc8172)&4294967295
	s_addc_u32 s15, s15, (.LBB1_23513-.Lpost_getpc8172)>>32
	s_setpc_b64 s[14:15]
.LBB1_9177:
	s_or_saveexec_b64 s[6:7], s[6:7]
	v_mov_b32_e32 v2, s10
	s_xor_b64 exec, exec, s[6:7]
	s_cbranch_execz .LBB1_9178
; %bb.45019:
	s_getpc_b64 s[14:15]
.Lpost_getpc8173:
	s_add_u32 s14, s14, (.LBB1_23516-.Lpost_getpc8173)&4294967295
	s_addc_u32 s15, s15, (.LBB1_23516-.Lpost_getpc8173)>>32
	s_setpc_b64 s[14:15]
.LBB1_9178:
	s_or_b64 exec, exec, s[6:7]
	s_and_saveexec_b64 s[6:7], s[4:5]
	s_cbranch_execz .LBB1_9180
.LBB1_9179:
	v_bfe_u32 v2, v8, 24, 3
	v_ffbh_u32_e32 v12, v2
	v_min_u32_e32 v12, 32, v12
	v_lshrrev_b32_e32 v6, 27, v8
	v_subrev_u32_e32 v13, 28, v12
	v_and_b32_e32 v3, 0x80000000, v8
	v_and_b32_e32 v6, 15, v6
	v_bfe_u32 v7, v8, 27, 4
	v_lshlrev_b32_sdwa v8, v13, v8 dst_sel:DWORD dst_unused:UNUSED_PAD src0_sel:DWORD src1_sel:BYTE_3
	v_sub_u32_e32 v12, 29, v12
	v_and_b32_e32 v8, 7, v8
	v_cmp_eq_u16_e32 vcc, 0, v6
	v_cndmask_b32_e32 v2, v2, v8, vcc
	v_cndmask_b32_e32 v6, v7, v12, vcc
	v_mov_b32_e32 v7, 0x3b800000
	v_lshlrev_b32_e32 v2, 20, v2
	v_lshl_add_u32 v6, v6, 23, v7
	v_or3_b32 v2, v3, v6, v2
.LBB1_9180:
	s_or_b64 exec, exec, s[6:7]
	s_movk_i32 s4, 0x7f
	v_cmp_gt_i16_sdwa s[6:7], v4, s4 src0_sel:BYTE_3 src1_sel:DWORD
	s_mov_b64 s[4:5], 0
                                        ; implicit-def: $sgpr10
	s_and_saveexec_b64 s[8:9], s[6:7]
	s_xor_b64 s[6:7], exec, s[8:9]
	s_cbranch_execz .LBB1_9181
; %bb.45021:
	s_getpc_b64 s[14:15]
.Lpost_getpc8174:
	s_add_u32 s14, s14, (.LBB1_23517-.Lpost_getpc8174)&4294967295
	s_addc_u32 s15, s15, (.LBB1_23517-.Lpost_getpc8174)>>32
	s_setpc_b64 s[14:15]
.LBB1_9181:
	s_or_saveexec_b64 s[6:7], s[6:7]
	v_mov_b32_e32 v3, s10
	s_xor_b64 exec, exec, s[6:7]
	s_cbranch_execz .LBB1_9182
; %bb.45023:
	s_getpc_b64 s[14:15]
.Lpost_getpc8175:
	s_add_u32 s14, s14, (.LBB1_23520-.Lpost_getpc8175)&4294967295
	s_addc_u32 s15, s15, (.LBB1_23520-.Lpost_getpc8175)>>32
	s_setpc_b64 s[14:15]
.LBB1_9182:
	s_or_b64 exec, exec, s[6:7]
	s_and_saveexec_b64 s[6:7], s[4:5]
	s_cbranch_execz .LBB1_9184
.LBB1_9183:
	v_bfe_u32 v3, v4, 24, 3
	v_ffbh_u32_e32 v12, v3
	v_min_u32_e32 v12, 32, v12
	v_lshrrev_b32_e32 v7, 27, v4
	v_subrev_u32_e32 v13, 28, v12
	v_and_b32_e32 v6, 0x80000000, v4
	v_and_b32_e32 v7, 15, v7
	v_bfe_u32 v8, v4, 27, 4
	v_lshlrev_b32_sdwa v4, v13, v4 dst_sel:DWORD dst_unused:UNUSED_PAD src0_sel:DWORD src1_sel:BYTE_3
	v_sub_u32_e32 v12, 29, v12
	v_and_b32_e32 v4, 7, v4
	v_cmp_eq_u16_e32 vcc, 0, v7
	v_cndmask_b32_e32 v3, v3, v4, vcc
	v_cndmask_b32_e32 v4, v8, v12, vcc
	v_mov_b32_e32 v7, 0x3b800000
	v_lshlrev_b32_e32 v3, 20, v3
	v_lshl_add_u32 v4, v4, 23, v7
	v_or3_b32 v3, v6, v4, v3
.LBB1_9184:
	s_or_b64 exec, exec, s[6:7]
	s_nop 0
	v_mfma_f32_16x16x4f32 a[0:3], v2, v3, a[0:3]
	s_movk_i32 s4, 0x7f
	v_cmp_gt_i16_sdwa s[6:7], v9, s4 src0_sel:BYTE_0 src1_sel:DWORD
	s_mov_b64 s[4:5], 0
                                        ; implicit-def: $sgpr10
	s_and_saveexec_b64 s[8:9], s[6:7]
	s_xor_b64 s[6:7], exec, s[8:9]
	s_cbranch_execz .LBB1_9185
; %bb.45025:
	s_getpc_b64 s[14:15]
.Lpost_getpc8176:
	s_add_u32 s14, s14, (.LBB1_23521-.Lpost_getpc8176)&4294967295
	s_addc_u32 s15, s15, (.LBB1_23521-.Lpost_getpc8176)>>32
	s_setpc_b64 s[14:15]
.LBB1_9185:
	s_or_saveexec_b64 s[6:7], s[6:7]
	v_mov_b32_e32 v2, s10
	s_xor_b64 exec, exec, s[6:7]
	s_cbranch_execz .LBB1_9186
; %bb.45027:
	s_getpc_b64 s[14:15]
.Lpost_getpc8177:
	s_add_u32 s14, s14, (.LBB1_23524-.Lpost_getpc8177)&4294967295
	s_addc_u32 s15, s15, (.LBB1_23524-.Lpost_getpc8177)>>32
	s_setpc_b64 s[14:15]
.LBB1_9186:
	s_or_b64 exec, exec, s[6:7]
	s_and_saveexec_b64 s[6:7], s[4:5]
	s_cbranch_execz .LBB1_9188
.LBB1_9187:
	v_mov_b32_e32 v2, 8
	v_and_b32_e32 v3, 7, v9
	v_lshrrev_b32_sdwa v2, v2, v9 dst_sel:BYTE_1 dst_unused:UNUSED_PAD src0_sel:DWORD src1_sel:DWORD
	v_ffbh_u32_e32 v4, v3
	v_or_b32_sdwa v2, v9, v2 dst_sel:DWORD dst_unused:UNUSED_PAD src0_sel:BYTE_0 src1_sel:DWORD
	v_min_u32_e32 v4, 32, v4
	v_lshrrev_b16_e32 v2, 3, v2
	v_subrev_u32_e32 v6, 28, v4
	v_and_b32_e32 v2, 15, v2
	v_lshlrev_b32_e32 v6, v6, v9
	v_sub_u32_e32 v4, 29, v4
	v_and_b32_e32 v6, 7, v6
	v_cmp_eq_u16_e32 vcc, 0, v2
	v_cndmask_b32_e32 v3, v3, v6, vcc
	v_cndmask_b32_e32 v2, v2, v4, vcc
	v_lshlrev_b32_e32 v4, 24, v9
	v_mov_b32_e32 v6, 0x3b800000
	v_lshlrev_b32_e32 v3, 20, v3
	v_and_b32_e32 v4, 0x80000000, v4
	v_lshl_add_u32 v2, v2, 23, v6
	v_or3_b32 v2, v4, v2, v3
.LBB1_9188:
	s_or_b64 exec, exec, s[6:7]
	s_movk_i32 s4, 0x7f
	v_cmp_gt_i16_sdwa s[6:7], v5, s4 src0_sel:BYTE_0 src1_sel:DWORD
	s_mov_b64 s[4:5], 0
                                        ; implicit-def: $sgpr10
	s_and_saveexec_b64 s[8:9], s[6:7]
	s_xor_b64 s[6:7], exec, s[8:9]
	s_cbranch_execz .LBB1_9189
; %bb.45029:
	s_getpc_b64 s[14:15]
.Lpost_getpc8178:
	s_add_u32 s14, s14, (.LBB1_23525-.Lpost_getpc8178)&4294967295
	s_addc_u32 s15, s15, (.LBB1_23525-.Lpost_getpc8178)>>32
	s_setpc_b64 s[14:15]
.LBB1_9189:
	s_or_saveexec_b64 s[6:7], s[6:7]
	v_mov_b32_e32 v3, s10
	s_xor_b64 exec, exec, s[6:7]
	s_cbranch_execz .LBB1_9190
; %bb.45031:
	s_getpc_b64 s[14:15]
.Lpost_getpc8179:
	s_add_u32 s14, s14, (.LBB1_23528-.Lpost_getpc8179)&4294967295
	s_addc_u32 s15, s15, (.LBB1_23528-.Lpost_getpc8179)>>32
	s_setpc_b64 s[14:15]
.LBB1_9190:
	s_or_b64 exec, exec, s[6:7]
	s_and_saveexec_b64 s[6:7], s[4:5]
	s_cbranch_execz .LBB1_9192
.LBB1_9191:
	v_mov_b32_e32 v3, 8
	v_and_b32_e32 v4, 7, v5
	v_lshrrev_b32_sdwa v3, v3, v5 dst_sel:BYTE_1 dst_unused:UNUSED_PAD src0_sel:DWORD src1_sel:DWORD
	v_ffbh_u32_e32 v6, v4
	v_or_b32_sdwa v3, v5, v3 dst_sel:DWORD dst_unused:UNUSED_PAD src0_sel:BYTE_0 src1_sel:DWORD
	v_min_u32_e32 v6, 32, v6
	v_lshrrev_b16_e32 v3, 3, v3
	v_subrev_u32_e32 v7, 28, v6
	v_and_b32_e32 v3, 15, v3
	v_lshlrev_b32_e32 v7, v7, v5
	v_sub_u32_e32 v6, 29, v6
	v_and_b32_e32 v7, 7, v7
	v_cmp_eq_u16_e32 vcc, 0, v3
	v_cndmask_b32_e32 v4, v4, v7, vcc
	v_cndmask_b32_e32 v3, v3, v6, vcc
	v_lshlrev_b32_e32 v6, 24, v5
	v_mov_b32_e32 v7, 0x3b800000
	v_lshlrev_b32_e32 v4, 20, v4
	v_and_b32_e32 v6, 0x80000000, v6
	v_lshl_add_u32 v3, v3, 23, v7
	v_or3_b32 v3, v6, v3, v4
.LBB1_9192:
	s_or_b64 exec, exec, s[6:7]
	s_nop 0
	v_mfma_f32_16x16x4f32 a[0:3], v2, v3, a[0:3]
	v_lshrrev_b32_e32 v3, 8, v9
	s_movk_i32 s4, 0x7f
	v_cmp_gt_i16_sdwa s[6:7], v3, s4 src0_sel:BYTE_0 src1_sel:DWORD
	s_mov_b64 s[4:5], 0
                                        ; implicit-def: $sgpr10
	s_and_saveexec_b64 s[8:9], s[6:7]
	s_xor_b64 s[6:7], exec, s[8:9]
	s_cbranch_execz .LBB1_9193
; %bb.45033:
	s_getpc_b64 s[14:15]
.Lpost_getpc8180:
	s_add_u32 s14, s14, (.LBB1_23529-.Lpost_getpc8180)&4294967295
	s_addc_u32 s15, s15, (.LBB1_23529-.Lpost_getpc8180)>>32
	s_setpc_b64 s[14:15]
.LBB1_9193:
	s_or_saveexec_b64 s[6:7], s[6:7]
	v_mov_b32_e32 v2, s10
	s_xor_b64 exec, exec, s[6:7]
	s_cbranch_execz .LBB1_9194
; %bb.45035:
	s_getpc_b64 s[14:15]
.Lpost_getpc8181:
	s_add_u32 s14, s14, (.LBB1_23532-.Lpost_getpc8181)&4294967295
	s_addc_u32 s15, s15, (.LBB1_23532-.Lpost_getpc8181)>>32
	s_setpc_b64 s[14:15]
.LBB1_9194:
	s_or_b64 exec, exec, s[6:7]
	s_and_saveexec_b64 s[6:7], s[4:5]
	s_cbranch_execz .LBB1_9196
.LBB1_9195:
	v_bfe_u32 v2, v9, 8, 3
	v_ffbh_u32_e32 v6, v2
	v_min_u32_e32 v6, 32, v6
	v_lshrrev_b16_e32 v4, 3, v3
	v_subrev_u32_e32 v7, 28, v6
	v_and_b32_e32 v4, 15, v4
	v_lshlrev_b32_e32 v3, v7, v3
	v_sub_u32_e32 v6, 29, v6
	v_and_b32_e32 v3, 7, v3
	v_cmp_eq_u16_e32 vcc, 0, v4
	v_cndmask_b32_e32 v2, v2, v3, vcc
	v_cndmask_b32_e32 v3, v4, v6, vcc
	v_lshlrev_b32_e32 v4, 16, v9
	v_mov_b32_e32 v6, 0x3b800000
	v_lshlrev_b32_e32 v2, 20, v2
	v_and_b32_e32 v4, 0x80000000, v4
	v_lshl_add_u32 v3, v3, 23, v6
	v_or3_b32 v2, v4, v3, v2
.LBB1_9196:
	s_or_b64 exec, exec, s[6:7]
	v_lshrrev_b32_e32 v3, 8, v5
	s_movk_i32 s4, 0x7f
	v_cmp_gt_i16_sdwa s[6:7], v3, s4 src0_sel:BYTE_0 src1_sel:DWORD
	s_mov_b64 s[4:5], 0
                                        ; implicit-def: $sgpr10
	s_and_saveexec_b64 s[8:9], s[6:7]
	s_xor_b64 s[6:7], exec, s[8:9]
	s_cbranch_execz .LBB1_9197
; %bb.45037:
	s_getpc_b64 s[14:15]
.Lpost_getpc8182:
	s_add_u32 s14, s14, (.LBB1_23533-.Lpost_getpc8182)&4294967295
	s_addc_u32 s15, s15, (.LBB1_23533-.Lpost_getpc8182)>>32
	s_setpc_b64 s[14:15]
.LBB1_9197:
	s_or_saveexec_b64 s[6:7], s[6:7]
	v_mov_b32_e32 v4, s10
	s_xor_b64 exec, exec, s[6:7]
	s_cbranch_execz .LBB1_9198
; %bb.45039:
	s_getpc_b64 s[14:15]
.Lpost_getpc8183:
	s_add_u32 s14, s14, (.LBB1_23536-.Lpost_getpc8183)&4294967295
	s_addc_u32 s15, s15, (.LBB1_23536-.Lpost_getpc8183)>>32
	s_setpc_b64 s[14:15]
.LBB1_9198:
	s_or_b64 exec, exec, s[6:7]
	s_and_saveexec_b64 s[6:7], s[4:5]
	s_cbranch_execz .LBB1_9200
.LBB1_9199:
	v_bfe_u32 v4, v5, 8, 3
	v_ffbh_u32_e32 v7, v4
	v_min_u32_e32 v7, 32, v7
	v_lshrrev_b16_e32 v6, 3, v3
	v_subrev_u32_e32 v8, 28, v7
	v_and_b32_e32 v6, 15, v6
	v_lshlrev_b32_e32 v3, v8, v3
	v_sub_u32_e32 v7, 29, v7
	v_and_b32_e32 v3, 7, v3
	v_cmp_eq_u16_e32 vcc, 0, v6
	v_cndmask_b32_e32 v3, v4, v3, vcc
	v_cndmask_b32_e32 v4, v6, v7, vcc
	v_lshlrev_b32_e32 v6, 16, v5
	v_mov_b32_e32 v7, 0x3b800000
	v_lshlrev_b32_e32 v3, 20, v3
	v_and_b32_e32 v6, 0x80000000, v6
	v_lshl_add_u32 v4, v4, 23, v7
	v_or3_b32 v4, v6, v4, v3
.LBB1_9200:
	s_or_b64 exec, exec, s[6:7]
	s_nop 0
	v_mfma_f32_16x16x4f32 a[0:3], v2, v4, a[0:3]
	s_movk_i32 s4, 0xff
	v_and_b32_sdwa v3, v9, s4 dst_sel:DWORD dst_unused:UNUSED_PAD src0_sel:WORD_1 src1_sel:DWORD
	s_movk_i32 s4, 0x7f
	v_cmp_lt_i16_e32 vcc, s4, v3
	s_mov_b64 s[4:5], 0
                                        ; implicit-def: $sgpr10
	s_and_saveexec_b64 s[6:7], vcc
	s_xor_b64 s[6:7], exec, s[6:7]
	s_cbranch_execz .LBB1_9201
; %bb.45041:
	s_getpc_b64 s[14:15]
.Lpost_getpc8184:
	s_add_u32 s14, s14, (.LBB1_23537-.Lpost_getpc8184)&4294967295
	s_addc_u32 s15, s15, (.LBB1_23537-.Lpost_getpc8184)>>32
	s_setpc_b64 s[14:15]
.LBB1_9201:
	s_or_saveexec_b64 s[6:7], s[6:7]
	v_mov_b32_e32 v2, s10
	s_xor_b64 exec, exec, s[6:7]
	s_cbranch_execz .LBB1_9202
; %bb.45043:
	s_getpc_b64 s[14:15]
.Lpost_getpc8185:
	s_add_u32 s14, s14, (.LBB1_23540-.Lpost_getpc8185)&4294967295
	s_addc_u32 s15, s15, (.LBB1_23540-.Lpost_getpc8185)>>32
	s_setpc_b64 s[14:15]
.LBB1_9202:
	s_or_b64 exec, exec, s[6:7]
	s_and_saveexec_b64 s[6:7], s[4:5]
	s_cbranch_execz .LBB1_9204
.LBB1_9203:
	v_bfe_u32 v2, v9, 16, 3
	v_ffbh_u32_e32 v6, v2
	v_min_u32_e32 v6, 32, v6
	v_lshrrev_b32_e32 v3, 19, v9
	v_subrev_u32_e32 v7, 28, v6
	v_and_b32_e32 v3, 15, v3
	v_lshlrev_b32_sdwa v7, v7, v9 dst_sel:DWORD dst_unused:UNUSED_PAD src0_sel:DWORD src1_sel:WORD_1
	v_bfe_u32 v4, v9, 19, 4
	v_sub_u32_e32 v6, 29, v6
	v_and_b32_e32 v7, 7, v7
	v_cmp_eq_u16_e32 vcc, 0, v3
	v_cndmask_b32_e32 v2, v2, v7, vcc
	v_cndmask_b32_e32 v3, v4, v6, vcc
	v_lshlrev_b32_e32 v4, 8, v9
	v_mov_b32_e32 v6, 0x3b800000
	v_lshlrev_b32_e32 v2, 20, v2
	v_and_b32_e32 v4, 0x80000000, v4
	v_lshl_add_u32 v3, v3, 23, v6
	v_or3_b32 v2, v4, v3, v2
.LBB1_9204:
	s_or_b64 exec, exec, s[6:7]
	s_movk_i32 s4, 0xff
	v_and_b32_sdwa v3, v5, s4 dst_sel:DWORD dst_unused:UNUSED_PAD src0_sel:WORD_1 src1_sel:DWORD
	s_movk_i32 s4, 0x7f
	v_cmp_lt_i16_e32 vcc, s4, v3
	s_mov_b64 s[4:5], 0
                                        ; implicit-def: $sgpr10
	s_and_saveexec_b64 s[6:7], vcc
	s_xor_b64 s[6:7], exec, s[6:7]
	s_cbranch_execz .LBB1_9205
; %bb.45045:
	s_getpc_b64 s[14:15]
.Lpost_getpc8186:
	s_add_u32 s14, s14, (.LBB1_23541-.Lpost_getpc8186)&4294967295
	s_addc_u32 s15, s15, (.LBB1_23541-.Lpost_getpc8186)>>32
	s_setpc_b64 s[14:15]
.LBB1_9205:
	s_or_saveexec_b64 s[6:7], s[6:7]
	v_mov_b32_e32 v4, s10
	s_xor_b64 exec, exec, s[6:7]
	s_cbranch_execz .LBB1_9206
; %bb.45047:
	s_getpc_b64 s[14:15]
.Lpost_getpc8187:
	s_add_u32 s14, s14, (.LBB1_23544-.Lpost_getpc8187)&4294967295
	s_addc_u32 s15, s15, (.LBB1_23544-.Lpost_getpc8187)>>32
	s_setpc_b64 s[14:15]
.LBB1_9206:
	s_or_b64 exec, exec, s[6:7]
	s_and_saveexec_b64 s[6:7], s[4:5]
	s_cbranch_execz .LBB1_9208
.LBB1_9207:
	v_bfe_u32 v3, v5, 16, 3
	v_ffbh_u32_e32 v7, v3
	v_min_u32_e32 v7, 32, v7
	v_lshrrev_b32_e32 v4, 19, v5
	v_subrev_u32_e32 v8, 28, v7
	v_and_b32_e32 v4, 15, v4
	v_lshlrev_b32_sdwa v8, v8, v5 dst_sel:DWORD dst_unused:UNUSED_PAD src0_sel:DWORD src1_sel:WORD_1
	v_bfe_u32 v6, v5, 19, 4
	v_sub_u32_e32 v7, 29, v7
	v_and_b32_e32 v8, 7, v8
	v_cmp_eq_u16_e32 vcc, 0, v4
	v_cndmask_b32_e32 v3, v3, v8, vcc
	v_cndmask_b32_e32 v4, v6, v7, vcc
	v_lshlrev_b32_e32 v6, 8, v5
	v_mov_b32_e32 v7, 0x3b800000
	v_lshlrev_b32_e32 v3, 20, v3
	v_and_b32_e32 v6, 0x80000000, v6
	v_lshl_add_u32 v4, v4, 23, v7
	v_or3_b32 v4, v6, v4, v3
.LBB1_9208:
	s_or_b64 exec, exec, s[6:7]
	s_nop 0
	v_mfma_f32_16x16x4f32 a[0:3], v2, v4, a[0:3]
	s_movk_i32 s4, 0x7f
	v_cmp_gt_i16_sdwa s[6:7], v9, s4 src0_sel:BYTE_3 src1_sel:DWORD
	s_mov_b64 s[4:5], 0
                                        ; implicit-def: $sgpr10
	s_and_saveexec_b64 s[8:9], s[6:7]
	s_xor_b64 s[6:7], exec, s[8:9]
	s_cbranch_execz .LBB1_9209
; %bb.45049:
	s_getpc_b64 s[14:15]
.Lpost_getpc8188:
	s_add_u32 s14, s14, (.LBB1_23545-.Lpost_getpc8188)&4294967295
	s_addc_u32 s15, s15, (.LBB1_23545-.Lpost_getpc8188)>>32
	s_setpc_b64 s[14:15]
.LBB1_9209:
	s_or_saveexec_b64 s[6:7], s[6:7]
	v_mov_b32_e32 v2, s10
	s_xor_b64 exec, exec, s[6:7]
	s_cbranch_execz .LBB1_9210
; %bb.45051:
	s_getpc_b64 s[14:15]
.Lpost_getpc8189:
	s_add_u32 s14, s14, (.LBB1_23548-.Lpost_getpc8189)&4294967295
	s_addc_u32 s15, s15, (.LBB1_23548-.Lpost_getpc8189)>>32
	s_setpc_b64 s[14:15]
.LBB1_9210:
	s_or_b64 exec, exec, s[6:7]
	s_and_saveexec_b64 s[6:7], s[4:5]
	s_cbranch_execz .LBB1_9212
.LBB1_9211:
	v_bfe_u32 v2, v9, 24, 3
	v_ffbh_u32_e32 v7, v2
	v_min_u32_e32 v7, 32, v7
	v_lshrrev_b32_e32 v4, 27, v9
	v_subrev_u32_e32 v8, 28, v7
	v_and_b32_e32 v4, 15, v4
	v_lshlrev_b32_sdwa v8, v8, v9 dst_sel:DWORD dst_unused:UNUSED_PAD src0_sel:DWORD src1_sel:BYTE_3
	v_bfe_u32 v6, v9, 27, 4
	v_sub_u32_e32 v7, 29, v7
	v_and_b32_e32 v8, 7, v8
	v_cmp_eq_u16_e32 vcc, 0, v4
	v_cndmask_b32_e32 v2, v2, v8, vcc
	v_cndmask_b32_e32 v4, v6, v7, vcc
	v_mov_b32_e32 v6, 0x3b800000
	v_and_b32_e32 v3, 0x80000000, v9
	v_lshlrev_b32_e32 v2, 20, v2
	v_lshl_add_u32 v4, v4, 23, v6
	v_or3_b32 v2, v3, v4, v2
.LBB1_9212:
	s_or_b64 exec, exec, s[6:7]
	s_movk_i32 s4, 0x7f
	v_cmp_gt_i16_sdwa s[6:7], v5, s4 src0_sel:BYTE_3 src1_sel:DWORD
	s_mov_b64 s[4:5], 0
                                        ; implicit-def: $sgpr10
	s_and_saveexec_b64 s[8:9], s[6:7]
	s_xor_b64 s[6:7], exec, s[8:9]
	s_cbranch_execz .LBB1_9213
; %bb.45053:
	s_getpc_b64 s[14:15]
.Lpost_getpc8190:
	s_add_u32 s14, s14, (.LBB1_23549-.Lpost_getpc8190)&4294967295
	s_addc_u32 s15, s15, (.LBB1_23549-.Lpost_getpc8190)>>32
	s_setpc_b64 s[14:15]
.LBB1_9213:
	s_or_saveexec_b64 s[6:7], s[6:7]
	v_mov_b32_e32 v3, s10
	s_xor_b64 exec, exec, s[6:7]
	s_cbranch_execz .LBB1_9214
; %bb.45055:
	s_getpc_b64 s[14:15]
.Lpost_getpc8191:
	s_add_u32 s14, s14, (.LBB1_23552-.Lpost_getpc8191)&4294967295
	s_addc_u32 s15, s15, (.LBB1_23552-.Lpost_getpc8191)>>32
	s_setpc_b64 s[14:15]
.LBB1_9214:
	s_or_b64 exec, exec, s[6:7]
	s_and_saveexec_b64 s[6:7], s[4:5]
	s_cbranch_execz .LBB1_9216
.LBB1_9215:
	v_bfe_u32 v3, v5, 24, 3
	v_ffbh_u32_e32 v8, v3
	v_min_u32_e32 v8, 32, v8
	v_lshrrev_b32_e32 v6, 27, v5
	v_subrev_u32_e32 v9, 28, v8
	v_and_b32_e32 v4, 0x80000000, v5
	v_and_b32_e32 v6, 15, v6
	v_bfe_u32 v7, v5, 27, 4
	v_lshlrev_b32_sdwa v5, v9, v5 dst_sel:DWORD dst_unused:UNUSED_PAD src0_sel:DWORD src1_sel:BYTE_3
	v_sub_u32_e32 v8, 29, v8
	v_and_b32_e32 v5, 7, v5
	v_cmp_eq_u16_e32 vcc, 0, v6
	v_cndmask_b32_e32 v3, v3, v5, vcc
	v_cndmask_b32_e32 v5, v7, v8, vcc
	v_mov_b32_e32 v6, 0x3b800000
	v_lshlrev_b32_e32 v3, 20, v3
	v_lshl_add_u32 v5, v5, 23, v6
	v_or3_b32 v3, v4, v5, v3
.LBB1_9216:
	s_or_b64 exec, exec, s[6:7]
	s_nop 0
	v_mfma_f32_16x16x4f32 a[0:3], v2, v3, a[0:3]
	s_movk_i32 s4, 0x7f
                                        ; implicit-def: $sgpr10
	s_nop 7
	s_nop 1
	flat_store_dwordx4 v[10:11], a[0:3] offset:240
	flat_load_dwordx4 v[12:15], v[0:1]
	s_nop 0
	flat_load_dwordx2 v[10:11], v[0:1] offset:16
	s_waitcnt vmcnt(0) lgkmcnt(0)
	flat_load_dwordx4 v[6:9], v[12:13] offset:144
	flat_load_dwordx4 v[2:5], v[14:15] offset:128
	s_waitcnt vmcnt(0) lgkmcnt(0)
	v_cmp_gt_i16_sdwa s[6:7], v6, s4 src0_sel:BYTE_0 src1_sel:DWORD
	s_mov_b64 s[4:5], 0
	s_and_saveexec_b64 s[8:9], s[6:7]
	s_xor_b64 s[6:7], exec, s[8:9]
	s_cbranch_execz .LBB1_9217
; %bb.45057:
	s_getpc_b64 s[14:15]
.Lpost_getpc8192:
	s_add_u32 s14, s14, (.LBB1_23553-.Lpost_getpc8192)&4294967295
	s_addc_u32 s15, s15, (.LBB1_23553-.Lpost_getpc8192)>>32
	s_setpc_b64 s[14:15]
.LBB1_9217:
	s_or_saveexec_b64 s[6:7], s[6:7]
	v_mov_b32_e32 v12, s10
	s_xor_b64 exec, exec, s[6:7]
	s_cbranch_execz .LBB1_9218
; %bb.45059:
	s_getpc_b64 s[14:15]
.Lpost_getpc8193:
	s_add_u32 s14, s14, (.LBB1_23556-.Lpost_getpc8193)&4294967295
	s_addc_u32 s15, s15, (.LBB1_23556-.Lpost_getpc8193)>>32
	s_setpc_b64 s[14:15]
.LBB1_9218:
	s_or_b64 exec, exec, s[6:7]
	s_and_saveexec_b64 s[6:7], s[4:5]
	s_cbranch_execz .LBB1_9220
.LBB1_9219:
	v_and_b32_e32 v12, 7, v6
	v_ffbh_u32_e32 v14, v12
	v_min_u32_e32 v14, 32, v14
	v_lshrrev_b16_e32 v13, 3, v6
	v_subrev_u32_e32 v15, 28, v14
	v_and_b32_e32 v13, 15, v13
	v_lshlrev_b32_e32 v15, v15, v6
	v_sub_u32_e32 v14, 29, v14
	v_and_b32_e32 v15, 7, v15
	v_cmp_eq_u16_e32 vcc, 0, v13
	v_cndmask_b32_e32 v12, v12, v15, vcc
	v_cndmask_b32_e32 v13, v13, v14, vcc
	v_lshlrev_b32_e32 v14, 24, v6
	v_mov_b32_e32 v15, 0x3b800000
	v_lshlrev_b32_e32 v12, 20, v12
	v_and_b32_e32 v14, 0x80000000, v14
	v_lshl_add_u32 v13, v13, 23, v15
	v_or3_b32 v12, v14, v13, v12
.LBB1_9220:
	s_or_b64 exec, exec, s[6:7]
	s_movk_i32 s4, 0x7f
	v_cmp_gt_i16_sdwa s[6:7], v2, s4 src0_sel:BYTE_0 src1_sel:DWORD
	s_mov_b64 s[4:5], 0
                                        ; implicit-def: $sgpr10
	s_and_saveexec_b64 s[8:9], s[6:7]
	s_xor_b64 s[6:7], exec, s[8:9]
	s_cbranch_execz .LBB1_9221
; %bb.45061:
	s_getpc_b64 s[14:15]
.Lpost_getpc8194:
	s_add_u32 s14, s14, (.LBB1_23557-.Lpost_getpc8194)&4294967295
	s_addc_u32 s15, s15, (.LBB1_23557-.Lpost_getpc8194)>>32
	s_setpc_b64 s[14:15]
.LBB1_9221:
	s_or_saveexec_b64 s[6:7], s[6:7]
	v_mov_b32_e32 v13, s10
	s_xor_b64 exec, exec, s[6:7]
	s_cbranch_execz .LBB1_9222
; %bb.45063:
	s_getpc_b64 s[14:15]
.Lpost_getpc8195:
	s_add_u32 s14, s14, (.LBB1_23560-.Lpost_getpc8195)&4294967295
	s_addc_u32 s15, s15, (.LBB1_23560-.Lpost_getpc8195)>>32
	s_setpc_b64 s[14:15]
.LBB1_9222:
	s_or_b64 exec, exec, s[6:7]
	s_and_saveexec_b64 s[6:7], s[4:5]
	s_cbranch_execz .LBB1_9224
.LBB1_9223:
	v_and_b32_e32 v13, 7, v2
	v_ffbh_u32_e32 v15, v13
	v_min_u32_e32 v15, 32, v15
	v_lshrrev_b16_e32 v14, 3, v2
	v_subrev_u32_e32 v16, 28, v15
	v_and_b32_e32 v14, 15, v14
	v_lshlrev_b32_e32 v16, v16, v2
	v_sub_u32_e32 v15, 29, v15
	v_and_b32_e32 v16, 7, v16
	v_cmp_eq_u16_e32 vcc, 0, v14
	v_cndmask_b32_e32 v13, v13, v16, vcc
	v_cndmask_b32_e32 v14, v14, v15, vcc
	v_lshlrev_b32_e32 v15, 24, v2
	v_mov_b32_e32 v16, 0x3b800000
	v_lshlrev_b32_e32 v13, 20, v13
	v_and_b32_e32 v15, 0x80000000, v15
	v_lshl_add_u32 v14, v14, 23, v16
	v_or3_b32 v13, v15, v14, v13
.LBB1_9224:
	s_or_b64 exec, exec, s[6:7]
	flat_load_dwordx4 a[0:3], v[10:11] offset:256
	s_movk_i32 s4, 0x7f
                                        ; implicit-def: $sgpr10
	s_waitcnt vmcnt(0) lgkmcnt(0)
	v_mfma_f32_16x16x4f32 a[0:3], v12, v13, a[0:3]
	v_lshrrev_b32_e32 v13, 8, v6
	v_cmp_gt_i16_sdwa s[6:7], v13, s4 src0_sel:BYTE_0 src1_sel:DWORD
	s_mov_b64 s[4:5], 0
	s_and_saveexec_b64 s[8:9], s[6:7]
	s_xor_b64 s[6:7], exec, s[8:9]
	s_cbranch_execz .LBB1_9225
; %bb.45065:
	s_getpc_b64 s[14:15]
.Lpost_getpc8196:
	s_add_u32 s14, s14, (.LBB1_23561-.Lpost_getpc8196)&4294967295
	s_addc_u32 s15, s15, (.LBB1_23561-.Lpost_getpc8196)>>32
	s_setpc_b64 s[14:15]
.LBB1_9225:
	s_or_saveexec_b64 s[6:7], s[6:7]
	v_mov_b32_e32 v12, s10
	s_xor_b64 exec, exec, s[6:7]
	s_cbranch_execz .LBB1_9226
; %bb.45067:
	s_getpc_b64 s[14:15]
.Lpost_getpc8197:
	s_add_u32 s14, s14, (.LBB1_23564-.Lpost_getpc8197)&4294967295
	s_addc_u32 s15, s15, (.LBB1_23564-.Lpost_getpc8197)>>32
	s_setpc_b64 s[14:15]
.LBB1_9226:
	s_or_b64 exec, exec, s[6:7]
	s_and_saveexec_b64 s[6:7], s[4:5]
	s_cbranch_execz .LBB1_9228
.LBB1_9227:
	v_bfe_u32 v12, v6, 8, 3
	v_ffbh_u32_e32 v15, v12
	v_min_u32_e32 v15, 32, v15
	v_lshrrev_b16_e32 v14, 3, v13
	v_subrev_u32_e32 v16, 28, v15
	v_and_b32_e32 v14, 15, v14
	v_lshlrev_b32_e32 v13, v16, v13
	v_sub_u32_e32 v15, 29, v15
	v_and_b32_e32 v13, 7, v13
	v_cmp_eq_u16_e32 vcc, 0, v14
	v_cndmask_b32_e32 v12, v12, v13, vcc
	v_cndmask_b32_e32 v13, v14, v15, vcc
	v_lshlrev_b32_e32 v14, 16, v6
	v_mov_b32_e32 v15, 0x3b800000
	v_lshlrev_b32_e32 v12, 20, v12
	v_and_b32_e32 v14, 0x80000000, v14
	v_lshl_add_u32 v13, v13, 23, v15
	v_or3_b32 v12, v14, v13, v12
.LBB1_9228:
	s_or_b64 exec, exec, s[6:7]
	v_lshrrev_b32_e32 v13, 8, v2
	s_movk_i32 s4, 0x7f
	v_cmp_gt_i16_sdwa s[6:7], v13, s4 src0_sel:BYTE_0 src1_sel:DWORD
	s_mov_b64 s[4:5], 0
                                        ; implicit-def: $sgpr10
	s_and_saveexec_b64 s[8:9], s[6:7]
	s_xor_b64 s[6:7], exec, s[8:9]
	s_cbranch_execz .LBB1_9229
; %bb.45069:
	s_getpc_b64 s[14:15]
.Lpost_getpc8198:
	s_add_u32 s14, s14, (.LBB1_23565-.Lpost_getpc8198)&4294967295
	s_addc_u32 s15, s15, (.LBB1_23565-.Lpost_getpc8198)>>32
	s_setpc_b64 s[14:15]
.LBB1_9229:
	s_or_saveexec_b64 s[6:7], s[6:7]
	v_mov_b32_e32 v14, s10
	s_xor_b64 exec, exec, s[6:7]
	s_cbranch_execz .LBB1_9230
; %bb.45071:
	s_getpc_b64 s[14:15]
.Lpost_getpc8199:
	s_add_u32 s14, s14, (.LBB1_23568-.Lpost_getpc8199)&4294967295
	s_addc_u32 s15, s15, (.LBB1_23568-.Lpost_getpc8199)>>32
	s_setpc_b64 s[14:15]
.LBB1_9230:
	s_or_b64 exec, exec, s[6:7]
	s_and_saveexec_b64 s[6:7], s[4:5]
	s_cbranch_execz .LBB1_9232
.LBB1_9231:
	v_bfe_u32 v14, v2, 8, 3
	v_ffbh_u32_e32 v16, v14
	v_min_u32_e32 v16, 32, v16
	v_lshrrev_b16_e32 v15, 3, v13
	v_subrev_u32_e32 v17, 28, v16
	v_and_b32_e32 v15, 15, v15
	v_lshlrev_b32_e32 v13, v17, v13
	v_sub_u32_e32 v16, 29, v16
	v_and_b32_e32 v13, 7, v13
	v_cmp_eq_u16_e32 vcc, 0, v15
	v_cndmask_b32_e32 v13, v14, v13, vcc
	v_cndmask_b32_e32 v14, v15, v16, vcc
	v_lshlrev_b32_e32 v15, 16, v2
	v_mov_b32_e32 v16, 0x3b800000
	v_lshlrev_b32_e32 v13, 20, v13
	v_and_b32_e32 v15, 0x80000000, v15
	v_lshl_add_u32 v14, v14, 23, v16
	v_or3_b32 v14, v15, v14, v13
.LBB1_9232:
	s_or_b64 exec, exec, s[6:7]
	s_nop 0
	v_mfma_f32_16x16x4f32 a[0:3], v12, v14, a[0:3]
	s_movk_i32 s4, 0xff
	v_and_b32_sdwa v13, v6, s4 dst_sel:DWORD dst_unused:UNUSED_PAD src0_sel:WORD_1 src1_sel:DWORD
	s_movk_i32 s4, 0x7f
	v_cmp_lt_i16_e32 vcc, s4, v13
	s_mov_b64 s[4:5], 0
                                        ; implicit-def: $sgpr10
	s_and_saveexec_b64 s[6:7], vcc
	s_xor_b64 s[6:7], exec, s[6:7]
	s_cbranch_execz .LBB1_9233
; %bb.45073:
	s_getpc_b64 s[14:15]
.Lpost_getpc8200:
	s_add_u32 s14, s14, (.LBB1_23569-.Lpost_getpc8200)&4294967295
	s_addc_u32 s15, s15, (.LBB1_23569-.Lpost_getpc8200)>>32
	s_setpc_b64 s[14:15]
.LBB1_9233:
	s_or_saveexec_b64 s[6:7], s[6:7]
	v_mov_b32_e32 v12, s10
	s_xor_b64 exec, exec, s[6:7]
	s_cbranch_execz .LBB1_9234
; %bb.45075:
	s_getpc_b64 s[14:15]
.Lpost_getpc8201:
	s_add_u32 s14, s14, (.LBB1_23572-.Lpost_getpc8201)&4294967295
	s_addc_u32 s15, s15, (.LBB1_23572-.Lpost_getpc8201)>>32
	s_setpc_b64 s[14:15]
.LBB1_9234:
	s_or_b64 exec, exec, s[6:7]
	s_and_saveexec_b64 s[6:7], s[4:5]
	s_cbranch_execz .LBB1_9236
.LBB1_9235:
	v_bfe_u32 v12, v6, 16, 3
	v_ffbh_u32_e32 v15, v12
	v_min_u32_e32 v15, 32, v15
	v_lshrrev_b32_e32 v13, 19, v6
	v_subrev_u32_e32 v16, 28, v15
	v_and_b32_e32 v13, 15, v13
	v_lshlrev_b32_sdwa v16, v16, v6 dst_sel:DWORD dst_unused:UNUSED_PAD src0_sel:DWORD src1_sel:WORD_1
	v_bfe_u32 v14, v6, 19, 4
	v_sub_u32_e32 v15, 29, v15
	v_and_b32_e32 v16, 7, v16
	v_cmp_eq_u16_e32 vcc, 0, v13
	v_cndmask_b32_e32 v12, v12, v16, vcc
	v_cndmask_b32_e32 v13, v14, v15, vcc
	v_lshlrev_b32_e32 v14, 8, v6
	v_mov_b32_e32 v15, 0x3b800000
	v_lshlrev_b32_e32 v12, 20, v12
	v_and_b32_e32 v14, 0x80000000, v14
	v_lshl_add_u32 v13, v13, 23, v15
	v_or3_b32 v12, v14, v13, v12
.LBB1_9236:
	s_or_b64 exec, exec, s[6:7]
	s_movk_i32 s4, 0xff
	v_and_b32_sdwa v13, v2, s4 dst_sel:DWORD dst_unused:UNUSED_PAD src0_sel:WORD_1 src1_sel:DWORD
	s_movk_i32 s4, 0x7f
	v_cmp_lt_i16_e32 vcc, s4, v13
	s_mov_b64 s[4:5], 0
                                        ; implicit-def: $sgpr10
	s_and_saveexec_b64 s[6:7], vcc
	s_xor_b64 s[6:7], exec, s[6:7]
	s_cbranch_execz .LBB1_9237
; %bb.45077:
	s_getpc_b64 s[14:15]
.Lpost_getpc8202:
	s_add_u32 s14, s14, (.LBB1_23573-.Lpost_getpc8202)&4294967295
	s_addc_u32 s15, s15, (.LBB1_23573-.Lpost_getpc8202)>>32
	s_setpc_b64 s[14:15]
.LBB1_9237:
	s_or_saveexec_b64 s[6:7], s[6:7]
	v_mov_b32_e32 v14, s10
	s_xor_b64 exec, exec, s[6:7]
	s_cbranch_execz .LBB1_9238
; %bb.45079:
	s_getpc_b64 s[14:15]
.Lpost_getpc8203:
	s_add_u32 s14, s14, (.LBB1_23576-.Lpost_getpc8203)&4294967295
	s_addc_u32 s15, s15, (.LBB1_23576-.Lpost_getpc8203)>>32
	s_setpc_b64 s[14:15]
.LBB1_9238:
	s_or_b64 exec, exec, s[6:7]
	s_and_saveexec_b64 s[6:7], s[4:5]
	s_cbranch_execz .LBB1_9240
.LBB1_9239:
	v_bfe_u32 v13, v2, 16, 3
	v_ffbh_u32_e32 v16, v13
	v_min_u32_e32 v16, 32, v16
	v_lshrrev_b32_e32 v14, 19, v2
	v_subrev_u32_e32 v17, 28, v16
	v_and_b32_e32 v14, 15, v14
	v_lshlrev_b32_sdwa v17, v17, v2 dst_sel:DWORD dst_unused:UNUSED_PAD src0_sel:DWORD src1_sel:WORD_1
	v_bfe_u32 v15, v2, 19, 4
	v_sub_u32_e32 v16, 29, v16
	v_and_b32_e32 v17, 7, v17
	v_cmp_eq_u16_e32 vcc, 0, v14
	v_cndmask_b32_e32 v13, v13, v17, vcc
	v_cndmask_b32_e32 v14, v15, v16, vcc
	v_lshlrev_b32_e32 v15, 8, v2
	v_mov_b32_e32 v16, 0x3b800000
	v_lshlrev_b32_e32 v13, 20, v13
	v_and_b32_e32 v15, 0x80000000, v15
	v_lshl_add_u32 v14, v14, 23, v16
	v_or3_b32 v14, v15, v14, v13
.LBB1_9240:
	s_or_b64 exec, exec, s[6:7]
	s_nop 0
	v_mfma_f32_16x16x4f32 a[0:3], v12, v14, a[0:3]
	s_movk_i32 s4, 0x7f
	v_cmp_gt_i16_sdwa s[6:7], v6, s4 src0_sel:BYTE_3 src1_sel:DWORD
	s_mov_b64 s[4:5], 0
                                        ; implicit-def: $sgpr10
	s_and_saveexec_b64 s[8:9], s[6:7]
	s_xor_b64 s[6:7], exec, s[8:9]
	s_cbranch_execz .LBB1_9241
; %bb.45081:
	s_getpc_b64 s[14:15]
.Lpost_getpc8204:
	s_add_u32 s14, s14, (.LBB1_23577-.Lpost_getpc8204)&4294967295
	s_addc_u32 s15, s15, (.LBB1_23577-.Lpost_getpc8204)>>32
	s_setpc_b64 s[14:15]
.LBB1_9241:
	s_or_saveexec_b64 s[6:7], s[6:7]
	v_mov_b32_e32 v12, s10
	s_xor_b64 exec, exec, s[6:7]
	s_cbranch_execz .LBB1_9242
; %bb.45083:
	s_getpc_b64 s[14:15]
.Lpost_getpc8205:
	s_add_u32 s14, s14, (.LBB1_23580-.Lpost_getpc8205)&4294967295
	s_addc_u32 s15, s15, (.LBB1_23580-.Lpost_getpc8205)>>32
	s_setpc_b64 s[14:15]
.LBB1_9242:
	s_or_b64 exec, exec, s[6:7]
	s_and_saveexec_b64 s[6:7], s[4:5]
	s_cbranch_execz .LBB1_9244
.LBB1_9243:
	v_bfe_u32 v12, v6, 24, 3
	v_ffbh_u32_e32 v16, v12
	v_min_u32_e32 v16, 32, v16
	v_lshrrev_b32_e32 v14, 27, v6
	v_subrev_u32_e32 v17, 28, v16
	v_and_b32_e32 v13, 0x80000000, v6
	v_and_b32_e32 v14, 15, v14
	v_bfe_u32 v15, v6, 27, 4
	v_lshlrev_b32_sdwa v6, v17, v6 dst_sel:DWORD dst_unused:UNUSED_PAD src0_sel:DWORD src1_sel:BYTE_3
	v_sub_u32_e32 v16, 29, v16
	v_and_b32_e32 v6, 7, v6
	v_cmp_eq_u16_e32 vcc, 0, v14
	v_cndmask_b32_e32 v6, v12, v6, vcc
	v_cndmask_b32_e32 v12, v15, v16, vcc
	v_mov_b32_e32 v14, 0x3b800000
	v_lshlrev_b32_e32 v6, 20, v6
	v_lshl_add_u32 v12, v12, 23, v14
	v_or3_b32 v12, v13, v12, v6
.LBB1_9244:
	s_or_b64 exec, exec, s[6:7]
	s_movk_i32 s4, 0x7f
	v_cmp_gt_i16_sdwa s[6:7], v2, s4 src0_sel:BYTE_3 src1_sel:DWORD
	s_mov_b64 s[4:5], 0
                                        ; implicit-def: $sgpr10
	s_and_saveexec_b64 s[8:9], s[6:7]
	s_xor_b64 s[6:7], exec, s[8:9]
	s_cbranch_execz .LBB1_9245
; %bb.45085:
	s_getpc_b64 s[14:15]
.Lpost_getpc8206:
	s_add_u32 s14, s14, (.LBB1_23581-.Lpost_getpc8206)&4294967295
	s_addc_u32 s15, s15, (.LBB1_23581-.Lpost_getpc8206)>>32
	s_setpc_b64 s[14:15]
.LBB1_9245:
	s_or_saveexec_b64 s[6:7], s[6:7]
	v_mov_b32_e32 v6, s10
	s_xor_b64 exec, exec, s[6:7]
	s_cbranch_execz .LBB1_9246
; %bb.45087:
	s_getpc_b64 s[14:15]
.Lpost_getpc8207:
	s_add_u32 s14, s14, (.LBB1_23584-.Lpost_getpc8207)&4294967295
	s_addc_u32 s15, s15, (.LBB1_23584-.Lpost_getpc8207)>>32
	s_setpc_b64 s[14:15]
.LBB1_9246:
	s_or_b64 exec, exec, s[6:7]
	s_and_saveexec_b64 s[6:7], s[4:5]
	s_cbranch_execz .LBB1_9248
.LBB1_9247:
	v_bfe_u32 v6, v2, 24, 3
	v_ffbh_u32_e32 v16, v6
	v_min_u32_e32 v16, 32, v16
	v_lshrrev_b32_e32 v14, 27, v2
	v_subrev_u32_e32 v17, 28, v16
	v_and_b32_e32 v13, 0x80000000, v2
	v_and_b32_e32 v14, 15, v14
	v_bfe_u32 v15, v2, 27, 4
	v_lshlrev_b32_sdwa v2, v17, v2 dst_sel:DWORD dst_unused:UNUSED_PAD src0_sel:DWORD src1_sel:BYTE_3
	v_sub_u32_e32 v16, 29, v16
	v_and_b32_e32 v2, 7, v2
	v_cmp_eq_u16_e32 vcc, 0, v14
	v_cndmask_b32_e32 v2, v6, v2, vcc
	v_cndmask_b32_e32 v6, v15, v16, vcc
	v_mov_b32_e32 v14, 0x3b800000
	v_lshlrev_b32_e32 v2, 20, v2
	v_lshl_add_u32 v6, v6, 23, v14
	v_or3_b32 v6, v13, v6, v2
.LBB1_9248:
	s_or_b64 exec, exec, s[6:7]
	s_nop 0
	v_mfma_f32_16x16x4f32 a[0:3], v12, v6, a[0:3]
	s_movk_i32 s4, 0x7f
	v_cmp_gt_i16_sdwa s[6:7], v7, s4 src0_sel:BYTE_0 src1_sel:DWORD
	s_mov_b64 s[4:5], 0
                                        ; implicit-def: $sgpr10
	s_and_saveexec_b64 s[8:9], s[6:7]
	s_xor_b64 s[6:7], exec, s[8:9]
	s_cbranch_execz .LBB1_9249
; %bb.45089:
	s_getpc_b64 s[14:15]
.Lpost_getpc8208:
	s_add_u32 s14, s14, (.LBB1_23585-.Lpost_getpc8208)&4294967295
	s_addc_u32 s15, s15, (.LBB1_23585-.Lpost_getpc8208)>>32
	s_setpc_b64 s[14:15]
.LBB1_9249:
	s_or_saveexec_b64 s[6:7], s[6:7]
	v_mov_b32_e32 v2, s10
	s_xor_b64 exec, exec, s[6:7]
	s_cbranch_execz .LBB1_9250
; %bb.45091:
	s_getpc_b64 s[14:15]
.Lpost_getpc8209:
	s_add_u32 s14, s14, (.LBB1_23588-.Lpost_getpc8209)&4294967295
	s_addc_u32 s15, s15, (.LBB1_23588-.Lpost_getpc8209)>>32
	s_setpc_b64 s[14:15]
.LBB1_9250:
	s_or_b64 exec, exec, s[6:7]
	s_and_saveexec_b64 s[6:7], s[4:5]
	s_cbranch_execz .LBB1_9252
.LBB1_9251:
	v_and_b32_e32 v2, 7, v7
	v_ffbh_u32_e32 v12, v2
	v_min_u32_e32 v12, 32, v12
	v_lshrrev_b16_e32 v6, 3, v7
	v_subrev_u32_e32 v13, 28, v12
	v_and_b32_e32 v6, 15, v6
	v_lshlrev_b32_e32 v13, v13, v7
	v_sub_u32_e32 v12, 29, v12
	v_and_b32_e32 v13, 7, v13
	v_cmp_eq_u16_e32 vcc, 0, v6
	v_cndmask_b32_e32 v2, v2, v13, vcc
	v_cndmask_b32_e32 v6, v6, v12, vcc
	v_lshlrev_b32_e32 v12, 24, v7
	v_mov_b32_e32 v13, 0x3b800000
	v_lshlrev_b32_e32 v2, 20, v2
	v_and_b32_e32 v12, 0x80000000, v12
	v_lshl_add_u32 v6, v6, 23, v13
	v_or3_b32 v2, v12, v6, v2
.LBB1_9252:
	s_or_b64 exec, exec, s[6:7]
	s_movk_i32 s4, 0x7f
	v_cmp_gt_i16_sdwa s[6:7], v3, s4 src0_sel:BYTE_0 src1_sel:DWORD
	s_mov_b64 s[4:5], 0
                                        ; implicit-def: $sgpr10
	s_and_saveexec_b64 s[8:9], s[6:7]
	s_xor_b64 s[6:7], exec, s[8:9]
	s_cbranch_execz .LBB1_9253
; %bb.45093:
	s_getpc_b64 s[14:15]
.Lpost_getpc8210:
	s_add_u32 s14, s14, (.LBB1_23589-.Lpost_getpc8210)&4294967295
	s_addc_u32 s15, s15, (.LBB1_23589-.Lpost_getpc8210)>>32
	s_setpc_b64 s[14:15]
.LBB1_9253:
	s_or_saveexec_b64 s[6:7], s[6:7]
	v_mov_b32_e32 v6, s10
	s_xor_b64 exec, exec, s[6:7]
	s_cbranch_execz .LBB1_9254
; %bb.45095:
	s_getpc_b64 s[14:15]
.Lpost_getpc8211:
	s_add_u32 s14, s14, (.LBB1_23592-.Lpost_getpc8211)&4294967295
	s_addc_u32 s15, s15, (.LBB1_23592-.Lpost_getpc8211)>>32
	s_setpc_b64 s[14:15]
.LBB1_9254:
	s_or_b64 exec, exec, s[6:7]
	s_and_saveexec_b64 s[6:7], s[4:5]
	s_cbranch_execz .LBB1_9256
.LBB1_9255:
	v_and_b32_e32 v6, 7, v3
	v_ffbh_u32_e32 v13, v6
	v_min_u32_e32 v13, 32, v13
	v_lshrrev_b16_e32 v12, 3, v3
	v_subrev_u32_e32 v14, 28, v13
	v_and_b32_e32 v12, 15, v12
	v_lshlrev_b32_e32 v14, v14, v3
	v_sub_u32_e32 v13, 29, v13
	v_and_b32_e32 v14, 7, v14
	v_cmp_eq_u16_e32 vcc, 0, v12
	v_cndmask_b32_e32 v6, v6, v14, vcc
	v_cndmask_b32_e32 v12, v12, v13, vcc
	v_lshlrev_b32_e32 v13, 24, v3
	v_mov_b32_e32 v14, 0x3b800000
	v_lshlrev_b32_e32 v6, 20, v6
	v_and_b32_e32 v13, 0x80000000, v13
	v_lshl_add_u32 v12, v12, 23, v14
	v_or3_b32 v6, v13, v12, v6
.LBB1_9256:
	s_or_b64 exec, exec, s[6:7]
	s_nop 0
	v_mfma_f32_16x16x4f32 a[0:3], v2, v6, a[0:3]
	v_lshrrev_b32_e32 v6, 8, v7
	s_movk_i32 s4, 0x7f
	v_cmp_gt_i16_sdwa s[6:7], v6, s4 src0_sel:BYTE_0 src1_sel:DWORD
	s_mov_b64 s[4:5], 0
                                        ; implicit-def: $sgpr10
	s_and_saveexec_b64 s[8:9], s[6:7]
	s_xor_b64 s[6:7], exec, s[8:9]
	s_cbranch_execz .LBB1_9257
; %bb.45097:
	s_getpc_b64 s[14:15]
.Lpost_getpc8212:
	s_add_u32 s14, s14, (.LBB1_23593-.Lpost_getpc8212)&4294967295
	s_addc_u32 s15, s15, (.LBB1_23593-.Lpost_getpc8212)>>32
	s_setpc_b64 s[14:15]
.LBB1_9257:
	s_or_saveexec_b64 s[6:7], s[6:7]
	v_mov_b32_e32 v2, s10
	s_xor_b64 exec, exec, s[6:7]
	s_cbranch_execz .LBB1_9258
; %bb.45099:
	s_getpc_b64 s[14:15]
.Lpost_getpc8213:
	s_add_u32 s14, s14, (.LBB1_23596-.Lpost_getpc8213)&4294967295
	s_addc_u32 s15, s15, (.LBB1_23596-.Lpost_getpc8213)>>32
	s_setpc_b64 s[14:15]
.LBB1_9258:
	s_or_b64 exec, exec, s[6:7]
	s_and_saveexec_b64 s[6:7], s[4:5]
	s_cbranch_execz .LBB1_9260
.LBB1_9259:
	v_bfe_u32 v2, v7, 8, 3
	v_ffbh_u32_e32 v13, v2
	v_min_u32_e32 v13, 32, v13
	v_lshrrev_b16_e32 v12, 3, v6
	v_subrev_u32_e32 v14, 28, v13
	v_and_b32_e32 v12, 15, v12
	v_lshlrev_b32_e32 v6, v14, v6
	v_sub_u32_e32 v13, 29, v13
	v_and_b32_e32 v6, 7, v6
	v_cmp_eq_u16_e32 vcc, 0, v12
	v_cndmask_b32_e32 v2, v2, v6, vcc
	v_cndmask_b32_e32 v6, v12, v13, vcc
	v_lshlrev_b32_e32 v12, 16, v7
	v_mov_b32_e32 v13, 0x3b800000
	v_lshlrev_b32_e32 v2, 20, v2
	v_and_b32_e32 v12, 0x80000000, v12
	v_lshl_add_u32 v6, v6, 23, v13
	v_or3_b32 v2, v12, v6, v2
.LBB1_9260:
	s_or_b64 exec, exec, s[6:7]
	v_lshrrev_b32_e32 v6, 8, v3
	s_movk_i32 s4, 0x7f
	v_cmp_gt_i16_sdwa s[6:7], v6, s4 src0_sel:BYTE_0 src1_sel:DWORD
	s_mov_b64 s[4:5], 0
                                        ; implicit-def: $sgpr10
	s_and_saveexec_b64 s[8:9], s[6:7]
	s_xor_b64 s[6:7], exec, s[8:9]
	s_cbranch_execz .LBB1_9261
; %bb.45101:
	s_getpc_b64 s[14:15]
.Lpost_getpc8214:
	s_add_u32 s14, s14, (.LBB1_23597-.Lpost_getpc8214)&4294967295
	s_addc_u32 s15, s15, (.LBB1_23597-.Lpost_getpc8214)>>32
	s_setpc_b64 s[14:15]
.LBB1_9261:
	s_or_saveexec_b64 s[6:7], s[6:7]
	v_mov_b32_e32 v12, s10
	s_xor_b64 exec, exec, s[6:7]
	s_cbranch_execz .LBB1_9262
; %bb.45103:
	s_getpc_b64 s[14:15]
.Lpost_getpc8215:
	s_add_u32 s14, s14, (.LBB1_23600-.Lpost_getpc8215)&4294967295
	s_addc_u32 s15, s15, (.LBB1_23600-.Lpost_getpc8215)>>32
	s_setpc_b64 s[14:15]
.LBB1_9262:
	s_or_b64 exec, exec, s[6:7]
	s_and_saveexec_b64 s[6:7], s[4:5]
	s_cbranch_execz .LBB1_9264
.LBB1_9263:
	v_bfe_u32 v12, v3, 8, 3
	v_ffbh_u32_e32 v14, v12
	v_min_u32_e32 v14, 32, v14
	v_lshrrev_b16_e32 v13, 3, v6
	v_subrev_u32_e32 v15, 28, v14
	v_and_b32_e32 v13, 15, v13
	v_lshlrev_b32_e32 v6, v15, v6
	v_sub_u32_e32 v14, 29, v14
	v_and_b32_e32 v6, 7, v6
	v_cmp_eq_u16_e32 vcc, 0, v13
	v_cndmask_b32_e32 v6, v12, v6, vcc
	v_cndmask_b32_e32 v12, v13, v14, vcc
	v_lshlrev_b32_e32 v13, 16, v3
	v_mov_b32_e32 v14, 0x3b800000
	v_lshlrev_b32_e32 v6, 20, v6
	v_and_b32_e32 v13, 0x80000000, v13
	v_lshl_add_u32 v12, v12, 23, v14
	v_or3_b32 v12, v13, v12, v6
.LBB1_9264:
	s_or_b64 exec, exec, s[6:7]
	s_nop 0
	v_mfma_f32_16x16x4f32 a[0:3], v2, v12, a[0:3]
	s_movk_i32 s4, 0xff
	v_and_b32_sdwa v6, v7, s4 dst_sel:DWORD dst_unused:UNUSED_PAD src0_sel:WORD_1 src1_sel:DWORD
	s_movk_i32 s4, 0x7f
	v_cmp_lt_i16_e32 vcc, s4, v6
	s_mov_b64 s[4:5], 0
                                        ; implicit-def: $sgpr10
	s_and_saveexec_b64 s[6:7], vcc
	s_xor_b64 s[6:7], exec, s[6:7]
	s_cbranch_execz .LBB1_9265
; %bb.45105:
	s_getpc_b64 s[14:15]
.Lpost_getpc8216:
	s_add_u32 s14, s14, (.LBB1_23601-.Lpost_getpc8216)&4294967295
	s_addc_u32 s15, s15, (.LBB1_23601-.Lpost_getpc8216)>>32
	s_setpc_b64 s[14:15]
.LBB1_9265:
	s_or_saveexec_b64 s[6:7], s[6:7]
	v_mov_b32_e32 v2, s10
	s_xor_b64 exec, exec, s[6:7]
	s_cbranch_execz .LBB1_9266
; %bb.45107:
	s_getpc_b64 s[14:15]
.Lpost_getpc8217:
	s_add_u32 s14, s14, (.LBB1_23604-.Lpost_getpc8217)&4294967295
	s_addc_u32 s15, s15, (.LBB1_23604-.Lpost_getpc8217)>>32
	s_setpc_b64 s[14:15]
.LBB1_9266:
	s_or_b64 exec, exec, s[6:7]
	s_and_saveexec_b64 s[6:7], s[4:5]
	s_cbranch_execz .LBB1_9268
.LBB1_9267:
	v_bfe_u32 v2, v7, 16, 3
	v_ffbh_u32_e32 v13, v2
	v_min_u32_e32 v13, 32, v13
	v_lshrrev_b32_e32 v6, 19, v7
	v_subrev_u32_e32 v14, 28, v13
	v_and_b32_e32 v6, 15, v6
	v_lshlrev_b32_sdwa v14, v14, v7 dst_sel:DWORD dst_unused:UNUSED_PAD src0_sel:DWORD src1_sel:WORD_1
	v_bfe_u32 v12, v7, 19, 4
	v_sub_u32_e32 v13, 29, v13
	v_and_b32_e32 v14, 7, v14
	v_cmp_eq_u16_e32 vcc, 0, v6
	v_cndmask_b32_e32 v2, v2, v14, vcc
	v_cndmask_b32_e32 v6, v12, v13, vcc
	v_lshlrev_b32_e32 v12, 8, v7
	v_mov_b32_e32 v13, 0x3b800000
	v_lshlrev_b32_e32 v2, 20, v2
	v_and_b32_e32 v12, 0x80000000, v12
	v_lshl_add_u32 v6, v6, 23, v13
	v_or3_b32 v2, v12, v6, v2
.LBB1_9268:
	s_or_b64 exec, exec, s[6:7]
	s_movk_i32 s4, 0xff
	v_and_b32_sdwa v6, v3, s4 dst_sel:DWORD dst_unused:UNUSED_PAD src0_sel:WORD_1 src1_sel:DWORD
	s_movk_i32 s4, 0x7f
	v_cmp_lt_i16_e32 vcc, s4, v6
	s_mov_b64 s[4:5], 0
                                        ; implicit-def: $sgpr10
	s_and_saveexec_b64 s[6:7], vcc
	s_xor_b64 s[6:7], exec, s[6:7]
	s_cbranch_execz .LBB1_9269
; %bb.45109:
	s_getpc_b64 s[14:15]
.Lpost_getpc8218:
	s_add_u32 s14, s14, (.LBB1_23605-.Lpost_getpc8218)&4294967295
	s_addc_u32 s15, s15, (.LBB1_23605-.Lpost_getpc8218)>>32
	s_setpc_b64 s[14:15]
.LBB1_9269:
	s_or_saveexec_b64 s[6:7], s[6:7]
	v_mov_b32_e32 v12, s10
	s_xor_b64 exec, exec, s[6:7]
	s_cbranch_execz .LBB1_9270
; %bb.45111:
	s_getpc_b64 s[14:15]
.Lpost_getpc8219:
	s_add_u32 s14, s14, (.LBB1_23608-.Lpost_getpc8219)&4294967295
	s_addc_u32 s15, s15, (.LBB1_23608-.Lpost_getpc8219)>>32
	s_setpc_b64 s[14:15]
.LBB1_9270:
	s_or_b64 exec, exec, s[6:7]
	s_and_saveexec_b64 s[6:7], s[4:5]
	s_cbranch_execz .LBB1_9272
.LBB1_9271:
	v_bfe_u32 v6, v3, 16, 3
	v_ffbh_u32_e32 v14, v6
	v_min_u32_e32 v14, 32, v14
	v_lshrrev_b32_e32 v12, 19, v3
	v_subrev_u32_e32 v15, 28, v14
	v_and_b32_e32 v12, 15, v12
	v_lshlrev_b32_sdwa v15, v15, v3 dst_sel:DWORD dst_unused:UNUSED_PAD src0_sel:DWORD src1_sel:WORD_1
	v_bfe_u32 v13, v3, 19, 4
	v_sub_u32_e32 v14, 29, v14
	v_and_b32_e32 v15, 7, v15
	v_cmp_eq_u16_e32 vcc, 0, v12
	v_cndmask_b32_e32 v6, v6, v15, vcc
	v_cndmask_b32_e32 v12, v13, v14, vcc
	v_lshlrev_b32_e32 v13, 8, v3
	v_mov_b32_e32 v14, 0x3b800000
	v_lshlrev_b32_e32 v6, 20, v6
	v_and_b32_e32 v13, 0x80000000, v13
	v_lshl_add_u32 v12, v12, 23, v14
	v_or3_b32 v12, v13, v12, v6
.LBB1_9272:
	s_or_b64 exec, exec, s[6:7]
	s_nop 0
	v_mfma_f32_16x16x4f32 a[0:3], v2, v12, a[0:3]
	s_movk_i32 s4, 0x7f
	v_cmp_gt_i16_sdwa s[6:7], v7, s4 src0_sel:BYTE_3 src1_sel:DWORD
	s_mov_b64 s[4:5], 0
                                        ; implicit-def: $sgpr10
	s_and_saveexec_b64 s[8:9], s[6:7]
	s_xor_b64 s[6:7], exec, s[8:9]
	s_cbranch_execz .LBB1_9273
; %bb.45113:
	s_getpc_b64 s[14:15]
.Lpost_getpc8220:
	s_add_u32 s14, s14, (.LBB1_23609-.Lpost_getpc8220)&4294967295
	s_addc_u32 s15, s15, (.LBB1_23609-.Lpost_getpc8220)>>32
	s_setpc_b64 s[14:15]
.LBB1_9273:
	s_or_saveexec_b64 s[6:7], s[6:7]
	v_mov_b32_e32 v2, s10
	s_xor_b64 exec, exec, s[6:7]
	s_cbranch_execz .LBB1_9274
; %bb.45115:
	s_getpc_b64 s[14:15]
.Lpost_getpc8221:
	s_add_u32 s14, s14, (.LBB1_23612-.Lpost_getpc8221)&4294967295
	s_addc_u32 s15, s15, (.LBB1_23612-.Lpost_getpc8221)>>32
	s_setpc_b64 s[14:15]
.LBB1_9274:
	s_or_b64 exec, exec, s[6:7]
	s_and_saveexec_b64 s[6:7], s[4:5]
	s_cbranch_execz .LBB1_9276
.LBB1_9275:
	v_bfe_u32 v2, v7, 24, 3
	v_ffbh_u32_e32 v14, v2
	v_min_u32_e32 v14, 32, v14
	v_lshrrev_b32_e32 v12, 27, v7
	v_subrev_u32_e32 v15, 28, v14
	v_and_b32_e32 v6, 0x80000000, v7
	v_and_b32_e32 v12, 15, v12
	v_bfe_u32 v13, v7, 27, 4
	v_lshlrev_b32_sdwa v7, v15, v7 dst_sel:DWORD dst_unused:UNUSED_PAD src0_sel:DWORD src1_sel:BYTE_3
	v_sub_u32_e32 v14, 29, v14
	v_and_b32_e32 v7, 7, v7
	v_cmp_eq_u16_e32 vcc, 0, v12
	v_cndmask_b32_e32 v2, v2, v7, vcc
	v_cndmask_b32_e32 v7, v13, v14, vcc
	v_mov_b32_e32 v12, 0x3b800000
	v_lshlrev_b32_e32 v2, 20, v2
	v_lshl_add_u32 v7, v7, 23, v12
	v_or3_b32 v2, v6, v7, v2
.LBB1_9276:
	s_or_b64 exec, exec, s[6:7]
	s_movk_i32 s4, 0x7f
	v_cmp_gt_i16_sdwa s[6:7], v3, s4 src0_sel:BYTE_3 src1_sel:DWORD
	s_mov_b64 s[4:5], 0
                                        ; implicit-def: $sgpr10
	s_and_saveexec_b64 s[8:9], s[6:7]
	s_xor_b64 s[6:7], exec, s[8:9]
	s_cbranch_execz .LBB1_9277
; %bb.45117:
	s_getpc_b64 s[14:15]
.Lpost_getpc8222:
	s_add_u32 s14, s14, (.LBB1_23613-.Lpost_getpc8222)&4294967295
	s_addc_u32 s15, s15, (.LBB1_23613-.Lpost_getpc8222)>>32
	s_setpc_b64 s[14:15]
.LBB1_9277:
	s_or_saveexec_b64 s[6:7], s[6:7]
	v_mov_b32_e32 v6, s10
	s_xor_b64 exec, exec, s[6:7]
	s_cbranch_execz .LBB1_9278
; %bb.45119:
	s_getpc_b64 s[14:15]
.Lpost_getpc8223:
	s_add_u32 s14, s14, (.LBB1_23616-.Lpost_getpc8223)&4294967295
	s_addc_u32 s15, s15, (.LBB1_23616-.Lpost_getpc8223)>>32
	s_setpc_b64 s[14:15]
.LBB1_9278:
	s_or_b64 exec, exec, s[6:7]
	s_and_saveexec_b64 s[6:7], s[4:5]
	s_cbranch_execz .LBB1_9280
.LBB1_9279:
	v_bfe_u32 v6, v3, 24, 3
	v_ffbh_u32_e32 v14, v6
	v_min_u32_e32 v14, 32, v14
	v_lshrrev_b32_e32 v12, 27, v3
	v_subrev_u32_e32 v15, 28, v14
	v_and_b32_e32 v7, 0x80000000, v3
	v_and_b32_e32 v12, 15, v12
	v_bfe_u32 v13, v3, 27, 4
	v_lshlrev_b32_sdwa v3, v15, v3 dst_sel:DWORD dst_unused:UNUSED_PAD src0_sel:DWORD src1_sel:BYTE_3
	v_sub_u32_e32 v14, 29, v14
	v_and_b32_e32 v3, 7, v3
	v_cmp_eq_u16_e32 vcc, 0, v12
	v_cndmask_b32_e32 v3, v6, v3, vcc
	v_cndmask_b32_e32 v6, v13, v14, vcc
	v_mov_b32_e32 v12, 0x3b800000
	v_lshlrev_b32_e32 v3, 20, v3
	v_lshl_add_u32 v6, v6, 23, v12
	v_or3_b32 v6, v7, v6, v3
.LBB1_9280:
	s_or_b64 exec, exec, s[6:7]
	s_nop 0
	v_mfma_f32_16x16x4f32 a[0:3], v2, v6, a[0:3]
	s_movk_i32 s4, 0x7f
	v_cmp_gt_i16_sdwa s[6:7], v8, s4 src0_sel:BYTE_0 src1_sel:DWORD
	s_mov_b64 s[4:5], 0
                                        ; implicit-def: $sgpr10
	s_and_saveexec_b64 s[8:9], s[6:7]
	s_xor_b64 s[6:7], exec, s[8:9]
	s_cbranch_execz .LBB1_9281
; %bb.45121:
	s_getpc_b64 s[14:15]
.Lpost_getpc8224:
	s_add_u32 s14, s14, (.LBB1_23617-.Lpost_getpc8224)&4294967295
	s_addc_u32 s15, s15, (.LBB1_23617-.Lpost_getpc8224)>>32
	s_setpc_b64 s[14:15]
.LBB1_9281:
	s_or_saveexec_b64 s[6:7], s[6:7]
	v_mov_b32_e32 v2, s10
	s_xor_b64 exec, exec, s[6:7]
	s_cbranch_execz .LBB1_9282
; %bb.45123:
	s_getpc_b64 s[14:15]
.Lpost_getpc8225:
	s_add_u32 s14, s14, (.LBB1_23620-.Lpost_getpc8225)&4294967295
	s_addc_u32 s15, s15, (.LBB1_23620-.Lpost_getpc8225)>>32
	s_setpc_b64 s[14:15]
.LBB1_9282:
	s_or_b64 exec, exec, s[6:7]
	s_and_saveexec_b64 s[6:7], s[4:5]
	s_cbranch_execz .LBB1_9284
.LBB1_9283:
	v_and_b32_e32 v2, 7, v8
	v_ffbh_u32_e32 v6, v2
	v_min_u32_e32 v6, 32, v6
	v_lshrrev_b16_e32 v3, 3, v8
	v_subrev_u32_e32 v7, 28, v6
	v_and_b32_e32 v3, 15, v3
	v_lshlrev_b32_e32 v7, v7, v8
	v_sub_u32_e32 v6, 29, v6
	v_and_b32_e32 v7, 7, v7
	v_cmp_eq_u16_e32 vcc, 0, v3
	v_cndmask_b32_e32 v2, v2, v7, vcc
	v_cndmask_b32_e32 v3, v3, v6, vcc
	v_lshlrev_b32_e32 v6, 24, v8
	v_mov_b32_e32 v7, 0x3b800000
	v_lshlrev_b32_e32 v2, 20, v2
	v_and_b32_e32 v6, 0x80000000, v6
	v_lshl_add_u32 v3, v3, 23, v7
	v_or3_b32 v2, v6, v3, v2
.LBB1_9284:
	s_or_b64 exec, exec, s[6:7]
	s_movk_i32 s4, 0x7f
	v_cmp_gt_i16_sdwa s[6:7], v4, s4 src0_sel:BYTE_0 src1_sel:DWORD
	s_mov_b64 s[4:5], 0
                                        ; implicit-def: $sgpr10
	s_and_saveexec_b64 s[8:9], s[6:7]
	s_xor_b64 s[6:7], exec, s[8:9]
	s_cbranch_execz .LBB1_9285
; %bb.45125:
	s_getpc_b64 s[14:15]
.Lpost_getpc8226:
	s_add_u32 s14, s14, (.LBB1_23621-.Lpost_getpc8226)&4294967295
	s_addc_u32 s15, s15, (.LBB1_23621-.Lpost_getpc8226)>>32
	s_setpc_b64 s[14:15]
.LBB1_9285:
	s_or_saveexec_b64 s[6:7], s[6:7]
	v_mov_b32_e32 v3, s10
	s_xor_b64 exec, exec, s[6:7]
	s_cbranch_execz .LBB1_9286
; %bb.45127:
	s_getpc_b64 s[14:15]
.Lpost_getpc8227:
	s_add_u32 s14, s14, (.LBB1_23624-.Lpost_getpc8227)&4294967295
	s_addc_u32 s15, s15, (.LBB1_23624-.Lpost_getpc8227)>>32
	s_setpc_b64 s[14:15]
.LBB1_9286:
	s_or_b64 exec, exec, s[6:7]
	s_and_saveexec_b64 s[6:7], s[4:5]
	s_cbranch_execz .LBB1_9288
.LBB1_9287:
	v_and_b32_e32 v3, 7, v4
	v_ffbh_u32_e32 v7, v3
	v_min_u32_e32 v7, 32, v7
	v_lshrrev_b16_e32 v6, 3, v4
	v_subrev_u32_e32 v12, 28, v7
	v_and_b32_e32 v6, 15, v6
	v_lshlrev_b32_e32 v12, v12, v4
	v_sub_u32_e32 v7, 29, v7
	v_and_b32_e32 v12, 7, v12
	v_cmp_eq_u16_e32 vcc, 0, v6
	v_cndmask_b32_e32 v3, v3, v12, vcc
	v_cndmask_b32_e32 v6, v6, v7, vcc
	v_lshlrev_b32_e32 v7, 24, v4
	v_mov_b32_e32 v12, 0x3b800000
	v_lshlrev_b32_e32 v3, 20, v3
	v_and_b32_e32 v7, 0x80000000, v7
	v_lshl_add_u32 v6, v6, 23, v12
	v_or3_b32 v3, v7, v6, v3
.LBB1_9288:
	s_or_b64 exec, exec, s[6:7]
	s_nop 0
	v_mfma_f32_16x16x4f32 a[0:3], v2, v3, a[0:3]
	v_lshrrev_b32_e32 v3, 8, v8
	s_movk_i32 s4, 0x7f
	v_cmp_gt_i16_sdwa s[6:7], v3, s4 src0_sel:BYTE_0 src1_sel:DWORD
	s_mov_b64 s[4:5], 0
                                        ; implicit-def: $sgpr10
	s_and_saveexec_b64 s[8:9], s[6:7]
	s_xor_b64 s[6:7], exec, s[8:9]
	s_cbranch_execz .LBB1_9289
; %bb.45129:
	s_getpc_b64 s[14:15]
.Lpost_getpc8228:
	s_add_u32 s14, s14, (.LBB1_23625-.Lpost_getpc8228)&4294967295
	s_addc_u32 s15, s15, (.LBB1_23625-.Lpost_getpc8228)>>32
	s_setpc_b64 s[14:15]
.LBB1_9289:
	s_or_saveexec_b64 s[6:7], s[6:7]
	v_mov_b32_e32 v2, s10
	s_xor_b64 exec, exec, s[6:7]
	s_cbranch_execz .LBB1_9290
; %bb.45131:
	s_getpc_b64 s[14:15]
.Lpost_getpc8229:
	s_add_u32 s14, s14, (.LBB1_23628-.Lpost_getpc8229)&4294967295
	s_addc_u32 s15, s15, (.LBB1_23628-.Lpost_getpc8229)>>32
	s_setpc_b64 s[14:15]
.LBB1_9290:
	s_or_b64 exec, exec, s[6:7]
	s_and_saveexec_b64 s[6:7], s[4:5]
	s_cbranch_execz .LBB1_9292
.LBB1_9291:
	v_bfe_u32 v2, v8, 8, 3
	v_ffbh_u32_e32 v7, v2
	v_min_u32_e32 v7, 32, v7
	v_lshrrev_b16_e32 v6, 3, v3
	v_subrev_u32_e32 v12, 28, v7
	v_and_b32_e32 v6, 15, v6
	v_lshlrev_b32_e32 v3, v12, v3
	v_sub_u32_e32 v7, 29, v7
	v_and_b32_e32 v3, 7, v3
	v_cmp_eq_u16_e32 vcc, 0, v6
	v_cndmask_b32_e32 v2, v2, v3, vcc
	v_cndmask_b32_e32 v3, v6, v7, vcc
	v_lshlrev_b32_e32 v6, 16, v8
	v_mov_b32_e32 v7, 0x3b800000
	v_lshlrev_b32_e32 v2, 20, v2
	v_and_b32_e32 v6, 0x80000000, v6
	v_lshl_add_u32 v3, v3, 23, v7
	v_or3_b32 v2, v6, v3, v2
.LBB1_9292:
	s_or_b64 exec, exec, s[6:7]
	v_lshrrev_b32_e32 v3, 8, v4
	s_movk_i32 s4, 0x7f
	v_cmp_gt_i16_sdwa s[6:7], v3, s4 src0_sel:BYTE_0 src1_sel:DWORD
	s_mov_b64 s[4:5], 0
                                        ; implicit-def: $sgpr10
	s_and_saveexec_b64 s[8:9], s[6:7]
	s_xor_b64 s[6:7], exec, s[8:9]
	s_cbranch_execz .LBB1_9293
; %bb.45133:
	s_getpc_b64 s[14:15]
.Lpost_getpc8230:
	s_add_u32 s14, s14, (.LBB1_23629-.Lpost_getpc8230)&4294967295
	s_addc_u32 s15, s15, (.LBB1_23629-.Lpost_getpc8230)>>32
	s_setpc_b64 s[14:15]
.LBB1_9293:
	s_or_saveexec_b64 s[6:7], s[6:7]
	v_mov_b32_e32 v6, s10
	s_xor_b64 exec, exec, s[6:7]
	s_cbranch_execz .LBB1_9294
; %bb.45135:
	s_getpc_b64 s[14:15]
.Lpost_getpc8231:
	s_add_u32 s14, s14, (.LBB1_23632-.Lpost_getpc8231)&4294967295
	s_addc_u32 s15, s15, (.LBB1_23632-.Lpost_getpc8231)>>32
	s_setpc_b64 s[14:15]
.LBB1_9294:
	s_or_b64 exec, exec, s[6:7]
	s_and_saveexec_b64 s[6:7], s[4:5]
	s_cbranch_execz .LBB1_9296
.LBB1_9295:
	v_bfe_u32 v6, v4, 8, 3
	v_ffbh_u32_e32 v12, v6
	v_min_u32_e32 v12, 32, v12
	v_lshrrev_b16_e32 v7, 3, v3
	v_subrev_u32_e32 v13, 28, v12
	v_and_b32_e32 v7, 15, v7
	v_lshlrev_b32_e32 v3, v13, v3
	v_sub_u32_e32 v12, 29, v12
	v_and_b32_e32 v3, 7, v3
	v_cmp_eq_u16_e32 vcc, 0, v7
	v_cndmask_b32_e32 v3, v6, v3, vcc
	v_cndmask_b32_e32 v6, v7, v12, vcc
	v_lshlrev_b32_e32 v7, 16, v4
	v_mov_b32_e32 v12, 0x3b800000
	v_lshlrev_b32_e32 v3, 20, v3
	v_and_b32_e32 v7, 0x80000000, v7
	v_lshl_add_u32 v6, v6, 23, v12
	v_or3_b32 v6, v7, v6, v3
.LBB1_9296:
	s_or_b64 exec, exec, s[6:7]
	s_nop 0
	v_mfma_f32_16x16x4f32 a[0:3], v2, v6, a[0:3]
	s_movk_i32 s4, 0xff
	v_and_b32_sdwa v3, v8, s4 dst_sel:DWORD dst_unused:UNUSED_PAD src0_sel:WORD_1 src1_sel:DWORD
	s_movk_i32 s4, 0x7f
	v_cmp_lt_i16_e32 vcc, s4, v3
	s_mov_b64 s[4:5], 0
                                        ; implicit-def: $sgpr10
	s_and_saveexec_b64 s[6:7], vcc
	s_xor_b64 s[6:7], exec, s[6:7]
	s_cbranch_execz .LBB1_9297
; %bb.45137:
	s_getpc_b64 s[14:15]
.Lpost_getpc8232:
	s_add_u32 s14, s14, (.LBB1_23633-.Lpost_getpc8232)&4294967295
	s_addc_u32 s15, s15, (.LBB1_23633-.Lpost_getpc8232)>>32
	s_setpc_b64 s[14:15]
.LBB1_9297:
	s_or_saveexec_b64 s[6:7], s[6:7]
	v_mov_b32_e32 v2, s10
	s_xor_b64 exec, exec, s[6:7]
	s_cbranch_execz .LBB1_9298
; %bb.45139:
	s_getpc_b64 s[14:15]
.Lpost_getpc8233:
	s_add_u32 s14, s14, (.LBB1_23636-.Lpost_getpc8233)&4294967295
	s_addc_u32 s15, s15, (.LBB1_23636-.Lpost_getpc8233)>>32
	s_setpc_b64 s[14:15]
.LBB1_9298:
	s_or_b64 exec, exec, s[6:7]
	s_and_saveexec_b64 s[6:7], s[4:5]
	s_cbranch_execz .LBB1_9300
.LBB1_9299:
	v_bfe_u32 v2, v8, 16, 3
	v_ffbh_u32_e32 v7, v2
	v_min_u32_e32 v7, 32, v7
	v_lshrrev_b32_e32 v3, 19, v8
	v_subrev_u32_e32 v12, 28, v7
	v_and_b32_e32 v3, 15, v3
	v_lshlrev_b32_sdwa v12, v12, v8 dst_sel:DWORD dst_unused:UNUSED_PAD src0_sel:DWORD src1_sel:WORD_1
	v_bfe_u32 v6, v8, 19, 4
	v_sub_u32_e32 v7, 29, v7
	v_and_b32_e32 v12, 7, v12
	v_cmp_eq_u16_e32 vcc, 0, v3
	v_cndmask_b32_e32 v2, v2, v12, vcc
	v_cndmask_b32_e32 v3, v6, v7, vcc
	v_lshlrev_b32_e32 v6, 8, v8
	v_mov_b32_e32 v7, 0x3b800000
	v_lshlrev_b32_e32 v2, 20, v2
	v_and_b32_e32 v6, 0x80000000, v6
	v_lshl_add_u32 v3, v3, 23, v7
	v_or3_b32 v2, v6, v3, v2
.LBB1_9300:
	s_or_b64 exec, exec, s[6:7]
	s_movk_i32 s4, 0xff
	v_and_b32_sdwa v3, v4, s4 dst_sel:DWORD dst_unused:UNUSED_PAD src0_sel:WORD_1 src1_sel:DWORD
	s_movk_i32 s4, 0x7f
	v_cmp_lt_i16_e32 vcc, s4, v3
	s_mov_b64 s[4:5], 0
                                        ; implicit-def: $sgpr10
	s_and_saveexec_b64 s[6:7], vcc
	s_xor_b64 s[6:7], exec, s[6:7]
	s_cbranch_execz .LBB1_9301
; %bb.45141:
	s_getpc_b64 s[14:15]
.Lpost_getpc8234:
	s_add_u32 s14, s14, (.LBB1_23637-.Lpost_getpc8234)&4294967295
	s_addc_u32 s15, s15, (.LBB1_23637-.Lpost_getpc8234)>>32
	s_setpc_b64 s[14:15]
.LBB1_9301:
	s_or_saveexec_b64 s[6:7], s[6:7]
	v_mov_b32_e32 v6, s10
	s_xor_b64 exec, exec, s[6:7]
	s_cbranch_execz .LBB1_9302
; %bb.45143:
	s_getpc_b64 s[14:15]
.Lpost_getpc8235:
	s_add_u32 s14, s14, (.LBB1_23640-.Lpost_getpc8235)&4294967295
	s_addc_u32 s15, s15, (.LBB1_23640-.Lpost_getpc8235)>>32
	s_setpc_b64 s[14:15]
.LBB1_9302:
	s_or_b64 exec, exec, s[6:7]
	s_and_saveexec_b64 s[6:7], s[4:5]
	s_cbranch_execz .LBB1_9304
.LBB1_9303:
	v_bfe_u32 v3, v4, 16, 3
	v_ffbh_u32_e32 v12, v3
	v_min_u32_e32 v12, 32, v12
	v_lshrrev_b32_e32 v6, 19, v4
	v_subrev_u32_e32 v13, 28, v12
	v_and_b32_e32 v6, 15, v6
	v_lshlrev_b32_sdwa v13, v13, v4 dst_sel:DWORD dst_unused:UNUSED_PAD src0_sel:DWORD src1_sel:WORD_1
	v_bfe_u32 v7, v4, 19, 4
	v_sub_u32_e32 v12, 29, v12
	v_and_b32_e32 v13, 7, v13
	v_cmp_eq_u16_e32 vcc, 0, v6
	v_cndmask_b32_e32 v3, v3, v13, vcc
	v_cndmask_b32_e32 v6, v7, v12, vcc
	v_lshlrev_b32_e32 v7, 8, v4
	v_mov_b32_e32 v12, 0x3b800000
	v_lshlrev_b32_e32 v3, 20, v3
	v_and_b32_e32 v7, 0x80000000, v7
	v_lshl_add_u32 v6, v6, 23, v12
	v_or3_b32 v6, v7, v6, v3
.LBB1_9304:
	s_or_b64 exec, exec, s[6:7]
	s_nop 0
	v_mfma_f32_16x16x4f32 a[0:3], v2, v6, a[0:3]
	s_movk_i32 s4, 0x7f
	v_cmp_gt_i16_sdwa s[6:7], v8, s4 src0_sel:BYTE_3 src1_sel:DWORD
	s_mov_b64 s[4:5], 0
                                        ; implicit-def: $sgpr10
	s_and_saveexec_b64 s[8:9], s[6:7]
	s_xor_b64 s[6:7], exec, s[8:9]
	s_cbranch_execz .LBB1_9305
; %bb.45145:
	s_getpc_b64 s[14:15]
.Lpost_getpc8236:
	s_add_u32 s14, s14, (.LBB1_23641-.Lpost_getpc8236)&4294967295
	s_addc_u32 s15, s15, (.LBB1_23641-.Lpost_getpc8236)>>32
	s_setpc_b64 s[14:15]
.LBB1_9305:
	s_or_saveexec_b64 s[6:7], s[6:7]
	v_mov_b32_e32 v2, s10
	s_xor_b64 exec, exec, s[6:7]
	s_cbranch_execz .LBB1_9306
; %bb.45147:
	s_getpc_b64 s[14:15]
.Lpost_getpc8237:
	s_add_u32 s14, s14, (.LBB1_23644-.Lpost_getpc8237)&4294967295
	s_addc_u32 s15, s15, (.LBB1_23644-.Lpost_getpc8237)>>32
	s_setpc_b64 s[14:15]
.LBB1_9306:
	s_or_b64 exec, exec, s[6:7]
	s_and_saveexec_b64 s[6:7], s[4:5]
	s_cbranch_execz .LBB1_9308
.LBB1_9307:
	v_bfe_u32 v2, v8, 24, 3
	v_ffbh_u32_e32 v12, v2
	v_min_u32_e32 v12, 32, v12
	v_lshrrev_b32_e32 v6, 27, v8
	v_subrev_u32_e32 v13, 28, v12
	v_and_b32_e32 v3, 0x80000000, v8
	v_and_b32_e32 v6, 15, v6
	v_bfe_u32 v7, v8, 27, 4
	v_lshlrev_b32_sdwa v8, v13, v8 dst_sel:DWORD dst_unused:UNUSED_PAD src0_sel:DWORD src1_sel:BYTE_3
	v_sub_u32_e32 v12, 29, v12
	v_and_b32_e32 v8, 7, v8
	v_cmp_eq_u16_e32 vcc, 0, v6
	v_cndmask_b32_e32 v2, v2, v8, vcc
	v_cndmask_b32_e32 v6, v7, v12, vcc
	v_mov_b32_e32 v7, 0x3b800000
	v_lshlrev_b32_e32 v2, 20, v2
	v_lshl_add_u32 v6, v6, 23, v7
	v_or3_b32 v2, v3, v6, v2
.LBB1_9308:
	s_or_b64 exec, exec, s[6:7]
	s_movk_i32 s4, 0x7f
	v_cmp_gt_i16_sdwa s[6:7], v4, s4 src0_sel:BYTE_3 src1_sel:DWORD
	s_mov_b64 s[4:5], 0
                                        ; implicit-def: $sgpr10
	s_and_saveexec_b64 s[8:9], s[6:7]
	s_xor_b64 s[6:7], exec, s[8:9]
	s_cbranch_execz .LBB1_9309
; %bb.45149:
	s_getpc_b64 s[14:15]
.Lpost_getpc8238:
	s_add_u32 s14, s14, (.LBB1_23645-.Lpost_getpc8238)&4294967295
	s_addc_u32 s15, s15, (.LBB1_23645-.Lpost_getpc8238)>>32
	s_setpc_b64 s[14:15]
.LBB1_9309:
	s_or_saveexec_b64 s[6:7], s[6:7]
	v_mov_b32_e32 v3, s10
	s_xor_b64 exec, exec, s[6:7]
	s_cbranch_execz .LBB1_9310
; %bb.45151:
	s_getpc_b64 s[14:15]
.Lpost_getpc8239:
	s_add_u32 s14, s14, (.LBB1_23648-.Lpost_getpc8239)&4294967295
	s_addc_u32 s15, s15, (.LBB1_23648-.Lpost_getpc8239)>>32
	s_setpc_b64 s[14:15]
.LBB1_9310:
	s_or_b64 exec, exec, s[6:7]
	s_and_saveexec_b64 s[6:7], s[4:5]
	s_cbranch_execz .LBB1_9312
.LBB1_9311:
	v_bfe_u32 v3, v4, 24, 3
	v_ffbh_u32_e32 v12, v3
	v_min_u32_e32 v12, 32, v12
	v_lshrrev_b32_e32 v7, 27, v4
	v_subrev_u32_e32 v13, 28, v12
	v_and_b32_e32 v6, 0x80000000, v4
	v_and_b32_e32 v7, 15, v7
	v_bfe_u32 v8, v4, 27, 4
	v_lshlrev_b32_sdwa v4, v13, v4 dst_sel:DWORD dst_unused:UNUSED_PAD src0_sel:DWORD src1_sel:BYTE_3
	v_sub_u32_e32 v12, 29, v12
	v_and_b32_e32 v4, 7, v4
	v_cmp_eq_u16_e32 vcc, 0, v7
	v_cndmask_b32_e32 v3, v3, v4, vcc
	v_cndmask_b32_e32 v4, v8, v12, vcc
	v_mov_b32_e32 v7, 0x3b800000
	v_lshlrev_b32_e32 v3, 20, v3
	v_lshl_add_u32 v4, v4, 23, v7
	v_or3_b32 v3, v6, v4, v3
.LBB1_9312:
	s_or_b64 exec, exec, s[6:7]
	s_nop 0
	v_mfma_f32_16x16x4f32 a[0:3], v2, v3, a[0:3]
	s_movk_i32 s4, 0x7f
	v_cmp_gt_i16_sdwa s[6:7], v9, s4 src0_sel:BYTE_0 src1_sel:DWORD
	s_mov_b64 s[4:5], 0
                                        ; implicit-def: $sgpr10
	s_and_saveexec_b64 s[8:9], s[6:7]
	s_xor_b64 s[6:7], exec, s[8:9]
	s_cbranch_execz .LBB1_9313
; %bb.45153:
	s_getpc_b64 s[14:15]
.Lpost_getpc8240:
	s_add_u32 s14, s14, (.LBB1_23649-.Lpost_getpc8240)&4294967295
	s_addc_u32 s15, s15, (.LBB1_23649-.Lpost_getpc8240)>>32
	s_setpc_b64 s[14:15]
.LBB1_9313:
	s_or_saveexec_b64 s[6:7], s[6:7]
	v_mov_b32_e32 v2, s10
	s_xor_b64 exec, exec, s[6:7]
	s_cbranch_execz .LBB1_9314
; %bb.45155:
	s_getpc_b64 s[14:15]
.Lpost_getpc8241:
	s_add_u32 s14, s14, (.LBB1_23652-.Lpost_getpc8241)&4294967295
	s_addc_u32 s15, s15, (.LBB1_23652-.Lpost_getpc8241)>>32
	s_setpc_b64 s[14:15]
.LBB1_9314:
	s_or_b64 exec, exec, s[6:7]
	s_and_saveexec_b64 s[6:7], s[4:5]
	s_cbranch_execz .LBB1_9316
.LBB1_9315:
	v_mov_b32_e32 v2, 8
	v_and_b32_e32 v3, 7, v9
	v_lshrrev_b32_sdwa v2, v2, v9 dst_sel:BYTE_1 dst_unused:UNUSED_PAD src0_sel:DWORD src1_sel:DWORD
	v_ffbh_u32_e32 v4, v3
	v_or_b32_sdwa v2, v9, v2 dst_sel:DWORD dst_unused:UNUSED_PAD src0_sel:BYTE_0 src1_sel:DWORD
	v_min_u32_e32 v4, 32, v4
	v_lshrrev_b16_e32 v2, 3, v2
	v_subrev_u32_e32 v6, 28, v4
	v_and_b32_e32 v2, 15, v2
	v_lshlrev_b32_e32 v6, v6, v9
	v_sub_u32_e32 v4, 29, v4
	v_and_b32_e32 v6, 7, v6
	v_cmp_eq_u16_e32 vcc, 0, v2
	v_cndmask_b32_e32 v3, v3, v6, vcc
	v_cndmask_b32_e32 v2, v2, v4, vcc
	v_lshlrev_b32_e32 v4, 24, v9
	v_mov_b32_e32 v6, 0x3b800000
	v_lshlrev_b32_e32 v3, 20, v3
	v_and_b32_e32 v4, 0x80000000, v4
	v_lshl_add_u32 v2, v2, 23, v6
	v_or3_b32 v2, v4, v2, v3
.LBB1_9316:
	s_or_b64 exec, exec, s[6:7]
	s_movk_i32 s4, 0x7f
	v_cmp_gt_i16_sdwa s[6:7], v5, s4 src0_sel:BYTE_0 src1_sel:DWORD
	s_mov_b64 s[4:5], 0
                                        ; implicit-def: $sgpr10
	s_and_saveexec_b64 s[8:9], s[6:7]
	s_xor_b64 s[6:7], exec, s[8:9]
	s_cbranch_execz .LBB1_9317
; %bb.45157:
	s_getpc_b64 s[14:15]
.Lpost_getpc8242:
	s_add_u32 s14, s14, (.LBB1_23653-.Lpost_getpc8242)&4294967295
	s_addc_u32 s15, s15, (.LBB1_23653-.Lpost_getpc8242)>>32
	s_setpc_b64 s[14:15]
.LBB1_9317:
	s_or_saveexec_b64 s[6:7], s[6:7]
	v_mov_b32_e32 v3, s10
	s_xor_b64 exec, exec, s[6:7]
	s_cbranch_execz .LBB1_9318
; %bb.45159:
	s_getpc_b64 s[14:15]
.Lpost_getpc8243:
	s_add_u32 s14, s14, (.LBB1_23656-.Lpost_getpc8243)&4294967295
	s_addc_u32 s15, s15, (.LBB1_23656-.Lpost_getpc8243)>>32
	s_setpc_b64 s[14:15]
.LBB1_9318:
	s_or_b64 exec, exec, s[6:7]
	s_and_saveexec_b64 s[6:7], s[4:5]
	s_cbranch_execz .LBB1_9320
.LBB1_9319:
	v_mov_b32_e32 v3, 8
	v_and_b32_e32 v4, 7, v5
	v_lshrrev_b32_sdwa v3, v3, v5 dst_sel:BYTE_1 dst_unused:UNUSED_PAD src0_sel:DWORD src1_sel:DWORD
	v_ffbh_u32_e32 v6, v4
	v_or_b32_sdwa v3, v5, v3 dst_sel:DWORD dst_unused:UNUSED_PAD src0_sel:BYTE_0 src1_sel:DWORD
	v_min_u32_e32 v6, 32, v6
	v_lshrrev_b16_e32 v3, 3, v3
	v_subrev_u32_e32 v7, 28, v6
	v_and_b32_e32 v3, 15, v3
	v_lshlrev_b32_e32 v7, v7, v5
	v_sub_u32_e32 v6, 29, v6
	v_and_b32_e32 v7, 7, v7
	v_cmp_eq_u16_e32 vcc, 0, v3
	v_cndmask_b32_e32 v4, v4, v7, vcc
	v_cndmask_b32_e32 v3, v3, v6, vcc
	v_lshlrev_b32_e32 v6, 24, v5
	v_mov_b32_e32 v7, 0x3b800000
	v_lshlrev_b32_e32 v4, 20, v4
	v_and_b32_e32 v6, 0x80000000, v6
	v_lshl_add_u32 v3, v3, 23, v7
	v_or3_b32 v3, v6, v3, v4
.LBB1_9320:
	s_or_b64 exec, exec, s[6:7]
	s_nop 0
	v_mfma_f32_16x16x4f32 a[0:3], v2, v3, a[0:3]
	v_lshrrev_b32_e32 v3, 8, v9
	s_movk_i32 s4, 0x7f
	v_cmp_gt_i16_sdwa s[6:7], v3, s4 src0_sel:BYTE_0 src1_sel:DWORD
	s_mov_b64 s[4:5], 0
                                        ; implicit-def: $sgpr10
	s_and_saveexec_b64 s[8:9], s[6:7]
	s_xor_b64 s[6:7], exec, s[8:9]
	s_cbranch_execz .LBB1_9321
; %bb.45161:
	s_getpc_b64 s[14:15]
.Lpost_getpc8244:
	s_add_u32 s14, s14, (.LBB1_23657-.Lpost_getpc8244)&4294967295
	s_addc_u32 s15, s15, (.LBB1_23657-.Lpost_getpc8244)>>32
	s_setpc_b64 s[14:15]
.LBB1_9321:
	s_or_saveexec_b64 s[6:7], s[6:7]
	v_mov_b32_e32 v2, s10
	s_xor_b64 exec, exec, s[6:7]
	s_cbranch_execz .LBB1_9322
; %bb.45163:
	s_getpc_b64 s[14:15]
.Lpost_getpc8245:
	s_add_u32 s14, s14, (.LBB1_23660-.Lpost_getpc8245)&4294967295
	s_addc_u32 s15, s15, (.LBB1_23660-.Lpost_getpc8245)>>32
	s_setpc_b64 s[14:15]
.LBB1_9322:
	s_or_b64 exec, exec, s[6:7]
	s_and_saveexec_b64 s[6:7], s[4:5]
	s_cbranch_execz .LBB1_9324
.LBB1_9323:
	v_bfe_u32 v2, v9, 8, 3
	v_ffbh_u32_e32 v6, v2
	v_min_u32_e32 v6, 32, v6
	v_lshrrev_b16_e32 v4, 3, v3
	v_subrev_u32_e32 v7, 28, v6
	v_and_b32_e32 v4, 15, v4
	v_lshlrev_b32_e32 v3, v7, v3
	v_sub_u32_e32 v6, 29, v6
	v_and_b32_e32 v3, 7, v3
	v_cmp_eq_u16_e32 vcc, 0, v4
	v_cndmask_b32_e32 v2, v2, v3, vcc
	v_cndmask_b32_e32 v3, v4, v6, vcc
	v_lshlrev_b32_e32 v4, 16, v9
	v_mov_b32_e32 v6, 0x3b800000
	v_lshlrev_b32_e32 v2, 20, v2
	v_and_b32_e32 v4, 0x80000000, v4
	v_lshl_add_u32 v3, v3, 23, v6
	v_or3_b32 v2, v4, v3, v2
.LBB1_9324:
	s_or_b64 exec, exec, s[6:7]
	v_lshrrev_b32_e32 v3, 8, v5
	s_movk_i32 s4, 0x7f
	v_cmp_gt_i16_sdwa s[6:7], v3, s4 src0_sel:BYTE_0 src1_sel:DWORD
	s_mov_b64 s[4:5], 0
                                        ; implicit-def: $sgpr10
	s_and_saveexec_b64 s[8:9], s[6:7]
	s_xor_b64 s[6:7], exec, s[8:9]
	s_cbranch_execz .LBB1_9325
; %bb.45165:
	s_getpc_b64 s[14:15]
.Lpost_getpc8246:
	s_add_u32 s14, s14, (.LBB1_23661-.Lpost_getpc8246)&4294967295
	s_addc_u32 s15, s15, (.LBB1_23661-.Lpost_getpc8246)>>32
	s_setpc_b64 s[14:15]
.LBB1_9325:
	s_or_saveexec_b64 s[6:7], s[6:7]
	v_mov_b32_e32 v4, s10
	s_xor_b64 exec, exec, s[6:7]
	s_cbranch_execz .LBB1_9326
; %bb.45167:
	s_getpc_b64 s[14:15]
.Lpost_getpc8247:
	s_add_u32 s14, s14, (.LBB1_23664-.Lpost_getpc8247)&4294967295
	s_addc_u32 s15, s15, (.LBB1_23664-.Lpost_getpc8247)>>32
	s_setpc_b64 s[14:15]
.LBB1_9326:
	s_or_b64 exec, exec, s[6:7]
	s_and_saveexec_b64 s[6:7], s[4:5]
	s_cbranch_execz .LBB1_9328
.LBB1_9327:
	v_bfe_u32 v4, v5, 8, 3
	v_ffbh_u32_e32 v7, v4
	v_min_u32_e32 v7, 32, v7
	v_lshrrev_b16_e32 v6, 3, v3
	v_subrev_u32_e32 v8, 28, v7
	v_and_b32_e32 v6, 15, v6
	v_lshlrev_b32_e32 v3, v8, v3
	v_sub_u32_e32 v7, 29, v7
	v_and_b32_e32 v3, 7, v3
	v_cmp_eq_u16_e32 vcc, 0, v6
	v_cndmask_b32_e32 v3, v4, v3, vcc
	v_cndmask_b32_e32 v4, v6, v7, vcc
	v_lshlrev_b32_e32 v6, 16, v5
	v_mov_b32_e32 v7, 0x3b800000
	v_lshlrev_b32_e32 v3, 20, v3
	v_and_b32_e32 v6, 0x80000000, v6
	v_lshl_add_u32 v4, v4, 23, v7
	v_or3_b32 v4, v6, v4, v3
.LBB1_9328:
	s_or_b64 exec, exec, s[6:7]
	s_nop 0
	v_mfma_f32_16x16x4f32 a[0:3], v2, v4, a[0:3]
	s_movk_i32 s4, 0xff
	v_and_b32_sdwa v3, v9, s4 dst_sel:DWORD dst_unused:UNUSED_PAD src0_sel:WORD_1 src1_sel:DWORD
	s_movk_i32 s4, 0x7f
	v_cmp_lt_i16_e32 vcc, s4, v3
	s_mov_b64 s[4:5], 0
                                        ; implicit-def: $sgpr10
	s_and_saveexec_b64 s[6:7], vcc
	s_xor_b64 s[6:7], exec, s[6:7]
	s_cbranch_execz .LBB1_9329
; %bb.45169:
	s_getpc_b64 s[14:15]
.Lpost_getpc8248:
	s_add_u32 s14, s14, (.LBB1_23665-.Lpost_getpc8248)&4294967295
	s_addc_u32 s15, s15, (.LBB1_23665-.Lpost_getpc8248)>>32
	s_setpc_b64 s[14:15]
.LBB1_9329:
	s_or_saveexec_b64 s[6:7], s[6:7]
	v_mov_b32_e32 v2, s10
	s_xor_b64 exec, exec, s[6:7]
	s_cbranch_execz .LBB1_9330
; %bb.45171:
	s_getpc_b64 s[14:15]
.Lpost_getpc8249:
	s_add_u32 s14, s14, (.LBB1_23668-.Lpost_getpc8249)&4294967295
	s_addc_u32 s15, s15, (.LBB1_23668-.Lpost_getpc8249)>>32
	s_setpc_b64 s[14:15]
.LBB1_9330:
	s_or_b64 exec, exec, s[6:7]
	s_and_saveexec_b64 s[6:7], s[4:5]
	s_cbranch_execz .LBB1_9332
.LBB1_9331:
	v_bfe_u32 v2, v9, 16, 3
	v_ffbh_u32_e32 v6, v2
	v_min_u32_e32 v6, 32, v6
	v_lshrrev_b32_e32 v3, 19, v9
	v_subrev_u32_e32 v7, 28, v6
	v_and_b32_e32 v3, 15, v3
	v_lshlrev_b32_sdwa v7, v7, v9 dst_sel:DWORD dst_unused:UNUSED_PAD src0_sel:DWORD src1_sel:WORD_1
	v_bfe_u32 v4, v9, 19, 4
	v_sub_u32_e32 v6, 29, v6
	v_and_b32_e32 v7, 7, v7
	v_cmp_eq_u16_e32 vcc, 0, v3
	v_cndmask_b32_e32 v2, v2, v7, vcc
	v_cndmask_b32_e32 v3, v4, v6, vcc
	v_lshlrev_b32_e32 v4, 8, v9
	v_mov_b32_e32 v6, 0x3b800000
	v_lshlrev_b32_e32 v2, 20, v2
	v_and_b32_e32 v4, 0x80000000, v4
	v_lshl_add_u32 v3, v3, 23, v6
	v_or3_b32 v2, v4, v3, v2
.LBB1_9332:
	s_or_b64 exec, exec, s[6:7]
	s_movk_i32 s4, 0xff
	v_and_b32_sdwa v3, v5, s4 dst_sel:DWORD dst_unused:UNUSED_PAD src0_sel:WORD_1 src1_sel:DWORD
	s_movk_i32 s4, 0x7f
	v_cmp_lt_i16_e32 vcc, s4, v3
	s_mov_b64 s[4:5], 0
                                        ; implicit-def: $sgpr10
	s_and_saveexec_b64 s[6:7], vcc
	s_xor_b64 s[6:7], exec, s[6:7]
	s_cbranch_execz .LBB1_9333
; %bb.45173:
	s_getpc_b64 s[14:15]
.Lpost_getpc8250:
	s_add_u32 s14, s14, (.LBB1_23669-.Lpost_getpc8250)&4294967295
	s_addc_u32 s15, s15, (.LBB1_23669-.Lpost_getpc8250)>>32
	s_setpc_b64 s[14:15]
.LBB1_9333:
	s_or_saveexec_b64 s[6:7], s[6:7]
	v_mov_b32_e32 v4, s10
	s_xor_b64 exec, exec, s[6:7]
	s_cbranch_execz .LBB1_9334
; %bb.45175:
	s_getpc_b64 s[14:15]
.Lpost_getpc8251:
	s_add_u32 s14, s14, (.LBB1_23672-.Lpost_getpc8251)&4294967295
	s_addc_u32 s15, s15, (.LBB1_23672-.Lpost_getpc8251)>>32
	s_setpc_b64 s[14:15]
.LBB1_9334:
	s_or_b64 exec, exec, s[6:7]
	s_and_saveexec_b64 s[6:7], s[4:5]
	s_cbranch_execz .LBB1_9336
.LBB1_9335:
	v_bfe_u32 v3, v5, 16, 3
	v_ffbh_u32_e32 v7, v3
	v_min_u32_e32 v7, 32, v7
	v_lshrrev_b32_e32 v4, 19, v5
	v_subrev_u32_e32 v8, 28, v7
	v_and_b32_e32 v4, 15, v4
	v_lshlrev_b32_sdwa v8, v8, v5 dst_sel:DWORD dst_unused:UNUSED_PAD src0_sel:DWORD src1_sel:WORD_1
	v_bfe_u32 v6, v5, 19, 4
	v_sub_u32_e32 v7, 29, v7
	v_and_b32_e32 v8, 7, v8
	v_cmp_eq_u16_e32 vcc, 0, v4
	v_cndmask_b32_e32 v3, v3, v8, vcc
	v_cndmask_b32_e32 v4, v6, v7, vcc
	v_lshlrev_b32_e32 v6, 8, v5
	v_mov_b32_e32 v7, 0x3b800000
	v_lshlrev_b32_e32 v3, 20, v3
	v_and_b32_e32 v6, 0x80000000, v6
	v_lshl_add_u32 v4, v4, 23, v7
	v_or3_b32 v4, v6, v4, v3
.LBB1_9336:
	s_or_b64 exec, exec, s[6:7]
	s_nop 0
	v_mfma_f32_16x16x4f32 a[0:3], v2, v4, a[0:3]
	s_movk_i32 s4, 0x7f
	v_cmp_gt_i16_sdwa s[6:7], v9, s4 src0_sel:BYTE_3 src1_sel:DWORD
	s_mov_b64 s[4:5], 0
                                        ; implicit-def: $sgpr10
	s_and_saveexec_b64 s[8:9], s[6:7]
	s_xor_b64 s[6:7], exec, s[8:9]
	s_cbranch_execz .LBB1_9337
; %bb.45177:
	s_getpc_b64 s[14:15]
.Lpost_getpc8252:
	s_add_u32 s14, s14, (.LBB1_23673-.Lpost_getpc8252)&4294967295
	s_addc_u32 s15, s15, (.LBB1_23673-.Lpost_getpc8252)>>32
	s_setpc_b64 s[14:15]
.LBB1_9337:
	s_or_saveexec_b64 s[6:7], s[6:7]
	v_mov_b32_e32 v2, s10
	s_xor_b64 exec, exec, s[6:7]
	s_cbranch_execz .LBB1_9338
; %bb.45179:
	s_getpc_b64 s[14:15]
.Lpost_getpc8253:
	s_add_u32 s14, s14, (.LBB1_23676-.Lpost_getpc8253)&4294967295
	s_addc_u32 s15, s15, (.LBB1_23676-.Lpost_getpc8253)>>32
	s_setpc_b64 s[14:15]
.LBB1_9338:
	s_or_b64 exec, exec, s[6:7]
	s_and_saveexec_b64 s[6:7], s[4:5]
	s_cbranch_execz .LBB1_9340
.LBB1_9339:
	v_bfe_u32 v2, v9, 24, 3
	v_ffbh_u32_e32 v7, v2
	v_min_u32_e32 v7, 32, v7
	v_lshrrev_b32_e32 v4, 27, v9
	v_subrev_u32_e32 v8, 28, v7
	v_and_b32_e32 v4, 15, v4
	v_lshlrev_b32_sdwa v8, v8, v9 dst_sel:DWORD dst_unused:UNUSED_PAD src0_sel:DWORD src1_sel:BYTE_3
	v_bfe_u32 v6, v9, 27, 4
	v_sub_u32_e32 v7, 29, v7
	v_and_b32_e32 v8, 7, v8
	v_cmp_eq_u16_e32 vcc, 0, v4
	v_cndmask_b32_e32 v2, v2, v8, vcc
	v_cndmask_b32_e32 v4, v6, v7, vcc
	v_mov_b32_e32 v6, 0x3b800000
	v_and_b32_e32 v3, 0x80000000, v9
	v_lshlrev_b32_e32 v2, 20, v2
	v_lshl_add_u32 v4, v4, 23, v6
	v_or3_b32 v2, v3, v4, v2
.LBB1_9340:
	s_or_b64 exec, exec, s[6:7]
	s_movk_i32 s4, 0x7f
	v_cmp_gt_i16_sdwa s[6:7], v5, s4 src0_sel:BYTE_3 src1_sel:DWORD
	s_mov_b64 s[4:5], 0
                                        ; implicit-def: $sgpr10
	s_and_saveexec_b64 s[8:9], s[6:7]
	s_xor_b64 s[6:7], exec, s[8:9]
	s_cbranch_execz .LBB1_9341
; %bb.45181:
	s_getpc_b64 s[14:15]
.Lpost_getpc8254:
	s_add_u32 s14, s14, (.LBB1_23677-.Lpost_getpc8254)&4294967295
	s_addc_u32 s15, s15, (.LBB1_23677-.Lpost_getpc8254)>>32
	s_setpc_b64 s[14:15]
.LBB1_9341:
	s_or_saveexec_b64 s[6:7], s[6:7]
	v_mov_b32_e32 v3, s10
	s_xor_b64 exec, exec, s[6:7]
	s_cbranch_execz .LBB1_9342
; %bb.45183:
	s_getpc_b64 s[14:15]
.Lpost_getpc8255:
	s_add_u32 s14, s14, (.LBB1_23680-.Lpost_getpc8255)&4294967295
	s_addc_u32 s15, s15, (.LBB1_23680-.Lpost_getpc8255)>>32
	s_setpc_b64 s[14:15]
.LBB1_9342:
	s_or_b64 exec, exec, s[6:7]
	s_and_saveexec_b64 s[6:7], s[4:5]
	s_cbranch_execz .LBB1_9344
.LBB1_9343:
	v_bfe_u32 v3, v5, 24, 3
	v_ffbh_u32_e32 v8, v3
	v_min_u32_e32 v8, 32, v8
	v_lshrrev_b32_e32 v6, 27, v5
	v_subrev_u32_e32 v9, 28, v8
	v_and_b32_e32 v4, 0x80000000, v5
	v_and_b32_e32 v6, 15, v6
	v_bfe_u32 v7, v5, 27, 4
	v_lshlrev_b32_sdwa v5, v9, v5 dst_sel:DWORD dst_unused:UNUSED_PAD src0_sel:DWORD src1_sel:BYTE_3
	v_sub_u32_e32 v8, 29, v8
	v_and_b32_e32 v5, 7, v5
	v_cmp_eq_u16_e32 vcc, 0, v6
	v_cndmask_b32_e32 v3, v3, v5, vcc
	v_cndmask_b32_e32 v5, v7, v8, vcc
	v_mov_b32_e32 v6, 0x3b800000
	v_lshlrev_b32_e32 v3, 20, v3
	v_lshl_add_u32 v5, v5, 23, v6
	v_or3_b32 v3, v4, v5, v3
.LBB1_9344:
	s_or_b64 exec, exec, s[6:7]
	s_nop 0
	v_mfma_f32_16x16x4f32 a[0:3], v2, v3, a[0:3]
	s_movk_i32 s4, 0x7f
                                        ; implicit-def: $sgpr10
	s_nop 7
	s_nop 1
	flat_store_dwordx4 v[10:11], a[0:3] offset:256
	flat_load_dwordx4 v[12:15], v[0:1]
	s_nop 0
	flat_load_dwordx2 v[10:11], v[0:1] offset:16
	s_waitcnt vmcnt(0) lgkmcnt(0)
	flat_load_dwordx4 v[6:9], v[12:13] offset:144
	flat_load_dwordx4 v[2:5], v[14:15] offset:144
	s_waitcnt vmcnt(0) lgkmcnt(0)
	v_cmp_gt_i16_sdwa s[6:7], v6, s4 src0_sel:BYTE_0 src1_sel:DWORD
	s_mov_b64 s[4:5], 0
	s_and_saveexec_b64 s[8:9], s[6:7]
	s_xor_b64 s[6:7], exec, s[8:9]
	s_cbranch_execz .LBB1_9345
; %bb.45185:
	s_getpc_b64 s[14:15]
.Lpost_getpc8256:
	s_add_u32 s14, s14, (.LBB1_23681-.Lpost_getpc8256)&4294967295
	s_addc_u32 s15, s15, (.LBB1_23681-.Lpost_getpc8256)>>32
	s_setpc_b64 s[14:15]
.LBB1_9345:
	s_or_saveexec_b64 s[6:7], s[6:7]
	v_mov_b32_e32 v12, s10
	s_xor_b64 exec, exec, s[6:7]
	s_cbranch_execz .LBB1_9346
; %bb.45187:
	s_getpc_b64 s[14:15]
.Lpost_getpc8257:
	s_add_u32 s14, s14, (.LBB1_23684-.Lpost_getpc8257)&4294967295
	s_addc_u32 s15, s15, (.LBB1_23684-.Lpost_getpc8257)>>32
	s_setpc_b64 s[14:15]
.LBB1_9346:
	s_or_b64 exec, exec, s[6:7]
	s_and_saveexec_b64 s[6:7], s[4:5]
	s_cbranch_execz .LBB1_9348
.LBB1_9347:
	v_and_b32_e32 v12, 7, v6
	v_ffbh_u32_e32 v14, v12
	v_min_u32_e32 v14, 32, v14
	v_lshrrev_b16_e32 v13, 3, v6
	v_subrev_u32_e32 v15, 28, v14
	v_and_b32_e32 v13, 15, v13
	v_lshlrev_b32_e32 v15, v15, v6
	v_sub_u32_e32 v14, 29, v14
	v_and_b32_e32 v15, 7, v15
	v_cmp_eq_u16_e32 vcc, 0, v13
	v_cndmask_b32_e32 v12, v12, v15, vcc
	v_cndmask_b32_e32 v13, v13, v14, vcc
	v_lshlrev_b32_e32 v14, 24, v6
	v_mov_b32_e32 v15, 0x3b800000
	v_lshlrev_b32_e32 v12, 20, v12
	v_and_b32_e32 v14, 0x80000000, v14
	v_lshl_add_u32 v13, v13, 23, v15
	v_or3_b32 v12, v14, v13, v12
.LBB1_9348:
	s_or_b64 exec, exec, s[6:7]
	s_movk_i32 s4, 0x7f
	v_cmp_gt_i16_sdwa s[6:7], v2, s4 src0_sel:BYTE_0 src1_sel:DWORD
	s_mov_b64 s[4:5], 0
                                        ; implicit-def: $sgpr10
	s_and_saveexec_b64 s[8:9], s[6:7]
	s_xor_b64 s[6:7], exec, s[8:9]
	s_cbranch_execz .LBB1_9349
; %bb.45189:
	s_getpc_b64 s[14:15]
.Lpost_getpc8258:
	s_add_u32 s14, s14, (.LBB1_23685-.Lpost_getpc8258)&4294967295
	s_addc_u32 s15, s15, (.LBB1_23685-.Lpost_getpc8258)>>32
	s_setpc_b64 s[14:15]
.LBB1_9349:
	s_or_saveexec_b64 s[6:7], s[6:7]
	v_mov_b32_e32 v13, s10
	s_xor_b64 exec, exec, s[6:7]
	s_cbranch_execz .LBB1_9350
; %bb.45191:
	s_getpc_b64 s[14:15]
.Lpost_getpc8259:
	s_add_u32 s14, s14, (.LBB1_23688-.Lpost_getpc8259)&4294967295
	s_addc_u32 s15, s15, (.LBB1_23688-.Lpost_getpc8259)>>32
	s_setpc_b64 s[14:15]
.LBB1_9350:
	s_or_b64 exec, exec, s[6:7]
	s_and_saveexec_b64 s[6:7], s[4:5]
	s_cbranch_execz .LBB1_9352
.LBB1_9351:
	v_and_b32_e32 v13, 7, v2
	v_ffbh_u32_e32 v15, v13
	v_min_u32_e32 v15, 32, v15
	v_lshrrev_b16_e32 v14, 3, v2
	v_subrev_u32_e32 v16, 28, v15
	v_and_b32_e32 v14, 15, v14
	v_lshlrev_b32_e32 v16, v16, v2
	v_sub_u32_e32 v15, 29, v15
	v_and_b32_e32 v16, 7, v16
	v_cmp_eq_u16_e32 vcc, 0, v14
	v_cndmask_b32_e32 v13, v13, v16, vcc
	v_cndmask_b32_e32 v14, v14, v15, vcc
	v_lshlrev_b32_e32 v15, 24, v2
	v_mov_b32_e32 v16, 0x3b800000
	v_lshlrev_b32_e32 v13, 20, v13
	v_and_b32_e32 v15, 0x80000000, v15
	v_lshl_add_u32 v14, v14, 23, v16
	v_or3_b32 v13, v15, v14, v13
.LBB1_9352:
	s_or_b64 exec, exec, s[6:7]
	flat_load_dwordx4 a[0:3], v[10:11] offset:272
	s_movk_i32 s4, 0x7f
                                        ; implicit-def: $sgpr10
	s_waitcnt vmcnt(0) lgkmcnt(0)
	v_mfma_f32_16x16x4f32 a[0:3], v12, v13, a[0:3]
	v_lshrrev_b32_e32 v13, 8, v6
	v_cmp_gt_i16_sdwa s[6:7], v13, s4 src0_sel:BYTE_0 src1_sel:DWORD
	s_mov_b64 s[4:5], 0
	s_and_saveexec_b64 s[8:9], s[6:7]
	s_xor_b64 s[6:7], exec, s[8:9]
	s_cbranch_execz .LBB1_9353
; %bb.45193:
	s_getpc_b64 s[14:15]
.Lpost_getpc8260:
	s_add_u32 s14, s14, (.LBB1_23689-.Lpost_getpc8260)&4294967295
	s_addc_u32 s15, s15, (.LBB1_23689-.Lpost_getpc8260)>>32
	s_setpc_b64 s[14:15]
.LBB1_9353:
	s_or_saveexec_b64 s[6:7], s[6:7]
	v_mov_b32_e32 v12, s10
	s_xor_b64 exec, exec, s[6:7]
	s_cbranch_execz .LBB1_9354
; %bb.45195:
	s_getpc_b64 s[14:15]
.Lpost_getpc8261:
	s_add_u32 s14, s14, (.LBB1_23692-.Lpost_getpc8261)&4294967295
	s_addc_u32 s15, s15, (.LBB1_23692-.Lpost_getpc8261)>>32
	s_setpc_b64 s[14:15]
.LBB1_9354:
	s_or_b64 exec, exec, s[6:7]
	s_and_saveexec_b64 s[6:7], s[4:5]
	s_cbranch_execz .LBB1_9356
.LBB1_9355:
	v_bfe_u32 v12, v6, 8, 3
	v_ffbh_u32_e32 v15, v12
	v_min_u32_e32 v15, 32, v15
	v_lshrrev_b16_e32 v14, 3, v13
	v_subrev_u32_e32 v16, 28, v15
	v_and_b32_e32 v14, 15, v14
	v_lshlrev_b32_e32 v13, v16, v13
	v_sub_u32_e32 v15, 29, v15
	v_and_b32_e32 v13, 7, v13
	v_cmp_eq_u16_e32 vcc, 0, v14
	v_cndmask_b32_e32 v12, v12, v13, vcc
	v_cndmask_b32_e32 v13, v14, v15, vcc
	v_lshlrev_b32_e32 v14, 16, v6
	v_mov_b32_e32 v15, 0x3b800000
	v_lshlrev_b32_e32 v12, 20, v12
	v_and_b32_e32 v14, 0x80000000, v14
	v_lshl_add_u32 v13, v13, 23, v15
	v_or3_b32 v12, v14, v13, v12
.LBB1_9356:
	s_or_b64 exec, exec, s[6:7]
	v_lshrrev_b32_e32 v13, 8, v2
	s_movk_i32 s4, 0x7f
	v_cmp_gt_i16_sdwa s[6:7], v13, s4 src0_sel:BYTE_0 src1_sel:DWORD
	s_mov_b64 s[4:5], 0
                                        ; implicit-def: $sgpr10
	s_and_saveexec_b64 s[8:9], s[6:7]
	s_xor_b64 s[6:7], exec, s[8:9]
	s_cbranch_execz .LBB1_9357
; %bb.45197:
	s_getpc_b64 s[14:15]
.Lpost_getpc8262:
	s_add_u32 s14, s14, (.LBB1_23693-.Lpost_getpc8262)&4294967295
	s_addc_u32 s15, s15, (.LBB1_23693-.Lpost_getpc8262)>>32
	s_setpc_b64 s[14:15]
.LBB1_9357:
	s_or_saveexec_b64 s[6:7], s[6:7]
	v_mov_b32_e32 v14, s10
	s_xor_b64 exec, exec, s[6:7]
	s_cbranch_execz .LBB1_9358
; %bb.45199:
	s_getpc_b64 s[14:15]
.Lpost_getpc8263:
	s_add_u32 s14, s14, (.LBB1_23696-.Lpost_getpc8263)&4294967295
	s_addc_u32 s15, s15, (.LBB1_23696-.Lpost_getpc8263)>>32
	s_setpc_b64 s[14:15]
.LBB1_9358:
	s_or_b64 exec, exec, s[6:7]
	s_and_saveexec_b64 s[6:7], s[4:5]
	s_cbranch_execz .LBB1_9360
.LBB1_9359:
	v_bfe_u32 v14, v2, 8, 3
	v_ffbh_u32_e32 v16, v14
	v_min_u32_e32 v16, 32, v16
	v_lshrrev_b16_e32 v15, 3, v13
	v_subrev_u32_e32 v17, 28, v16
	v_and_b32_e32 v15, 15, v15
	v_lshlrev_b32_e32 v13, v17, v13
	v_sub_u32_e32 v16, 29, v16
	v_and_b32_e32 v13, 7, v13
	v_cmp_eq_u16_e32 vcc, 0, v15
	v_cndmask_b32_e32 v13, v14, v13, vcc
	v_cndmask_b32_e32 v14, v15, v16, vcc
	v_lshlrev_b32_e32 v15, 16, v2
	v_mov_b32_e32 v16, 0x3b800000
	v_lshlrev_b32_e32 v13, 20, v13
	v_and_b32_e32 v15, 0x80000000, v15
	v_lshl_add_u32 v14, v14, 23, v16
	v_or3_b32 v14, v15, v14, v13
.LBB1_9360:
	s_or_b64 exec, exec, s[6:7]
	s_nop 0
	v_mfma_f32_16x16x4f32 a[0:3], v12, v14, a[0:3]
	s_movk_i32 s4, 0xff
	v_and_b32_sdwa v13, v6, s4 dst_sel:DWORD dst_unused:UNUSED_PAD src0_sel:WORD_1 src1_sel:DWORD
	s_movk_i32 s4, 0x7f
	v_cmp_lt_i16_e32 vcc, s4, v13
	s_mov_b64 s[4:5], 0
                                        ; implicit-def: $sgpr10
	s_and_saveexec_b64 s[6:7], vcc
	s_xor_b64 s[6:7], exec, s[6:7]
	s_cbranch_execz .LBB1_9361
; %bb.45201:
	s_getpc_b64 s[14:15]
.Lpost_getpc8264:
	s_add_u32 s14, s14, (.LBB1_23697-.Lpost_getpc8264)&4294967295
	s_addc_u32 s15, s15, (.LBB1_23697-.Lpost_getpc8264)>>32
	s_setpc_b64 s[14:15]
.LBB1_9361:
	s_or_saveexec_b64 s[6:7], s[6:7]
	v_mov_b32_e32 v12, s10
	s_xor_b64 exec, exec, s[6:7]
	s_cbranch_execz .LBB1_9362
; %bb.45203:
	s_getpc_b64 s[14:15]
.Lpost_getpc8265:
	s_add_u32 s14, s14, (.LBB1_23700-.Lpost_getpc8265)&4294967295
	s_addc_u32 s15, s15, (.LBB1_23700-.Lpost_getpc8265)>>32
	s_setpc_b64 s[14:15]
.LBB1_9362:
	s_or_b64 exec, exec, s[6:7]
	s_and_saveexec_b64 s[6:7], s[4:5]
	s_cbranch_execz .LBB1_9364
.LBB1_9363:
	v_bfe_u32 v12, v6, 16, 3
	v_ffbh_u32_e32 v15, v12
	v_min_u32_e32 v15, 32, v15
	v_lshrrev_b32_e32 v13, 19, v6
	v_subrev_u32_e32 v16, 28, v15
	v_and_b32_e32 v13, 15, v13
	v_lshlrev_b32_sdwa v16, v16, v6 dst_sel:DWORD dst_unused:UNUSED_PAD src0_sel:DWORD src1_sel:WORD_1
	v_bfe_u32 v14, v6, 19, 4
	v_sub_u32_e32 v15, 29, v15
	v_and_b32_e32 v16, 7, v16
	v_cmp_eq_u16_e32 vcc, 0, v13
	v_cndmask_b32_e32 v12, v12, v16, vcc
	v_cndmask_b32_e32 v13, v14, v15, vcc
	v_lshlrev_b32_e32 v14, 8, v6
	v_mov_b32_e32 v15, 0x3b800000
	v_lshlrev_b32_e32 v12, 20, v12
	v_and_b32_e32 v14, 0x80000000, v14
	v_lshl_add_u32 v13, v13, 23, v15
	v_or3_b32 v12, v14, v13, v12
.LBB1_9364:
	s_or_b64 exec, exec, s[6:7]
	s_movk_i32 s4, 0xff
	v_and_b32_sdwa v13, v2, s4 dst_sel:DWORD dst_unused:UNUSED_PAD src0_sel:WORD_1 src1_sel:DWORD
	s_movk_i32 s4, 0x7f
	v_cmp_lt_i16_e32 vcc, s4, v13
	s_mov_b64 s[4:5], 0
                                        ; implicit-def: $sgpr10
	s_and_saveexec_b64 s[6:7], vcc
	s_xor_b64 s[6:7], exec, s[6:7]
	s_cbranch_execz .LBB1_9365
; %bb.45205:
	s_getpc_b64 s[14:15]
.Lpost_getpc8266:
	s_add_u32 s14, s14, (.LBB1_23701-.Lpost_getpc8266)&4294967295
	s_addc_u32 s15, s15, (.LBB1_23701-.Lpost_getpc8266)>>32
	s_setpc_b64 s[14:15]
.LBB1_9365:
	s_or_saveexec_b64 s[6:7], s[6:7]
	v_mov_b32_e32 v14, s10
	s_xor_b64 exec, exec, s[6:7]
	s_cbranch_execz .LBB1_9366
; %bb.45207:
	s_getpc_b64 s[14:15]
.Lpost_getpc8267:
	s_add_u32 s14, s14, (.LBB1_23704-.Lpost_getpc8267)&4294967295
	s_addc_u32 s15, s15, (.LBB1_23704-.Lpost_getpc8267)>>32
	s_setpc_b64 s[14:15]
.LBB1_9366:
	s_or_b64 exec, exec, s[6:7]
	s_and_saveexec_b64 s[6:7], s[4:5]
	s_cbranch_execz .LBB1_9368
.LBB1_9367:
	v_bfe_u32 v13, v2, 16, 3
	v_ffbh_u32_e32 v16, v13
	v_min_u32_e32 v16, 32, v16
	v_lshrrev_b32_e32 v14, 19, v2
	v_subrev_u32_e32 v17, 28, v16
	v_and_b32_e32 v14, 15, v14
	v_lshlrev_b32_sdwa v17, v17, v2 dst_sel:DWORD dst_unused:UNUSED_PAD src0_sel:DWORD src1_sel:WORD_1
	v_bfe_u32 v15, v2, 19, 4
	v_sub_u32_e32 v16, 29, v16
	v_and_b32_e32 v17, 7, v17
	v_cmp_eq_u16_e32 vcc, 0, v14
	v_cndmask_b32_e32 v13, v13, v17, vcc
	v_cndmask_b32_e32 v14, v15, v16, vcc
	v_lshlrev_b32_e32 v15, 8, v2
	v_mov_b32_e32 v16, 0x3b800000
	v_lshlrev_b32_e32 v13, 20, v13
	v_and_b32_e32 v15, 0x80000000, v15
	v_lshl_add_u32 v14, v14, 23, v16
	v_or3_b32 v14, v15, v14, v13
.LBB1_9368:
	s_or_b64 exec, exec, s[6:7]
	s_nop 0
	v_mfma_f32_16x16x4f32 a[0:3], v12, v14, a[0:3]
	s_movk_i32 s4, 0x7f
	v_cmp_gt_i16_sdwa s[6:7], v6, s4 src0_sel:BYTE_3 src1_sel:DWORD
	s_mov_b64 s[4:5], 0
                                        ; implicit-def: $sgpr10
	s_and_saveexec_b64 s[8:9], s[6:7]
	s_xor_b64 s[6:7], exec, s[8:9]
	s_cbranch_execz .LBB1_9369
; %bb.45209:
	s_getpc_b64 s[14:15]
.Lpost_getpc8268:
	s_add_u32 s14, s14, (.LBB1_23705-.Lpost_getpc8268)&4294967295
	s_addc_u32 s15, s15, (.LBB1_23705-.Lpost_getpc8268)>>32
	s_setpc_b64 s[14:15]
.LBB1_9369:
	s_or_saveexec_b64 s[6:7], s[6:7]
	v_mov_b32_e32 v12, s10
	s_xor_b64 exec, exec, s[6:7]
	s_cbranch_execz .LBB1_9370
; %bb.45211:
	s_getpc_b64 s[14:15]
.Lpost_getpc8269:
	s_add_u32 s14, s14, (.LBB1_23708-.Lpost_getpc8269)&4294967295
	s_addc_u32 s15, s15, (.LBB1_23708-.Lpost_getpc8269)>>32
	s_setpc_b64 s[14:15]
.LBB1_9370:
	s_or_b64 exec, exec, s[6:7]
	s_and_saveexec_b64 s[6:7], s[4:5]
	s_cbranch_execz .LBB1_9372
.LBB1_9371:
	v_bfe_u32 v12, v6, 24, 3
	v_ffbh_u32_e32 v16, v12
	v_min_u32_e32 v16, 32, v16
	v_lshrrev_b32_e32 v14, 27, v6
	v_subrev_u32_e32 v17, 28, v16
	v_and_b32_e32 v13, 0x80000000, v6
	v_and_b32_e32 v14, 15, v14
	v_bfe_u32 v15, v6, 27, 4
	v_lshlrev_b32_sdwa v6, v17, v6 dst_sel:DWORD dst_unused:UNUSED_PAD src0_sel:DWORD src1_sel:BYTE_3
	v_sub_u32_e32 v16, 29, v16
	v_and_b32_e32 v6, 7, v6
	v_cmp_eq_u16_e32 vcc, 0, v14
	v_cndmask_b32_e32 v6, v12, v6, vcc
	v_cndmask_b32_e32 v12, v15, v16, vcc
	v_mov_b32_e32 v14, 0x3b800000
	v_lshlrev_b32_e32 v6, 20, v6
	v_lshl_add_u32 v12, v12, 23, v14
	v_or3_b32 v12, v13, v12, v6
.LBB1_9372:
	s_or_b64 exec, exec, s[6:7]
	s_movk_i32 s4, 0x7f
	v_cmp_gt_i16_sdwa s[6:7], v2, s4 src0_sel:BYTE_3 src1_sel:DWORD
	s_mov_b64 s[4:5], 0
                                        ; implicit-def: $sgpr10
	s_and_saveexec_b64 s[8:9], s[6:7]
	s_xor_b64 s[6:7], exec, s[8:9]
	s_cbranch_execz .LBB1_9373
; %bb.45213:
	s_getpc_b64 s[14:15]
.Lpost_getpc8270:
	s_add_u32 s14, s14, (.LBB1_23709-.Lpost_getpc8270)&4294967295
	s_addc_u32 s15, s15, (.LBB1_23709-.Lpost_getpc8270)>>32
	s_setpc_b64 s[14:15]
.LBB1_9373:
	s_or_saveexec_b64 s[6:7], s[6:7]
	v_mov_b32_e32 v6, s10
	s_xor_b64 exec, exec, s[6:7]
	s_cbranch_execz .LBB1_9374
; %bb.45215:
	s_getpc_b64 s[14:15]
.Lpost_getpc8271:
	s_add_u32 s14, s14, (.LBB1_23712-.Lpost_getpc8271)&4294967295
	s_addc_u32 s15, s15, (.LBB1_23712-.Lpost_getpc8271)>>32
	s_setpc_b64 s[14:15]
.LBB1_9374:
	s_or_b64 exec, exec, s[6:7]
	s_and_saveexec_b64 s[6:7], s[4:5]
	s_cbranch_execz .LBB1_9376
.LBB1_9375:
	v_bfe_u32 v6, v2, 24, 3
	v_ffbh_u32_e32 v16, v6
	v_min_u32_e32 v16, 32, v16
	v_lshrrev_b32_e32 v14, 27, v2
	v_subrev_u32_e32 v17, 28, v16
	v_and_b32_e32 v13, 0x80000000, v2
	v_and_b32_e32 v14, 15, v14
	v_bfe_u32 v15, v2, 27, 4
	v_lshlrev_b32_sdwa v2, v17, v2 dst_sel:DWORD dst_unused:UNUSED_PAD src0_sel:DWORD src1_sel:BYTE_3
	v_sub_u32_e32 v16, 29, v16
	v_and_b32_e32 v2, 7, v2
	v_cmp_eq_u16_e32 vcc, 0, v14
	v_cndmask_b32_e32 v2, v6, v2, vcc
	v_cndmask_b32_e32 v6, v15, v16, vcc
	v_mov_b32_e32 v14, 0x3b800000
	v_lshlrev_b32_e32 v2, 20, v2
	v_lshl_add_u32 v6, v6, 23, v14
	v_or3_b32 v6, v13, v6, v2
.LBB1_9376:
	s_or_b64 exec, exec, s[6:7]
	s_nop 0
	v_mfma_f32_16x16x4f32 a[0:3], v12, v6, a[0:3]
	s_movk_i32 s4, 0x7f
	v_cmp_gt_i16_sdwa s[6:7], v7, s4 src0_sel:BYTE_0 src1_sel:DWORD
	s_mov_b64 s[4:5], 0
                                        ; implicit-def: $sgpr10
	s_and_saveexec_b64 s[8:9], s[6:7]
	s_xor_b64 s[6:7], exec, s[8:9]
	s_cbranch_execz .LBB1_9377
; %bb.45217:
	s_getpc_b64 s[14:15]
.Lpost_getpc8272:
	s_add_u32 s14, s14, (.LBB1_23713-.Lpost_getpc8272)&4294967295
	s_addc_u32 s15, s15, (.LBB1_23713-.Lpost_getpc8272)>>32
	s_setpc_b64 s[14:15]
.LBB1_9377:
	s_or_saveexec_b64 s[6:7], s[6:7]
	v_mov_b32_e32 v2, s10
	s_xor_b64 exec, exec, s[6:7]
	s_cbranch_execz .LBB1_9378
; %bb.45219:
	s_getpc_b64 s[14:15]
.Lpost_getpc8273:
	s_add_u32 s14, s14, (.LBB1_23716-.Lpost_getpc8273)&4294967295
	s_addc_u32 s15, s15, (.LBB1_23716-.Lpost_getpc8273)>>32
	s_setpc_b64 s[14:15]
.LBB1_9378:
	s_or_b64 exec, exec, s[6:7]
	s_and_saveexec_b64 s[6:7], s[4:5]
	s_cbranch_execz .LBB1_9380
.LBB1_9379:
	v_and_b32_e32 v2, 7, v7
	v_ffbh_u32_e32 v12, v2
	v_min_u32_e32 v12, 32, v12
	v_lshrrev_b16_e32 v6, 3, v7
	v_subrev_u32_e32 v13, 28, v12
	v_and_b32_e32 v6, 15, v6
	v_lshlrev_b32_e32 v13, v13, v7
	v_sub_u32_e32 v12, 29, v12
	v_and_b32_e32 v13, 7, v13
	v_cmp_eq_u16_e32 vcc, 0, v6
	v_cndmask_b32_e32 v2, v2, v13, vcc
	v_cndmask_b32_e32 v6, v6, v12, vcc
	v_lshlrev_b32_e32 v12, 24, v7
	v_mov_b32_e32 v13, 0x3b800000
	v_lshlrev_b32_e32 v2, 20, v2
	v_and_b32_e32 v12, 0x80000000, v12
	v_lshl_add_u32 v6, v6, 23, v13
	v_or3_b32 v2, v12, v6, v2
.LBB1_9380:
	s_or_b64 exec, exec, s[6:7]
	s_movk_i32 s4, 0x7f
	v_cmp_gt_i16_sdwa s[6:7], v3, s4 src0_sel:BYTE_0 src1_sel:DWORD
	s_mov_b64 s[4:5], 0
                                        ; implicit-def: $sgpr10
	s_and_saveexec_b64 s[8:9], s[6:7]
	s_xor_b64 s[6:7], exec, s[8:9]
	s_cbranch_execz .LBB1_9381
; %bb.45221:
	s_getpc_b64 s[14:15]
.Lpost_getpc8274:
	s_add_u32 s14, s14, (.LBB1_23717-.Lpost_getpc8274)&4294967295
	s_addc_u32 s15, s15, (.LBB1_23717-.Lpost_getpc8274)>>32
	s_setpc_b64 s[14:15]
.LBB1_9381:
	s_or_saveexec_b64 s[6:7], s[6:7]
	v_mov_b32_e32 v6, s10
	s_xor_b64 exec, exec, s[6:7]
	s_cbranch_execz .LBB1_9382
; %bb.45223:
	s_getpc_b64 s[14:15]
.Lpost_getpc8275:
	s_add_u32 s14, s14, (.LBB1_23720-.Lpost_getpc8275)&4294967295
	s_addc_u32 s15, s15, (.LBB1_23720-.Lpost_getpc8275)>>32
	s_setpc_b64 s[14:15]
.LBB1_9382:
	s_or_b64 exec, exec, s[6:7]
	s_and_saveexec_b64 s[6:7], s[4:5]
	s_cbranch_execz .LBB1_9384
.LBB1_9383:
	v_and_b32_e32 v6, 7, v3
	v_ffbh_u32_e32 v13, v6
	v_min_u32_e32 v13, 32, v13
	v_lshrrev_b16_e32 v12, 3, v3
	v_subrev_u32_e32 v14, 28, v13
	v_and_b32_e32 v12, 15, v12
	v_lshlrev_b32_e32 v14, v14, v3
	v_sub_u32_e32 v13, 29, v13
	v_and_b32_e32 v14, 7, v14
	v_cmp_eq_u16_e32 vcc, 0, v12
	v_cndmask_b32_e32 v6, v6, v14, vcc
	v_cndmask_b32_e32 v12, v12, v13, vcc
	v_lshlrev_b32_e32 v13, 24, v3
	v_mov_b32_e32 v14, 0x3b800000
	v_lshlrev_b32_e32 v6, 20, v6
	v_and_b32_e32 v13, 0x80000000, v13
	v_lshl_add_u32 v12, v12, 23, v14
	v_or3_b32 v6, v13, v12, v6
.LBB1_9384:
	s_or_b64 exec, exec, s[6:7]
	s_nop 0
	v_mfma_f32_16x16x4f32 a[0:3], v2, v6, a[0:3]
	v_lshrrev_b32_e32 v6, 8, v7
	s_movk_i32 s4, 0x7f
	v_cmp_gt_i16_sdwa s[6:7], v6, s4 src0_sel:BYTE_0 src1_sel:DWORD
	s_mov_b64 s[4:5], 0
                                        ; implicit-def: $sgpr10
	s_and_saveexec_b64 s[8:9], s[6:7]
	s_xor_b64 s[6:7], exec, s[8:9]
	s_cbranch_execz .LBB1_9385
; %bb.45225:
	s_getpc_b64 s[14:15]
.Lpost_getpc8276:
	s_add_u32 s14, s14, (.LBB1_23721-.Lpost_getpc8276)&4294967295
	s_addc_u32 s15, s15, (.LBB1_23721-.Lpost_getpc8276)>>32
	s_setpc_b64 s[14:15]
.LBB1_9385:
	s_or_saveexec_b64 s[6:7], s[6:7]
	v_mov_b32_e32 v2, s10
	s_xor_b64 exec, exec, s[6:7]
	s_cbranch_execz .LBB1_9386
; %bb.45227:
	s_getpc_b64 s[14:15]
.Lpost_getpc8277:
	s_add_u32 s14, s14, (.LBB1_23724-.Lpost_getpc8277)&4294967295
	s_addc_u32 s15, s15, (.LBB1_23724-.Lpost_getpc8277)>>32
	s_setpc_b64 s[14:15]
.LBB1_9386:
	s_or_b64 exec, exec, s[6:7]
	s_and_saveexec_b64 s[6:7], s[4:5]
	s_cbranch_execz .LBB1_9388
.LBB1_9387:
	v_bfe_u32 v2, v7, 8, 3
	v_ffbh_u32_e32 v13, v2
	v_min_u32_e32 v13, 32, v13
	v_lshrrev_b16_e32 v12, 3, v6
	v_subrev_u32_e32 v14, 28, v13
	v_and_b32_e32 v12, 15, v12
	v_lshlrev_b32_e32 v6, v14, v6
	v_sub_u32_e32 v13, 29, v13
	v_and_b32_e32 v6, 7, v6
	v_cmp_eq_u16_e32 vcc, 0, v12
	v_cndmask_b32_e32 v2, v2, v6, vcc
	v_cndmask_b32_e32 v6, v12, v13, vcc
	v_lshlrev_b32_e32 v12, 16, v7
	v_mov_b32_e32 v13, 0x3b800000
	v_lshlrev_b32_e32 v2, 20, v2
	v_and_b32_e32 v12, 0x80000000, v12
	v_lshl_add_u32 v6, v6, 23, v13
	v_or3_b32 v2, v12, v6, v2
.LBB1_9388:
	s_or_b64 exec, exec, s[6:7]
	v_lshrrev_b32_e32 v6, 8, v3
	s_movk_i32 s4, 0x7f
	v_cmp_gt_i16_sdwa s[6:7], v6, s4 src0_sel:BYTE_0 src1_sel:DWORD
	s_mov_b64 s[4:5], 0
                                        ; implicit-def: $sgpr10
	s_and_saveexec_b64 s[8:9], s[6:7]
	s_xor_b64 s[6:7], exec, s[8:9]
	s_cbranch_execz .LBB1_9389
; %bb.45229:
	s_getpc_b64 s[14:15]
.Lpost_getpc8278:
	s_add_u32 s14, s14, (.LBB1_23725-.Lpost_getpc8278)&4294967295
	s_addc_u32 s15, s15, (.LBB1_23725-.Lpost_getpc8278)>>32
	s_setpc_b64 s[14:15]
.LBB1_9389:
	s_or_saveexec_b64 s[6:7], s[6:7]
	v_mov_b32_e32 v12, s10
	s_xor_b64 exec, exec, s[6:7]
	s_cbranch_execz .LBB1_9390
; %bb.45231:
	s_getpc_b64 s[14:15]
.Lpost_getpc8279:
	s_add_u32 s14, s14, (.LBB1_23728-.Lpost_getpc8279)&4294967295
	s_addc_u32 s15, s15, (.LBB1_23728-.Lpost_getpc8279)>>32
	s_setpc_b64 s[14:15]
.LBB1_9390:
	s_or_b64 exec, exec, s[6:7]
	s_and_saveexec_b64 s[6:7], s[4:5]
	s_cbranch_execz .LBB1_9392
.LBB1_9391:
	v_bfe_u32 v12, v3, 8, 3
	v_ffbh_u32_e32 v14, v12
	v_min_u32_e32 v14, 32, v14
	v_lshrrev_b16_e32 v13, 3, v6
	v_subrev_u32_e32 v15, 28, v14
	v_and_b32_e32 v13, 15, v13
	v_lshlrev_b32_e32 v6, v15, v6
	v_sub_u32_e32 v14, 29, v14
	v_and_b32_e32 v6, 7, v6
	v_cmp_eq_u16_e32 vcc, 0, v13
	v_cndmask_b32_e32 v6, v12, v6, vcc
	v_cndmask_b32_e32 v12, v13, v14, vcc
	v_lshlrev_b32_e32 v13, 16, v3
	v_mov_b32_e32 v14, 0x3b800000
	v_lshlrev_b32_e32 v6, 20, v6
	v_and_b32_e32 v13, 0x80000000, v13
	v_lshl_add_u32 v12, v12, 23, v14
	v_or3_b32 v12, v13, v12, v6
.LBB1_9392:
	s_or_b64 exec, exec, s[6:7]
	s_nop 0
	v_mfma_f32_16x16x4f32 a[0:3], v2, v12, a[0:3]
	s_movk_i32 s4, 0xff
	v_and_b32_sdwa v6, v7, s4 dst_sel:DWORD dst_unused:UNUSED_PAD src0_sel:WORD_1 src1_sel:DWORD
	s_movk_i32 s4, 0x7f
	v_cmp_lt_i16_e32 vcc, s4, v6
	s_mov_b64 s[4:5], 0
                                        ; implicit-def: $sgpr10
	s_and_saveexec_b64 s[6:7], vcc
	s_xor_b64 s[6:7], exec, s[6:7]
	s_cbranch_execz .LBB1_9393
; %bb.45233:
	s_getpc_b64 s[14:15]
.Lpost_getpc8280:
	s_add_u32 s14, s14, (.LBB1_23729-.Lpost_getpc8280)&4294967295
	s_addc_u32 s15, s15, (.LBB1_23729-.Lpost_getpc8280)>>32
	s_setpc_b64 s[14:15]
.LBB1_9393:
	s_or_saveexec_b64 s[6:7], s[6:7]
	v_mov_b32_e32 v2, s10
	s_xor_b64 exec, exec, s[6:7]
	s_cbranch_execz .LBB1_9394
; %bb.45235:
	s_getpc_b64 s[14:15]
.Lpost_getpc8281:
	s_add_u32 s14, s14, (.LBB1_23732-.Lpost_getpc8281)&4294967295
	s_addc_u32 s15, s15, (.LBB1_23732-.Lpost_getpc8281)>>32
	s_setpc_b64 s[14:15]
.LBB1_9394:
	s_or_b64 exec, exec, s[6:7]
	s_and_saveexec_b64 s[6:7], s[4:5]
	s_cbranch_execz .LBB1_9396
.LBB1_9395:
	v_bfe_u32 v2, v7, 16, 3
	v_ffbh_u32_e32 v13, v2
	v_min_u32_e32 v13, 32, v13
	v_lshrrev_b32_e32 v6, 19, v7
	v_subrev_u32_e32 v14, 28, v13
	v_and_b32_e32 v6, 15, v6
	v_lshlrev_b32_sdwa v14, v14, v7 dst_sel:DWORD dst_unused:UNUSED_PAD src0_sel:DWORD src1_sel:WORD_1
	v_bfe_u32 v12, v7, 19, 4
	v_sub_u32_e32 v13, 29, v13
	v_and_b32_e32 v14, 7, v14
	v_cmp_eq_u16_e32 vcc, 0, v6
	v_cndmask_b32_e32 v2, v2, v14, vcc
	v_cndmask_b32_e32 v6, v12, v13, vcc
	v_lshlrev_b32_e32 v12, 8, v7
	v_mov_b32_e32 v13, 0x3b800000
	v_lshlrev_b32_e32 v2, 20, v2
	v_and_b32_e32 v12, 0x80000000, v12
	v_lshl_add_u32 v6, v6, 23, v13
	v_or3_b32 v2, v12, v6, v2
.LBB1_9396:
	s_or_b64 exec, exec, s[6:7]
	s_movk_i32 s4, 0xff
	v_and_b32_sdwa v6, v3, s4 dst_sel:DWORD dst_unused:UNUSED_PAD src0_sel:WORD_1 src1_sel:DWORD
	s_movk_i32 s4, 0x7f
	v_cmp_lt_i16_e32 vcc, s4, v6
	s_mov_b64 s[4:5], 0
                                        ; implicit-def: $sgpr10
	s_and_saveexec_b64 s[6:7], vcc
	s_xor_b64 s[6:7], exec, s[6:7]
	s_cbranch_execz .LBB1_9397
; %bb.45237:
	s_getpc_b64 s[14:15]
.Lpost_getpc8282:
	s_add_u32 s14, s14, (.LBB1_23733-.Lpost_getpc8282)&4294967295
	s_addc_u32 s15, s15, (.LBB1_23733-.Lpost_getpc8282)>>32
	s_setpc_b64 s[14:15]
.LBB1_9397:
	s_or_saveexec_b64 s[6:7], s[6:7]
	v_mov_b32_e32 v12, s10
	s_xor_b64 exec, exec, s[6:7]
	s_cbranch_execz .LBB1_9398
; %bb.45239:
	s_getpc_b64 s[14:15]
.Lpost_getpc8283:
	s_add_u32 s14, s14, (.LBB1_23736-.Lpost_getpc8283)&4294967295
	s_addc_u32 s15, s15, (.LBB1_23736-.Lpost_getpc8283)>>32
	s_setpc_b64 s[14:15]
.LBB1_9398:
	s_or_b64 exec, exec, s[6:7]
	s_and_saveexec_b64 s[6:7], s[4:5]
	s_cbranch_execz .LBB1_9400
.LBB1_9399:
	v_bfe_u32 v6, v3, 16, 3
	v_ffbh_u32_e32 v14, v6
	v_min_u32_e32 v14, 32, v14
	v_lshrrev_b32_e32 v12, 19, v3
	v_subrev_u32_e32 v15, 28, v14
	v_and_b32_e32 v12, 15, v12
	v_lshlrev_b32_sdwa v15, v15, v3 dst_sel:DWORD dst_unused:UNUSED_PAD src0_sel:DWORD src1_sel:WORD_1
	v_bfe_u32 v13, v3, 19, 4
	v_sub_u32_e32 v14, 29, v14
	v_and_b32_e32 v15, 7, v15
	v_cmp_eq_u16_e32 vcc, 0, v12
	v_cndmask_b32_e32 v6, v6, v15, vcc
	v_cndmask_b32_e32 v12, v13, v14, vcc
	v_lshlrev_b32_e32 v13, 8, v3
	v_mov_b32_e32 v14, 0x3b800000
	v_lshlrev_b32_e32 v6, 20, v6
	v_and_b32_e32 v13, 0x80000000, v13
	v_lshl_add_u32 v12, v12, 23, v14
	v_or3_b32 v12, v13, v12, v6
.LBB1_9400:
	s_or_b64 exec, exec, s[6:7]
	s_nop 0
	v_mfma_f32_16x16x4f32 a[0:3], v2, v12, a[0:3]
	s_movk_i32 s4, 0x7f
	v_cmp_gt_i16_sdwa s[6:7], v7, s4 src0_sel:BYTE_3 src1_sel:DWORD
	s_mov_b64 s[4:5], 0
                                        ; implicit-def: $sgpr10
	s_and_saveexec_b64 s[8:9], s[6:7]
	s_xor_b64 s[6:7], exec, s[8:9]
	s_cbranch_execz .LBB1_9401
; %bb.45241:
	s_getpc_b64 s[14:15]
.Lpost_getpc8284:
	s_add_u32 s14, s14, (.LBB1_23737-.Lpost_getpc8284)&4294967295
	s_addc_u32 s15, s15, (.LBB1_23737-.Lpost_getpc8284)>>32
	s_setpc_b64 s[14:15]
.LBB1_9401:
	s_or_saveexec_b64 s[6:7], s[6:7]
	v_mov_b32_e32 v2, s10
	s_xor_b64 exec, exec, s[6:7]
	s_cbranch_execz .LBB1_9402
; %bb.45243:
	s_getpc_b64 s[14:15]
.Lpost_getpc8285:
	s_add_u32 s14, s14, (.LBB1_23740-.Lpost_getpc8285)&4294967295
	s_addc_u32 s15, s15, (.LBB1_23740-.Lpost_getpc8285)>>32
	s_setpc_b64 s[14:15]
.LBB1_9402:
	s_or_b64 exec, exec, s[6:7]
	s_and_saveexec_b64 s[6:7], s[4:5]
	s_cbranch_execz .LBB1_9404
.LBB1_9403:
	v_bfe_u32 v2, v7, 24, 3
	v_ffbh_u32_e32 v14, v2
	v_min_u32_e32 v14, 32, v14
	v_lshrrev_b32_e32 v12, 27, v7
	v_subrev_u32_e32 v15, 28, v14
	v_and_b32_e32 v6, 0x80000000, v7
	v_and_b32_e32 v12, 15, v12
	v_bfe_u32 v13, v7, 27, 4
	v_lshlrev_b32_sdwa v7, v15, v7 dst_sel:DWORD dst_unused:UNUSED_PAD src0_sel:DWORD src1_sel:BYTE_3
	v_sub_u32_e32 v14, 29, v14
	v_and_b32_e32 v7, 7, v7
	v_cmp_eq_u16_e32 vcc, 0, v12
	v_cndmask_b32_e32 v2, v2, v7, vcc
	v_cndmask_b32_e32 v7, v13, v14, vcc
	v_mov_b32_e32 v12, 0x3b800000
	v_lshlrev_b32_e32 v2, 20, v2
	v_lshl_add_u32 v7, v7, 23, v12
	v_or3_b32 v2, v6, v7, v2
.LBB1_9404:
	s_or_b64 exec, exec, s[6:7]
	s_movk_i32 s4, 0x7f
	v_cmp_gt_i16_sdwa s[6:7], v3, s4 src0_sel:BYTE_3 src1_sel:DWORD
	s_mov_b64 s[4:5], 0
                                        ; implicit-def: $sgpr10
	s_and_saveexec_b64 s[8:9], s[6:7]
	s_xor_b64 s[6:7], exec, s[8:9]
	s_cbranch_execz .LBB1_9405
; %bb.45245:
	s_getpc_b64 s[14:15]
.Lpost_getpc8286:
	s_add_u32 s14, s14, (.LBB1_23741-.Lpost_getpc8286)&4294967295
	s_addc_u32 s15, s15, (.LBB1_23741-.Lpost_getpc8286)>>32
	s_setpc_b64 s[14:15]
.LBB1_9405:
	s_or_saveexec_b64 s[6:7], s[6:7]
	v_mov_b32_e32 v6, s10
	s_xor_b64 exec, exec, s[6:7]
	s_cbranch_execz .LBB1_9406
; %bb.45247:
	s_getpc_b64 s[14:15]
.Lpost_getpc8287:
	s_add_u32 s14, s14, (.LBB1_23744-.Lpost_getpc8287)&4294967295
	s_addc_u32 s15, s15, (.LBB1_23744-.Lpost_getpc8287)>>32
	s_setpc_b64 s[14:15]
.LBB1_9406:
	s_or_b64 exec, exec, s[6:7]
	s_and_saveexec_b64 s[6:7], s[4:5]
	s_cbranch_execz .LBB1_9408
.LBB1_9407:
	v_bfe_u32 v6, v3, 24, 3
	v_ffbh_u32_e32 v14, v6
	v_min_u32_e32 v14, 32, v14
	v_lshrrev_b32_e32 v12, 27, v3
	v_subrev_u32_e32 v15, 28, v14
	v_and_b32_e32 v7, 0x80000000, v3
	v_and_b32_e32 v12, 15, v12
	v_bfe_u32 v13, v3, 27, 4
	v_lshlrev_b32_sdwa v3, v15, v3 dst_sel:DWORD dst_unused:UNUSED_PAD src0_sel:DWORD src1_sel:BYTE_3
	v_sub_u32_e32 v14, 29, v14
	v_and_b32_e32 v3, 7, v3
	v_cmp_eq_u16_e32 vcc, 0, v12
	v_cndmask_b32_e32 v3, v6, v3, vcc
	v_cndmask_b32_e32 v6, v13, v14, vcc
	v_mov_b32_e32 v12, 0x3b800000
	v_lshlrev_b32_e32 v3, 20, v3
	v_lshl_add_u32 v6, v6, 23, v12
	v_or3_b32 v6, v7, v6, v3
.LBB1_9408:
	s_or_b64 exec, exec, s[6:7]
	s_nop 0
	v_mfma_f32_16x16x4f32 a[0:3], v2, v6, a[0:3]
	s_movk_i32 s4, 0x7f
	v_cmp_gt_i16_sdwa s[6:7], v8, s4 src0_sel:BYTE_0 src1_sel:DWORD
	s_mov_b64 s[4:5], 0
                                        ; implicit-def: $sgpr10
	s_and_saveexec_b64 s[8:9], s[6:7]
	s_xor_b64 s[6:7], exec, s[8:9]
	s_cbranch_execz .LBB1_9409
; %bb.45249:
	s_getpc_b64 s[14:15]
.Lpost_getpc8288:
	s_add_u32 s14, s14, (.LBB1_23745-.Lpost_getpc8288)&4294967295
	s_addc_u32 s15, s15, (.LBB1_23745-.Lpost_getpc8288)>>32
	s_setpc_b64 s[14:15]
.LBB1_9409:
	s_or_saveexec_b64 s[6:7], s[6:7]
	v_mov_b32_e32 v2, s10
	s_xor_b64 exec, exec, s[6:7]
	s_cbranch_execz .LBB1_9410
; %bb.45251:
	s_getpc_b64 s[14:15]
.Lpost_getpc8289:
	s_add_u32 s14, s14, (.LBB1_23748-.Lpost_getpc8289)&4294967295
	s_addc_u32 s15, s15, (.LBB1_23748-.Lpost_getpc8289)>>32
	s_setpc_b64 s[14:15]
.LBB1_9410:
	s_or_b64 exec, exec, s[6:7]
	s_and_saveexec_b64 s[6:7], s[4:5]
	s_cbranch_execz .LBB1_9412
.LBB1_9411:
	v_and_b32_e32 v2, 7, v8
	v_ffbh_u32_e32 v6, v2
	v_min_u32_e32 v6, 32, v6
	v_lshrrev_b16_e32 v3, 3, v8
	v_subrev_u32_e32 v7, 28, v6
	v_and_b32_e32 v3, 15, v3
	v_lshlrev_b32_e32 v7, v7, v8
	v_sub_u32_e32 v6, 29, v6
	v_and_b32_e32 v7, 7, v7
	v_cmp_eq_u16_e32 vcc, 0, v3
	v_cndmask_b32_e32 v2, v2, v7, vcc
	v_cndmask_b32_e32 v3, v3, v6, vcc
	v_lshlrev_b32_e32 v6, 24, v8
	v_mov_b32_e32 v7, 0x3b800000
	v_lshlrev_b32_e32 v2, 20, v2
	v_and_b32_e32 v6, 0x80000000, v6
	v_lshl_add_u32 v3, v3, 23, v7
	v_or3_b32 v2, v6, v3, v2
.LBB1_9412:
	s_or_b64 exec, exec, s[6:7]
	s_movk_i32 s4, 0x7f
	v_cmp_gt_i16_sdwa s[6:7], v4, s4 src0_sel:BYTE_0 src1_sel:DWORD
	s_mov_b64 s[4:5], 0
                                        ; implicit-def: $sgpr10
	s_and_saveexec_b64 s[8:9], s[6:7]
	s_xor_b64 s[6:7], exec, s[8:9]
	s_cbranch_execz .LBB1_9413
; %bb.45253:
	s_getpc_b64 s[14:15]
.Lpost_getpc8290:
	s_add_u32 s14, s14, (.LBB1_23749-.Lpost_getpc8290)&4294967295
	s_addc_u32 s15, s15, (.LBB1_23749-.Lpost_getpc8290)>>32
	s_setpc_b64 s[14:15]
.LBB1_9413:
	s_or_saveexec_b64 s[6:7], s[6:7]
	v_mov_b32_e32 v3, s10
	s_xor_b64 exec, exec, s[6:7]
	s_cbranch_execz .LBB1_9414
; %bb.45255:
	s_getpc_b64 s[14:15]
.Lpost_getpc8291:
	s_add_u32 s14, s14, (.LBB1_23752-.Lpost_getpc8291)&4294967295
	s_addc_u32 s15, s15, (.LBB1_23752-.Lpost_getpc8291)>>32
	s_setpc_b64 s[14:15]
.LBB1_9414:
	s_or_b64 exec, exec, s[6:7]
	s_and_saveexec_b64 s[6:7], s[4:5]
	s_cbranch_execz .LBB1_9416
.LBB1_9415:
	v_and_b32_e32 v3, 7, v4
	v_ffbh_u32_e32 v7, v3
	v_min_u32_e32 v7, 32, v7
	v_lshrrev_b16_e32 v6, 3, v4
	v_subrev_u32_e32 v12, 28, v7
	v_and_b32_e32 v6, 15, v6
	v_lshlrev_b32_e32 v12, v12, v4
	v_sub_u32_e32 v7, 29, v7
	v_and_b32_e32 v12, 7, v12
	v_cmp_eq_u16_e32 vcc, 0, v6
	v_cndmask_b32_e32 v3, v3, v12, vcc
	v_cndmask_b32_e32 v6, v6, v7, vcc
	v_lshlrev_b32_e32 v7, 24, v4
	v_mov_b32_e32 v12, 0x3b800000
	v_lshlrev_b32_e32 v3, 20, v3
	v_and_b32_e32 v7, 0x80000000, v7
	v_lshl_add_u32 v6, v6, 23, v12
	v_or3_b32 v3, v7, v6, v3
.LBB1_9416:
	s_or_b64 exec, exec, s[6:7]
	s_nop 0
	v_mfma_f32_16x16x4f32 a[0:3], v2, v3, a[0:3]
	v_lshrrev_b32_e32 v3, 8, v8
	s_movk_i32 s4, 0x7f
	v_cmp_gt_i16_sdwa s[6:7], v3, s4 src0_sel:BYTE_0 src1_sel:DWORD
	s_mov_b64 s[4:5], 0
                                        ; implicit-def: $sgpr10
	s_and_saveexec_b64 s[8:9], s[6:7]
	s_xor_b64 s[6:7], exec, s[8:9]
	s_cbranch_execz .LBB1_9417
; %bb.45257:
	s_getpc_b64 s[14:15]
.Lpost_getpc8292:
	s_add_u32 s14, s14, (.LBB1_23753-.Lpost_getpc8292)&4294967295
	s_addc_u32 s15, s15, (.LBB1_23753-.Lpost_getpc8292)>>32
	s_setpc_b64 s[14:15]
.LBB1_9417:
	s_or_saveexec_b64 s[6:7], s[6:7]
	v_mov_b32_e32 v2, s10
	s_xor_b64 exec, exec, s[6:7]
	s_cbranch_execz .LBB1_9418
; %bb.45259:
	s_getpc_b64 s[14:15]
.Lpost_getpc8293:
	s_add_u32 s14, s14, (.LBB1_23756-.Lpost_getpc8293)&4294967295
	s_addc_u32 s15, s15, (.LBB1_23756-.Lpost_getpc8293)>>32
	s_setpc_b64 s[14:15]
.LBB1_9418:
	s_or_b64 exec, exec, s[6:7]
	s_and_saveexec_b64 s[6:7], s[4:5]
	s_cbranch_execz .LBB1_9420
.LBB1_9419:
	v_bfe_u32 v2, v8, 8, 3
	v_ffbh_u32_e32 v7, v2
	v_min_u32_e32 v7, 32, v7
	v_lshrrev_b16_e32 v6, 3, v3
	v_subrev_u32_e32 v12, 28, v7
	v_and_b32_e32 v6, 15, v6
	v_lshlrev_b32_e32 v3, v12, v3
	v_sub_u32_e32 v7, 29, v7
	v_and_b32_e32 v3, 7, v3
	v_cmp_eq_u16_e32 vcc, 0, v6
	v_cndmask_b32_e32 v2, v2, v3, vcc
	v_cndmask_b32_e32 v3, v6, v7, vcc
	v_lshlrev_b32_e32 v6, 16, v8
	v_mov_b32_e32 v7, 0x3b800000
	v_lshlrev_b32_e32 v2, 20, v2
	v_and_b32_e32 v6, 0x80000000, v6
	v_lshl_add_u32 v3, v3, 23, v7
	v_or3_b32 v2, v6, v3, v2
.LBB1_9420:
	s_or_b64 exec, exec, s[6:7]
	v_lshrrev_b32_e32 v3, 8, v4
	s_movk_i32 s4, 0x7f
	v_cmp_gt_i16_sdwa s[6:7], v3, s4 src0_sel:BYTE_0 src1_sel:DWORD
	s_mov_b64 s[4:5], 0
                                        ; implicit-def: $sgpr10
	s_and_saveexec_b64 s[8:9], s[6:7]
	s_xor_b64 s[6:7], exec, s[8:9]
	s_cbranch_execz .LBB1_9421
; %bb.45261:
	s_getpc_b64 s[14:15]
.Lpost_getpc8294:
	s_add_u32 s14, s14, (.LBB1_23757-.Lpost_getpc8294)&4294967295
	s_addc_u32 s15, s15, (.LBB1_23757-.Lpost_getpc8294)>>32
	s_setpc_b64 s[14:15]
.LBB1_9421:
	s_or_saveexec_b64 s[6:7], s[6:7]
	v_mov_b32_e32 v6, s10
	s_xor_b64 exec, exec, s[6:7]
	s_cbranch_execz .LBB1_9422
; %bb.45263:
	s_getpc_b64 s[14:15]
.Lpost_getpc8295:
	s_add_u32 s14, s14, (.LBB1_23760-.Lpost_getpc8295)&4294967295
	s_addc_u32 s15, s15, (.LBB1_23760-.Lpost_getpc8295)>>32
	s_setpc_b64 s[14:15]
.LBB1_9422:
	s_or_b64 exec, exec, s[6:7]
	s_and_saveexec_b64 s[6:7], s[4:5]
	s_cbranch_execz .LBB1_9424
.LBB1_9423:
	v_bfe_u32 v6, v4, 8, 3
	v_ffbh_u32_e32 v12, v6
	v_min_u32_e32 v12, 32, v12
	v_lshrrev_b16_e32 v7, 3, v3
	v_subrev_u32_e32 v13, 28, v12
	v_and_b32_e32 v7, 15, v7
	v_lshlrev_b32_e32 v3, v13, v3
	v_sub_u32_e32 v12, 29, v12
	v_and_b32_e32 v3, 7, v3
	v_cmp_eq_u16_e32 vcc, 0, v7
	v_cndmask_b32_e32 v3, v6, v3, vcc
	v_cndmask_b32_e32 v6, v7, v12, vcc
	v_lshlrev_b32_e32 v7, 16, v4
	v_mov_b32_e32 v12, 0x3b800000
	v_lshlrev_b32_e32 v3, 20, v3
	v_and_b32_e32 v7, 0x80000000, v7
	v_lshl_add_u32 v6, v6, 23, v12
	v_or3_b32 v6, v7, v6, v3
.LBB1_9424:
	s_or_b64 exec, exec, s[6:7]
	s_nop 0
	v_mfma_f32_16x16x4f32 a[0:3], v2, v6, a[0:3]
	s_movk_i32 s4, 0xff
	v_and_b32_sdwa v3, v8, s4 dst_sel:DWORD dst_unused:UNUSED_PAD src0_sel:WORD_1 src1_sel:DWORD
	s_movk_i32 s4, 0x7f
	v_cmp_lt_i16_e32 vcc, s4, v3
	s_mov_b64 s[4:5], 0
                                        ; implicit-def: $sgpr10
	s_and_saveexec_b64 s[6:7], vcc
	s_xor_b64 s[6:7], exec, s[6:7]
	s_cbranch_execz .LBB1_9425
; %bb.45265:
	s_getpc_b64 s[14:15]
.Lpost_getpc8296:
	s_add_u32 s14, s14, (.LBB1_23761-.Lpost_getpc8296)&4294967295
	s_addc_u32 s15, s15, (.LBB1_23761-.Lpost_getpc8296)>>32
	s_setpc_b64 s[14:15]
.LBB1_9425:
	s_or_saveexec_b64 s[6:7], s[6:7]
	v_mov_b32_e32 v2, s10
	s_xor_b64 exec, exec, s[6:7]
	s_cbranch_execz .LBB1_9426
; %bb.45267:
	s_getpc_b64 s[14:15]
.Lpost_getpc8297:
	s_add_u32 s14, s14, (.LBB1_23764-.Lpost_getpc8297)&4294967295
	s_addc_u32 s15, s15, (.LBB1_23764-.Lpost_getpc8297)>>32
	s_setpc_b64 s[14:15]
.LBB1_9426:
	s_or_b64 exec, exec, s[6:7]
	s_and_saveexec_b64 s[6:7], s[4:5]
	s_cbranch_execz .LBB1_9428
.LBB1_9427:
	v_bfe_u32 v2, v8, 16, 3
	v_ffbh_u32_e32 v7, v2
	v_min_u32_e32 v7, 32, v7
	v_lshrrev_b32_e32 v3, 19, v8
	v_subrev_u32_e32 v12, 28, v7
	v_and_b32_e32 v3, 15, v3
	v_lshlrev_b32_sdwa v12, v12, v8 dst_sel:DWORD dst_unused:UNUSED_PAD src0_sel:DWORD src1_sel:WORD_1
	v_bfe_u32 v6, v8, 19, 4
	v_sub_u32_e32 v7, 29, v7
	v_and_b32_e32 v12, 7, v12
	v_cmp_eq_u16_e32 vcc, 0, v3
	v_cndmask_b32_e32 v2, v2, v12, vcc
	v_cndmask_b32_e32 v3, v6, v7, vcc
	v_lshlrev_b32_e32 v6, 8, v8
	v_mov_b32_e32 v7, 0x3b800000
	v_lshlrev_b32_e32 v2, 20, v2
	v_and_b32_e32 v6, 0x80000000, v6
	v_lshl_add_u32 v3, v3, 23, v7
	v_or3_b32 v2, v6, v3, v2
.LBB1_9428:
	s_or_b64 exec, exec, s[6:7]
	s_movk_i32 s4, 0xff
	v_and_b32_sdwa v3, v4, s4 dst_sel:DWORD dst_unused:UNUSED_PAD src0_sel:WORD_1 src1_sel:DWORD
	s_movk_i32 s4, 0x7f
	v_cmp_lt_i16_e32 vcc, s4, v3
	s_mov_b64 s[4:5], 0
                                        ; implicit-def: $sgpr10
	s_and_saveexec_b64 s[6:7], vcc
	s_xor_b64 s[6:7], exec, s[6:7]
	s_cbranch_execz .LBB1_9429
; %bb.45269:
	s_getpc_b64 s[14:15]
.Lpost_getpc8298:
	s_add_u32 s14, s14, (.LBB1_23765-.Lpost_getpc8298)&4294967295
	s_addc_u32 s15, s15, (.LBB1_23765-.Lpost_getpc8298)>>32
	s_setpc_b64 s[14:15]
.LBB1_9429:
	s_or_saveexec_b64 s[6:7], s[6:7]
	v_mov_b32_e32 v6, s10
	s_xor_b64 exec, exec, s[6:7]
	s_cbranch_execz .LBB1_9430
; %bb.45271:
	s_getpc_b64 s[14:15]
.Lpost_getpc8299:
	s_add_u32 s14, s14, (.LBB1_23768-.Lpost_getpc8299)&4294967295
	s_addc_u32 s15, s15, (.LBB1_23768-.Lpost_getpc8299)>>32
	s_setpc_b64 s[14:15]
.LBB1_9430:
	s_or_b64 exec, exec, s[6:7]
	s_and_saveexec_b64 s[6:7], s[4:5]
	s_cbranch_execz .LBB1_9432
.LBB1_9431:
	v_bfe_u32 v3, v4, 16, 3
	v_ffbh_u32_e32 v12, v3
	v_min_u32_e32 v12, 32, v12
	v_lshrrev_b32_e32 v6, 19, v4
	v_subrev_u32_e32 v13, 28, v12
	v_and_b32_e32 v6, 15, v6
	v_lshlrev_b32_sdwa v13, v13, v4 dst_sel:DWORD dst_unused:UNUSED_PAD src0_sel:DWORD src1_sel:WORD_1
	v_bfe_u32 v7, v4, 19, 4
	v_sub_u32_e32 v12, 29, v12
	v_and_b32_e32 v13, 7, v13
	v_cmp_eq_u16_e32 vcc, 0, v6
	v_cndmask_b32_e32 v3, v3, v13, vcc
	v_cndmask_b32_e32 v6, v7, v12, vcc
	v_lshlrev_b32_e32 v7, 8, v4
	v_mov_b32_e32 v12, 0x3b800000
	v_lshlrev_b32_e32 v3, 20, v3
	v_and_b32_e32 v7, 0x80000000, v7
	v_lshl_add_u32 v6, v6, 23, v12
	v_or3_b32 v6, v7, v6, v3
.LBB1_9432:
	s_or_b64 exec, exec, s[6:7]
	s_nop 0
	v_mfma_f32_16x16x4f32 a[0:3], v2, v6, a[0:3]
	s_movk_i32 s4, 0x7f
	v_cmp_gt_i16_sdwa s[6:7], v8, s4 src0_sel:BYTE_3 src1_sel:DWORD
	s_mov_b64 s[4:5], 0
                                        ; implicit-def: $sgpr10
	s_and_saveexec_b64 s[8:9], s[6:7]
	s_xor_b64 s[6:7], exec, s[8:9]
	s_cbranch_execz .LBB1_9433
; %bb.45273:
	s_getpc_b64 s[14:15]
.Lpost_getpc8300:
	s_add_u32 s14, s14, (.LBB1_23769-.Lpost_getpc8300)&4294967295
	s_addc_u32 s15, s15, (.LBB1_23769-.Lpost_getpc8300)>>32
	s_setpc_b64 s[14:15]
.LBB1_9433:
	s_or_saveexec_b64 s[6:7], s[6:7]
	v_mov_b32_e32 v2, s10
	s_xor_b64 exec, exec, s[6:7]
	s_cbranch_execz .LBB1_9434
; %bb.45275:
	s_getpc_b64 s[14:15]
.Lpost_getpc8301:
	s_add_u32 s14, s14, (.LBB1_23772-.Lpost_getpc8301)&4294967295
	s_addc_u32 s15, s15, (.LBB1_23772-.Lpost_getpc8301)>>32
	s_setpc_b64 s[14:15]
.LBB1_9434:
	s_or_b64 exec, exec, s[6:7]
	s_and_saveexec_b64 s[6:7], s[4:5]
	s_cbranch_execz .LBB1_9436
.LBB1_9435:
	v_bfe_u32 v2, v8, 24, 3
	v_ffbh_u32_e32 v12, v2
	v_min_u32_e32 v12, 32, v12
	v_lshrrev_b32_e32 v6, 27, v8
	v_subrev_u32_e32 v13, 28, v12
	v_and_b32_e32 v3, 0x80000000, v8
	v_and_b32_e32 v6, 15, v6
	v_bfe_u32 v7, v8, 27, 4
	v_lshlrev_b32_sdwa v8, v13, v8 dst_sel:DWORD dst_unused:UNUSED_PAD src0_sel:DWORD src1_sel:BYTE_3
	v_sub_u32_e32 v12, 29, v12
	v_and_b32_e32 v8, 7, v8
	v_cmp_eq_u16_e32 vcc, 0, v6
	v_cndmask_b32_e32 v2, v2, v8, vcc
	v_cndmask_b32_e32 v6, v7, v12, vcc
	v_mov_b32_e32 v7, 0x3b800000
	v_lshlrev_b32_e32 v2, 20, v2
	v_lshl_add_u32 v6, v6, 23, v7
	v_or3_b32 v2, v3, v6, v2
.LBB1_9436:
	s_or_b64 exec, exec, s[6:7]
	s_movk_i32 s4, 0x7f
	v_cmp_gt_i16_sdwa s[6:7], v4, s4 src0_sel:BYTE_3 src1_sel:DWORD
	s_mov_b64 s[4:5], 0
                                        ; implicit-def: $sgpr10
	s_and_saveexec_b64 s[8:9], s[6:7]
	s_xor_b64 s[6:7], exec, s[8:9]
	s_cbranch_execz .LBB1_9437
; %bb.45277:
	s_getpc_b64 s[14:15]
.Lpost_getpc8302:
	s_add_u32 s14, s14, (.LBB1_23773-.Lpost_getpc8302)&4294967295
	s_addc_u32 s15, s15, (.LBB1_23773-.Lpost_getpc8302)>>32
	s_setpc_b64 s[14:15]
.LBB1_9437:
	s_or_saveexec_b64 s[6:7], s[6:7]
	v_mov_b32_e32 v3, s10
	s_xor_b64 exec, exec, s[6:7]
	s_cbranch_execz .LBB1_9438
; %bb.45279:
	s_getpc_b64 s[14:15]
.Lpost_getpc8303:
	s_add_u32 s14, s14, (.LBB1_23776-.Lpost_getpc8303)&4294967295
	s_addc_u32 s15, s15, (.LBB1_23776-.Lpost_getpc8303)>>32
	s_setpc_b64 s[14:15]
.LBB1_9438:
	s_or_b64 exec, exec, s[6:7]
	s_and_saveexec_b64 s[6:7], s[4:5]
	s_cbranch_execz .LBB1_9440
.LBB1_9439:
	v_bfe_u32 v3, v4, 24, 3
	v_ffbh_u32_e32 v12, v3
	v_min_u32_e32 v12, 32, v12
	v_lshrrev_b32_e32 v7, 27, v4
	v_subrev_u32_e32 v13, 28, v12
	v_and_b32_e32 v6, 0x80000000, v4
	v_and_b32_e32 v7, 15, v7
	v_bfe_u32 v8, v4, 27, 4
	v_lshlrev_b32_sdwa v4, v13, v4 dst_sel:DWORD dst_unused:UNUSED_PAD src0_sel:DWORD src1_sel:BYTE_3
	v_sub_u32_e32 v12, 29, v12
	v_and_b32_e32 v4, 7, v4
	v_cmp_eq_u16_e32 vcc, 0, v7
	v_cndmask_b32_e32 v3, v3, v4, vcc
	v_cndmask_b32_e32 v4, v8, v12, vcc
	v_mov_b32_e32 v7, 0x3b800000
	v_lshlrev_b32_e32 v3, 20, v3
	v_lshl_add_u32 v4, v4, 23, v7
	v_or3_b32 v3, v6, v4, v3
.LBB1_9440:
	s_or_b64 exec, exec, s[6:7]
	s_nop 0
	v_mfma_f32_16x16x4f32 a[0:3], v2, v3, a[0:3]
	s_movk_i32 s4, 0x7f
	v_cmp_gt_i16_sdwa s[6:7], v9, s4 src0_sel:BYTE_0 src1_sel:DWORD
	s_mov_b64 s[4:5], 0
                                        ; implicit-def: $sgpr10
	s_and_saveexec_b64 s[8:9], s[6:7]
	s_xor_b64 s[6:7], exec, s[8:9]
	s_cbranch_execz .LBB1_9441
; %bb.45281:
	s_getpc_b64 s[14:15]
.Lpost_getpc8304:
	s_add_u32 s14, s14, (.LBB1_23777-.Lpost_getpc8304)&4294967295
	s_addc_u32 s15, s15, (.LBB1_23777-.Lpost_getpc8304)>>32
	s_setpc_b64 s[14:15]
.LBB1_9441:
	s_or_saveexec_b64 s[6:7], s[6:7]
	v_mov_b32_e32 v2, s10
	s_xor_b64 exec, exec, s[6:7]
	s_cbranch_execz .LBB1_9442
; %bb.45283:
	s_getpc_b64 s[14:15]
.Lpost_getpc8305:
	s_add_u32 s14, s14, (.LBB1_23780-.Lpost_getpc8305)&4294967295
	s_addc_u32 s15, s15, (.LBB1_23780-.Lpost_getpc8305)>>32
	s_setpc_b64 s[14:15]
.LBB1_9442:
	s_or_b64 exec, exec, s[6:7]
	s_and_saveexec_b64 s[6:7], s[4:5]
	s_cbranch_execz .LBB1_9444
.LBB1_9443:
	v_mov_b32_e32 v2, 8
	v_and_b32_e32 v3, 7, v9
	v_lshrrev_b32_sdwa v2, v2, v9 dst_sel:BYTE_1 dst_unused:UNUSED_PAD src0_sel:DWORD src1_sel:DWORD
	v_ffbh_u32_e32 v4, v3
	v_or_b32_sdwa v2, v9, v2 dst_sel:DWORD dst_unused:UNUSED_PAD src0_sel:BYTE_0 src1_sel:DWORD
	v_min_u32_e32 v4, 32, v4
	v_lshrrev_b16_e32 v2, 3, v2
	v_subrev_u32_e32 v6, 28, v4
	v_and_b32_e32 v2, 15, v2
	v_lshlrev_b32_e32 v6, v6, v9
	v_sub_u32_e32 v4, 29, v4
	v_and_b32_e32 v6, 7, v6
	v_cmp_eq_u16_e32 vcc, 0, v2
	v_cndmask_b32_e32 v3, v3, v6, vcc
	v_cndmask_b32_e32 v2, v2, v4, vcc
	v_lshlrev_b32_e32 v4, 24, v9
	v_mov_b32_e32 v6, 0x3b800000
	v_lshlrev_b32_e32 v3, 20, v3
	v_and_b32_e32 v4, 0x80000000, v4
	v_lshl_add_u32 v2, v2, 23, v6
	v_or3_b32 v2, v4, v2, v3
.LBB1_9444:
	s_or_b64 exec, exec, s[6:7]
	s_movk_i32 s4, 0x7f
	v_cmp_gt_i16_sdwa s[6:7], v5, s4 src0_sel:BYTE_0 src1_sel:DWORD
	s_mov_b64 s[4:5], 0
                                        ; implicit-def: $sgpr10
	s_and_saveexec_b64 s[8:9], s[6:7]
	s_xor_b64 s[6:7], exec, s[8:9]
	s_cbranch_execz .LBB1_9445
; %bb.45285:
	s_getpc_b64 s[14:15]
.Lpost_getpc8306:
	s_add_u32 s14, s14, (.LBB1_23781-.Lpost_getpc8306)&4294967295
	s_addc_u32 s15, s15, (.LBB1_23781-.Lpost_getpc8306)>>32
	s_setpc_b64 s[14:15]
.LBB1_9445:
	s_or_saveexec_b64 s[6:7], s[6:7]
	v_mov_b32_e32 v3, s10
	s_xor_b64 exec, exec, s[6:7]
	s_cbranch_execz .LBB1_9446
; %bb.45287:
	s_getpc_b64 s[14:15]
.Lpost_getpc8307:
	s_add_u32 s14, s14, (.LBB1_23784-.Lpost_getpc8307)&4294967295
	s_addc_u32 s15, s15, (.LBB1_23784-.Lpost_getpc8307)>>32
	s_setpc_b64 s[14:15]
.LBB1_9446:
	s_or_b64 exec, exec, s[6:7]
	s_and_saveexec_b64 s[6:7], s[4:5]
	s_cbranch_execz .LBB1_9448
.LBB1_9447:
	v_mov_b32_e32 v3, 8
	v_and_b32_e32 v4, 7, v5
	v_lshrrev_b32_sdwa v3, v3, v5 dst_sel:BYTE_1 dst_unused:UNUSED_PAD src0_sel:DWORD src1_sel:DWORD
	v_ffbh_u32_e32 v6, v4
	v_or_b32_sdwa v3, v5, v3 dst_sel:DWORD dst_unused:UNUSED_PAD src0_sel:BYTE_0 src1_sel:DWORD
	v_min_u32_e32 v6, 32, v6
	v_lshrrev_b16_e32 v3, 3, v3
	v_subrev_u32_e32 v7, 28, v6
	v_and_b32_e32 v3, 15, v3
	v_lshlrev_b32_e32 v7, v7, v5
	v_sub_u32_e32 v6, 29, v6
	v_and_b32_e32 v7, 7, v7
	v_cmp_eq_u16_e32 vcc, 0, v3
	v_cndmask_b32_e32 v4, v4, v7, vcc
	v_cndmask_b32_e32 v3, v3, v6, vcc
	v_lshlrev_b32_e32 v6, 24, v5
	v_mov_b32_e32 v7, 0x3b800000
	v_lshlrev_b32_e32 v4, 20, v4
	v_and_b32_e32 v6, 0x80000000, v6
	v_lshl_add_u32 v3, v3, 23, v7
	v_or3_b32 v3, v6, v3, v4
.LBB1_9448:
	s_or_b64 exec, exec, s[6:7]
	s_nop 0
	v_mfma_f32_16x16x4f32 a[0:3], v2, v3, a[0:3]
	v_lshrrev_b32_e32 v3, 8, v9
	s_movk_i32 s4, 0x7f
	v_cmp_gt_i16_sdwa s[6:7], v3, s4 src0_sel:BYTE_0 src1_sel:DWORD
	s_mov_b64 s[4:5], 0
                                        ; implicit-def: $sgpr10
	s_and_saveexec_b64 s[8:9], s[6:7]
	s_xor_b64 s[6:7], exec, s[8:9]
	s_cbranch_execz .LBB1_9449
; %bb.45289:
	s_getpc_b64 s[14:15]
.Lpost_getpc8308:
	s_add_u32 s14, s14, (.LBB1_23785-.Lpost_getpc8308)&4294967295
	s_addc_u32 s15, s15, (.LBB1_23785-.Lpost_getpc8308)>>32
	s_setpc_b64 s[14:15]
.LBB1_9449:
	s_or_saveexec_b64 s[6:7], s[6:7]
	v_mov_b32_e32 v2, s10
	s_xor_b64 exec, exec, s[6:7]
	s_cbranch_execz .LBB1_9450
; %bb.45291:
	s_getpc_b64 s[14:15]
.Lpost_getpc8309:
	s_add_u32 s14, s14, (.LBB1_23788-.Lpost_getpc8309)&4294967295
	s_addc_u32 s15, s15, (.LBB1_23788-.Lpost_getpc8309)>>32
	s_setpc_b64 s[14:15]
.LBB1_9450:
	s_or_b64 exec, exec, s[6:7]
	s_and_saveexec_b64 s[6:7], s[4:5]
	s_cbranch_execz .LBB1_9452
.LBB1_9451:
	v_bfe_u32 v2, v9, 8, 3
	v_ffbh_u32_e32 v6, v2
	v_min_u32_e32 v6, 32, v6
	v_lshrrev_b16_e32 v4, 3, v3
	v_subrev_u32_e32 v7, 28, v6
	v_and_b32_e32 v4, 15, v4
	v_lshlrev_b32_e32 v3, v7, v3
	v_sub_u32_e32 v6, 29, v6
	v_and_b32_e32 v3, 7, v3
	v_cmp_eq_u16_e32 vcc, 0, v4
	v_cndmask_b32_e32 v2, v2, v3, vcc
	v_cndmask_b32_e32 v3, v4, v6, vcc
	v_lshlrev_b32_e32 v4, 16, v9
	v_mov_b32_e32 v6, 0x3b800000
	v_lshlrev_b32_e32 v2, 20, v2
	v_and_b32_e32 v4, 0x80000000, v4
	v_lshl_add_u32 v3, v3, 23, v6
	v_or3_b32 v2, v4, v3, v2
.LBB1_9452:
	s_or_b64 exec, exec, s[6:7]
	v_lshrrev_b32_e32 v3, 8, v5
	s_movk_i32 s4, 0x7f
	v_cmp_gt_i16_sdwa s[6:7], v3, s4 src0_sel:BYTE_0 src1_sel:DWORD
	s_mov_b64 s[4:5], 0
                                        ; implicit-def: $sgpr10
	s_and_saveexec_b64 s[8:9], s[6:7]
	s_xor_b64 s[6:7], exec, s[8:9]
	s_cbranch_execz .LBB1_9453
; %bb.45293:
	s_getpc_b64 s[14:15]
.Lpost_getpc8310:
	s_add_u32 s14, s14, (.LBB1_23789-.Lpost_getpc8310)&4294967295
	s_addc_u32 s15, s15, (.LBB1_23789-.Lpost_getpc8310)>>32
	s_setpc_b64 s[14:15]
.LBB1_9453:
	s_or_saveexec_b64 s[6:7], s[6:7]
	v_mov_b32_e32 v4, s10
	s_xor_b64 exec, exec, s[6:7]
	s_cbranch_execz .LBB1_9454
; %bb.45295:
	s_getpc_b64 s[14:15]
.Lpost_getpc8311:
	s_add_u32 s14, s14, (.LBB1_23792-.Lpost_getpc8311)&4294967295
	s_addc_u32 s15, s15, (.LBB1_23792-.Lpost_getpc8311)>>32
	s_setpc_b64 s[14:15]
.LBB1_9454:
	s_or_b64 exec, exec, s[6:7]
	s_and_saveexec_b64 s[6:7], s[4:5]
	s_cbranch_execz .LBB1_9456
.LBB1_9455:
	v_bfe_u32 v4, v5, 8, 3
	v_ffbh_u32_e32 v7, v4
	v_min_u32_e32 v7, 32, v7
	v_lshrrev_b16_e32 v6, 3, v3
	v_subrev_u32_e32 v8, 28, v7
	v_and_b32_e32 v6, 15, v6
	v_lshlrev_b32_e32 v3, v8, v3
	v_sub_u32_e32 v7, 29, v7
	v_and_b32_e32 v3, 7, v3
	v_cmp_eq_u16_e32 vcc, 0, v6
	v_cndmask_b32_e32 v3, v4, v3, vcc
	v_cndmask_b32_e32 v4, v6, v7, vcc
	v_lshlrev_b32_e32 v6, 16, v5
	v_mov_b32_e32 v7, 0x3b800000
	v_lshlrev_b32_e32 v3, 20, v3
	v_and_b32_e32 v6, 0x80000000, v6
	v_lshl_add_u32 v4, v4, 23, v7
	v_or3_b32 v4, v6, v4, v3
.LBB1_9456:
	s_or_b64 exec, exec, s[6:7]
	s_nop 0
	v_mfma_f32_16x16x4f32 a[0:3], v2, v4, a[0:3]
	s_movk_i32 s4, 0xff
	v_and_b32_sdwa v3, v9, s4 dst_sel:DWORD dst_unused:UNUSED_PAD src0_sel:WORD_1 src1_sel:DWORD
	s_movk_i32 s4, 0x7f
	v_cmp_lt_i16_e32 vcc, s4, v3
	s_mov_b64 s[4:5], 0
                                        ; implicit-def: $sgpr10
	s_and_saveexec_b64 s[6:7], vcc
	s_xor_b64 s[6:7], exec, s[6:7]
	s_cbranch_execz .LBB1_9457
; %bb.45297:
	s_getpc_b64 s[14:15]
.Lpost_getpc8312:
	s_add_u32 s14, s14, (.LBB1_23793-.Lpost_getpc8312)&4294967295
	s_addc_u32 s15, s15, (.LBB1_23793-.Lpost_getpc8312)>>32
	s_setpc_b64 s[14:15]
.LBB1_9457:
	s_or_saveexec_b64 s[6:7], s[6:7]
	v_mov_b32_e32 v2, s10
	s_xor_b64 exec, exec, s[6:7]
	s_cbranch_execz .LBB1_9458
; %bb.45299:
	s_getpc_b64 s[14:15]
.Lpost_getpc8313:
	s_add_u32 s14, s14, (.LBB1_23796-.Lpost_getpc8313)&4294967295
	s_addc_u32 s15, s15, (.LBB1_23796-.Lpost_getpc8313)>>32
	s_setpc_b64 s[14:15]
.LBB1_9458:
	s_or_b64 exec, exec, s[6:7]
	s_and_saveexec_b64 s[6:7], s[4:5]
	s_cbranch_execz .LBB1_9460
.LBB1_9459:
	v_bfe_u32 v2, v9, 16, 3
	v_ffbh_u32_e32 v6, v2
	v_min_u32_e32 v6, 32, v6
	v_lshrrev_b32_e32 v3, 19, v9
	v_subrev_u32_e32 v7, 28, v6
	v_and_b32_e32 v3, 15, v3
	v_lshlrev_b32_sdwa v7, v7, v9 dst_sel:DWORD dst_unused:UNUSED_PAD src0_sel:DWORD src1_sel:WORD_1
	v_bfe_u32 v4, v9, 19, 4
	v_sub_u32_e32 v6, 29, v6
	v_and_b32_e32 v7, 7, v7
	v_cmp_eq_u16_e32 vcc, 0, v3
	v_cndmask_b32_e32 v2, v2, v7, vcc
	v_cndmask_b32_e32 v3, v4, v6, vcc
	v_lshlrev_b32_e32 v4, 8, v9
	v_mov_b32_e32 v6, 0x3b800000
	v_lshlrev_b32_e32 v2, 20, v2
	v_and_b32_e32 v4, 0x80000000, v4
	v_lshl_add_u32 v3, v3, 23, v6
	v_or3_b32 v2, v4, v3, v2
.LBB1_9460:
	s_or_b64 exec, exec, s[6:7]
	s_movk_i32 s4, 0xff
	v_and_b32_sdwa v3, v5, s4 dst_sel:DWORD dst_unused:UNUSED_PAD src0_sel:WORD_1 src1_sel:DWORD
	s_movk_i32 s4, 0x7f
	v_cmp_lt_i16_e32 vcc, s4, v3
	s_mov_b64 s[4:5], 0
                                        ; implicit-def: $sgpr10
	s_and_saveexec_b64 s[6:7], vcc
	s_xor_b64 s[6:7], exec, s[6:7]
	s_cbranch_execz .LBB1_9461
; %bb.45301:
	s_getpc_b64 s[14:15]
.Lpost_getpc8314:
	s_add_u32 s14, s14, (.LBB1_23797-.Lpost_getpc8314)&4294967295
	s_addc_u32 s15, s15, (.LBB1_23797-.Lpost_getpc8314)>>32
	s_setpc_b64 s[14:15]
.LBB1_9461:
	s_or_saveexec_b64 s[6:7], s[6:7]
	v_mov_b32_e32 v4, s10
	s_xor_b64 exec, exec, s[6:7]
	s_cbranch_execz .LBB1_9462
; %bb.45303:
	s_getpc_b64 s[14:15]
.Lpost_getpc8315:
	s_add_u32 s14, s14, (.LBB1_23800-.Lpost_getpc8315)&4294967295
	s_addc_u32 s15, s15, (.LBB1_23800-.Lpost_getpc8315)>>32
	s_setpc_b64 s[14:15]
.LBB1_9462:
	s_or_b64 exec, exec, s[6:7]
	s_and_saveexec_b64 s[6:7], s[4:5]
	s_cbranch_execz .LBB1_9464
.LBB1_9463:
	v_bfe_u32 v3, v5, 16, 3
	v_ffbh_u32_e32 v7, v3
	v_min_u32_e32 v7, 32, v7
	v_lshrrev_b32_e32 v4, 19, v5
	v_subrev_u32_e32 v8, 28, v7
	v_and_b32_e32 v4, 15, v4
	v_lshlrev_b32_sdwa v8, v8, v5 dst_sel:DWORD dst_unused:UNUSED_PAD src0_sel:DWORD src1_sel:WORD_1
	v_bfe_u32 v6, v5, 19, 4
	v_sub_u32_e32 v7, 29, v7
	v_and_b32_e32 v8, 7, v8
	v_cmp_eq_u16_e32 vcc, 0, v4
	v_cndmask_b32_e32 v3, v3, v8, vcc
	v_cndmask_b32_e32 v4, v6, v7, vcc
	v_lshlrev_b32_e32 v6, 8, v5
	v_mov_b32_e32 v7, 0x3b800000
	v_lshlrev_b32_e32 v3, 20, v3
	v_and_b32_e32 v6, 0x80000000, v6
	v_lshl_add_u32 v4, v4, 23, v7
	v_or3_b32 v4, v6, v4, v3
.LBB1_9464:
	s_or_b64 exec, exec, s[6:7]
	s_nop 0
	v_mfma_f32_16x16x4f32 a[0:3], v2, v4, a[0:3]
	s_movk_i32 s4, 0x7f
	v_cmp_gt_i16_sdwa s[6:7], v9, s4 src0_sel:BYTE_3 src1_sel:DWORD
	s_mov_b64 s[4:5], 0
                                        ; implicit-def: $sgpr10
	s_and_saveexec_b64 s[8:9], s[6:7]
	s_xor_b64 s[6:7], exec, s[8:9]
	s_cbranch_execz .LBB1_9465
; %bb.45305:
	s_getpc_b64 s[14:15]
.Lpost_getpc8316:
	s_add_u32 s14, s14, (.LBB1_23801-.Lpost_getpc8316)&4294967295
	s_addc_u32 s15, s15, (.LBB1_23801-.Lpost_getpc8316)>>32
	s_setpc_b64 s[14:15]
.LBB1_9465:
	s_or_saveexec_b64 s[6:7], s[6:7]
	v_mov_b32_e32 v2, s10
	s_xor_b64 exec, exec, s[6:7]
	s_cbranch_execz .LBB1_9466
; %bb.45307:
	s_getpc_b64 s[14:15]
.Lpost_getpc8317:
	s_add_u32 s14, s14, (.LBB1_23804-.Lpost_getpc8317)&4294967295
	s_addc_u32 s15, s15, (.LBB1_23804-.Lpost_getpc8317)>>32
	s_setpc_b64 s[14:15]
.LBB1_9466:
	s_or_b64 exec, exec, s[6:7]
	s_and_saveexec_b64 s[6:7], s[4:5]
	s_cbranch_execz .LBB1_9468
.LBB1_9467:
	v_bfe_u32 v2, v9, 24, 3
	v_ffbh_u32_e32 v7, v2
	v_min_u32_e32 v7, 32, v7
	v_lshrrev_b32_e32 v4, 27, v9
	v_subrev_u32_e32 v8, 28, v7
	v_and_b32_e32 v4, 15, v4
	v_lshlrev_b32_sdwa v8, v8, v9 dst_sel:DWORD dst_unused:UNUSED_PAD src0_sel:DWORD src1_sel:BYTE_3
	v_bfe_u32 v6, v9, 27, 4
	v_sub_u32_e32 v7, 29, v7
	v_and_b32_e32 v8, 7, v8
	v_cmp_eq_u16_e32 vcc, 0, v4
	v_cndmask_b32_e32 v2, v2, v8, vcc
	v_cndmask_b32_e32 v4, v6, v7, vcc
	v_mov_b32_e32 v6, 0x3b800000
	v_and_b32_e32 v3, 0x80000000, v9
	v_lshlrev_b32_e32 v2, 20, v2
	v_lshl_add_u32 v4, v4, 23, v6
	v_or3_b32 v2, v3, v4, v2
.LBB1_9468:
	s_or_b64 exec, exec, s[6:7]
	s_movk_i32 s4, 0x7f
	v_cmp_gt_i16_sdwa s[6:7], v5, s4 src0_sel:BYTE_3 src1_sel:DWORD
	s_mov_b64 s[4:5], 0
                                        ; implicit-def: $sgpr10
	s_and_saveexec_b64 s[8:9], s[6:7]
	s_xor_b64 s[6:7], exec, s[8:9]
	s_cbranch_execz .LBB1_9469
; %bb.45309:
	s_getpc_b64 s[14:15]
.Lpost_getpc8318:
	s_add_u32 s14, s14, (.LBB1_23805-.Lpost_getpc8318)&4294967295
	s_addc_u32 s15, s15, (.LBB1_23805-.Lpost_getpc8318)>>32
	s_setpc_b64 s[14:15]
.LBB1_9469:
	s_or_saveexec_b64 s[6:7], s[6:7]
	v_mov_b32_e32 v3, s10
	s_xor_b64 exec, exec, s[6:7]
	s_cbranch_execz .LBB1_9470
; %bb.45311:
	s_getpc_b64 s[14:15]
.Lpost_getpc8319:
	s_add_u32 s14, s14, (.LBB1_23808-.Lpost_getpc8319)&4294967295
	s_addc_u32 s15, s15, (.LBB1_23808-.Lpost_getpc8319)>>32
	s_setpc_b64 s[14:15]
.LBB1_9470:
	s_or_b64 exec, exec, s[6:7]
	s_and_saveexec_b64 s[6:7], s[4:5]
	s_cbranch_execz .LBB1_9472
.LBB1_9471:
	v_bfe_u32 v3, v5, 24, 3
	v_ffbh_u32_e32 v8, v3
	v_min_u32_e32 v8, 32, v8
	v_lshrrev_b32_e32 v6, 27, v5
	v_subrev_u32_e32 v9, 28, v8
	v_and_b32_e32 v4, 0x80000000, v5
	v_and_b32_e32 v6, 15, v6
	v_bfe_u32 v7, v5, 27, 4
	v_lshlrev_b32_sdwa v5, v9, v5 dst_sel:DWORD dst_unused:UNUSED_PAD src0_sel:DWORD src1_sel:BYTE_3
	v_sub_u32_e32 v8, 29, v8
	v_and_b32_e32 v5, 7, v5
	v_cmp_eq_u16_e32 vcc, 0, v6
	v_cndmask_b32_e32 v3, v3, v5, vcc
	v_cndmask_b32_e32 v5, v7, v8, vcc
	v_mov_b32_e32 v6, 0x3b800000
	v_lshlrev_b32_e32 v3, 20, v3
	v_lshl_add_u32 v5, v5, 23, v6
	v_or3_b32 v3, v4, v5, v3
.LBB1_9472:
	s_or_b64 exec, exec, s[6:7]
	s_nop 0
	v_mfma_f32_16x16x4f32 a[0:3], v2, v3, a[0:3]
	s_movk_i32 s4, 0x7f
                                        ; implicit-def: $sgpr10
	s_nop 7
	s_nop 1
	flat_store_dwordx4 v[10:11], a[0:3] offset:272
	flat_load_dwordx4 v[12:15], v[0:1]
	s_nop 0
	flat_load_dwordx2 v[10:11], v[0:1] offset:16
	s_waitcnt vmcnt(0) lgkmcnt(0)
	flat_load_dwordx4 v[6:9], v[12:13] offset:144
	flat_load_dwordx4 v[2:5], v[14:15] offset:160
	s_waitcnt vmcnt(0) lgkmcnt(0)
	v_cmp_gt_i16_sdwa s[6:7], v6, s4 src0_sel:BYTE_0 src1_sel:DWORD
	s_mov_b64 s[4:5], 0
	s_and_saveexec_b64 s[8:9], s[6:7]
	s_xor_b64 s[6:7], exec, s[8:9]
	s_cbranch_execz .LBB1_9473
; %bb.45313:
	s_getpc_b64 s[14:15]
.Lpost_getpc8320:
	s_add_u32 s14, s14, (.LBB1_23809-.Lpost_getpc8320)&4294967295
	s_addc_u32 s15, s15, (.LBB1_23809-.Lpost_getpc8320)>>32
	s_setpc_b64 s[14:15]
.LBB1_9473:
	s_or_saveexec_b64 s[6:7], s[6:7]
	v_mov_b32_e32 v12, s10
	s_xor_b64 exec, exec, s[6:7]
	s_cbranch_execz .LBB1_9474
; %bb.45315:
	s_getpc_b64 s[14:15]
.Lpost_getpc8321:
	s_add_u32 s14, s14, (.LBB1_23812-.Lpost_getpc8321)&4294967295
	s_addc_u32 s15, s15, (.LBB1_23812-.Lpost_getpc8321)>>32
	s_setpc_b64 s[14:15]
.LBB1_9474:
	s_or_b64 exec, exec, s[6:7]
	s_and_saveexec_b64 s[6:7], s[4:5]
	s_cbranch_execz .LBB1_9476
.LBB1_9475:
	v_and_b32_e32 v12, 7, v6
	v_ffbh_u32_e32 v14, v12
	v_min_u32_e32 v14, 32, v14
	v_lshrrev_b16_e32 v13, 3, v6
	v_subrev_u32_e32 v15, 28, v14
	v_and_b32_e32 v13, 15, v13
	v_lshlrev_b32_e32 v15, v15, v6
	v_sub_u32_e32 v14, 29, v14
	v_and_b32_e32 v15, 7, v15
	v_cmp_eq_u16_e32 vcc, 0, v13
	v_cndmask_b32_e32 v12, v12, v15, vcc
	v_cndmask_b32_e32 v13, v13, v14, vcc
	v_lshlrev_b32_e32 v14, 24, v6
	v_mov_b32_e32 v15, 0x3b800000
	v_lshlrev_b32_e32 v12, 20, v12
	v_and_b32_e32 v14, 0x80000000, v14
	v_lshl_add_u32 v13, v13, 23, v15
	v_or3_b32 v12, v14, v13, v12
.LBB1_9476:
	s_or_b64 exec, exec, s[6:7]
	s_movk_i32 s4, 0x7f
	v_cmp_gt_i16_sdwa s[6:7], v2, s4 src0_sel:BYTE_0 src1_sel:DWORD
	s_mov_b64 s[4:5], 0
                                        ; implicit-def: $sgpr10
	s_and_saveexec_b64 s[8:9], s[6:7]
	s_xor_b64 s[6:7], exec, s[8:9]
	s_cbranch_execz .LBB1_9477
; %bb.45317:
	s_getpc_b64 s[14:15]
.Lpost_getpc8322:
	s_add_u32 s14, s14, (.LBB1_23813-.Lpost_getpc8322)&4294967295
	s_addc_u32 s15, s15, (.LBB1_23813-.Lpost_getpc8322)>>32
	s_setpc_b64 s[14:15]
.LBB1_9477:
	s_or_saveexec_b64 s[6:7], s[6:7]
	v_mov_b32_e32 v13, s10
	s_xor_b64 exec, exec, s[6:7]
	s_cbranch_execz .LBB1_9478
; %bb.45319:
	s_getpc_b64 s[14:15]
.Lpost_getpc8323:
	s_add_u32 s14, s14, (.LBB1_23816-.Lpost_getpc8323)&4294967295
	s_addc_u32 s15, s15, (.LBB1_23816-.Lpost_getpc8323)>>32
	s_setpc_b64 s[14:15]
.LBB1_9478:
	s_or_b64 exec, exec, s[6:7]
	s_and_saveexec_b64 s[6:7], s[4:5]
	s_cbranch_execz .LBB1_9480
.LBB1_9479:
	v_and_b32_e32 v13, 7, v2
	v_ffbh_u32_e32 v15, v13
	v_min_u32_e32 v15, 32, v15
	v_lshrrev_b16_e32 v14, 3, v2
	v_subrev_u32_e32 v16, 28, v15
	v_and_b32_e32 v14, 15, v14
	v_lshlrev_b32_e32 v16, v16, v2
	v_sub_u32_e32 v15, 29, v15
	v_and_b32_e32 v16, 7, v16
	v_cmp_eq_u16_e32 vcc, 0, v14
	v_cndmask_b32_e32 v13, v13, v16, vcc
	v_cndmask_b32_e32 v14, v14, v15, vcc
	v_lshlrev_b32_e32 v15, 24, v2
	v_mov_b32_e32 v16, 0x3b800000
	v_lshlrev_b32_e32 v13, 20, v13
	v_and_b32_e32 v15, 0x80000000, v15
	v_lshl_add_u32 v14, v14, 23, v16
	v_or3_b32 v13, v15, v14, v13
.LBB1_9480:
	s_or_b64 exec, exec, s[6:7]
	flat_load_dwordx4 a[0:3], v[10:11] offset:288
	s_movk_i32 s4, 0x7f
                                        ; implicit-def: $sgpr10
	s_waitcnt vmcnt(0) lgkmcnt(0)
	v_mfma_f32_16x16x4f32 a[0:3], v12, v13, a[0:3]
	v_lshrrev_b32_e32 v13, 8, v6
	v_cmp_gt_i16_sdwa s[6:7], v13, s4 src0_sel:BYTE_0 src1_sel:DWORD
	s_mov_b64 s[4:5], 0
	s_and_saveexec_b64 s[8:9], s[6:7]
	s_xor_b64 s[6:7], exec, s[8:9]
	s_cbranch_execz .LBB1_9481
; %bb.45321:
	s_getpc_b64 s[14:15]
.Lpost_getpc8324:
	s_add_u32 s14, s14, (.LBB1_23817-.Lpost_getpc8324)&4294967295
	s_addc_u32 s15, s15, (.LBB1_23817-.Lpost_getpc8324)>>32
	s_setpc_b64 s[14:15]
.LBB1_9481:
	s_or_saveexec_b64 s[6:7], s[6:7]
	v_mov_b32_e32 v12, s10
	s_xor_b64 exec, exec, s[6:7]
	s_cbranch_execz .LBB1_9482
; %bb.45323:
	s_getpc_b64 s[14:15]
.Lpost_getpc8325:
	s_add_u32 s14, s14, (.LBB1_23820-.Lpost_getpc8325)&4294967295
	s_addc_u32 s15, s15, (.LBB1_23820-.Lpost_getpc8325)>>32
	s_setpc_b64 s[14:15]
.LBB1_9482:
	s_or_b64 exec, exec, s[6:7]
	s_and_saveexec_b64 s[6:7], s[4:5]
	s_cbranch_execz .LBB1_9484
.LBB1_9483:
	v_bfe_u32 v12, v6, 8, 3
	v_ffbh_u32_e32 v15, v12
	v_min_u32_e32 v15, 32, v15
	v_lshrrev_b16_e32 v14, 3, v13
	v_subrev_u32_e32 v16, 28, v15
	v_and_b32_e32 v14, 15, v14
	v_lshlrev_b32_e32 v13, v16, v13
	v_sub_u32_e32 v15, 29, v15
	v_and_b32_e32 v13, 7, v13
	v_cmp_eq_u16_e32 vcc, 0, v14
	v_cndmask_b32_e32 v12, v12, v13, vcc
	v_cndmask_b32_e32 v13, v14, v15, vcc
	v_lshlrev_b32_e32 v14, 16, v6
	v_mov_b32_e32 v15, 0x3b800000
	v_lshlrev_b32_e32 v12, 20, v12
	v_and_b32_e32 v14, 0x80000000, v14
	v_lshl_add_u32 v13, v13, 23, v15
	v_or3_b32 v12, v14, v13, v12
.LBB1_9484:
	s_or_b64 exec, exec, s[6:7]
	v_lshrrev_b32_e32 v13, 8, v2
	s_movk_i32 s4, 0x7f
	v_cmp_gt_i16_sdwa s[6:7], v13, s4 src0_sel:BYTE_0 src1_sel:DWORD
	s_mov_b64 s[4:5], 0
                                        ; implicit-def: $sgpr10
	s_and_saveexec_b64 s[8:9], s[6:7]
	s_xor_b64 s[6:7], exec, s[8:9]
	s_cbranch_execz .LBB1_9485
; %bb.45325:
	s_getpc_b64 s[14:15]
.Lpost_getpc8326:
	s_add_u32 s14, s14, (.LBB1_23821-.Lpost_getpc8326)&4294967295
	s_addc_u32 s15, s15, (.LBB1_23821-.Lpost_getpc8326)>>32
	s_setpc_b64 s[14:15]
.LBB1_9485:
	s_or_saveexec_b64 s[6:7], s[6:7]
	v_mov_b32_e32 v14, s10
	s_xor_b64 exec, exec, s[6:7]
	s_cbranch_execz .LBB1_9486
; %bb.45327:
	s_getpc_b64 s[14:15]
.Lpost_getpc8327:
	s_add_u32 s14, s14, (.LBB1_23824-.Lpost_getpc8327)&4294967295
	s_addc_u32 s15, s15, (.LBB1_23824-.Lpost_getpc8327)>>32
	s_setpc_b64 s[14:15]
.LBB1_9486:
	s_or_b64 exec, exec, s[6:7]
	s_and_saveexec_b64 s[6:7], s[4:5]
	s_cbranch_execz .LBB1_9488
.LBB1_9487:
	v_bfe_u32 v14, v2, 8, 3
	v_ffbh_u32_e32 v16, v14
	v_min_u32_e32 v16, 32, v16
	v_lshrrev_b16_e32 v15, 3, v13
	v_subrev_u32_e32 v17, 28, v16
	v_and_b32_e32 v15, 15, v15
	v_lshlrev_b32_e32 v13, v17, v13
	v_sub_u32_e32 v16, 29, v16
	v_and_b32_e32 v13, 7, v13
	v_cmp_eq_u16_e32 vcc, 0, v15
	v_cndmask_b32_e32 v13, v14, v13, vcc
	v_cndmask_b32_e32 v14, v15, v16, vcc
	v_lshlrev_b32_e32 v15, 16, v2
	v_mov_b32_e32 v16, 0x3b800000
	v_lshlrev_b32_e32 v13, 20, v13
	v_and_b32_e32 v15, 0x80000000, v15
	v_lshl_add_u32 v14, v14, 23, v16
	v_or3_b32 v14, v15, v14, v13
.LBB1_9488:
	s_or_b64 exec, exec, s[6:7]
	s_nop 0
	v_mfma_f32_16x16x4f32 a[0:3], v12, v14, a[0:3]
	s_movk_i32 s4, 0xff
	v_and_b32_sdwa v13, v6, s4 dst_sel:DWORD dst_unused:UNUSED_PAD src0_sel:WORD_1 src1_sel:DWORD
	s_movk_i32 s4, 0x7f
	v_cmp_lt_i16_e32 vcc, s4, v13
	s_mov_b64 s[4:5], 0
                                        ; implicit-def: $sgpr10
	s_and_saveexec_b64 s[6:7], vcc
	s_xor_b64 s[6:7], exec, s[6:7]
	s_cbranch_execz .LBB1_9489
; %bb.45329:
	s_getpc_b64 s[14:15]
.Lpost_getpc8328:
	s_add_u32 s14, s14, (.LBB1_23825-.Lpost_getpc8328)&4294967295
	s_addc_u32 s15, s15, (.LBB1_23825-.Lpost_getpc8328)>>32
	s_setpc_b64 s[14:15]
.LBB1_9489:
	s_or_saveexec_b64 s[6:7], s[6:7]
	v_mov_b32_e32 v12, s10
	s_xor_b64 exec, exec, s[6:7]
	s_cbranch_execz .LBB1_9490
; %bb.45331:
	s_getpc_b64 s[14:15]
.Lpost_getpc8329:
	s_add_u32 s14, s14, (.LBB1_23828-.Lpost_getpc8329)&4294967295
	s_addc_u32 s15, s15, (.LBB1_23828-.Lpost_getpc8329)>>32
	s_setpc_b64 s[14:15]
.LBB1_9490:
	s_or_b64 exec, exec, s[6:7]
	s_and_saveexec_b64 s[6:7], s[4:5]
	s_cbranch_execz .LBB1_9492
.LBB1_9491:
	v_bfe_u32 v12, v6, 16, 3
	v_ffbh_u32_e32 v15, v12
	v_min_u32_e32 v15, 32, v15
	v_lshrrev_b32_e32 v13, 19, v6
	v_subrev_u32_e32 v16, 28, v15
	v_and_b32_e32 v13, 15, v13
	v_lshlrev_b32_sdwa v16, v16, v6 dst_sel:DWORD dst_unused:UNUSED_PAD src0_sel:DWORD src1_sel:WORD_1
	v_bfe_u32 v14, v6, 19, 4
	v_sub_u32_e32 v15, 29, v15
	v_and_b32_e32 v16, 7, v16
	v_cmp_eq_u16_e32 vcc, 0, v13
	v_cndmask_b32_e32 v12, v12, v16, vcc
	v_cndmask_b32_e32 v13, v14, v15, vcc
	v_lshlrev_b32_e32 v14, 8, v6
	v_mov_b32_e32 v15, 0x3b800000
	v_lshlrev_b32_e32 v12, 20, v12
	v_and_b32_e32 v14, 0x80000000, v14
	v_lshl_add_u32 v13, v13, 23, v15
	v_or3_b32 v12, v14, v13, v12
.LBB1_9492:
	s_or_b64 exec, exec, s[6:7]
	s_movk_i32 s4, 0xff
	v_and_b32_sdwa v13, v2, s4 dst_sel:DWORD dst_unused:UNUSED_PAD src0_sel:WORD_1 src1_sel:DWORD
	s_movk_i32 s4, 0x7f
	v_cmp_lt_i16_e32 vcc, s4, v13
	s_mov_b64 s[4:5], 0
                                        ; implicit-def: $sgpr10
	s_and_saveexec_b64 s[6:7], vcc
	s_xor_b64 s[6:7], exec, s[6:7]
	s_cbranch_execz .LBB1_9493
; %bb.45333:
	s_getpc_b64 s[14:15]
.Lpost_getpc8330:
	s_add_u32 s14, s14, (.LBB1_23829-.Lpost_getpc8330)&4294967295
	s_addc_u32 s15, s15, (.LBB1_23829-.Lpost_getpc8330)>>32
	s_setpc_b64 s[14:15]
.LBB1_9493:
	s_or_saveexec_b64 s[6:7], s[6:7]
	v_mov_b32_e32 v14, s10
	s_xor_b64 exec, exec, s[6:7]
	s_cbranch_execz .LBB1_9494
; %bb.45335:
	s_getpc_b64 s[14:15]
.Lpost_getpc8331:
	s_add_u32 s14, s14, (.LBB1_23832-.Lpost_getpc8331)&4294967295
	s_addc_u32 s15, s15, (.LBB1_23832-.Lpost_getpc8331)>>32
	s_setpc_b64 s[14:15]
.LBB1_9494:
	s_or_b64 exec, exec, s[6:7]
	s_and_saveexec_b64 s[6:7], s[4:5]
	s_cbranch_execz .LBB1_9496
.LBB1_9495:
	v_bfe_u32 v13, v2, 16, 3
	v_ffbh_u32_e32 v16, v13
	v_min_u32_e32 v16, 32, v16
	v_lshrrev_b32_e32 v14, 19, v2
	v_subrev_u32_e32 v17, 28, v16
	v_and_b32_e32 v14, 15, v14
	v_lshlrev_b32_sdwa v17, v17, v2 dst_sel:DWORD dst_unused:UNUSED_PAD src0_sel:DWORD src1_sel:WORD_1
	v_bfe_u32 v15, v2, 19, 4
	v_sub_u32_e32 v16, 29, v16
	v_and_b32_e32 v17, 7, v17
	v_cmp_eq_u16_e32 vcc, 0, v14
	v_cndmask_b32_e32 v13, v13, v17, vcc
	v_cndmask_b32_e32 v14, v15, v16, vcc
	v_lshlrev_b32_e32 v15, 8, v2
	v_mov_b32_e32 v16, 0x3b800000
	v_lshlrev_b32_e32 v13, 20, v13
	v_and_b32_e32 v15, 0x80000000, v15
	v_lshl_add_u32 v14, v14, 23, v16
	v_or3_b32 v14, v15, v14, v13
.LBB1_9496:
	s_or_b64 exec, exec, s[6:7]
	s_nop 0
	v_mfma_f32_16x16x4f32 a[0:3], v12, v14, a[0:3]
	s_movk_i32 s4, 0x7f
	v_cmp_gt_i16_sdwa s[6:7], v6, s4 src0_sel:BYTE_3 src1_sel:DWORD
	s_mov_b64 s[4:5], 0
                                        ; implicit-def: $sgpr10
	s_and_saveexec_b64 s[8:9], s[6:7]
	s_xor_b64 s[6:7], exec, s[8:9]
	s_cbranch_execz .LBB1_9497
; %bb.45337:
	s_getpc_b64 s[14:15]
.Lpost_getpc8332:
	s_add_u32 s14, s14, (.LBB1_23833-.Lpost_getpc8332)&4294967295
	s_addc_u32 s15, s15, (.LBB1_23833-.Lpost_getpc8332)>>32
	s_setpc_b64 s[14:15]
.LBB1_9497:
	s_or_saveexec_b64 s[6:7], s[6:7]
	v_mov_b32_e32 v12, s10
	s_xor_b64 exec, exec, s[6:7]
	s_cbranch_execz .LBB1_9498
; %bb.45339:
	s_getpc_b64 s[14:15]
.Lpost_getpc8333:
	s_add_u32 s14, s14, (.LBB1_23836-.Lpost_getpc8333)&4294967295
	s_addc_u32 s15, s15, (.LBB1_23836-.Lpost_getpc8333)>>32
	s_setpc_b64 s[14:15]
.LBB1_9498:
	s_or_b64 exec, exec, s[6:7]
	s_and_saveexec_b64 s[6:7], s[4:5]
	s_cbranch_execz .LBB1_9500
.LBB1_9499:
	v_bfe_u32 v12, v6, 24, 3
	v_ffbh_u32_e32 v16, v12
	v_min_u32_e32 v16, 32, v16
	v_lshrrev_b32_e32 v14, 27, v6
	v_subrev_u32_e32 v17, 28, v16
	v_and_b32_e32 v13, 0x80000000, v6
	v_and_b32_e32 v14, 15, v14
	v_bfe_u32 v15, v6, 27, 4
	v_lshlrev_b32_sdwa v6, v17, v6 dst_sel:DWORD dst_unused:UNUSED_PAD src0_sel:DWORD src1_sel:BYTE_3
	v_sub_u32_e32 v16, 29, v16
	v_and_b32_e32 v6, 7, v6
	v_cmp_eq_u16_e32 vcc, 0, v14
	v_cndmask_b32_e32 v6, v12, v6, vcc
	v_cndmask_b32_e32 v12, v15, v16, vcc
	v_mov_b32_e32 v14, 0x3b800000
	v_lshlrev_b32_e32 v6, 20, v6
	v_lshl_add_u32 v12, v12, 23, v14
	v_or3_b32 v12, v13, v12, v6
.LBB1_9500:
	s_or_b64 exec, exec, s[6:7]
	s_movk_i32 s4, 0x7f
	v_cmp_gt_i16_sdwa s[6:7], v2, s4 src0_sel:BYTE_3 src1_sel:DWORD
	s_mov_b64 s[4:5], 0
                                        ; implicit-def: $sgpr10
	s_and_saveexec_b64 s[8:9], s[6:7]
	s_xor_b64 s[6:7], exec, s[8:9]
	s_cbranch_execz .LBB1_9501
; %bb.45341:
	s_getpc_b64 s[14:15]
.Lpost_getpc8334:
	s_add_u32 s14, s14, (.LBB1_23837-.Lpost_getpc8334)&4294967295
	s_addc_u32 s15, s15, (.LBB1_23837-.Lpost_getpc8334)>>32
	s_setpc_b64 s[14:15]
.LBB1_9501:
	s_or_saveexec_b64 s[6:7], s[6:7]
	v_mov_b32_e32 v6, s10
	s_xor_b64 exec, exec, s[6:7]
	s_cbranch_execz .LBB1_9502
; %bb.45343:
	s_getpc_b64 s[14:15]
.Lpost_getpc8335:
	s_add_u32 s14, s14, (.LBB1_23840-.Lpost_getpc8335)&4294967295
	s_addc_u32 s15, s15, (.LBB1_23840-.Lpost_getpc8335)>>32
	s_setpc_b64 s[14:15]
.LBB1_9502:
	s_or_b64 exec, exec, s[6:7]
	s_and_saveexec_b64 s[6:7], s[4:5]
	s_cbranch_execz .LBB1_9504
.LBB1_9503:
	v_bfe_u32 v6, v2, 24, 3
	v_ffbh_u32_e32 v16, v6
	v_min_u32_e32 v16, 32, v16
	v_lshrrev_b32_e32 v14, 27, v2
	v_subrev_u32_e32 v17, 28, v16
	v_and_b32_e32 v13, 0x80000000, v2
	v_and_b32_e32 v14, 15, v14
	v_bfe_u32 v15, v2, 27, 4
	v_lshlrev_b32_sdwa v2, v17, v2 dst_sel:DWORD dst_unused:UNUSED_PAD src0_sel:DWORD src1_sel:BYTE_3
	v_sub_u32_e32 v16, 29, v16
	v_and_b32_e32 v2, 7, v2
	v_cmp_eq_u16_e32 vcc, 0, v14
	v_cndmask_b32_e32 v2, v6, v2, vcc
	v_cndmask_b32_e32 v6, v15, v16, vcc
	v_mov_b32_e32 v14, 0x3b800000
	v_lshlrev_b32_e32 v2, 20, v2
	v_lshl_add_u32 v6, v6, 23, v14
	v_or3_b32 v6, v13, v6, v2
.LBB1_9504:
	s_or_b64 exec, exec, s[6:7]
	s_nop 0
	v_mfma_f32_16x16x4f32 a[0:3], v12, v6, a[0:3]
	s_movk_i32 s4, 0x7f
	v_cmp_gt_i16_sdwa s[6:7], v7, s4 src0_sel:BYTE_0 src1_sel:DWORD
	s_mov_b64 s[4:5], 0
                                        ; implicit-def: $sgpr10
	s_and_saveexec_b64 s[8:9], s[6:7]
	s_xor_b64 s[6:7], exec, s[8:9]
	s_cbranch_execz .LBB1_9505
; %bb.45345:
	s_getpc_b64 s[14:15]
.Lpost_getpc8336:
	s_add_u32 s14, s14, (.LBB1_23841-.Lpost_getpc8336)&4294967295
	s_addc_u32 s15, s15, (.LBB1_23841-.Lpost_getpc8336)>>32
	s_setpc_b64 s[14:15]
.LBB1_9505:
	s_or_saveexec_b64 s[6:7], s[6:7]
	v_mov_b32_e32 v2, s10
	s_xor_b64 exec, exec, s[6:7]
	s_cbranch_execz .LBB1_9506
; %bb.45347:
	s_getpc_b64 s[14:15]
.Lpost_getpc8337:
	s_add_u32 s14, s14, (.LBB1_23844-.Lpost_getpc8337)&4294967295
	s_addc_u32 s15, s15, (.LBB1_23844-.Lpost_getpc8337)>>32
	s_setpc_b64 s[14:15]
.LBB1_9506:
	s_or_b64 exec, exec, s[6:7]
	s_and_saveexec_b64 s[6:7], s[4:5]
	s_cbranch_execz .LBB1_9508
.LBB1_9507:
	v_and_b32_e32 v2, 7, v7
	v_ffbh_u32_e32 v12, v2
	v_min_u32_e32 v12, 32, v12
	v_lshrrev_b16_e32 v6, 3, v7
	v_subrev_u32_e32 v13, 28, v12
	v_and_b32_e32 v6, 15, v6
	v_lshlrev_b32_e32 v13, v13, v7
	v_sub_u32_e32 v12, 29, v12
	v_and_b32_e32 v13, 7, v13
	v_cmp_eq_u16_e32 vcc, 0, v6
	v_cndmask_b32_e32 v2, v2, v13, vcc
	v_cndmask_b32_e32 v6, v6, v12, vcc
	v_lshlrev_b32_e32 v12, 24, v7
	v_mov_b32_e32 v13, 0x3b800000
	v_lshlrev_b32_e32 v2, 20, v2
	v_and_b32_e32 v12, 0x80000000, v12
	v_lshl_add_u32 v6, v6, 23, v13
	v_or3_b32 v2, v12, v6, v2
.LBB1_9508:
	s_or_b64 exec, exec, s[6:7]
	s_movk_i32 s4, 0x7f
	v_cmp_gt_i16_sdwa s[6:7], v3, s4 src0_sel:BYTE_0 src1_sel:DWORD
	s_mov_b64 s[4:5], 0
                                        ; implicit-def: $sgpr10
	s_and_saveexec_b64 s[8:9], s[6:7]
	s_xor_b64 s[6:7], exec, s[8:9]
	s_cbranch_execz .LBB1_9509
; %bb.45349:
	s_getpc_b64 s[14:15]
.Lpost_getpc8338:
	s_add_u32 s14, s14, (.LBB1_23845-.Lpost_getpc8338)&4294967295
	s_addc_u32 s15, s15, (.LBB1_23845-.Lpost_getpc8338)>>32
	s_setpc_b64 s[14:15]
.LBB1_9509:
	s_or_saveexec_b64 s[6:7], s[6:7]
	v_mov_b32_e32 v6, s10
	s_xor_b64 exec, exec, s[6:7]
	s_cbranch_execz .LBB1_9510
; %bb.45351:
	s_getpc_b64 s[14:15]
.Lpost_getpc8339:
	s_add_u32 s14, s14, (.LBB1_23848-.Lpost_getpc8339)&4294967295
	s_addc_u32 s15, s15, (.LBB1_23848-.Lpost_getpc8339)>>32
	s_setpc_b64 s[14:15]
.LBB1_9510:
	s_or_b64 exec, exec, s[6:7]
	s_and_saveexec_b64 s[6:7], s[4:5]
	s_cbranch_execz .LBB1_9512
.LBB1_9511:
	v_and_b32_e32 v6, 7, v3
	v_ffbh_u32_e32 v13, v6
	v_min_u32_e32 v13, 32, v13
	v_lshrrev_b16_e32 v12, 3, v3
	v_subrev_u32_e32 v14, 28, v13
	v_and_b32_e32 v12, 15, v12
	v_lshlrev_b32_e32 v14, v14, v3
	v_sub_u32_e32 v13, 29, v13
	v_and_b32_e32 v14, 7, v14
	v_cmp_eq_u16_e32 vcc, 0, v12
	v_cndmask_b32_e32 v6, v6, v14, vcc
	v_cndmask_b32_e32 v12, v12, v13, vcc
	v_lshlrev_b32_e32 v13, 24, v3
	v_mov_b32_e32 v14, 0x3b800000
	v_lshlrev_b32_e32 v6, 20, v6
	v_and_b32_e32 v13, 0x80000000, v13
	v_lshl_add_u32 v12, v12, 23, v14
	v_or3_b32 v6, v13, v12, v6
.LBB1_9512:
	s_or_b64 exec, exec, s[6:7]
	s_nop 0
	v_mfma_f32_16x16x4f32 a[0:3], v2, v6, a[0:3]
	v_lshrrev_b32_e32 v6, 8, v7
	s_movk_i32 s4, 0x7f
	v_cmp_gt_i16_sdwa s[6:7], v6, s4 src0_sel:BYTE_0 src1_sel:DWORD
	s_mov_b64 s[4:5], 0
                                        ; implicit-def: $sgpr10
	s_and_saveexec_b64 s[8:9], s[6:7]
	s_xor_b64 s[6:7], exec, s[8:9]
	s_cbranch_execz .LBB1_9513
; %bb.45353:
	s_getpc_b64 s[14:15]
.Lpost_getpc8340:
	s_add_u32 s14, s14, (.LBB1_23849-.Lpost_getpc8340)&4294967295
	s_addc_u32 s15, s15, (.LBB1_23849-.Lpost_getpc8340)>>32
	s_setpc_b64 s[14:15]
.LBB1_9513:
	s_or_saveexec_b64 s[6:7], s[6:7]
	v_mov_b32_e32 v2, s10
	s_xor_b64 exec, exec, s[6:7]
	s_cbranch_execz .LBB1_9514
; %bb.45355:
	s_getpc_b64 s[14:15]
.Lpost_getpc8341:
	s_add_u32 s14, s14, (.LBB1_23852-.Lpost_getpc8341)&4294967295
	s_addc_u32 s15, s15, (.LBB1_23852-.Lpost_getpc8341)>>32
	s_setpc_b64 s[14:15]
.LBB1_9514:
	s_or_b64 exec, exec, s[6:7]
	s_and_saveexec_b64 s[6:7], s[4:5]
	s_cbranch_execz .LBB1_9516
.LBB1_9515:
	v_bfe_u32 v2, v7, 8, 3
	v_ffbh_u32_e32 v13, v2
	v_min_u32_e32 v13, 32, v13
	v_lshrrev_b16_e32 v12, 3, v6
	v_subrev_u32_e32 v14, 28, v13
	v_and_b32_e32 v12, 15, v12
	v_lshlrev_b32_e32 v6, v14, v6
	v_sub_u32_e32 v13, 29, v13
	v_and_b32_e32 v6, 7, v6
	v_cmp_eq_u16_e32 vcc, 0, v12
	v_cndmask_b32_e32 v2, v2, v6, vcc
	v_cndmask_b32_e32 v6, v12, v13, vcc
	v_lshlrev_b32_e32 v12, 16, v7
	v_mov_b32_e32 v13, 0x3b800000
	v_lshlrev_b32_e32 v2, 20, v2
	v_and_b32_e32 v12, 0x80000000, v12
	v_lshl_add_u32 v6, v6, 23, v13
	v_or3_b32 v2, v12, v6, v2
.LBB1_9516:
	s_or_b64 exec, exec, s[6:7]
	v_lshrrev_b32_e32 v6, 8, v3
	s_movk_i32 s4, 0x7f
	v_cmp_gt_i16_sdwa s[6:7], v6, s4 src0_sel:BYTE_0 src1_sel:DWORD
	s_mov_b64 s[4:5], 0
                                        ; implicit-def: $sgpr10
	s_and_saveexec_b64 s[8:9], s[6:7]
	s_xor_b64 s[6:7], exec, s[8:9]
	s_cbranch_execz .LBB1_9517
; %bb.45357:
	s_getpc_b64 s[14:15]
.Lpost_getpc8342:
	s_add_u32 s14, s14, (.LBB1_23853-.Lpost_getpc8342)&4294967295
	s_addc_u32 s15, s15, (.LBB1_23853-.Lpost_getpc8342)>>32
	s_setpc_b64 s[14:15]
.LBB1_9517:
	s_or_saveexec_b64 s[6:7], s[6:7]
	v_mov_b32_e32 v12, s10
	s_xor_b64 exec, exec, s[6:7]
	s_cbranch_execz .LBB1_9518
; %bb.45359:
	s_getpc_b64 s[14:15]
.Lpost_getpc8343:
	s_add_u32 s14, s14, (.LBB1_23856-.Lpost_getpc8343)&4294967295
	s_addc_u32 s15, s15, (.LBB1_23856-.Lpost_getpc8343)>>32
	s_setpc_b64 s[14:15]
.LBB1_9518:
	s_or_b64 exec, exec, s[6:7]
	s_and_saveexec_b64 s[6:7], s[4:5]
	s_cbranch_execz .LBB1_9520
.LBB1_9519:
	v_bfe_u32 v12, v3, 8, 3
	v_ffbh_u32_e32 v14, v12
	v_min_u32_e32 v14, 32, v14
	v_lshrrev_b16_e32 v13, 3, v6
	v_subrev_u32_e32 v15, 28, v14
	v_and_b32_e32 v13, 15, v13
	v_lshlrev_b32_e32 v6, v15, v6
	v_sub_u32_e32 v14, 29, v14
	v_and_b32_e32 v6, 7, v6
	v_cmp_eq_u16_e32 vcc, 0, v13
	v_cndmask_b32_e32 v6, v12, v6, vcc
	v_cndmask_b32_e32 v12, v13, v14, vcc
	v_lshlrev_b32_e32 v13, 16, v3
	v_mov_b32_e32 v14, 0x3b800000
	v_lshlrev_b32_e32 v6, 20, v6
	v_and_b32_e32 v13, 0x80000000, v13
	v_lshl_add_u32 v12, v12, 23, v14
	v_or3_b32 v12, v13, v12, v6
.LBB1_9520:
	s_or_b64 exec, exec, s[6:7]
	s_nop 0
	v_mfma_f32_16x16x4f32 a[0:3], v2, v12, a[0:3]
	s_movk_i32 s4, 0xff
	v_and_b32_sdwa v6, v7, s4 dst_sel:DWORD dst_unused:UNUSED_PAD src0_sel:WORD_1 src1_sel:DWORD
	s_movk_i32 s4, 0x7f
	v_cmp_lt_i16_e32 vcc, s4, v6
	s_mov_b64 s[4:5], 0
                                        ; implicit-def: $sgpr10
	s_and_saveexec_b64 s[6:7], vcc
	s_xor_b64 s[6:7], exec, s[6:7]
	s_cbranch_execz .LBB1_9521
; %bb.45361:
	s_getpc_b64 s[14:15]
.Lpost_getpc8344:
	s_add_u32 s14, s14, (.LBB1_23857-.Lpost_getpc8344)&4294967295
	s_addc_u32 s15, s15, (.LBB1_23857-.Lpost_getpc8344)>>32
	s_setpc_b64 s[14:15]
.LBB1_9521:
	s_or_saveexec_b64 s[6:7], s[6:7]
	v_mov_b32_e32 v2, s10
	s_xor_b64 exec, exec, s[6:7]
	s_cbranch_execz .LBB1_9522
; %bb.45363:
	s_getpc_b64 s[14:15]
.Lpost_getpc8345:
	s_add_u32 s14, s14, (.LBB1_23860-.Lpost_getpc8345)&4294967295
	s_addc_u32 s15, s15, (.LBB1_23860-.Lpost_getpc8345)>>32
	s_setpc_b64 s[14:15]
.LBB1_9522:
	s_or_b64 exec, exec, s[6:7]
	s_and_saveexec_b64 s[6:7], s[4:5]
	s_cbranch_execz .LBB1_9524
.LBB1_9523:
	v_bfe_u32 v2, v7, 16, 3
	v_ffbh_u32_e32 v13, v2
	v_min_u32_e32 v13, 32, v13
	v_lshrrev_b32_e32 v6, 19, v7
	v_subrev_u32_e32 v14, 28, v13
	v_and_b32_e32 v6, 15, v6
	v_lshlrev_b32_sdwa v14, v14, v7 dst_sel:DWORD dst_unused:UNUSED_PAD src0_sel:DWORD src1_sel:WORD_1
	v_bfe_u32 v12, v7, 19, 4
	v_sub_u32_e32 v13, 29, v13
	v_and_b32_e32 v14, 7, v14
	v_cmp_eq_u16_e32 vcc, 0, v6
	v_cndmask_b32_e32 v2, v2, v14, vcc
	v_cndmask_b32_e32 v6, v12, v13, vcc
	v_lshlrev_b32_e32 v12, 8, v7
	v_mov_b32_e32 v13, 0x3b800000
	v_lshlrev_b32_e32 v2, 20, v2
	v_and_b32_e32 v12, 0x80000000, v12
	v_lshl_add_u32 v6, v6, 23, v13
	v_or3_b32 v2, v12, v6, v2
.LBB1_9524:
	s_or_b64 exec, exec, s[6:7]
	s_movk_i32 s4, 0xff
	v_and_b32_sdwa v6, v3, s4 dst_sel:DWORD dst_unused:UNUSED_PAD src0_sel:WORD_1 src1_sel:DWORD
	s_movk_i32 s4, 0x7f
	v_cmp_lt_i16_e32 vcc, s4, v6
	s_mov_b64 s[4:5], 0
                                        ; implicit-def: $sgpr10
	s_and_saveexec_b64 s[6:7], vcc
	s_xor_b64 s[6:7], exec, s[6:7]
	s_cbranch_execz .LBB1_9525
; %bb.45365:
	s_getpc_b64 s[14:15]
.Lpost_getpc8346:
	s_add_u32 s14, s14, (.LBB1_23861-.Lpost_getpc8346)&4294967295
	s_addc_u32 s15, s15, (.LBB1_23861-.Lpost_getpc8346)>>32
	s_setpc_b64 s[14:15]
.LBB1_9525:
	s_or_saveexec_b64 s[6:7], s[6:7]
	v_mov_b32_e32 v12, s10
	s_xor_b64 exec, exec, s[6:7]
	s_cbranch_execz .LBB1_9526
; %bb.45367:
	s_getpc_b64 s[14:15]
.Lpost_getpc8347:
	s_add_u32 s14, s14, (.LBB1_23864-.Lpost_getpc8347)&4294967295
	s_addc_u32 s15, s15, (.LBB1_23864-.Lpost_getpc8347)>>32
	s_setpc_b64 s[14:15]
.LBB1_9526:
	s_or_b64 exec, exec, s[6:7]
	s_and_saveexec_b64 s[6:7], s[4:5]
	s_cbranch_execz .LBB1_9528
.LBB1_9527:
	v_bfe_u32 v6, v3, 16, 3
	v_ffbh_u32_e32 v14, v6
	v_min_u32_e32 v14, 32, v14
	v_lshrrev_b32_e32 v12, 19, v3
	v_subrev_u32_e32 v15, 28, v14
	v_and_b32_e32 v12, 15, v12
	v_lshlrev_b32_sdwa v15, v15, v3 dst_sel:DWORD dst_unused:UNUSED_PAD src0_sel:DWORD src1_sel:WORD_1
	v_bfe_u32 v13, v3, 19, 4
	v_sub_u32_e32 v14, 29, v14
	v_and_b32_e32 v15, 7, v15
	v_cmp_eq_u16_e32 vcc, 0, v12
	v_cndmask_b32_e32 v6, v6, v15, vcc
	v_cndmask_b32_e32 v12, v13, v14, vcc
	v_lshlrev_b32_e32 v13, 8, v3
	v_mov_b32_e32 v14, 0x3b800000
	v_lshlrev_b32_e32 v6, 20, v6
	v_and_b32_e32 v13, 0x80000000, v13
	v_lshl_add_u32 v12, v12, 23, v14
	v_or3_b32 v12, v13, v12, v6
.LBB1_9528:
	s_or_b64 exec, exec, s[6:7]
	s_nop 0
	v_mfma_f32_16x16x4f32 a[0:3], v2, v12, a[0:3]
	s_movk_i32 s4, 0x7f
	v_cmp_gt_i16_sdwa s[6:7], v7, s4 src0_sel:BYTE_3 src1_sel:DWORD
	s_mov_b64 s[4:5], 0
                                        ; implicit-def: $sgpr10
	s_and_saveexec_b64 s[8:9], s[6:7]
	s_xor_b64 s[6:7], exec, s[8:9]
	s_cbranch_execz .LBB1_9529
; %bb.45369:
	s_getpc_b64 s[14:15]
.Lpost_getpc8348:
	s_add_u32 s14, s14, (.LBB1_23865-.Lpost_getpc8348)&4294967295
	s_addc_u32 s15, s15, (.LBB1_23865-.Lpost_getpc8348)>>32
	s_setpc_b64 s[14:15]
.LBB1_9529:
	s_or_saveexec_b64 s[6:7], s[6:7]
	v_mov_b32_e32 v2, s10
	s_xor_b64 exec, exec, s[6:7]
	s_cbranch_execz .LBB1_9530
; %bb.45371:
	s_getpc_b64 s[14:15]
.Lpost_getpc8349:
	s_add_u32 s14, s14, (.LBB1_23868-.Lpost_getpc8349)&4294967295
	s_addc_u32 s15, s15, (.LBB1_23868-.Lpost_getpc8349)>>32
	s_setpc_b64 s[14:15]
.LBB1_9530:
	s_or_b64 exec, exec, s[6:7]
	s_and_saveexec_b64 s[6:7], s[4:5]
	s_cbranch_execz .LBB1_9532
.LBB1_9531:
	v_bfe_u32 v2, v7, 24, 3
	v_ffbh_u32_e32 v14, v2
	v_min_u32_e32 v14, 32, v14
	v_lshrrev_b32_e32 v12, 27, v7
	v_subrev_u32_e32 v15, 28, v14
	v_and_b32_e32 v6, 0x80000000, v7
	v_and_b32_e32 v12, 15, v12
	v_bfe_u32 v13, v7, 27, 4
	v_lshlrev_b32_sdwa v7, v15, v7 dst_sel:DWORD dst_unused:UNUSED_PAD src0_sel:DWORD src1_sel:BYTE_3
	v_sub_u32_e32 v14, 29, v14
	v_and_b32_e32 v7, 7, v7
	v_cmp_eq_u16_e32 vcc, 0, v12
	v_cndmask_b32_e32 v2, v2, v7, vcc
	v_cndmask_b32_e32 v7, v13, v14, vcc
	v_mov_b32_e32 v12, 0x3b800000
	v_lshlrev_b32_e32 v2, 20, v2
	v_lshl_add_u32 v7, v7, 23, v12
	v_or3_b32 v2, v6, v7, v2
.LBB1_9532:
	s_or_b64 exec, exec, s[6:7]
	s_movk_i32 s4, 0x7f
	v_cmp_gt_i16_sdwa s[6:7], v3, s4 src0_sel:BYTE_3 src1_sel:DWORD
	s_mov_b64 s[4:5], 0
                                        ; implicit-def: $sgpr10
	s_and_saveexec_b64 s[8:9], s[6:7]
	s_xor_b64 s[6:7], exec, s[8:9]
	s_cbranch_execz .LBB1_9533
; %bb.45373:
	s_getpc_b64 s[14:15]
.Lpost_getpc8350:
	s_add_u32 s14, s14, (.LBB1_23869-.Lpost_getpc8350)&4294967295
	s_addc_u32 s15, s15, (.LBB1_23869-.Lpost_getpc8350)>>32
	s_setpc_b64 s[14:15]
.LBB1_9533:
	s_or_saveexec_b64 s[6:7], s[6:7]
	v_mov_b32_e32 v6, s10
	s_xor_b64 exec, exec, s[6:7]
	s_cbranch_execz .LBB1_9534
; %bb.45375:
	s_getpc_b64 s[14:15]
.Lpost_getpc8351:
	s_add_u32 s14, s14, (.LBB1_23872-.Lpost_getpc8351)&4294967295
	s_addc_u32 s15, s15, (.LBB1_23872-.Lpost_getpc8351)>>32
	s_setpc_b64 s[14:15]
.LBB1_9534:
	s_or_b64 exec, exec, s[6:7]
	s_and_saveexec_b64 s[6:7], s[4:5]
	s_cbranch_execz .LBB1_9536
.LBB1_9535:
	v_bfe_u32 v6, v3, 24, 3
	v_ffbh_u32_e32 v14, v6
	v_min_u32_e32 v14, 32, v14
	v_lshrrev_b32_e32 v12, 27, v3
	v_subrev_u32_e32 v15, 28, v14
	v_and_b32_e32 v7, 0x80000000, v3
	v_and_b32_e32 v12, 15, v12
	v_bfe_u32 v13, v3, 27, 4
	v_lshlrev_b32_sdwa v3, v15, v3 dst_sel:DWORD dst_unused:UNUSED_PAD src0_sel:DWORD src1_sel:BYTE_3
	v_sub_u32_e32 v14, 29, v14
	v_and_b32_e32 v3, 7, v3
	v_cmp_eq_u16_e32 vcc, 0, v12
	v_cndmask_b32_e32 v3, v6, v3, vcc
	v_cndmask_b32_e32 v6, v13, v14, vcc
	v_mov_b32_e32 v12, 0x3b800000
	v_lshlrev_b32_e32 v3, 20, v3
	v_lshl_add_u32 v6, v6, 23, v12
	v_or3_b32 v6, v7, v6, v3
.LBB1_9536:
	s_or_b64 exec, exec, s[6:7]
	s_nop 0
	v_mfma_f32_16x16x4f32 a[0:3], v2, v6, a[0:3]
	s_movk_i32 s4, 0x7f
	v_cmp_gt_i16_sdwa s[6:7], v8, s4 src0_sel:BYTE_0 src1_sel:DWORD
	s_mov_b64 s[4:5], 0
                                        ; implicit-def: $sgpr10
	s_and_saveexec_b64 s[8:9], s[6:7]
	s_xor_b64 s[6:7], exec, s[8:9]
	s_cbranch_execz .LBB1_9537
; %bb.45377:
	s_getpc_b64 s[14:15]
.Lpost_getpc8352:
	s_add_u32 s14, s14, (.LBB1_23873-.Lpost_getpc8352)&4294967295
	s_addc_u32 s15, s15, (.LBB1_23873-.Lpost_getpc8352)>>32
	s_setpc_b64 s[14:15]
.LBB1_9537:
	s_or_saveexec_b64 s[6:7], s[6:7]
	v_mov_b32_e32 v2, s10
	s_xor_b64 exec, exec, s[6:7]
	s_cbranch_execz .LBB1_9538
; %bb.45379:
	s_getpc_b64 s[14:15]
.Lpost_getpc8353:
	s_add_u32 s14, s14, (.LBB1_23876-.Lpost_getpc8353)&4294967295
	s_addc_u32 s15, s15, (.LBB1_23876-.Lpost_getpc8353)>>32
	s_setpc_b64 s[14:15]
.LBB1_9538:
	s_or_b64 exec, exec, s[6:7]
	s_and_saveexec_b64 s[6:7], s[4:5]
	s_cbranch_execz .LBB1_9540
.LBB1_9539:
	v_and_b32_e32 v2, 7, v8
	v_ffbh_u32_e32 v6, v2
	v_min_u32_e32 v6, 32, v6
	v_lshrrev_b16_e32 v3, 3, v8
	v_subrev_u32_e32 v7, 28, v6
	v_and_b32_e32 v3, 15, v3
	v_lshlrev_b32_e32 v7, v7, v8
	v_sub_u32_e32 v6, 29, v6
	v_and_b32_e32 v7, 7, v7
	v_cmp_eq_u16_e32 vcc, 0, v3
	v_cndmask_b32_e32 v2, v2, v7, vcc
	v_cndmask_b32_e32 v3, v3, v6, vcc
	v_lshlrev_b32_e32 v6, 24, v8
	v_mov_b32_e32 v7, 0x3b800000
	v_lshlrev_b32_e32 v2, 20, v2
	v_and_b32_e32 v6, 0x80000000, v6
	v_lshl_add_u32 v3, v3, 23, v7
	v_or3_b32 v2, v6, v3, v2
.LBB1_9540:
	s_or_b64 exec, exec, s[6:7]
	s_movk_i32 s4, 0x7f
	v_cmp_gt_i16_sdwa s[6:7], v4, s4 src0_sel:BYTE_0 src1_sel:DWORD
	s_mov_b64 s[4:5], 0
                                        ; implicit-def: $sgpr10
	s_and_saveexec_b64 s[8:9], s[6:7]
	s_xor_b64 s[6:7], exec, s[8:9]
	s_cbranch_execz .LBB1_9541
; %bb.45381:
	s_getpc_b64 s[14:15]
.Lpost_getpc8354:
	s_add_u32 s14, s14, (.LBB1_23877-.Lpost_getpc8354)&4294967295
	s_addc_u32 s15, s15, (.LBB1_23877-.Lpost_getpc8354)>>32
	s_setpc_b64 s[14:15]
.LBB1_9541:
	s_or_saveexec_b64 s[6:7], s[6:7]
	v_mov_b32_e32 v3, s10
	s_xor_b64 exec, exec, s[6:7]
	s_cbranch_execz .LBB1_9542
; %bb.45383:
	s_getpc_b64 s[14:15]
.Lpost_getpc8355:
	s_add_u32 s14, s14, (.LBB1_23880-.Lpost_getpc8355)&4294967295
	s_addc_u32 s15, s15, (.LBB1_23880-.Lpost_getpc8355)>>32
	s_setpc_b64 s[14:15]
.LBB1_9542:
	s_or_b64 exec, exec, s[6:7]
	s_and_saveexec_b64 s[6:7], s[4:5]
	s_cbranch_execz .LBB1_9544
.LBB1_9543:
	v_and_b32_e32 v3, 7, v4
	v_ffbh_u32_e32 v7, v3
	v_min_u32_e32 v7, 32, v7
	v_lshrrev_b16_e32 v6, 3, v4
	v_subrev_u32_e32 v12, 28, v7
	v_and_b32_e32 v6, 15, v6
	v_lshlrev_b32_e32 v12, v12, v4
	v_sub_u32_e32 v7, 29, v7
	v_and_b32_e32 v12, 7, v12
	v_cmp_eq_u16_e32 vcc, 0, v6
	v_cndmask_b32_e32 v3, v3, v12, vcc
	v_cndmask_b32_e32 v6, v6, v7, vcc
	v_lshlrev_b32_e32 v7, 24, v4
	v_mov_b32_e32 v12, 0x3b800000
	v_lshlrev_b32_e32 v3, 20, v3
	v_and_b32_e32 v7, 0x80000000, v7
	v_lshl_add_u32 v6, v6, 23, v12
	v_or3_b32 v3, v7, v6, v3
.LBB1_9544:
	s_or_b64 exec, exec, s[6:7]
	s_nop 0
	v_mfma_f32_16x16x4f32 a[0:3], v2, v3, a[0:3]
	v_lshrrev_b32_e32 v3, 8, v8
	s_movk_i32 s4, 0x7f
	v_cmp_gt_i16_sdwa s[6:7], v3, s4 src0_sel:BYTE_0 src1_sel:DWORD
	s_mov_b64 s[4:5], 0
                                        ; implicit-def: $sgpr10
	s_and_saveexec_b64 s[8:9], s[6:7]
	s_xor_b64 s[6:7], exec, s[8:9]
	s_cbranch_execz .LBB1_9545
; %bb.45385:
	s_getpc_b64 s[14:15]
.Lpost_getpc8356:
	s_add_u32 s14, s14, (.LBB1_23881-.Lpost_getpc8356)&4294967295
	s_addc_u32 s15, s15, (.LBB1_23881-.Lpost_getpc8356)>>32
	s_setpc_b64 s[14:15]
.LBB1_9545:
	s_or_saveexec_b64 s[6:7], s[6:7]
	v_mov_b32_e32 v2, s10
	s_xor_b64 exec, exec, s[6:7]
	s_cbranch_execz .LBB1_9546
; %bb.45387:
	s_getpc_b64 s[14:15]
.Lpost_getpc8357:
	s_add_u32 s14, s14, (.LBB1_23884-.Lpost_getpc8357)&4294967295
	s_addc_u32 s15, s15, (.LBB1_23884-.Lpost_getpc8357)>>32
	s_setpc_b64 s[14:15]
.LBB1_9546:
	s_or_b64 exec, exec, s[6:7]
	s_and_saveexec_b64 s[6:7], s[4:5]
	s_cbranch_execz .LBB1_9548
.LBB1_9547:
	v_bfe_u32 v2, v8, 8, 3
	v_ffbh_u32_e32 v7, v2
	v_min_u32_e32 v7, 32, v7
	v_lshrrev_b16_e32 v6, 3, v3
	v_subrev_u32_e32 v12, 28, v7
	v_and_b32_e32 v6, 15, v6
	v_lshlrev_b32_e32 v3, v12, v3
	v_sub_u32_e32 v7, 29, v7
	v_and_b32_e32 v3, 7, v3
	v_cmp_eq_u16_e32 vcc, 0, v6
	v_cndmask_b32_e32 v2, v2, v3, vcc
	v_cndmask_b32_e32 v3, v6, v7, vcc
	v_lshlrev_b32_e32 v6, 16, v8
	v_mov_b32_e32 v7, 0x3b800000
	v_lshlrev_b32_e32 v2, 20, v2
	v_and_b32_e32 v6, 0x80000000, v6
	v_lshl_add_u32 v3, v3, 23, v7
	v_or3_b32 v2, v6, v3, v2
.LBB1_9548:
	s_or_b64 exec, exec, s[6:7]
	v_lshrrev_b32_e32 v3, 8, v4
	s_movk_i32 s4, 0x7f
	v_cmp_gt_i16_sdwa s[6:7], v3, s4 src0_sel:BYTE_0 src1_sel:DWORD
	s_mov_b64 s[4:5], 0
                                        ; implicit-def: $sgpr10
	s_and_saveexec_b64 s[8:9], s[6:7]
	s_xor_b64 s[6:7], exec, s[8:9]
	s_cbranch_execz .LBB1_9549
; %bb.45389:
	s_getpc_b64 s[14:15]
.Lpost_getpc8358:
	s_add_u32 s14, s14, (.LBB1_23885-.Lpost_getpc8358)&4294967295
	s_addc_u32 s15, s15, (.LBB1_23885-.Lpost_getpc8358)>>32
	s_setpc_b64 s[14:15]
.LBB1_9549:
	s_or_saveexec_b64 s[6:7], s[6:7]
	v_mov_b32_e32 v6, s10
	s_xor_b64 exec, exec, s[6:7]
	s_cbranch_execz .LBB1_9550
; %bb.45391:
	s_getpc_b64 s[14:15]
.Lpost_getpc8359:
	s_add_u32 s14, s14, (.LBB1_23888-.Lpost_getpc8359)&4294967295
	s_addc_u32 s15, s15, (.LBB1_23888-.Lpost_getpc8359)>>32
	s_setpc_b64 s[14:15]
.LBB1_9550:
	s_or_b64 exec, exec, s[6:7]
	s_and_saveexec_b64 s[6:7], s[4:5]
	s_cbranch_execz .LBB1_9552
.LBB1_9551:
	v_bfe_u32 v6, v4, 8, 3
	v_ffbh_u32_e32 v12, v6
	v_min_u32_e32 v12, 32, v12
	v_lshrrev_b16_e32 v7, 3, v3
	v_subrev_u32_e32 v13, 28, v12
	v_and_b32_e32 v7, 15, v7
	v_lshlrev_b32_e32 v3, v13, v3
	v_sub_u32_e32 v12, 29, v12
	v_and_b32_e32 v3, 7, v3
	v_cmp_eq_u16_e32 vcc, 0, v7
	v_cndmask_b32_e32 v3, v6, v3, vcc
	v_cndmask_b32_e32 v6, v7, v12, vcc
	v_lshlrev_b32_e32 v7, 16, v4
	v_mov_b32_e32 v12, 0x3b800000
	v_lshlrev_b32_e32 v3, 20, v3
	v_and_b32_e32 v7, 0x80000000, v7
	v_lshl_add_u32 v6, v6, 23, v12
	v_or3_b32 v6, v7, v6, v3
.LBB1_9552:
	s_or_b64 exec, exec, s[6:7]
	s_nop 0
	v_mfma_f32_16x16x4f32 a[0:3], v2, v6, a[0:3]
	s_movk_i32 s4, 0xff
	v_and_b32_sdwa v3, v8, s4 dst_sel:DWORD dst_unused:UNUSED_PAD src0_sel:WORD_1 src1_sel:DWORD
	s_movk_i32 s4, 0x7f
	v_cmp_lt_i16_e32 vcc, s4, v3
	s_mov_b64 s[4:5], 0
                                        ; implicit-def: $sgpr10
	s_and_saveexec_b64 s[6:7], vcc
	s_xor_b64 s[6:7], exec, s[6:7]
	s_cbranch_execz .LBB1_9553
; %bb.45393:
	s_getpc_b64 s[14:15]
.Lpost_getpc8360:
	s_add_u32 s14, s14, (.LBB1_23889-.Lpost_getpc8360)&4294967295
	s_addc_u32 s15, s15, (.LBB1_23889-.Lpost_getpc8360)>>32
	s_setpc_b64 s[14:15]
.LBB1_9553:
	s_or_saveexec_b64 s[6:7], s[6:7]
	v_mov_b32_e32 v2, s10
	s_xor_b64 exec, exec, s[6:7]
	s_cbranch_execz .LBB1_9554
; %bb.45395:
	s_getpc_b64 s[14:15]
.Lpost_getpc8361:
	s_add_u32 s14, s14, (.LBB1_23892-.Lpost_getpc8361)&4294967295
	s_addc_u32 s15, s15, (.LBB1_23892-.Lpost_getpc8361)>>32
	s_setpc_b64 s[14:15]
.LBB1_9554:
	s_or_b64 exec, exec, s[6:7]
	s_and_saveexec_b64 s[6:7], s[4:5]
	s_cbranch_execz .LBB1_9556
.LBB1_9555:
	v_bfe_u32 v2, v8, 16, 3
	v_ffbh_u32_e32 v7, v2
	v_min_u32_e32 v7, 32, v7
	v_lshrrev_b32_e32 v3, 19, v8
	v_subrev_u32_e32 v12, 28, v7
	v_and_b32_e32 v3, 15, v3
	v_lshlrev_b32_sdwa v12, v12, v8 dst_sel:DWORD dst_unused:UNUSED_PAD src0_sel:DWORD src1_sel:WORD_1
	v_bfe_u32 v6, v8, 19, 4
	v_sub_u32_e32 v7, 29, v7
	v_and_b32_e32 v12, 7, v12
	v_cmp_eq_u16_e32 vcc, 0, v3
	v_cndmask_b32_e32 v2, v2, v12, vcc
	v_cndmask_b32_e32 v3, v6, v7, vcc
	v_lshlrev_b32_e32 v6, 8, v8
	v_mov_b32_e32 v7, 0x3b800000
	v_lshlrev_b32_e32 v2, 20, v2
	v_and_b32_e32 v6, 0x80000000, v6
	v_lshl_add_u32 v3, v3, 23, v7
	v_or3_b32 v2, v6, v3, v2
.LBB1_9556:
	s_or_b64 exec, exec, s[6:7]
	s_movk_i32 s4, 0xff
	v_and_b32_sdwa v3, v4, s4 dst_sel:DWORD dst_unused:UNUSED_PAD src0_sel:WORD_1 src1_sel:DWORD
	s_movk_i32 s4, 0x7f
	v_cmp_lt_i16_e32 vcc, s4, v3
	s_mov_b64 s[4:5], 0
                                        ; implicit-def: $sgpr10
	s_and_saveexec_b64 s[6:7], vcc
	s_xor_b64 s[6:7], exec, s[6:7]
	s_cbranch_execz .LBB1_9557
; %bb.45397:
	s_getpc_b64 s[14:15]
.Lpost_getpc8362:
	s_add_u32 s14, s14, (.LBB1_23893-.Lpost_getpc8362)&4294967295
	s_addc_u32 s15, s15, (.LBB1_23893-.Lpost_getpc8362)>>32
	s_setpc_b64 s[14:15]
.LBB1_9557:
	s_or_saveexec_b64 s[6:7], s[6:7]
	v_mov_b32_e32 v6, s10
	s_xor_b64 exec, exec, s[6:7]
	s_cbranch_execz .LBB1_9558
; %bb.45399:
	s_getpc_b64 s[14:15]
.Lpost_getpc8363:
	s_add_u32 s14, s14, (.LBB1_23896-.Lpost_getpc8363)&4294967295
	s_addc_u32 s15, s15, (.LBB1_23896-.Lpost_getpc8363)>>32
	s_setpc_b64 s[14:15]
.LBB1_9558:
	s_or_b64 exec, exec, s[6:7]
	s_and_saveexec_b64 s[6:7], s[4:5]
	s_cbranch_execz .LBB1_9560
.LBB1_9559:
	v_bfe_u32 v3, v4, 16, 3
	v_ffbh_u32_e32 v12, v3
	v_min_u32_e32 v12, 32, v12
	v_lshrrev_b32_e32 v6, 19, v4
	v_subrev_u32_e32 v13, 28, v12
	v_and_b32_e32 v6, 15, v6
	v_lshlrev_b32_sdwa v13, v13, v4 dst_sel:DWORD dst_unused:UNUSED_PAD src0_sel:DWORD src1_sel:WORD_1
	v_bfe_u32 v7, v4, 19, 4
	v_sub_u32_e32 v12, 29, v12
	v_and_b32_e32 v13, 7, v13
	v_cmp_eq_u16_e32 vcc, 0, v6
	v_cndmask_b32_e32 v3, v3, v13, vcc
	v_cndmask_b32_e32 v6, v7, v12, vcc
	v_lshlrev_b32_e32 v7, 8, v4
	v_mov_b32_e32 v12, 0x3b800000
	v_lshlrev_b32_e32 v3, 20, v3
	v_and_b32_e32 v7, 0x80000000, v7
	v_lshl_add_u32 v6, v6, 23, v12
	v_or3_b32 v6, v7, v6, v3
.LBB1_9560:
	s_or_b64 exec, exec, s[6:7]
	s_nop 0
	v_mfma_f32_16x16x4f32 a[0:3], v2, v6, a[0:3]
	s_movk_i32 s4, 0x7f
	v_cmp_gt_i16_sdwa s[6:7], v8, s4 src0_sel:BYTE_3 src1_sel:DWORD
	s_mov_b64 s[4:5], 0
                                        ; implicit-def: $sgpr10
	s_and_saveexec_b64 s[8:9], s[6:7]
	s_xor_b64 s[6:7], exec, s[8:9]
	s_cbranch_execz .LBB1_9561
; %bb.45401:
	s_getpc_b64 s[14:15]
.Lpost_getpc8364:
	s_add_u32 s14, s14, (.LBB1_23897-.Lpost_getpc8364)&4294967295
	s_addc_u32 s15, s15, (.LBB1_23897-.Lpost_getpc8364)>>32
	s_setpc_b64 s[14:15]
.LBB1_9561:
	s_or_saveexec_b64 s[6:7], s[6:7]
	v_mov_b32_e32 v2, s10
	s_xor_b64 exec, exec, s[6:7]
	s_cbranch_execz .LBB1_9562
; %bb.45403:
	s_getpc_b64 s[14:15]
.Lpost_getpc8365:
	s_add_u32 s14, s14, (.LBB1_23900-.Lpost_getpc8365)&4294967295
	s_addc_u32 s15, s15, (.LBB1_23900-.Lpost_getpc8365)>>32
	s_setpc_b64 s[14:15]
.LBB1_9562:
	s_or_b64 exec, exec, s[6:7]
	s_and_saveexec_b64 s[6:7], s[4:5]
	s_cbranch_execz .LBB1_9564
.LBB1_9563:
	v_bfe_u32 v2, v8, 24, 3
	v_ffbh_u32_e32 v12, v2
	v_min_u32_e32 v12, 32, v12
	v_lshrrev_b32_e32 v6, 27, v8
	v_subrev_u32_e32 v13, 28, v12
	v_and_b32_e32 v3, 0x80000000, v8
	v_and_b32_e32 v6, 15, v6
	v_bfe_u32 v7, v8, 27, 4
	v_lshlrev_b32_sdwa v8, v13, v8 dst_sel:DWORD dst_unused:UNUSED_PAD src0_sel:DWORD src1_sel:BYTE_3
	v_sub_u32_e32 v12, 29, v12
	v_and_b32_e32 v8, 7, v8
	v_cmp_eq_u16_e32 vcc, 0, v6
	v_cndmask_b32_e32 v2, v2, v8, vcc
	v_cndmask_b32_e32 v6, v7, v12, vcc
	v_mov_b32_e32 v7, 0x3b800000
	v_lshlrev_b32_e32 v2, 20, v2
	v_lshl_add_u32 v6, v6, 23, v7
	v_or3_b32 v2, v3, v6, v2
.LBB1_9564:
	s_or_b64 exec, exec, s[6:7]
	s_movk_i32 s4, 0x7f
	v_cmp_gt_i16_sdwa s[6:7], v4, s4 src0_sel:BYTE_3 src1_sel:DWORD
	s_mov_b64 s[4:5], 0
                                        ; implicit-def: $sgpr10
	s_and_saveexec_b64 s[8:9], s[6:7]
	s_xor_b64 s[6:7], exec, s[8:9]
	s_cbranch_execz .LBB1_9565
; %bb.45405:
	s_getpc_b64 s[14:15]
.Lpost_getpc8366:
	s_add_u32 s14, s14, (.LBB1_23901-.Lpost_getpc8366)&4294967295
	s_addc_u32 s15, s15, (.LBB1_23901-.Lpost_getpc8366)>>32
	s_setpc_b64 s[14:15]
.LBB1_9565:
	s_or_saveexec_b64 s[6:7], s[6:7]
	v_mov_b32_e32 v3, s10
	s_xor_b64 exec, exec, s[6:7]
	s_cbranch_execz .LBB1_9566
; %bb.45407:
	s_getpc_b64 s[14:15]
.Lpost_getpc8367:
	s_add_u32 s14, s14, (.LBB1_23904-.Lpost_getpc8367)&4294967295
	s_addc_u32 s15, s15, (.LBB1_23904-.Lpost_getpc8367)>>32
	s_setpc_b64 s[14:15]
.LBB1_9566:
	s_or_b64 exec, exec, s[6:7]
	s_and_saveexec_b64 s[6:7], s[4:5]
	s_cbranch_execz .LBB1_9568
.LBB1_9567:
	v_bfe_u32 v3, v4, 24, 3
	v_ffbh_u32_e32 v12, v3
	v_min_u32_e32 v12, 32, v12
	v_lshrrev_b32_e32 v7, 27, v4
	v_subrev_u32_e32 v13, 28, v12
	v_and_b32_e32 v6, 0x80000000, v4
	v_and_b32_e32 v7, 15, v7
	v_bfe_u32 v8, v4, 27, 4
	v_lshlrev_b32_sdwa v4, v13, v4 dst_sel:DWORD dst_unused:UNUSED_PAD src0_sel:DWORD src1_sel:BYTE_3
	v_sub_u32_e32 v12, 29, v12
	v_and_b32_e32 v4, 7, v4
	v_cmp_eq_u16_e32 vcc, 0, v7
	v_cndmask_b32_e32 v3, v3, v4, vcc
	v_cndmask_b32_e32 v4, v8, v12, vcc
	v_mov_b32_e32 v7, 0x3b800000
	v_lshlrev_b32_e32 v3, 20, v3
	v_lshl_add_u32 v4, v4, 23, v7
	v_or3_b32 v3, v6, v4, v3
.LBB1_9568:
	s_or_b64 exec, exec, s[6:7]
	s_nop 0
	v_mfma_f32_16x16x4f32 a[0:3], v2, v3, a[0:3]
	s_movk_i32 s4, 0x7f
	v_cmp_gt_i16_sdwa s[6:7], v9, s4 src0_sel:BYTE_0 src1_sel:DWORD
	s_mov_b64 s[4:5], 0
                                        ; implicit-def: $sgpr10
	s_and_saveexec_b64 s[8:9], s[6:7]
	s_xor_b64 s[6:7], exec, s[8:9]
	s_cbranch_execz .LBB1_9569
; %bb.45409:
	s_getpc_b64 s[14:15]
.Lpost_getpc8368:
	s_add_u32 s14, s14, (.LBB1_23905-.Lpost_getpc8368)&4294967295
	s_addc_u32 s15, s15, (.LBB1_23905-.Lpost_getpc8368)>>32
	s_setpc_b64 s[14:15]
.LBB1_9569:
	s_or_saveexec_b64 s[6:7], s[6:7]
	v_mov_b32_e32 v2, s10
	s_xor_b64 exec, exec, s[6:7]
	s_cbranch_execz .LBB1_9570
; %bb.45411:
	s_getpc_b64 s[14:15]
.Lpost_getpc8369:
	s_add_u32 s14, s14, (.LBB1_23908-.Lpost_getpc8369)&4294967295
	s_addc_u32 s15, s15, (.LBB1_23908-.Lpost_getpc8369)>>32
	s_setpc_b64 s[14:15]
.LBB1_9570:
	s_or_b64 exec, exec, s[6:7]
	s_and_saveexec_b64 s[6:7], s[4:5]
	s_cbranch_execz .LBB1_9572
.LBB1_9571:
	v_mov_b32_e32 v2, 8
	v_and_b32_e32 v3, 7, v9
	v_lshrrev_b32_sdwa v2, v2, v9 dst_sel:BYTE_1 dst_unused:UNUSED_PAD src0_sel:DWORD src1_sel:DWORD
	v_ffbh_u32_e32 v4, v3
	v_or_b32_sdwa v2, v9, v2 dst_sel:DWORD dst_unused:UNUSED_PAD src0_sel:BYTE_0 src1_sel:DWORD
	v_min_u32_e32 v4, 32, v4
	v_lshrrev_b16_e32 v2, 3, v2
	v_subrev_u32_e32 v6, 28, v4
	v_and_b32_e32 v2, 15, v2
	v_lshlrev_b32_e32 v6, v6, v9
	v_sub_u32_e32 v4, 29, v4
	v_and_b32_e32 v6, 7, v6
	v_cmp_eq_u16_e32 vcc, 0, v2
	v_cndmask_b32_e32 v3, v3, v6, vcc
	v_cndmask_b32_e32 v2, v2, v4, vcc
	v_lshlrev_b32_e32 v4, 24, v9
	v_mov_b32_e32 v6, 0x3b800000
	v_lshlrev_b32_e32 v3, 20, v3
	v_and_b32_e32 v4, 0x80000000, v4
	v_lshl_add_u32 v2, v2, 23, v6
	v_or3_b32 v2, v4, v2, v3
.LBB1_9572:
	s_or_b64 exec, exec, s[6:7]
	s_movk_i32 s4, 0x7f
	v_cmp_gt_i16_sdwa s[6:7], v5, s4 src0_sel:BYTE_0 src1_sel:DWORD
	s_mov_b64 s[4:5], 0
                                        ; implicit-def: $sgpr10
	s_and_saveexec_b64 s[8:9], s[6:7]
	s_xor_b64 s[6:7], exec, s[8:9]
	s_cbranch_execz .LBB1_9573
; %bb.45413:
	s_getpc_b64 s[14:15]
.Lpost_getpc8370:
	s_add_u32 s14, s14, (.LBB1_23909-.Lpost_getpc8370)&4294967295
	s_addc_u32 s15, s15, (.LBB1_23909-.Lpost_getpc8370)>>32
	s_setpc_b64 s[14:15]
.LBB1_9573:
	s_or_saveexec_b64 s[6:7], s[6:7]
	v_mov_b32_e32 v3, s10
	s_xor_b64 exec, exec, s[6:7]
	s_cbranch_execz .LBB1_9574
; %bb.45415:
	s_getpc_b64 s[14:15]
.Lpost_getpc8371:
	s_add_u32 s14, s14, (.LBB1_23912-.Lpost_getpc8371)&4294967295
	s_addc_u32 s15, s15, (.LBB1_23912-.Lpost_getpc8371)>>32
	s_setpc_b64 s[14:15]
.LBB1_9574:
	s_or_b64 exec, exec, s[6:7]
	s_and_saveexec_b64 s[6:7], s[4:5]
	s_cbranch_execz .LBB1_9576
.LBB1_9575:
	v_mov_b32_e32 v3, 8
	v_and_b32_e32 v4, 7, v5
	v_lshrrev_b32_sdwa v3, v3, v5 dst_sel:BYTE_1 dst_unused:UNUSED_PAD src0_sel:DWORD src1_sel:DWORD
	v_ffbh_u32_e32 v6, v4
	v_or_b32_sdwa v3, v5, v3 dst_sel:DWORD dst_unused:UNUSED_PAD src0_sel:BYTE_0 src1_sel:DWORD
	v_min_u32_e32 v6, 32, v6
	v_lshrrev_b16_e32 v3, 3, v3
	v_subrev_u32_e32 v7, 28, v6
	v_and_b32_e32 v3, 15, v3
	v_lshlrev_b32_e32 v7, v7, v5
	v_sub_u32_e32 v6, 29, v6
	v_and_b32_e32 v7, 7, v7
	v_cmp_eq_u16_e32 vcc, 0, v3
	v_cndmask_b32_e32 v4, v4, v7, vcc
	v_cndmask_b32_e32 v3, v3, v6, vcc
	v_lshlrev_b32_e32 v6, 24, v5
	v_mov_b32_e32 v7, 0x3b800000
	v_lshlrev_b32_e32 v4, 20, v4
	v_and_b32_e32 v6, 0x80000000, v6
	v_lshl_add_u32 v3, v3, 23, v7
	v_or3_b32 v3, v6, v3, v4
.LBB1_9576:
	s_or_b64 exec, exec, s[6:7]
	s_nop 0
	v_mfma_f32_16x16x4f32 a[0:3], v2, v3, a[0:3]
	v_lshrrev_b32_e32 v3, 8, v9
	s_movk_i32 s4, 0x7f
	v_cmp_gt_i16_sdwa s[6:7], v3, s4 src0_sel:BYTE_0 src1_sel:DWORD
	s_mov_b64 s[4:5], 0
                                        ; implicit-def: $sgpr10
	s_and_saveexec_b64 s[8:9], s[6:7]
	s_xor_b64 s[6:7], exec, s[8:9]
	s_cbranch_execz .LBB1_9577
; %bb.45417:
	s_getpc_b64 s[14:15]
.Lpost_getpc8372:
	s_add_u32 s14, s14, (.LBB1_23913-.Lpost_getpc8372)&4294967295
	s_addc_u32 s15, s15, (.LBB1_23913-.Lpost_getpc8372)>>32
	s_setpc_b64 s[14:15]
.LBB1_9577:
	s_or_saveexec_b64 s[6:7], s[6:7]
	v_mov_b32_e32 v2, s10
	s_xor_b64 exec, exec, s[6:7]
	s_cbranch_execz .LBB1_9578
; %bb.45419:
	s_getpc_b64 s[14:15]
.Lpost_getpc8373:
	s_add_u32 s14, s14, (.LBB1_23916-.Lpost_getpc8373)&4294967295
	s_addc_u32 s15, s15, (.LBB1_23916-.Lpost_getpc8373)>>32
	s_setpc_b64 s[14:15]
.LBB1_9578:
	s_or_b64 exec, exec, s[6:7]
	s_and_saveexec_b64 s[6:7], s[4:5]
	s_cbranch_execz .LBB1_9580
.LBB1_9579:
	v_bfe_u32 v2, v9, 8, 3
	v_ffbh_u32_e32 v6, v2
	v_min_u32_e32 v6, 32, v6
	v_lshrrev_b16_e32 v4, 3, v3
	v_subrev_u32_e32 v7, 28, v6
	v_and_b32_e32 v4, 15, v4
	v_lshlrev_b32_e32 v3, v7, v3
	v_sub_u32_e32 v6, 29, v6
	v_and_b32_e32 v3, 7, v3
	v_cmp_eq_u16_e32 vcc, 0, v4
	v_cndmask_b32_e32 v2, v2, v3, vcc
	v_cndmask_b32_e32 v3, v4, v6, vcc
	v_lshlrev_b32_e32 v4, 16, v9
	v_mov_b32_e32 v6, 0x3b800000
	v_lshlrev_b32_e32 v2, 20, v2
	v_and_b32_e32 v4, 0x80000000, v4
	v_lshl_add_u32 v3, v3, 23, v6
	v_or3_b32 v2, v4, v3, v2
.LBB1_9580:
	s_or_b64 exec, exec, s[6:7]
	v_lshrrev_b32_e32 v3, 8, v5
	s_movk_i32 s4, 0x7f
	v_cmp_gt_i16_sdwa s[6:7], v3, s4 src0_sel:BYTE_0 src1_sel:DWORD
	s_mov_b64 s[4:5], 0
                                        ; implicit-def: $sgpr10
	s_and_saveexec_b64 s[8:9], s[6:7]
	s_xor_b64 s[6:7], exec, s[8:9]
	s_cbranch_execz .LBB1_9581
; %bb.45421:
	s_getpc_b64 s[14:15]
.Lpost_getpc8374:
	s_add_u32 s14, s14, (.LBB1_23917-.Lpost_getpc8374)&4294967295
	s_addc_u32 s15, s15, (.LBB1_23917-.Lpost_getpc8374)>>32
	s_setpc_b64 s[14:15]
.LBB1_9581:
	s_or_saveexec_b64 s[6:7], s[6:7]
	v_mov_b32_e32 v4, s10
	s_xor_b64 exec, exec, s[6:7]
	s_cbranch_execz .LBB1_9582
; %bb.45423:
	s_getpc_b64 s[14:15]
.Lpost_getpc8375:
	s_add_u32 s14, s14, (.LBB1_23920-.Lpost_getpc8375)&4294967295
	s_addc_u32 s15, s15, (.LBB1_23920-.Lpost_getpc8375)>>32
	s_setpc_b64 s[14:15]
.LBB1_9582:
	s_or_b64 exec, exec, s[6:7]
	s_and_saveexec_b64 s[6:7], s[4:5]
	s_cbranch_execz .LBB1_9584
.LBB1_9583:
	v_bfe_u32 v4, v5, 8, 3
	v_ffbh_u32_e32 v7, v4
	v_min_u32_e32 v7, 32, v7
	v_lshrrev_b16_e32 v6, 3, v3
	v_subrev_u32_e32 v8, 28, v7
	v_and_b32_e32 v6, 15, v6
	v_lshlrev_b32_e32 v3, v8, v3
	v_sub_u32_e32 v7, 29, v7
	v_and_b32_e32 v3, 7, v3
	v_cmp_eq_u16_e32 vcc, 0, v6
	v_cndmask_b32_e32 v3, v4, v3, vcc
	v_cndmask_b32_e32 v4, v6, v7, vcc
	v_lshlrev_b32_e32 v6, 16, v5
	v_mov_b32_e32 v7, 0x3b800000
	v_lshlrev_b32_e32 v3, 20, v3
	v_and_b32_e32 v6, 0x80000000, v6
	v_lshl_add_u32 v4, v4, 23, v7
	v_or3_b32 v4, v6, v4, v3
.LBB1_9584:
	s_or_b64 exec, exec, s[6:7]
	s_nop 0
	v_mfma_f32_16x16x4f32 a[0:3], v2, v4, a[0:3]
	s_movk_i32 s4, 0xff
	v_and_b32_sdwa v3, v9, s4 dst_sel:DWORD dst_unused:UNUSED_PAD src0_sel:WORD_1 src1_sel:DWORD
	s_movk_i32 s4, 0x7f
	v_cmp_lt_i16_e32 vcc, s4, v3
	s_mov_b64 s[4:5], 0
                                        ; implicit-def: $sgpr10
	s_and_saveexec_b64 s[6:7], vcc
	s_xor_b64 s[6:7], exec, s[6:7]
	s_cbranch_execz .LBB1_9585
; %bb.45425:
	s_getpc_b64 s[14:15]
.Lpost_getpc8376:
	s_add_u32 s14, s14, (.LBB1_23921-.Lpost_getpc8376)&4294967295
	s_addc_u32 s15, s15, (.LBB1_23921-.Lpost_getpc8376)>>32
	s_setpc_b64 s[14:15]
.LBB1_9585:
	s_or_saveexec_b64 s[6:7], s[6:7]
	v_mov_b32_e32 v2, s10
	s_xor_b64 exec, exec, s[6:7]
	s_cbranch_execz .LBB1_9586
; %bb.45427:
	s_getpc_b64 s[14:15]
.Lpost_getpc8377:
	s_add_u32 s14, s14, (.LBB1_23924-.Lpost_getpc8377)&4294967295
	s_addc_u32 s15, s15, (.LBB1_23924-.Lpost_getpc8377)>>32
	s_setpc_b64 s[14:15]
.LBB1_9586:
	s_or_b64 exec, exec, s[6:7]
	s_and_saveexec_b64 s[6:7], s[4:5]
	s_cbranch_execz .LBB1_9588
.LBB1_9587:
	v_bfe_u32 v2, v9, 16, 3
	v_ffbh_u32_e32 v6, v2
	v_min_u32_e32 v6, 32, v6
	v_lshrrev_b32_e32 v3, 19, v9
	v_subrev_u32_e32 v7, 28, v6
	v_and_b32_e32 v3, 15, v3
	v_lshlrev_b32_sdwa v7, v7, v9 dst_sel:DWORD dst_unused:UNUSED_PAD src0_sel:DWORD src1_sel:WORD_1
	v_bfe_u32 v4, v9, 19, 4
	v_sub_u32_e32 v6, 29, v6
	v_and_b32_e32 v7, 7, v7
	v_cmp_eq_u16_e32 vcc, 0, v3
	v_cndmask_b32_e32 v2, v2, v7, vcc
	v_cndmask_b32_e32 v3, v4, v6, vcc
	v_lshlrev_b32_e32 v4, 8, v9
	v_mov_b32_e32 v6, 0x3b800000
	v_lshlrev_b32_e32 v2, 20, v2
	v_and_b32_e32 v4, 0x80000000, v4
	v_lshl_add_u32 v3, v3, 23, v6
	v_or3_b32 v2, v4, v3, v2
.LBB1_9588:
	s_or_b64 exec, exec, s[6:7]
	s_movk_i32 s4, 0xff
	v_and_b32_sdwa v3, v5, s4 dst_sel:DWORD dst_unused:UNUSED_PAD src0_sel:WORD_1 src1_sel:DWORD
	s_movk_i32 s4, 0x7f
	v_cmp_lt_i16_e32 vcc, s4, v3
	s_mov_b64 s[4:5], 0
                                        ; implicit-def: $sgpr10
	s_and_saveexec_b64 s[6:7], vcc
	s_xor_b64 s[6:7], exec, s[6:7]
	s_cbranch_execz .LBB1_9589
; %bb.45429:
	s_getpc_b64 s[14:15]
.Lpost_getpc8378:
	s_add_u32 s14, s14, (.LBB1_23925-.Lpost_getpc8378)&4294967295
	s_addc_u32 s15, s15, (.LBB1_23925-.Lpost_getpc8378)>>32
	s_setpc_b64 s[14:15]
.LBB1_9589:
	s_or_saveexec_b64 s[6:7], s[6:7]
	v_mov_b32_e32 v4, s10
	s_xor_b64 exec, exec, s[6:7]
	s_cbranch_execz .LBB1_9590
; %bb.45431:
	s_getpc_b64 s[14:15]
.Lpost_getpc8379:
	s_add_u32 s14, s14, (.LBB1_23928-.Lpost_getpc8379)&4294967295
	s_addc_u32 s15, s15, (.LBB1_23928-.Lpost_getpc8379)>>32
	s_setpc_b64 s[14:15]
.LBB1_9590:
	s_or_b64 exec, exec, s[6:7]
	s_and_saveexec_b64 s[6:7], s[4:5]
	s_cbranch_execz .LBB1_9592
.LBB1_9591:
	v_bfe_u32 v3, v5, 16, 3
	v_ffbh_u32_e32 v7, v3
	v_min_u32_e32 v7, 32, v7
	v_lshrrev_b32_e32 v4, 19, v5
	v_subrev_u32_e32 v8, 28, v7
	v_and_b32_e32 v4, 15, v4
	v_lshlrev_b32_sdwa v8, v8, v5 dst_sel:DWORD dst_unused:UNUSED_PAD src0_sel:DWORD src1_sel:WORD_1
	v_bfe_u32 v6, v5, 19, 4
	v_sub_u32_e32 v7, 29, v7
	v_and_b32_e32 v8, 7, v8
	v_cmp_eq_u16_e32 vcc, 0, v4
	v_cndmask_b32_e32 v3, v3, v8, vcc
	v_cndmask_b32_e32 v4, v6, v7, vcc
	v_lshlrev_b32_e32 v6, 8, v5
	v_mov_b32_e32 v7, 0x3b800000
	v_lshlrev_b32_e32 v3, 20, v3
	v_and_b32_e32 v6, 0x80000000, v6
	v_lshl_add_u32 v4, v4, 23, v7
	v_or3_b32 v4, v6, v4, v3
.LBB1_9592:
	s_or_b64 exec, exec, s[6:7]
	s_nop 0
	v_mfma_f32_16x16x4f32 a[0:3], v2, v4, a[0:3]
	s_movk_i32 s4, 0x7f
	v_cmp_gt_i16_sdwa s[6:7], v9, s4 src0_sel:BYTE_3 src1_sel:DWORD
	s_mov_b64 s[4:5], 0
                                        ; implicit-def: $sgpr10
	s_and_saveexec_b64 s[8:9], s[6:7]
	s_xor_b64 s[6:7], exec, s[8:9]
	s_cbranch_execz .LBB1_9593
; %bb.45433:
	s_getpc_b64 s[14:15]
.Lpost_getpc8380:
	s_add_u32 s14, s14, (.LBB1_23929-.Lpost_getpc8380)&4294967295
	s_addc_u32 s15, s15, (.LBB1_23929-.Lpost_getpc8380)>>32
	s_setpc_b64 s[14:15]
.LBB1_9593:
	s_or_saveexec_b64 s[6:7], s[6:7]
	v_mov_b32_e32 v2, s10
	s_xor_b64 exec, exec, s[6:7]
	s_cbranch_execz .LBB1_9594
; %bb.45435:
	s_getpc_b64 s[14:15]
.Lpost_getpc8381:
	s_add_u32 s14, s14, (.LBB1_23932-.Lpost_getpc8381)&4294967295
	s_addc_u32 s15, s15, (.LBB1_23932-.Lpost_getpc8381)>>32
	s_setpc_b64 s[14:15]
.LBB1_9594:
	s_or_b64 exec, exec, s[6:7]
	s_and_saveexec_b64 s[6:7], s[4:5]
	s_cbranch_execz .LBB1_9596
.LBB1_9595:
	v_bfe_u32 v2, v9, 24, 3
	v_ffbh_u32_e32 v7, v2
	v_min_u32_e32 v7, 32, v7
	v_lshrrev_b32_e32 v4, 27, v9
	v_subrev_u32_e32 v8, 28, v7
	v_and_b32_e32 v4, 15, v4
	v_lshlrev_b32_sdwa v8, v8, v9 dst_sel:DWORD dst_unused:UNUSED_PAD src0_sel:DWORD src1_sel:BYTE_3
	v_bfe_u32 v6, v9, 27, 4
	v_sub_u32_e32 v7, 29, v7
	v_and_b32_e32 v8, 7, v8
	v_cmp_eq_u16_e32 vcc, 0, v4
	v_cndmask_b32_e32 v2, v2, v8, vcc
	v_cndmask_b32_e32 v4, v6, v7, vcc
	v_mov_b32_e32 v6, 0x3b800000
	v_and_b32_e32 v3, 0x80000000, v9
	v_lshlrev_b32_e32 v2, 20, v2
	v_lshl_add_u32 v4, v4, 23, v6
	v_or3_b32 v2, v3, v4, v2
.LBB1_9596:
	s_or_b64 exec, exec, s[6:7]
	s_movk_i32 s4, 0x7f
	v_cmp_gt_i16_sdwa s[6:7], v5, s4 src0_sel:BYTE_3 src1_sel:DWORD
	s_mov_b64 s[4:5], 0
                                        ; implicit-def: $sgpr10
	s_and_saveexec_b64 s[8:9], s[6:7]
	s_xor_b64 s[6:7], exec, s[8:9]
	s_cbranch_execz .LBB1_9597
; %bb.45437:
	s_getpc_b64 s[14:15]
.Lpost_getpc8382:
	s_add_u32 s14, s14, (.LBB1_23933-.Lpost_getpc8382)&4294967295
	s_addc_u32 s15, s15, (.LBB1_23933-.Lpost_getpc8382)>>32
	s_setpc_b64 s[14:15]
.LBB1_9597:
	s_or_saveexec_b64 s[6:7], s[6:7]
	v_mov_b32_e32 v3, s10
	s_xor_b64 exec, exec, s[6:7]
	s_cbranch_execz .LBB1_9598
; %bb.45439:
	s_getpc_b64 s[14:15]
.Lpost_getpc8383:
	s_add_u32 s14, s14, (.LBB1_23936-.Lpost_getpc8383)&4294967295
	s_addc_u32 s15, s15, (.LBB1_23936-.Lpost_getpc8383)>>32
	s_setpc_b64 s[14:15]
.LBB1_9598:
	s_or_b64 exec, exec, s[6:7]
	s_and_saveexec_b64 s[6:7], s[4:5]
	s_cbranch_execz .LBB1_9600
.LBB1_9599:
	v_bfe_u32 v3, v5, 24, 3
	v_ffbh_u32_e32 v8, v3
	v_min_u32_e32 v8, 32, v8
	v_lshrrev_b32_e32 v6, 27, v5
	v_subrev_u32_e32 v9, 28, v8
	v_and_b32_e32 v4, 0x80000000, v5
	v_and_b32_e32 v6, 15, v6
	v_bfe_u32 v7, v5, 27, 4
	v_lshlrev_b32_sdwa v5, v9, v5 dst_sel:DWORD dst_unused:UNUSED_PAD src0_sel:DWORD src1_sel:BYTE_3
	v_sub_u32_e32 v8, 29, v8
	v_and_b32_e32 v5, 7, v5
	v_cmp_eq_u16_e32 vcc, 0, v6
	v_cndmask_b32_e32 v3, v3, v5, vcc
	v_cndmask_b32_e32 v5, v7, v8, vcc
	v_mov_b32_e32 v6, 0x3b800000
	v_lshlrev_b32_e32 v3, 20, v3
	v_lshl_add_u32 v5, v5, 23, v6
	v_or3_b32 v3, v4, v5, v3
.LBB1_9600:
	s_or_b64 exec, exec, s[6:7]
	s_nop 0
	v_mfma_f32_16x16x4f32 a[0:3], v2, v3, a[0:3]
	s_movk_i32 s4, 0x7f
                                        ; implicit-def: $sgpr10
	s_nop 7
	s_nop 1
	flat_store_dwordx4 v[10:11], a[0:3] offset:288
	flat_load_dwordx4 v[12:15], v[0:1]
	s_nop 0
	flat_load_dwordx2 v[10:11], v[0:1] offset:16
	s_waitcnt vmcnt(0) lgkmcnt(0)
	flat_load_dwordx4 v[6:9], v[12:13] offset:144
	flat_load_dwordx4 v[2:5], v[14:15] offset:176
	s_waitcnt vmcnt(0) lgkmcnt(0)
	v_cmp_gt_i16_sdwa s[6:7], v6, s4 src0_sel:BYTE_0 src1_sel:DWORD
	s_mov_b64 s[4:5], 0
	s_and_saveexec_b64 s[8:9], s[6:7]
	s_xor_b64 s[6:7], exec, s[8:9]
	s_cbranch_execz .LBB1_9601
; %bb.45441:
	s_getpc_b64 s[14:15]
.Lpost_getpc8384:
	s_add_u32 s14, s14, (.LBB1_23937-.Lpost_getpc8384)&4294967295
	s_addc_u32 s15, s15, (.LBB1_23937-.Lpost_getpc8384)>>32
	s_setpc_b64 s[14:15]
.LBB1_9601:
	s_or_saveexec_b64 s[6:7], s[6:7]
	v_mov_b32_e32 v12, s10
	s_xor_b64 exec, exec, s[6:7]
	s_cbranch_execz .LBB1_9602
; %bb.45443:
	s_getpc_b64 s[14:15]
.Lpost_getpc8385:
	s_add_u32 s14, s14, (.LBB1_23940-.Lpost_getpc8385)&4294967295
	s_addc_u32 s15, s15, (.LBB1_23940-.Lpost_getpc8385)>>32
	s_setpc_b64 s[14:15]
.LBB1_9602:
	s_or_b64 exec, exec, s[6:7]
	s_and_saveexec_b64 s[6:7], s[4:5]
	s_cbranch_execz .LBB1_9604
.LBB1_9603:
	v_and_b32_e32 v12, 7, v6
	v_ffbh_u32_e32 v14, v12
	v_min_u32_e32 v14, 32, v14
	v_lshrrev_b16_e32 v13, 3, v6
	v_subrev_u32_e32 v15, 28, v14
	v_and_b32_e32 v13, 15, v13
	v_lshlrev_b32_e32 v15, v15, v6
	v_sub_u32_e32 v14, 29, v14
	v_and_b32_e32 v15, 7, v15
	v_cmp_eq_u16_e32 vcc, 0, v13
	v_cndmask_b32_e32 v12, v12, v15, vcc
	v_cndmask_b32_e32 v13, v13, v14, vcc
	v_lshlrev_b32_e32 v14, 24, v6
	v_mov_b32_e32 v15, 0x3b800000
	v_lshlrev_b32_e32 v12, 20, v12
	v_and_b32_e32 v14, 0x80000000, v14
	v_lshl_add_u32 v13, v13, 23, v15
	v_or3_b32 v12, v14, v13, v12
.LBB1_9604:
	s_or_b64 exec, exec, s[6:7]
	s_movk_i32 s4, 0x7f
	v_cmp_gt_i16_sdwa s[6:7], v2, s4 src0_sel:BYTE_0 src1_sel:DWORD
	s_mov_b64 s[4:5], 0
                                        ; implicit-def: $sgpr10
	s_and_saveexec_b64 s[8:9], s[6:7]
	s_xor_b64 s[6:7], exec, s[8:9]
	s_cbranch_execz .LBB1_9605
; %bb.45445:
	s_getpc_b64 s[14:15]
.Lpost_getpc8386:
	s_add_u32 s14, s14, (.LBB1_23941-.Lpost_getpc8386)&4294967295
	s_addc_u32 s15, s15, (.LBB1_23941-.Lpost_getpc8386)>>32
	s_setpc_b64 s[14:15]
.LBB1_9605:
	s_or_saveexec_b64 s[6:7], s[6:7]
	v_mov_b32_e32 v13, s10
	s_xor_b64 exec, exec, s[6:7]
	s_cbranch_execz .LBB1_9606
; %bb.45447:
	s_getpc_b64 s[14:15]
.Lpost_getpc8387:
	s_add_u32 s14, s14, (.LBB1_23944-.Lpost_getpc8387)&4294967295
	s_addc_u32 s15, s15, (.LBB1_23944-.Lpost_getpc8387)>>32
	s_setpc_b64 s[14:15]
.LBB1_9606:
	s_or_b64 exec, exec, s[6:7]
	s_and_saveexec_b64 s[6:7], s[4:5]
	s_cbranch_execz .LBB1_9608
.LBB1_9607:
	v_and_b32_e32 v13, 7, v2
	v_ffbh_u32_e32 v15, v13
	v_min_u32_e32 v15, 32, v15
	v_lshrrev_b16_e32 v14, 3, v2
	v_subrev_u32_e32 v16, 28, v15
	v_and_b32_e32 v14, 15, v14
	v_lshlrev_b32_e32 v16, v16, v2
	v_sub_u32_e32 v15, 29, v15
	v_and_b32_e32 v16, 7, v16
	v_cmp_eq_u16_e32 vcc, 0, v14
	v_cndmask_b32_e32 v13, v13, v16, vcc
	v_cndmask_b32_e32 v14, v14, v15, vcc
	v_lshlrev_b32_e32 v15, 24, v2
	v_mov_b32_e32 v16, 0x3b800000
	v_lshlrev_b32_e32 v13, 20, v13
	v_and_b32_e32 v15, 0x80000000, v15
	v_lshl_add_u32 v14, v14, 23, v16
	v_or3_b32 v13, v15, v14, v13
.LBB1_9608:
	s_or_b64 exec, exec, s[6:7]
	flat_load_dwordx4 a[0:3], v[10:11] offset:304
	s_movk_i32 s4, 0x7f
                                        ; implicit-def: $sgpr10
	s_waitcnt vmcnt(0) lgkmcnt(0)
	v_mfma_f32_16x16x4f32 a[0:3], v12, v13, a[0:3]
	v_lshrrev_b32_e32 v13, 8, v6
	v_cmp_gt_i16_sdwa s[6:7], v13, s4 src0_sel:BYTE_0 src1_sel:DWORD
	s_mov_b64 s[4:5], 0
	s_and_saveexec_b64 s[8:9], s[6:7]
	s_xor_b64 s[6:7], exec, s[8:9]
	s_cbranch_execz .LBB1_9609
; %bb.45449:
	s_getpc_b64 s[14:15]
.Lpost_getpc8388:
	s_add_u32 s14, s14, (.LBB1_23945-.Lpost_getpc8388)&4294967295
	s_addc_u32 s15, s15, (.LBB1_23945-.Lpost_getpc8388)>>32
	s_setpc_b64 s[14:15]
.LBB1_9609:
	s_or_saveexec_b64 s[6:7], s[6:7]
	v_mov_b32_e32 v12, s10
	s_xor_b64 exec, exec, s[6:7]
	s_cbranch_execz .LBB1_9610
; %bb.45451:
	s_getpc_b64 s[14:15]
.Lpost_getpc8389:
	s_add_u32 s14, s14, (.LBB1_23948-.Lpost_getpc8389)&4294967295
	s_addc_u32 s15, s15, (.LBB1_23948-.Lpost_getpc8389)>>32
	s_setpc_b64 s[14:15]
.LBB1_9610:
	s_or_b64 exec, exec, s[6:7]
	s_and_saveexec_b64 s[6:7], s[4:5]
	s_cbranch_execz .LBB1_9612
.LBB1_9611:
	v_bfe_u32 v12, v6, 8, 3
	v_ffbh_u32_e32 v15, v12
	v_min_u32_e32 v15, 32, v15
	v_lshrrev_b16_e32 v14, 3, v13
	v_subrev_u32_e32 v16, 28, v15
	v_and_b32_e32 v14, 15, v14
	v_lshlrev_b32_e32 v13, v16, v13
	v_sub_u32_e32 v15, 29, v15
	v_and_b32_e32 v13, 7, v13
	v_cmp_eq_u16_e32 vcc, 0, v14
	v_cndmask_b32_e32 v12, v12, v13, vcc
	v_cndmask_b32_e32 v13, v14, v15, vcc
	v_lshlrev_b32_e32 v14, 16, v6
	v_mov_b32_e32 v15, 0x3b800000
	v_lshlrev_b32_e32 v12, 20, v12
	v_and_b32_e32 v14, 0x80000000, v14
	v_lshl_add_u32 v13, v13, 23, v15
	v_or3_b32 v12, v14, v13, v12
.LBB1_9612:
	s_or_b64 exec, exec, s[6:7]
	v_lshrrev_b32_e32 v13, 8, v2
	s_movk_i32 s4, 0x7f
	v_cmp_gt_i16_sdwa s[6:7], v13, s4 src0_sel:BYTE_0 src1_sel:DWORD
	s_mov_b64 s[4:5], 0
                                        ; implicit-def: $sgpr10
	s_and_saveexec_b64 s[8:9], s[6:7]
	s_xor_b64 s[6:7], exec, s[8:9]
	s_cbranch_execz .LBB1_9613
; %bb.45453:
	s_getpc_b64 s[14:15]
.Lpost_getpc8390:
	s_add_u32 s14, s14, (.LBB1_23949-.Lpost_getpc8390)&4294967295
	s_addc_u32 s15, s15, (.LBB1_23949-.Lpost_getpc8390)>>32
	s_setpc_b64 s[14:15]
.LBB1_9613:
	s_or_saveexec_b64 s[6:7], s[6:7]
	v_mov_b32_e32 v14, s10
	s_xor_b64 exec, exec, s[6:7]
	s_cbranch_execz .LBB1_9614
; %bb.45455:
	s_getpc_b64 s[14:15]
.Lpost_getpc8391:
	s_add_u32 s14, s14, (.LBB1_23952-.Lpost_getpc8391)&4294967295
	s_addc_u32 s15, s15, (.LBB1_23952-.Lpost_getpc8391)>>32
	s_setpc_b64 s[14:15]
.LBB1_9614:
	s_or_b64 exec, exec, s[6:7]
	s_and_saveexec_b64 s[6:7], s[4:5]
	s_cbranch_execz .LBB1_9616
.LBB1_9615:
	v_bfe_u32 v14, v2, 8, 3
	v_ffbh_u32_e32 v16, v14
	v_min_u32_e32 v16, 32, v16
	v_lshrrev_b16_e32 v15, 3, v13
	v_subrev_u32_e32 v17, 28, v16
	v_and_b32_e32 v15, 15, v15
	v_lshlrev_b32_e32 v13, v17, v13
	v_sub_u32_e32 v16, 29, v16
	v_and_b32_e32 v13, 7, v13
	v_cmp_eq_u16_e32 vcc, 0, v15
	v_cndmask_b32_e32 v13, v14, v13, vcc
	v_cndmask_b32_e32 v14, v15, v16, vcc
	v_lshlrev_b32_e32 v15, 16, v2
	v_mov_b32_e32 v16, 0x3b800000
	v_lshlrev_b32_e32 v13, 20, v13
	v_and_b32_e32 v15, 0x80000000, v15
	v_lshl_add_u32 v14, v14, 23, v16
	v_or3_b32 v14, v15, v14, v13
.LBB1_9616:
	s_or_b64 exec, exec, s[6:7]
	s_nop 0
	v_mfma_f32_16x16x4f32 a[0:3], v12, v14, a[0:3]
	s_movk_i32 s4, 0xff
	v_and_b32_sdwa v13, v6, s4 dst_sel:DWORD dst_unused:UNUSED_PAD src0_sel:WORD_1 src1_sel:DWORD
	s_movk_i32 s4, 0x7f
	v_cmp_lt_i16_e32 vcc, s4, v13
	s_mov_b64 s[4:5], 0
                                        ; implicit-def: $sgpr10
	s_and_saveexec_b64 s[6:7], vcc
	s_xor_b64 s[6:7], exec, s[6:7]
	s_cbranch_execz .LBB1_9617
; %bb.45457:
	s_getpc_b64 s[14:15]
.Lpost_getpc8392:
	s_add_u32 s14, s14, (.LBB1_23953-.Lpost_getpc8392)&4294967295
	s_addc_u32 s15, s15, (.LBB1_23953-.Lpost_getpc8392)>>32
	s_setpc_b64 s[14:15]
.LBB1_9617:
	s_or_saveexec_b64 s[6:7], s[6:7]
	v_mov_b32_e32 v12, s10
	s_xor_b64 exec, exec, s[6:7]
	s_cbranch_execz .LBB1_9618
; %bb.45459:
	s_getpc_b64 s[14:15]
.Lpost_getpc8393:
	s_add_u32 s14, s14, (.LBB1_23956-.Lpost_getpc8393)&4294967295
	s_addc_u32 s15, s15, (.LBB1_23956-.Lpost_getpc8393)>>32
	s_setpc_b64 s[14:15]
.LBB1_9618:
	s_or_b64 exec, exec, s[6:7]
	s_and_saveexec_b64 s[6:7], s[4:5]
	s_cbranch_execz .LBB1_9620
.LBB1_9619:
	v_bfe_u32 v12, v6, 16, 3
	v_ffbh_u32_e32 v15, v12
	v_min_u32_e32 v15, 32, v15
	v_lshrrev_b32_e32 v13, 19, v6
	v_subrev_u32_e32 v16, 28, v15
	v_and_b32_e32 v13, 15, v13
	v_lshlrev_b32_sdwa v16, v16, v6 dst_sel:DWORD dst_unused:UNUSED_PAD src0_sel:DWORD src1_sel:WORD_1
	v_bfe_u32 v14, v6, 19, 4
	v_sub_u32_e32 v15, 29, v15
	v_and_b32_e32 v16, 7, v16
	v_cmp_eq_u16_e32 vcc, 0, v13
	v_cndmask_b32_e32 v12, v12, v16, vcc
	v_cndmask_b32_e32 v13, v14, v15, vcc
	v_lshlrev_b32_e32 v14, 8, v6
	v_mov_b32_e32 v15, 0x3b800000
	v_lshlrev_b32_e32 v12, 20, v12
	v_and_b32_e32 v14, 0x80000000, v14
	v_lshl_add_u32 v13, v13, 23, v15
	v_or3_b32 v12, v14, v13, v12
.LBB1_9620:
	s_or_b64 exec, exec, s[6:7]
	s_movk_i32 s4, 0xff
	v_and_b32_sdwa v13, v2, s4 dst_sel:DWORD dst_unused:UNUSED_PAD src0_sel:WORD_1 src1_sel:DWORD
	s_movk_i32 s4, 0x7f
	v_cmp_lt_i16_e32 vcc, s4, v13
	s_mov_b64 s[4:5], 0
                                        ; implicit-def: $sgpr10
	s_and_saveexec_b64 s[6:7], vcc
	s_xor_b64 s[6:7], exec, s[6:7]
	s_cbranch_execz .LBB1_9621
; %bb.45461:
	s_getpc_b64 s[14:15]
.Lpost_getpc8394:
	s_add_u32 s14, s14, (.LBB1_23957-.Lpost_getpc8394)&4294967295
	s_addc_u32 s15, s15, (.LBB1_23957-.Lpost_getpc8394)>>32
	s_setpc_b64 s[14:15]
.LBB1_9621:
	s_or_saveexec_b64 s[6:7], s[6:7]
	v_mov_b32_e32 v14, s10
	s_xor_b64 exec, exec, s[6:7]
	s_cbranch_execz .LBB1_9622
; %bb.45463:
	s_getpc_b64 s[14:15]
.Lpost_getpc8395:
	s_add_u32 s14, s14, (.LBB1_23960-.Lpost_getpc8395)&4294967295
	s_addc_u32 s15, s15, (.LBB1_23960-.Lpost_getpc8395)>>32
	s_setpc_b64 s[14:15]
.LBB1_9622:
	s_or_b64 exec, exec, s[6:7]
	s_and_saveexec_b64 s[6:7], s[4:5]
	s_cbranch_execz .LBB1_9624
.LBB1_9623:
	v_bfe_u32 v13, v2, 16, 3
	v_ffbh_u32_e32 v16, v13
	v_min_u32_e32 v16, 32, v16
	v_lshrrev_b32_e32 v14, 19, v2
	v_subrev_u32_e32 v17, 28, v16
	v_and_b32_e32 v14, 15, v14
	v_lshlrev_b32_sdwa v17, v17, v2 dst_sel:DWORD dst_unused:UNUSED_PAD src0_sel:DWORD src1_sel:WORD_1
	v_bfe_u32 v15, v2, 19, 4
	v_sub_u32_e32 v16, 29, v16
	v_and_b32_e32 v17, 7, v17
	v_cmp_eq_u16_e32 vcc, 0, v14
	v_cndmask_b32_e32 v13, v13, v17, vcc
	v_cndmask_b32_e32 v14, v15, v16, vcc
	v_lshlrev_b32_e32 v15, 8, v2
	v_mov_b32_e32 v16, 0x3b800000
	v_lshlrev_b32_e32 v13, 20, v13
	v_and_b32_e32 v15, 0x80000000, v15
	v_lshl_add_u32 v14, v14, 23, v16
	v_or3_b32 v14, v15, v14, v13
.LBB1_9624:
	s_or_b64 exec, exec, s[6:7]
	s_nop 0
	v_mfma_f32_16x16x4f32 a[0:3], v12, v14, a[0:3]
	s_movk_i32 s4, 0x7f
	v_cmp_gt_i16_sdwa s[6:7], v6, s4 src0_sel:BYTE_3 src1_sel:DWORD
	s_mov_b64 s[4:5], 0
                                        ; implicit-def: $sgpr10
	s_and_saveexec_b64 s[8:9], s[6:7]
	s_xor_b64 s[6:7], exec, s[8:9]
	s_cbranch_execz .LBB1_9625
; %bb.45465:
	s_getpc_b64 s[14:15]
.Lpost_getpc8396:
	s_add_u32 s14, s14, (.LBB1_23961-.Lpost_getpc8396)&4294967295
	s_addc_u32 s15, s15, (.LBB1_23961-.Lpost_getpc8396)>>32
	s_setpc_b64 s[14:15]
.LBB1_9625:
	s_or_saveexec_b64 s[6:7], s[6:7]
	v_mov_b32_e32 v12, s10
	s_xor_b64 exec, exec, s[6:7]
	s_cbranch_execz .LBB1_9626
; %bb.45467:
	s_getpc_b64 s[14:15]
.Lpost_getpc8397:
	s_add_u32 s14, s14, (.LBB1_23964-.Lpost_getpc8397)&4294967295
	s_addc_u32 s15, s15, (.LBB1_23964-.Lpost_getpc8397)>>32
	s_setpc_b64 s[14:15]
.LBB1_9626:
	s_or_b64 exec, exec, s[6:7]
	s_and_saveexec_b64 s[6:7], s[4:5]
	s_cbranch_execz .LBB1_9628
.LBB1_9627:
	v_bfe_u32 v12, v6, 24, 3
	v_ffbh_u32_e32 v16, v12
	v_min_u32_e32 v16, 32, v16
	v_lshrrev_b32_e32 v14, 27, v6
	v_subrev_u32_e32 v17, 28, v16
	v_and_b32_e32 v13, 0x80000000, v6
	v_and_b32_e32 v14, 15, v14
	v_bfe_u32 v15, v6, 27, 4
	v_lshlrev_b32_sdwa v6, v17, v6 dst_sel:DWORD dst_unused:UNUSED_PAD src0_sel:DWORD src1_sel:BYTE_3
	v_sub_u32_e32 v16, 29, v16
	v_and_b32_e32 v6, 7, v6
	v_cmp_eq_u16_e32 vcc, 0, v14
	v_cndmask_b32_e32 v6, v12, v6, vcc
	v_cndmask_b32_e32 v12, v15, v16, vcc
	v_mov_b32_e32 v14, 0x3b800000
	v_lshlrev_b32_e32 v6, 20, v6
	v_lshl_add_u32 v12, v12, 23, v14
	v_or3_b32 v12, v13, v12, v6
.LBB1_9628:
	s_or_b64 exec, exec, s[6:7]
	s_movk_i32 s4, 0x7f
	v_cmp_gt_i16_sdwa s[6:7], v2, s4 src0_sel:BYTE_3 src1_sel:DWORD
	s_mov_b64 s[4:5], 0
                                        ; implicit-def: $sgpr10
	s_and_saveexec_b64 s[8:9], s[6:7]
	s_xor_b64 s[6:7], exec, s[8:9]
	s_cbranch_execz .LBB1_9629
; %bb.45469:
	s_getpc_b64 s[14:15]
.Lpost_getpc8398:
	s_add_u32 s14, s14, (.LBB1_23965-.Lpost_getpc8398)&4294967295
	s_addc_u32 s15, s15, (.LBB1_23965-.Lpost_getpc8398)>>32
	s_setpc_b64 s[14:15]
.LBB1_9629:
	s_or_saveexec_b64 s[6:7], s[6:7]
	v_mov_b32_e32 v6, s10
	s_xor_b64 exec, exec, s[6:7]
	s_cbranch_execz .LBB1_9630
; %bb.45471:
	s_getpc_b64 s[14:15]
.Lpost_getpc8399:
	s_add_u32 s14, s14, (.LBB1_23968-.Lpost_getpc8399)&4294967295
	s_addc_u32 s15, s15, (.LBB1_23968-.Lpost_getpc8399)>>32
	s_setpc_b64 s[14:15]
.LBB1_9630:
	s_or_b64 exec, exec, s[6:7]
	s_and_saveexec_b64 s[6:7], s[4:5]
	s_cbranch_execz .LBB1_9632
.LBB1_9631:
	v_bfe_u32 v6, v2, 24, 3
	v_ffbh_u32_e32 v16, v6
	v_min_u32_e32 v16, 32, v16
	v_lshrrev_b32_e32 v14, 27, v2
	v_subrev_u32_e32 v17, 28, v16
	v_and_b32_e32 v13, 0x80000000, v2
	v_and_b32_e32 v14, 15, v14
	v_bfe_u32 v15, v2, 27, 4
	v_lshlrev_b32_sdwa v2, v17, v2 dst_sel:DWORD dst_unused:UNUSED_PAD src0_sel:DWORD src1_sel:BYTE_3
	v_sub_u32_e32 v16, 29, v16
	v_and_b32_e32 v2, 7, v2
	v_cmp_eq_u16_e32 vcc, 0, v14
	v_cndmask_b32_e32 v2, v6, v2, vcc
	v_cndmask_b32_e32 v6, v15, v16, vcc
	v_mov_b32_e32 v14, 0x3b800000
	v_lshlrev_b32_e32 v2, 20, v2
	v_lshl_add_u32 v6, v6, 23, v14
	v_or3_b32 v6, v13, v6, v2
.LBB1_9632:
	s_or_b64 exec, exec, s[6:7]
	s_nop 0
	v_mfma_f32_16x16x4f32 a[0:3], v12, v6, a[0:3]
	s_movk_i32 s4, 0x7f
	v_cmp_gt_i16_sdwa s[6:7], v7, s4 src0_sel:BYTE_0 src1_sel:DWORD
	s_mov_b64 s[4:5], 0
                                        ; implicit-def: $sgpr10
	s_and_saveexec_b64 s[8:9], s[6:7]
	s_xor_b64 s[6:7], exec, s[8:9]
	s_cbranch_execz .LBB1_9633
; %bb.45473:
	s_getpc_b64 s[14:15]
.Lpost_getpc8400:
	s_add_u32 s14, s14, (.LBB1_23969-.Lpost_getpc8400)&4294967295
	s_addc_u32 s15, s15, (.LBB1_23969-.Lpost_getpc8400)>>32
	s_setpc_b64 s[14:15]
.LBB1_9633:
	s_or_saveexec_b64 s[6:7], s[6:7]
	v_mov_b32_e32 v2, s10
	s_xor_b64 exec, exec, s[6:7]
	s_cbranch_execz .LBB1_9634
; %bb.45475:
	s_getpc_b64 s[14:15]
.Lpost_getpc8401:
	s_add_u32 s14, s14, (.LBB1_23972-.Lpost_getpc8401)&4294967295
	s_addc_u32 s15, s15, (.LBB1_23972-.Lpost_getpc8401)>>32
	s_setpc_b64 s[14:15]
.LBB1_9634:
	s_or_b64 exec, exec, s[6:7]
	s_and_saveexec_b64 s[6:7], s[4:5]
	s_cbranch_execz .LBB1_9636
.LBB1_9635:
	v_and_b32_e32 v2, 7, v7
	v_ffbh_u32_e32 v12, v2
	v_min_u32_e32 v12, 32, v12
	v_lshrrev_b16_e32 v6, 3, v7
	v_subrev_u32_e32 v13, 28, v12
	v_and_b32_e32 v6, 15, v6
	v_lshlrev_b32_e32 v13, v13, v7
	v_sub_u32_e32 v12, 29, v12
	v_and_b32_e32 v13, 7, v13
	v_cmp_eq_u16_e32 vcc, 0, v6
	v_cndmask_b32_e32 v2, v2, v13, vcc
	v_cndmask_b32_e32 v6, v6, v12, vcc
	v_lshlrev_b32_e32 v12, 24, v7
	v_mov_b32_e32 v13, 0x3b800000
	v_lshlrev_b32_e32 v2, 20, v2
	v_and_b32_e32 v12, 0x80000000, v12
	v_lshl_add_u32 v6, v6, 23, v13
	v_or3_b32 v2, v12, v6, v2
.LBB1_9636:
	s_or_b64 exec, exec, s[6:7]
	s_movk_i32 s4, 0x7f
	v_cmp_gt_i16_sdwa s[6:7], v3, s4 src0_sel:BYTE_0 src1_sel:DWORD
	s_mov_b64 s[4:5], 0
                                        ; implicit-def: $sgpr10
	s_and_saveexec_b64 s[8:9], s[6:7]
	s_xor_b64 s[6:7], exec, s[8:9]
	s_cbranch_execz .LBB1_9637
; %bb.45477:
	s_getpc_b64 s[14:15]
.Lpost_getpc8402:
	s_add_u32 s14, s14, (.LBB1_23973-.Lpost_getpc8402)&4294967295
	s_addc_u32 s15, s15, (.LBB1_23973-.Lpost_getpc8402)>>32
	s_setpc_b64 s[14:15]
.LBB1_9637:
	s_or_saveexec_b64 s[6:7], s[6:7]
	v_mov_b32_e32 v6, s10
	s_xor_b64 exec, exec, s[6:7]
	s_cbranch_execz .LBB1_9638
; %bb.45479:
	s_getpc_b64 s[14:15]
.Lpost_getpc8403:
	s_add_u32 s14, s14, (.LBB1_23976-.Lpost_getpc8403)&4294967295
	s_addc_u32 s15, s15, (.LBB1_23976-.Lpost_getpc8403)>>32
	s_setpc_b64 s[14:15]
.LBB1_9638:
	s_or_b64 exec, exec, s[6:7]
	s_and_saveexec_b64 s[6:7], s[4:5]
	s_cbranch_execz .LBB1_9640
.LBB1_9639:
	v_and_b32_e32 v6, 7, v3
	v_ffbh_u32_e32 v13, v6
	v_min_u32_e32 v13, 32, v13
	v_lshrrev_b16_e32 v12, 3, v3
	v_subrev_u32_e32 v14, 28, v13
	v_and_b32_e32 v12, 15, v12
	v_lshlrev_b32_e32 v14, v14, v3
	v_sub_u32_e32 v13, 29, v13
	v_and_b32_e32 v14, 7, v14
	v_cmp_eq_u16_e32 vcc, 0, v12
	v_cndmask_b32_e32 v6, v6, v14, vcc
	v_cndmask_b32_e32 v12, v12, v13, vcc
	v_lshlrev_b32_e32 v13, 24, v3
	v_mov_b32_e32 v14, 0x3b800000
	v_lshlrev_b32_e32 v6, 20, v6
	v_and_b32_e32 v13, 0x80000000, v13
	v_lshl_add_u32 v12, v12, 23, v14
	v_or3_b32 v6, v13, v12, v6
.LBB1_9640:
	s_or_b64 exec, exec, s[6:7]
	s_nop 0
	v_mfma_f32_16x16x4f32 a[0:3], v2, v6, a[0:3]
	v_lshrrev_b32_e32 v6, 8, v7
	s_movk_i32 s4, 0x7f
	v_cmp_gt_i16_sdwa s[6:7], v6, s4 src0_sel:BYTE_0 src1_sel:DWORD
	s_mov_b64 s[4:5], 0
                                        ; implicit-def: $sgpr10
	s_and_saveexec_b64 s[8:9], s[6:7]
	s_xor_b64 s[6:7], exec, s[8:9]
	s_cbranch_execz .LBB1_9641
; %bb.45481:
	s_getpc_b64 s[14:15]
.Lpost_getpc8404:
	s_add_u32 s14, s14, (.LBB1_23977-.Lpost_getpc8404)&4294967295
	s_addc_u32 s15, s15, (.LBB1_23977-.Lpost_getpc8404)>>32
	s_setpc_b64 s[14:15]
.LBB1_9641:
	s_or_saveexec_b64 s[6:7], s[6:7]
	v_mov_b32_e32 v2, s10
	s_xor_b64 exec, exec, s[6:7]
	s_cbranch_execz .LBB1_9642
; %bb.45483:
	s_getpc_b64 s[14:15]
.Lpost_getpc8405:
	s_add_u32 s14, s14, (.LBB1_23980-.Lpost_getpc8405)&4294967295
	s_addc_u32 s15, s15, (.LBB1_23980-.Lpost_getpc8405)>>32
	s_setpc_b64 s[14:15]
.LBB1_9642:
	s_or_b64 exec, exec, s[6:7]
	s_and_saveexec_b64 s[6:7], s[4:5]
	s_cbranch_execz .LBB1_9644
.LBB1_9643:
	v_bfe_u32 v2, v7, 8, 3
	v_ffbh_u32_e32 v13, v2
	v_min_u32_e32 v13, 32, v13
	v_lshrrev_b16_e32 v12, 3, v6
	v_subrev_u32_e32 v14, 28, v13
	v_and_b32_e32 v12, 15, v12
	v_lshlrev_b32_e32 v6, v14, v6
	v_sub_u32_e32 v13, 29, v13
	v_and_b32_e32 v6, 7, v6
	v_cmp_eq_u16_e32 vcc, 0, v12
	v_cndmask_b32_e32 v2, v2, v6, vcc
	v_cndmask_b32_e32 v6, v12, v13, vcc
	v_lshlrev_b32_e32 v12, 16, v7
	v_mov_b32_e32 v13, 0x3b800000
	v_lshlrev_b32_e32 v2, 20, v2
	v_and_b32_e32 v12, 0x80000000, v12
	v_lshl_add_u32 v6, v6, 23, v13
	v_or3_b32 v2, v12, v6, v2
.LBB1_9644:
	s_or_b64 exec, exec, s[6:7]
	v_lshrrev_b32_e32 v6, 8, v3
	s_movk_i32 s4, 0x7f
	v_cmp_gt_i16_sdwa s[6:7], v6, s4 src0_sel:BYTE_0 src1_sel:DWORD
	s_mov_b64 s[4:5], 0
                                        ; implicit-def: $sgpr10
	s_and_saveexec_b64 s[8:9], s[6:7]
	s_xor_b64 s[6:7], exec, s[8:9]
	s_cbranch_execz .LBB1_9645
; %bb.45485:
	s_getpc_b64 s[14:15]
.Lpost_getpc8406:
	s_add_u32 s14, s14, (.LBB1_23981-.Lpost_getpc8406)&4294967295
	s_addc_u32 s15, s15, (.LBB1_23981-.Lpost_getpc8406)>>32
	s_setpc_b64 s[14:15]
.LBB1_9645:
	s_or_saveexec_b64 s[6:7], s[6:7]
	v_mov_b32_e32 v12, s10
	s_xor_b64 exec, exec, s[6:7]
	s_cbranch_execz .LBB1_9646
; %bb.45487:
	s_getpc_b64 s[14:15]
.Lpost_getpc8407:
	s_add_u32 s14, s14, (.LBB1_23984-.Lpost_getpc8407)&4294967295
	s_addc_u32 s15, s15, (.LBB1_23984-.Lpost_getpc8407)>>32
	s_setpc_b64 s[14:15]
.LBB1_9646:
	s_or_b64 exec, exec, s[6:7]
	s_and_saveexec_b64 s[6:7], s[4:5]
	s_cbranch_execz .LBB1_9648
.LBB1_9647:
	v_bfe_u32 v12, v3, 8, 3
	v_ffbh_u32_e32 v14, v12
	v_min_u32_e32 v14, 32, v14
	v_lshrrev_b16_e32 v13, 3, v6
	v_subrev_u32_e32 v15, 28, v14
	v_and_b32_e32 v13, 15, v13
	v_lshlrev_b32_e32 v6, v15, v6
	v_sub_u32_e32 v14, 29, v14
	v_and_b32_e32 v6, 7, v6
	v_cmp_eq_u16_e32 vcc, 0, v13
	v_cndmask_b32_e32 v6, v12, v6, vcc
	v_cndmask_b32_e32 v12, v13, v14, vcc
	v_lshlrev_b32_e32 v13, 16, v3
	v_mov_b32_e32 v14, 0x3b800000
	v_lshlrev_b32_e32 v6, 20, v6
	v_and_b32_e32 v13, 0x80000000, v13
	v_lshl_add_u32 v12, v12, 23, v14
	v_or3_b32 v12, v13, v12, v6
.LBB1_9648:
	s_or_b64 exec, exec, s[6:7]
	s_nop 0
	v_mfma_f32_16x16x4f32 a[0:3], v2, v12, a[0:3]
	s_movk_i32 s4, 0xff
	v_and_b32_sdwa v6, v7, s4 dst_sel:DWORD dst_unused:UNUSED_PAD src0_sel:WORD_1 src1_sel:DWORD
	s_movk_i32 s4, 0x7f
	v_cmp_lt_i16_e32 vcc, s4, v6
	s_mov_b64 s[4:5], 0
                                        ; implicit-def: $sgpr10
	s_and_saveexec_b64 s[6:7], vcc
	s_xor_b64 s[6:7], exec, s[6:7]
	s_cbranch_execz .LBB1_9649
; %bb.45489:
	s_getpc_b64 s[14:15]
.Lpost_getpc8408:
	s_add_u32 s14, s14, (.LBB1_23985-.Lpost_getpc8408)&4294967295
	s_addc_u32 s15, s15, (.LBB1_23985-.Lpost_getpc8408)>>32
	s_setpc_b64 s[14:15]
.LBB1_9649:
	s_or_saveexec_b64 s[6:7], s[6:7]
	v_mov_b32_e32 v2, s10
	s_xor_b64 exec, exec, s[6:7]
	s_cbranch_execz .LBB1_9650
; %bb.45491:
	s_getpc_b64 s[14:15]
.Lpost_getpc8409:
	s_add_u32 s14, s14, (.LBB1_23988-.Lpost_getpc8409)&4294967295
	s_addc_u32 s15, s15, (.LBB1_23988-.Lpost_getpc8409)>>32
	s_setpc_b64 s[14:15]
.LBB1_9650:
	s_or_b64 exec, exec, s[6:7]
	s_and_saveexec_b64 s[6:7], s[4:5]
	s_cbranch_execz .LBB1_9652
.LBB1_9651:
	v_bfe_u32 v2, v7, 16, 3
	v_ffbh_u32_e32 v13, v2
	v_min_u32_e32 v13, 32, v13
	v_lshrrev_b32_e32 v6, 19, v7
	v_subrev_u32_e32 v14, 28, v13
	v_and_b32_e32 v6, 15, v6
	v_lshlrev_b32_sdwa v14, v14, v7 dst_sel:DWORD dst_unused:UNUSED_PAD src0_sel:DWORD src1_sel:WORD_1
	v_bfe_u32 v12, v7, 19, 4
	v_sub_u32_e32 v13, 29, v13
	v_and_b32_e32 v14, 7, v14
	v_cmp_eq_u16_e32 vcc, 0, v6
	v_cndmask_b32_e32 v2, v2, v14, vcc
	v_cndmask_b32_e32 v6, v12, v13, vcc
	v_lshlrev_b32_e32 v12, 8, v7
	v_mov_b32_e32 v13, 0x3b800000
	v_lshlrev_b32_e32 v2, 20, v2
	v_and_b32_e32 v12, 0x80000000, v12
	v_lshl_add_u32 v6, v6, 23, v13
	v_or3_b32 v2, v12, v6, v2
.LBB1_9652:
	s_or_b64 exec, exec, s[6:7]
	s_movk_i32 s4, 0xff
	v_and_b32_sdwa v6, v3, s4 dst_sel:DWORD dst_unused:UNUSED_PAD src0_sel:WORD_1 src1_sel:DWORD
	s_movk_i32 s4, 0x7f
	v_cmp_lt_i16_e32 vcc, s4, v6
	s_mov_b64 s[4:5], 0
                                        ; implicit-def: $sgpr10
	s_and_saveexec_b64 s[6:7], vcc
	s_xor_b64 s[6:7], exec, s[6:7]
	s_cbranch_execz .LBB1_9653
; %bb.45493:
	s_getpc_b64 s[14:15]
.Lpost_getpc8410:
	s_add_u32 s14, s14, (.LBB1_23989-.Lpost_getpc8410)&4294967295
	s_addc_u32 s15, s15, (.LBB1_23989-.Lpost_getpc8410)>>32
	s_setpc_b64 s[14:15]
.LBB1_9653:
	s_or_saveexec_b64 s[6:7], s[6:7]
	v_mov_b32_e32 v12, s10
	s_xor_b64 exec, exec, s[6:7]
	s_cbranch_execz .LBB1_9654
; %bb.45495:
	s_getpc_b64 s[14:15]
.Lpost_getpc8411:
	s_add_u32 s14, s14, (.LBB1_23992-.Lpost_getpc8411)&4294967295
	s_addc_u32 s15, s15, (.LBB1_23992-.Lpost_getpc8411)>>32
	s_setpc_b64 s[14:15]
.LBB1_9654:
	s_or_b64 exec, exec, s[6:7]
	s_and_saveexec_b64 s[6:7], s[4:5]
	s_cbranch_execz .LBB1_9656
.LBB1_9655:
	v_bfe_u32 v6, v3, 16, 3
	v_ffbh_u32_e32 v14, v6
	v_min_u32_e32 v14, 32, v14
	v_lshrrev_b32_e32 v12, 19, v3
	v_subrev_u32_e32 v15, 28, v14
	v_and_b32_e32 v12, 15, v12
	v_lshlrev_b32_sdwa v15, v15, v3 dst_sel:DWORD dst_unused:UNUSED_PAD src0_sel:DWORD src1_sel:WORD_1
	v_bfe_u32 v13, v3, 19, 4
	v_sub_u32_e32 v14, 29, v14
	v_and_b32_e32 v15, 7, v15
	v_cmp_eq_u16_e32 vcc, 0, v12
	v_cndmask_b32_e32 v6, v6, v15, vcc
	v_cndmask_b32_e32 v12, v13, v14, vcc
	v_lshlrev_b32_e32 v13, 8, v3
	v_mov_b32_e32 v14, 0x3b800000
	v_lshlrev_b32_e32 v6, 20, v6
	v_and_b32_e32 v13, 0x80000000, v13
	v_lshl_add_u32 v12, v12, 23, v14
	v_or3_b32 v12, v13, v12, v6
.LBB1_9656:
	s_or_b64 exec, exec, s[6:7]
	s_nop 0
	v_mfma_f32_16x16x4f32 a[0:3], v2, v12, a[0:3]
	s_movk_i32 s4, 0x7f
	v_cmp_gt_i16_sdwa s[6:7], v7, s4 src0_sel:BYTE_3 src1_sel:DWORD
	s_mov_b64 s[4:5], 0
                                        ; implicit-def: $sgpr10
	s_and_saveexec_b64 s[8:9], s[6:7]
	s_xor_b64 s[6:7], exec, s[8:9]
	s_cbranch_execz .LBB1_9657
; %bb.45497:
	s_getpc_b64 s[14:15]
.Lpost_getpc8412:
	s_add_u32 s14, s14, (.LBB1_23993-.Lpost_getpc8412)&4294967295
	s_addc_u32 s15, s15, (.LBB1_23993-.Lpost_getpc8412)>>32
	s_setpc_b64 s[14:15]
.LBB1_9657:
	s_or_saveexec_b64 s[6:7], s[6:7]
	v_mov_b32_e32 v2, s10
	s_xor_b64 exec, exec, s[6:7]
	s_cbranch_execz .LBB1_9658
; %bb.45499:
	s_getpc_b64 s[14:15]
.Lpost_getpc8413:
	s_add_u32 s14, s14, (.LBB1_23996-.Lpost_getpc8413)&4294967295
	s_addc_u32 s15, s15, (.LBB1_23996-.Lpost_getpc8413)>>32
	s_setpc_b64 s[14:15]
.LBB1_9658:
	s_or_b64 exec, exec, s[6:7]
	s_and_saveexec_b64 s[6:7], s[4:5]
	s_cbranch_execz .LBB1_9660
.LBB1_9659:
	v_bfe_u32 v2, v7, 24, 3
	v_ffbh_u32_e32 v14, v2
	v_min_u32_e32 v14, 32, v14
	v_lshrrev_b32_e32 v12, 27, v7
	v_subrev_u32_e32 v15, 28, v14
	v_and_b32_e32 v6, 0x80000000, v7
	v_and_b32_e32 v12, 15, v12
	v_bfe_u32 v13, v7, 27, 4
	v_lshlrev_b32_sdwa v7, v15, v7 dst_sel:DWORD dst_unused:UNUSED_PAD src0_sel:DWORD src1_sel:BYTE_3
	v_sub_u32_e32 v14, 29, v14
	v_and_b32_e32 v7, 7, v7
	v_cmp_eq_u16_e32 vcc, 0, v12
	v_cndmask_b32_e32 v2, v2, v7, vcc
	v_cndmask_b32_e32 v7, v13, v14, vcc
	v_mov_b32_e32 v12, 0x3b800000
	v_lshlrev_b32_e32 v2, 20, v2
	v_lshl_add_u32 v7, v7, 23, v12
	v_or3_b32 v2, v6, v7, v2
.LBB1_9660:
	s_or_b64 exec, exec, s[6:7]
	s_movk_i32 s4, 0x7f
	v_cmp_gt_i16_sdwa s[6:7], v3, s4 src0_sel:BYTE_3 src1_sel:DWORD
	s_mov_b64 s[4:5], 0
                                        ; implicit-def: $sgpr10
	s_and_saveexec_b64 s[8:9], s[6:7]
	s_xor_b64 s[6:7], exec, s[8:9]
	s_cbranch_execz .LBB1_9661
; %bb.45501:
	s_getpc_b64 s[14:15]
.Lpost_getpc8414:
	s_add_u32 s14, s14, (.LBB1_23997-.Lpost_getpc8414)&4294967295
	s_addc_u32 s15, s15, (.LBB1_23997-.Lpost_getpc8414)>>32
	s_setpc_b64 s[14:15]
.LBB1_9661:
	s_or_saveexec_b64 s[6:7], s[6:7]
	v_mov_b32_e32 v6, s10
	s_xor_b64 exec, exec, s[6:7]
	s_cbranch_execz .LBB1_9662
; %bb.45503:
	s_getpc_b64 s[14:15]
.Lpost_getpc8415:
	s_add_u32 s14, s14, (.LBB1_24000-.Lpost_getpc8415)&4294967295
	s_addc_u32 s15, s15, (.LBB1_24000-.Lpost_getpc8415)>>32
	s_setpc_b64 s[14:15]
.LBB1_9662:
	s_or_b64 exec, exec, s[6:7]
	s_and_saveexec_b64 s[6:7], s[4:5]
	s_cbranch_execz .LBB1_9664
.LBB1_9663:
	v_bfe_u32 v6, v3, 24, 3
	v_ffbh_u32_e32 v14, v6
	v_min_u32_e32 v14, 32, v14
	v_lshrrev_b32_e32 v12, 27, v3
	v_subrev_u32_e32 v15, 28, v14
	v_and_b32_e32 v7, 0x80000000, v3
	v_and_b32_e32 v12, 15, v12
	v_bfe_u32 v13, v3, 27, 4
	v_lshlrev_b32_sdwa v3, v15, v3 dst_sel:DWORD dst_unused:UNUSED_PAD src0_sel:DWORD src1_sel:BYTE_3
	v_sub_u32_e32 v14, 29, v14
	v_and_b32_e32 v3, 7, v3
	v_cmp_eq_u16_e32 vcc, 0, v12
	v_cndmask_b32_e32 v3, v6, v3, vcc
	v_cndmask_b32_e32 v6, v13, v14, vcc
	v_mov_b32_e32 v12, 0x3b800000
	v_lshlrev_b32_e32 v3, 20, v3
	v_lshl_add_u32 v6, v6, 23, v12
	v_or3_b32 v6, v7, v6, v3
.LBB1_9664:
	s_or_b64 exec, exec, s[6:7]
	s_nop 0
	v_mfma_f32_16x16x4f32 a[0:3], v2, v6, a[0:3]
	s_movk_i32 s4, 0x7f
	v_cmp_gt_i16_sdwa s[6:7], v8, s4 src0_sel:BYTE_0 src1_sel:DWORD
	s_mov_b64 s[4:5], 0
                                        ; implicit-def: $sgpr10
	s_and_saveexec_b64 s[8:9], s[6:7]
	s_xor_b64 s[6:7], exec, s[8:9]
	s_cbranch_execz .LBB1_9665
; %bb.45505:
	s_getpc_b64 s[14:15]
.Lpost_getpc8416:
	s_add_u32 s14, s14, (.LBB1_24001-.Lpost_getpc8416)&4294967295
	s_addc_u32 s15, s15, (.LBB1_24001-.Lpost_getpc8416)>>32
	s_setpc_b64 s[14:15]
.LBB1_9665:
	s_or_saveexec_b64 s[6:7], s[6:7]
	v_mov_b32_e32 v2, s10
	s_xor_b64 exec, exec, s[6:7]
	s_cbranch_execz .LBB1_9666
; %bb.45507:
	s_getpc_b64 s[14:15]
.Lpost_getpc8417:
	s_add_u32 s14, s14, (.LBB1_24004-.Lpost_getpc8417)&4294967295
	s_addc_u32 s15, s15, (.LBB1_24004-.Lpost_getpc8417)>>32
	s_setpc_b64 s[14:15]
.LBB1_9666:
	s_or_b64 exec, exec, s[6:7]
	s_and_saveexec_b64 s[6:7], s[4:5]
	s_cbranch_execz .LBB1_9668
.LBB1_9667:
	v_and_b32_e32 v2, 7, v8
	v_ffbh_u32_e32 v6, v2
	v_min_u32_e32 v6, 32, v6
	v_lshrrev_b16_e32 v3, 3, v8
	v_subrev_u32_e32 v7, 28, v6
	v_and_b32_e32 v3, 15, v3
	v_lshlrev_b32_e32 v7, v7, v8
	v_sub_u32_e32 v6, 29, v6
	v_and_b32_e32 v7, 7, v7
	v_cmp_eq_u16_e32 vcc, 0, v3
	v_cndmask_b32_e32 v2, v2, v7, vcc
	v_cndmask_b32_e32 v3, v3, v6, vcc
	v_lshlrev_b32_e32 v6, 24, v8
	v_mov_b32_e32 v7, 0x3b800000
	v_lshlrev_b32_e32 v2, 20, v2
	v_and_b32_e32 v6, 0x80000000, v6
	v_lshl_add_u32 v3, v3, 23, v7
	v_or3_b32 v2, v6, v3, v2
.LBB1_9668:
	s_or_b64 exec, exec, s[6:7]
	s_movk_i32 s4, 0x7f
	v_cmp_gt_i16_sdwa s[6:7], v4, s4 src0_sel:BYTE_0 src1_sel:DWORD
	s_mov_b64 s[4:5], 0
                                        ; implicit-def: $sgpr10
	s_and_saveexec_b64 s[8:9], s[6:7]
	s_xor_b64 s[6:7], exec, s[8:9]
	s_cbranch_execz .LBB1_9669
; %bb.45509:
	s_getpc_b64 s[14:15]
.Lpost_getpc8418:
	s_add_u32 s14, s14, (.LBB1_24005-.Lpost_getpc8418)&4294967295
	s_addc_u32 s15, s15, (.LBB1_24005-.Lpost_getpc8418)>>32
	s_setpc_b64 s[14:15]
.LBB1_9669:
	s_or_saveexec_b64 s[6:7], s[6:7]
	v_mov_b32_e32 v3, s10
	s_xor_b64 exec, exec, s[6:7]
	s_cbranch_execz .LBB1_9670
; %bb.45511:
	s_getpc_b64 s[14:15]
.Lpost_getpc8419:
	s_add_u32 s14, s14, (.LBB1_24008-.Lpost_getpc8419)&4294967295
	s_addc_u32 s15, s15, (.LBB1_24008-.Lpost_getpc8419)>>32
	s_setpc_b64 s[14:15]
.LBB1_9670:
	s_or_b64 exec, exec, s[6:7]
	s_and_saveexec_b64 s[6:7], s[4:5]
	s_cbranch_execz .LBB1_9672
.LBB1_9671:
	v_and_b32_e32 v3, 7, v4
	v_ffbh_u32_e32 v7, v3
	v_min_u32_e32 v7, 32, v7
	v_lshrrev_b16_e32 v6, 3, v4
	v_subrev_u32_e32 v12, 28, v7
	v_and_b32_e32 v6, 15, v6
	v_lshlrev_b32_e32 v12, v12, v4
	v_sub_u32_e32 v7, 29, v7
	v_and_b32_e32 v12, 7, v12
	v_cmp_eq_u16_e32 vcc, 0, v6
	v_cndmask_b32_e32 v3, v3, v12, vcc
	v_cndmask_b32_e32 v6, v6, v7, vcc
	v_lshlrev_b32_e32 v7, 24, v4
	v_mov_b32_e32 v12, 0x3b800000
	v_lshlrev_b32_e32 v3, 20, v3
	v_and_b32_e32 v7, 0x80000000, v7
	v_lshl_add_u32 v6, v6, 23, v12
	v_or3_b32 v3, v7, v6, v3
.LBB1_9672:
	s_or_b64 exec, exec, s[6:7]
	s_nop 0
	v_mfma_f32_16x16x4f32 a[0:3], v2, v3, a[0:3]
	v_lshrrev_b32_e32 v3, 8, v8
	s_movk_i32 s4, 0x7f
	v_cmp_gt_i16_sdwa s[6:7], v3, s4 src0_sel:BYTE_0 src1_sel:DWORD
	s_mov_b64 s[4:5], 0
                                        ; implicit-def: $sgpr10
	s_and_saveexec_b64 s[8:9], s[6:7]
	s_xor_b64 s[6:7], exec, s[8:9]
	s_cbranch_execz .LBB1_9673
; %bb.45513:
	s_getpc_b64 s[14:15]
.Lpost_getpc8420:
	s_add_u32 s14, s14, (.LBB1_24009-.Lpost_getpc8420)&4294967295
	s_addc_u32 s15, s15, (.LBB1_24009-.Lpost_getpc8420)>>32
	s_setpc_b64 s[14:15]
.LBB1_9673:
	s_or_saveexec_b64 s[6:7], s[6:7]
	v_mov_b32_e32 v2, s10
	s_xor_b64 exec, exec, s[6:7]
	s_cbranch_execz .LBB1_9674
; %bb.45515:
	s_getpc_b64 s[14:15]
.Lpost_getpc8421:
	s_add_u32 s14, s14, (.LBB1_24012-.Lpost_getpc8421)&4294967295
	s_addc_u32 s15, s15, (.LBB1_24012-.Lpost_getpc8421)>>32
	s_setpc_b64 s[14:15]
.LBB1_9674:
	s_or_b64 exec, exec, s[6:7]
	s_and_saveexec_b64 s[6:7], s[4:5]
	s_cbranch_execz .LBB1_9676
.LBB1_9675:
	v_bfe_u32 v2, v8, 8, 3
	v_ffbh_u32_e32 v7, v2
	v_min_u32_e32 v7, 32, v7
	v_lshrrev_b16_e32 v6, 3, v3
	v_subrev_u32_e32 v12, 28, v7
	v_and_b32_e32 v6, 15, v6
	v_lshlrev_b32_e32 v3, v12, v3
	v_sub_u32_e32 v7, 29, v7
	v_and_b32_e32 v3, 7, v3
	v_cmp_eq_u16_e32 vcc, 0, v6
	v_cndmask_b32_e32 v2, v2, v3, vcc
	v_cndmask_b32_e32 v3, v6, v7, vcc
	v_lshlrev_b32_e32 v6, 16, v8
	v_mov_b32_e32 v7, 0x3b800000
	v_lshlrev_b32_e32 v2, 20, v2
	v_and_b32_e32 v6, 0x80000000, v6
	v_lshl_add_u32 v3, v3, 23, v7
	v_or3_b32 v2, v6, v3, v2
.LBB1_9676:
	s_or_b64 exec, exec, s[6:7]
	v_lshrrev_b32_e32 v3, 8, v4
	s_movk_i32 s4, 0x7f
	v_cmp_gt_i16_sdwa s[6:7], v3, s4 src0_sel:BYTE_0 src1_sel:DWORD
	s_mov_b64 s[4:5], 0
                                        ; implicit-def: $sgpr10
	s_and_saveexec_b64 s[8:9], s[6:7]
	s_xor_b64 s[6:7], exec, s[8:9]
	s_cbranch_execz .LBB1_9677
; %bb.45517:
	s_getpc_b64 s[14:15]
.Lpost_getpc8422:
	s_add_u32 s14, s14, (.LBB1_24013-.Lpost_getpc8422)&4294967295
	s_addc_u32 s15, s15, (.LBB1_24013-.Lpost_getpc8422)>>32
	s_setpc_b64 s[14:15]
.LBB1_9677:
	s_or_saveexec_b64 s[6:7], s[6:7]
	v_mov_b32_e32 v6, s10
	s_xor_b64 exec, exec, s[6:7]
	s_cbranch_execz .LBB1_9678
; %bb.45519:
	s_getpc_b64 s[14:15]
.Lpost_getpc8423:
	s_add_u32 s14, s14, (.LBB1_24016-.Lpost_getpc8423)&4294967295
	s_addc_u32 s15, s15, (.LBB1_24016-.Lpost_getpc8423)>>32
	s_setpc_b64 s[14:15]
.LBB1_9678:
	s_or_b64 exec, exec, s[6:7]
	s_and_saveexec_b64 s[6:7], s[4:5]
	s_cbranch_execz .LBB1_9680
.LBB1_9679:
	v_bfe_u32 v6, v4, 8, 3
	v_ffbh_u32_e32 v12, v6
	v_min_u32_e32 v12, 32, v12
	v_lshrrev_b16_e32 v7, 3, v3
	v_subrev_u32_e32 v13, 28, v12
	v_and_b32_e32 v7, 15, v7
	v_lshlrev_b32_e32 v3, v13, v3
	v_sub_u32_e32 v12, 29, v12
	v_and_b32_e32 v3, 7, v3
	v_cmp_eq_u16_e32 vcc, 0, v7
	v_cndmask_b32_e32 v3, v6, v3, vcc
	v_cndmask_b32_e32 v6, v7, v12, vcc
	v_lshlrev_b32_e32 v7, 16, v4
	v_mov_b32_e32 v12, 0x3b800000
	v_lshlrev_b32_e32 v3, 20, v3
	v_and_b32_e32 v7, 0x80000000, v7
	v_lshl_add_u32 v6, v6, 23, v12
	v_or3_b32 v6, v7, v6, v3
.LBB1_9680:
	s_or_b64 exec, exec, s[6:7]
	s_nop 0
	v_mfma_f32_16x16x4f32 a[0:3], v2, v6, a[0:3]
	s_movk_i32 s4, 0xff
	v_and_b32_sdwa v3, v8, s4 dst_sel:DWORD dst_unused:UNUSED_PAD src0_sel:WORD_1 src1_sel:DWORD
	s_movk_i32 s4, 0x7f
	v_cmp_lt_i16_e32 vcc, s4, v3
	s_mov_b64 s[4:5], 0
                                        ; implicit-def: $sgpr10
	s_and_saveexec_b64 s[6:7], vcc
	s_xor_b64 s[6:7], exec, s[6:7]
	s_cbranch_execz .LBB1_9681
; %bb.45521:
	s_getpc_b64 s[14:15]
.Lpost_getpc8424:
	s_add_u32 s14, s14, (.LBB1_24017-.Lpost_getpc8424)&4294967295
	s_addc_u32 s15, s15, (.LBB1_24017-.Lpost_getpc8424)>>32
	s_setpc_b64 s[14:15]
.LBB1_9681:
	s_or_saveexec_b64 s[6:7], s[6:7]
	v_mov_b32_e32 v2, s10
	s_xor_b64 exec, exec, s[6:7]
	s_cbranch_execz .LBB1_9682
; %bb.45523:
	s_getpc_b64 s[14:15]
.Lpost_getpc8425:
	s_add_u32 s14, s14, (.LBB1_24020-.Lpost_getpc8425)&4294967295
	s_addc_u32 s15, s15, (.LBB1_24020-.Lpost_getpc8425)>>32
	s_setpc_b64 s[14:15]
.LBB1_9682:
	s_or_b64 exec, exec, s[6:7]
	s_and_saveexec_b64 s[6:7], s[4:5]
	s_cbranch_execz .LBB1_9684
.LBB1_9683:
	v_bfe_u32 v2, v8, 16, 3
	v_ffbh_u32_e32 v7, v2
	v_min_u32_e32 v7, 32, v7
	v_lshrrev_b32_e32 v3, 19, v8
	v_subrev_u32_e32 v12, 28, v7
	v_and_b32_e32 v3, 15, v3
	v_lshlrev_b32_sdwa v12, v12, v8 dst_sel:DWORD dst_unused:UNUSED_PAD src0_sel:DWORD src1_sel:WORD_1
	v_bfe_u32 v6, v8, 19, 4
	v_sub_u32_e32 v7, 29, v7
	v_and_b32_e32 v12, 7, v12
	v_cmp_eq_u16_e32 vcc, 0, v3
	v_cndmask_b32_e32 v2, v2, v12, vcc
	v_cndmask_b32_e32 v3, v6, v7, vcc
	v_lshlrev_b32_e32 v6, 8, v8
	v_mov_b32_e32 v7, 0x3b800000
	v_lshlrev_b32_e32 v2, 20, v2
	v_and_b32_e32 v6, 0x80000000, v6
	v_lshl_add_u32 v3, v3, 23, v7
	v_or3_b32 v2, v6, v3, v2
.LBB1_9684:
	s_or_b64 exec, exec, s[6:7]
	s_movk_i32 s4, 0xff
	v_and_b32_sdwa v3, v4, s4 dst_sel:DWORD dst_unused:UNUSED_PAD src0_sel:WORD_1 src1_sel:DWORD
	s_movk_i32 s4, 0x7f
	v_cmp_lt_i16_e32 vcc, s4, v3
	s_mov_b64 s[4:5], 0
                                        ; implicit-def: $sgpr10
	s_and_saveexec_b64 s[6:7], vcc
	s_xor_b64 s[6:7], exec, s[6:7]
	s_cbranch_execz .LBB1_9685
; %bb.45525:
	s_getpc_b64 s[14:15]
.Lpost_getpc8426:
	s_add_u32 s14, s14, (.LBB1_24021-.Lpost_getpc8426)&4294967295
	s_addc_u32 s15, s15, (.LBB1_24021-.Lpost_getpc8426)>>32
	s_setpc_b64 s[14:15]
.LBB1_9685:
	s_or_saveexec_b64 s[6:7], s[6:7]
	v_mov_b32_e32 v6, s10
	s_xor_b64 exec, exec, s[6:7]
	s_cbranch_execz .LBB1_9686
; %bb.45527:
	s_getpc_b64 s[14:15]
.Lpost_getpc8427:
	s_add_u32 s14, s14, (.LBB1_24024-.Lpost_getpc8427)&4294967295
	s_addc_u32 s15, s15, (.LBB1_24024-.Lpost_getpc8427)>>32
	s_setpc_b64 s[14:15]
.LBB1_9686:
	s_or_b64 exec, exec, s[6:7]
	s_and_saveexec_b64 s[6:7], s[4:5]
	s_cbranch_execz .LBB1_9688
.LBB1_9687:
	v_bfe_u32 v3, v4, 16, 3
	v_ffbh_u32_e32 v12, v3
	v_min_u32_e32 v12, 32, v12
	v_lshrrev_b32_e32 v6, 19, v4
	v_subrev_u32_e32 v13, 28, v12
	v_and_b32_e32 v6, 15, v6
	v_lshlrev_b32_sdwa v13, v13, v4 dst_sel:DWORD dst_unused:UNUSED_PAD src0_sel:DWORD src1_sel:WORD_1
	v_bfe_u32 v7, v4, 19, 4
	v_sub_u32_e32 v12, 29, v12
	v_and_b32_e32 v13, 7, v13
	v_cmp_eq_u16_e32 vcc, 0, v6
	v_cndmask_b32_e32 v3, v3, v13, vcc
	v_cndmask_b32_e32 v6, v7, v12, vcc
	v_lshlrev_b32_e32 v7, 8, v4
	v_mov_b32_e32 v12, 0x3b800000
	v_lshlrev_b32_e32 v3, 20, v3
	v_and_b32_e32 v7, 0x80000000, v7
	v_lshl_add_u32 v6, v6, 23, v12
	v_or3_b32 v6, v7, v6, v3
.LBB1_9688:
	s_or_b64 exec, exec, s[6:7]
	s_nop 0
	v_mfma_f32_16x16x4f32 a[0:3], v2, v6, a[0:3]
	s_movk_i32 s4, 0x7f
	v_cmp_gt_i16_sdwa s[6:7], v8, s4 src0_sel:BYTE_3 src1_sel:DWORD
	s_mov_b64 s[4:5], 0
                                        ; implicit-def: $sgpr10
	s_and_saveexec_b64 s[8:9], s[6:7]
	s_xor_b64 s[6:7], exec, s[8:9]
	s_cbranch_execz .LBB1_9689
; %bb.45529:
	s_getpc_b64 s[14:15]
.Lpost_getpc8428:
	s_add_u32 s14, s14, (.LBB1_24025-.Lpost_getpc8428)&4294967295
	s_addc_u32 s15, s15, (.LBB1_24025-.Lpost_getpc8428)>>32
	s_setpc_b64 s[14:15]
.LBB1_9689:
	s_or_saveexec_b64 s[6:7], s[6:7]
	v_mov_b32_e32 v2, s10
	s_xor_b64 exec, exec, s[6:7]
	s_cbranch_execz .LBB1_9690
; %bb.45531:
	s_getpc_b64 s[14:15]
.Lpost_getpc8429:
	s_add_u32 s14, s14, (.LBB1_24028-.Lpost_getpc8429)&4294967295
	s_addc_u32 s15, s15, (.LBB1_24028-.Lpost_getpc8429)>>32
	s_setpc_b64 s[14:15]
.LBB1_9690:
	s_or_b64 exec, exec, s[6:7]
	s_and_saveexec_b64 s[6:7], s[4:5]
	s_cbranch_execz .LBB1_9692
.LBB1_9691:
	v_bfe_u32 v2, v8, 24, 3
	v_ffbh_u32_e32 v12, v2
	v_min_u32_e32 v12, 32, v12
	v_lshrrev_b32_e32 v6, 27, v8
	v_subrev_u32_e32 v13, 28, v12
	v_and_b32_e32 v3, 0x80000000, v8
	v_and_b32_e32 v6, 15, v6
	v_bfe_u32 v7, v8, 27, 4
	v_lshlrev_b32_sdwa v8, v13, v8 dst_sel:DWORD dst_unused:UNUSED_PAD src0_sel:DWORD src1_sel:BYTE_3
	v_sub_u32_e32 v12, 29, v12
	v_and_b32_e32 v8, 7, v8
	v_cmp_eq_u16_e32 vcc, 0, v6
	v_cndmask_b32_e32 v2, v2, v8, vcc
	v_cndmask_b32_e32 v6, v7, v12, vcc
	v_mov_b32_e32 v7, 0x3b800000
	v_lshlrev_b32_e32 v2, 20, v2
	v_lshl_add_u32 v6, v6, 23, v7
	v_or3_b32 v2, v3, v6, v2
.LBB1_9692:
	s_or_b64 exec, exec, s[6:7]
	s_movk_i32 s4, 0x7f
	v_cmp_gt_i16_sdwa s[6:7], v4, s4 src0_sel:BYTE_3 src1_sel:DWORD
	s_mov_b64 s[4:5], 0
                                        ; implicit-def: $sgpr10
	s_and_saveexec_b64 s[8:9], s[6:7]
	s_xor_b64 s[6:7], exec, s[8:9]
	s_cbranch_execz .LBB1_9693
; %bb.45533:
	s_getpc_b64 s[14:15]
.Lpost_getpc8430:
	s_add_u32 s14, s14, (.LBB1_24029-.Lpost_getpc8430)&4294967295
	s_addc_u32 s15, s15, (.LBB1_24029-.Lpost_getpc8430)>>32
	s_setpc_b64 s[14:15]
.LBB1_9693:
	s_or_saveexec_b64 s[6:7], s[6:7]
	v_mov_b32_e32 v3, s10
	s_xor_b64 exec, exec, s[6:7]
	s_cbranch_execz .LBB1_9694
; %bb.45535:
	s_getpc_b64 s[14:15]
.Lpost_getpc8431:
	s_add_u32 s14, s14, (.LBB1_24032-.Lpost_getpc8431)&4294967295
	s_addc_u32 s15, s15, (.LBB1_24032-.Lpost_getpc8431)>>32
	s_setpc_b64 s[14:15]
.LBB1_9694:
	s_or_b64 exec, exec, s[6:7]
	s_and_saveexec_b64 s[6:7], s[4:5]
	s_cbranch_execz .LBB1_9696
.LBB1_9695:
	v_bfe_u32 v3, v4, 24, 3
	v_ffbh_u32_e32 v12, v3
	v_min_u32_e32 v12, 32, v12
	v_lshrrev_b32_e32 v7, 27, v4
	v_subrev_u32_e32 v13, 28, v12
	v_and_b32_e32 v6, 0x80000000, v4
	v_and_b32_e32 v7, 15, v7
	v_bfe_u32 v8, v4, 27, 4
	v_lshlrev_b32_sdwa v4, v13, v4 dst_sel:DWORD dst_unused:UNUSED_PAD src0_sel:DWORD src1_sel:BYTE_3
	v_sub_u32_e32 v12, 29, v12
	v_and_b32_e32 v4, 7, v4
	v_cmp_eq_u16_e32 vcc, 0, v7
	v_cndmask_b32_e32 v3, v3, v4, vcc
	v_cndmask_b32_e32 v4, v8, v12, vcc
	v_mov_b32_e32 v7, 0x3b800000
	v_lshlrev_b32_e32 v3, 20, v3
	v_lshl_add_u32 v4, v4, 23, v7
	v_or3_b32 v3, v6, v4, v3
.LBB1_9696:
	s_or_b64 exec, exec, s[6:7]
	s_nop 0
	v_mfma_f32_16x16x4f32 a[0:3], v2, v3, a[0:3]
	s_movk_i32 s4, 0x7f
	v_cmp_gt_i16_sdwa s[6:7], v9, s4 src0_sel:BYTE_0 src1_sel:DWORD
	s_mov_b64 s[4:5], 0
                                        ; implicit-def: $sgpr10
	s_and_saveexec_b64 s[8:9], s[6:7]
	s_xor_b64 s[6:7], exec, s[8:9]
	s_cbranch_execz .LBB1_9697
; %bb.45537:
	s_getpc_b64 s[14:15]
.Lpost_getpc8432:
	s_add_u32 s14, s14, (.LBB1_24033-.Lpost_getpc8432)&4294967295
	s_addc_u32 s15, s15, (.LBB1_24033-.Lpost_getpc8432)>>32
	s_setpc_b64 s[14:15]
.LBB1_9697:
	s_or_saveexec_b64 s[6:7], s[6:7]
	v_mov_b32_e32 v2, s10
	s_xor_b64 exec, exec, s[6:7]
	s_cbranch_execz .LBB1_9698
; %bb.45539:
	s_getpc_b64 s[14:15]
.Lpost_getpc8433:
	s_add_u32 s14, s14, (.LBB1_24036-.Lpost_getpc8433)&4294967295
	s_addc_u32 s15, s15, (.LBB1_24036-.Lpost_getpc8433)>>32
	s_setpc_b64 s[14:15]
.LBB1_9698:
	s_or_b64 exec, exec, s[6:7]
	s_and_saveexec_b64 s[6:7], s[4:5]
	s_cbranch_execz .LBB1_9700
.LBB1_9699:
	v_mov_b32_e32 v2, 8
	v_and_b32_e32 v3, 7, v9
	v_lshrrev_b32_sdwa v2, v2, v9 dst_sel:BYTE_1 dst_unused:UNUSED_PAD src0_sel:DWORD src1_sel:DWORD
	v_ffbh_u32_e32 v4, v3
	v_or_b32_sdwa v2, v9, v2 dst_sel:DWORD dst_unused:UNUSED_PAD src0_sel:BYTE_0 src1_sel:DWORD
	v_min_u32_e32 v4, 32, v4
	v_lshrrev_b16_e32 v2, 3, v2
	v_subrev_u32_e32 v6, 28, v4
	v_and_b32_e32 v2, 15, v2
	v_lshlrev_b32_e32 v6, v6, v9
	v_sub_u32_e32 v4, 29, v4
	v_and_b32_e32 v6, 7, v6
	v_cmp_eq_u16_e32 vcc, 0, v2
	v_cndmask_b32_e32 v3, v3, v6, vcc
	v_cndmask_b32_e32 v2, v2, v4, vcc
	v_lshlrev_b32_e32 v4, 24, v9
	v_mov_b32_e32 v6, 0x3b800000
	v_lshlrev_b32_e32 v3, 20, v3
	v_and_b32_e32 v4, 0x80000000, v4
	v_lshl_add_u32 v2, v2, 23, v6
	v_or3_b32 v2, v4, v2, v3
.LBB1_9700:
	s_or_b64 exec, exec, s[6:7]
	s_movk_i32 s4, 0x7f
	v_cmp_gt_i16_sdwa s[6:7], v5, s4 src0_sel:BYTE_0 src1_sel:DWORD
	s_mov_b64 s[4:5], 0
                                        ; implicit-def: $sgpr10
	s_and_saveexec_b64 s[8:9], s[6:7]
	s_xor_b64 s[6:7], exec, s[8:9]
	s_cbranch_execz .LBB1_9701
; %bb.45541:
	s_getpc_b64 s[14:15]
.Lpost_getpc8434:
	s_add_u32 s14, s14, (.LBB1_24037-.Lpost_getpc8434)&4294967295
	s_addc_u32 s15, s15, (.LBB1_24037-.Lpost_getpc8434)>>32
	s_setpc_b64 s[14:15]
.LBB1_9701:
	s_or_saveexec_b64 s[6:7], s[6:7]
	v_mov_b32_e32 v3, s10
	s_xor_b64 exec, exec, s[6:7]
	s_cbranch_execz .LBB1_9702
; %bb.45543:
	s_getpc_b64 s[14:15]
.Lpost_getpc8435:
	s_add_u32 s14, s14, (.LBB1_24040-.Lpost_getpc8435)&4294967295
	s_addc_u32 s15, s15, (.LBB1_24040-.Lpost_getpc8435)>>32
	s_setpc_b64 s[14:15]
.LBB1_9702:
	s_or_b64 exec, exec, s[6:7]
	s_and_saveexec_b64 s[6:7], s[4:5]
	s_cbranch_execz .LBB1_9704
.LBB1_9703:
	v_mov_b32_e32 v3, 8
	v_and_b32_e32 v4, 7, v5
	v_lshrrev_b32_sdwa v3, v3, v5 dst_sel:BYTE_1 dst_unused:UNUSED_PAD src0_sel:DWORD src1_sel:DWORD
	v_ffbh_u32_e32 v6, v4
	v_or_b32_sdwa v3, v5, v3 dst_sel:DWORD dst_unused:UNUSED_PAD src0_sel:BYTE_0 src1_sel:DWORD
	v_min_u32_e32 v6, 32, v6
	v_lshrrev_b16_e32 v3, 3, v3
	v_subrev_u32_e32 v7, 28, v6
	v_and_b32_e32 v3, 15, v3
	v_lshlrev_b32_e32 v7, v7, v5
	v_sub_u32_e32 v6, 29, v6
	v_and_b32_e32 v7, 7, v7
	v_cmp_eq_u16_e32 vcc, 0, v3
	v_cndmask_b32_e32 v4, v4, v7, vcc
	v_cndmask_b32_e32 v3, v3, v6, vcc
	v_lshlrev_b32_e32 v6, 24, v5
	v_mov_b32_e32 v7, 0x3b800000
	v_lshlrev_b32_e32 v4, 20, v4
	v_and_b32_e32 v6, 0x80000000, v6
	v_lshl_add_u32 v3, v3, 23, v7
	v_or3_b32 v3, v6, v3, v4
.LBB1_9704:
	s_or_b64 exec, exec, s[6:7]
	s_nop 0
	v_mfma_f32_16x16x4f32 a[0:3], v2, v3, a[0:3]
	v_lshrrev_b32_e32 v3, 8, v9
	s_movk_i32 s4, 0x7f
	v_cmp_gt_i16_sdwa s[6:7], v3, s4 src0_sel:BYTE_0 src1_sel:DWORD
	s_mov_b64 s[4:5], 0
                                        ; implicit-def: $sgpr10
	s_and_saveexec_b64 s[8:9], s[6:7]
	s_xor_b64 s[6:7], exec, s[8:9]
	s_cbranch_execz .LBB1_9705
; %bb.45545:
	s_getpc_b64 s[14:15]
.Lpost_getpc8436:
	s_add_u32 s14, s14, (.LBB1_24041-.Lpost_getpc8436)&4294967295
	s_addc_u32 s15, s15, (.LBB1_24041-.Lpost_getpc8436)>>32
	s_setpc_b64 s[14:15]
.LBB1_9705:
	s_or_saveexec_b64 s[6:7], s[6:7]
	v_mov_b32_e32 v2, s10
	s_xor_b64 exec, exec, s[6:7]
	s_cbranch_execz .LBB1_9706
; %bb.45547:
	s_getpc_b64 s[14:15]
.Lpost_getpc8437:
	s_add_u32 s14, s14, (.LBB1_24044-.Lpost_getpc8437)&4294967295
	s_addc_u32 s15, s15, (.LBB1_24044-.Lpost_getpc8437)>>32
	s_setpc_b64 s[14:15]
.LBB1_9706:
	s_or_b64 exec, exec, s[6:7]
	s_and_saveexec_b64 s[6:7], s[4:5]
	s_cbranch_execz .LBB1_9708
.LBB1_9707:
	v_bfe_u32 v2, v9, 8, 3
	v_ffbh_u32_e32 v6, v2
	v_min_u32_e32 v6, 32, v6
	v_lshrrev_b16_e32 v4, 3, v3
	v_subrev_u32_e32 v7, 28, v6
	v_and_b32_e32 v4, 15, v4
	v_lshlrev_b32_e32 v3, v7, v3
	v_sub_u32_e32 v6, 29, v6
	v_and_b32_e32 v3, 7, v3
	v_cmp_eq_u16_e32 vcc, 0, v4
	v_cndmask_b32_e32 v2, v2, v3, vcc
	v_cndmask_b32_e32 v3, v4, v6, vcc
	v_lshlrev_b32_e32 v4, 16, v9
	v_mov_b32_e32 v6, 0x3b800000
	v_lshlrev_b32_e32 v2, 20, v2
	v_and_b32_e32 v4, 0x80000000, v4
	v_lshl_add_u32 v3, v3, 23, v6
	v_or3_b32 v2, v4, v3, v2
.LBB1_9708:
	s_or_b64 exec, exec, s[6:7]
	v_lshrrev_b32_e32 v3, 8, v5
	s_movk_i32 s4, 0x7f
	v_cmp_gt_i16_sdwa s[6:7], v3, s4 src0_sel:BYTE_0 src1_sel:DWORD
	s_mov_b64 s[4:5], 0
                                        ; implicit-def: $sgpr10
	s_and_saveexec_b64 s[8:9], s[6:7]
	s_xor_b64 s[6:7], exec, s[8:9]
	s_cbranch_execz .LBB1_9709
; %bb.45549:
	s_getpc_b64 s[14:15]
.Lpost_getpc8438:
	s_add_u32 s14, s14, (.LBB1_24045-.Lpost_getpc8438)&4294967295
	s_addc_u32 s15, s15, (.LBB1_24045-.Lpost_getpc8438)>>32
	s_setpc_b64 s[14:15]
.LBB1_9709:
	s_or_saveexec_b64 s[6:7], s[6:7]
	v_mov_b32_e32 v4, s10
	s_xor_b64 exec, exec, s[6:7]
	s_cbranch_execz .LBB1_9710
; %bb.45551:
	s_getpc_b64 s[14:15]
.Lpost_getpc8439:
	s_add_u32 s14, s14, (.LBB1_24048-.Lpost_getpc8439)&4294967295
	s_addc_u32 s15, s15, (.LBB1_24048-.Lpost_getpc8439)>>32
	s_setpc_b64 s[14:15]
.LBB1_9710:
	s_or_b64 exec, exec, s[6:7]
	s_and_saveexec_b64 s[6:7], s[4:5]
	s_cbranch_execz .LBB1_9712
.LBB1_9711:
	v_bfe_u32 v4, v5, 8, 3
	v_ffbh_u32_e32 v7, v4
	v_min_u32_e32 v7, 32, v7
	v_lshrrev_b16_e32 v6, 3, v3
	v_subrev_u32_e32 v8, 28, v7
	v_and_b32_e32 v6, 15, v6
	v_lshlrev_b32_e32 v3, v8, v3
	v_sub_u32_e32 v7, 29, v7
	v_and_b32_e32 v3, 7, v3
	v_cmp_eq_u16_e32 vcc, 0, v6
	v_cndmask_b32_e32 v3, v4, v3, vcc
	v_cndmask_b32_e32 v4, v6, v7, vcc
	v_lshlrev_b32_e32 v6, 16, v5
	v_mov_b32_e32 v7, 0x3b800000
	v_lshlrev_b32_e32 v3, 20, v3
	v_and_b32_e32 v6, 0x80000000, v6
	v_lshl_add_u32 v4, v4, 23, v7
	v_or3_b32 v4, v6, v4, v3
.LBB1_9712:
	s_or_b64 exec, exec, s[6:7]
	s_nop 0
	v_mfma_f32_16x16x4f32 a[0:3], v2, v4, a[0:3]
	s_movk_i32 s4, 0xff
	v_and_b32_sdwa v3, v9, s4 dst_sel:DWORD dst_unused:UNUSED_PAD src0_sel:WORD_1 src1_sel:DWORD
	s_movk_i32 s4, 0x7f
	v_cmp_lt_i16_e32 vcc, s4, v3
	s_mov_b64 s[4:5], 0
                                        ; implicit-def: $sgpr10
	s_and_saveexec_b64 s[6:7], vcc
	s_xor_b64 s[6:7], exec, s[6:7]
	s_cbranch_execz .LBB1_9713
; %bb.45553:
	s_getpc_b64 s[14:15]
.Lpost_getpc8440:
	s_add_u32 s14, s14, (.LBB1_24049-.Lpost_getpc8440)&4294967295
	s_addc_u32 s15, s15, (.LBB1_24049-.Lpost_getpc8440)>>32
	s_setpc_b64 s[14:15]
.LBB1_9713:
	s_or_saveexec_b64 s[6:7], s[6:7]
	v_mov_b32_e32 v2, s10
	s_xor_b64 exec, exec, s[6:7]
	s_cbranch_execz .LBB1_9714
; %bb.45555:
	s_getpc_b64 s[14:15]
.Lpost_getpc8441:
	s_add_u32 s14, s14, (.LBB1_24052-.Lpost_getpc8441)&4294967295
	s_addc_u32 s15, s15, (.LBB1_24052-.Lpost_getpc8441)>>32
	s_setpc_b64 s[14:15]
.LBB1_9714:
	s_or_b64 exec, exec, s[6:7]
	s_and_saveexec_b64 s[6:7], s[4:5]
	s_cbranch_execz .LBB1_9716
.LBB1_9715:
	v_bfe_u32 v2, v9, 16, 3
	v_ffbh_u32_e32 v6, v2
	v_min_u32_e32 v6, 32, v6
	v_lshrrev_b32_e32 v3, 19, v9
	v_subrev_u32_e32 v7, 28, v6
	v_and_b32_e32 v3, 15, v3
	v_lshlrev_b32_sdwa v7, v7, v9 dst_sel:DWORD dst_unused:UNUSED_PAD src0_sel:DWORD src1_sel:WORD_1
	v_bfe_u32 v4, v9, 19, 4
	v_sub_u32_e32 v6, 29, v6
	v_and_b32_e32 v7, 7, v7
	v_cmp_eq_u16_e32 vcc, 0, v3
	v_cndmask_b32_e32 v2, v2, v7, vcc
	v_cndmask_b32_e32 v3, v4, v6, vcc
	v_lshlrev_b32_e32 v4, 8, v9
	v_mov_b32_e32 v6, 0x3b800000
	v_lshlrev_b32_e32 v2, 20, v2
	v_and_b32_e32 v4, 0x80000000, v4
	v_lshl_add_u32 v3, v3, 23, v6
	v_or3_b32 v2, v4, v3, v2
.LBB1_9716:
	s_or_b64 exec, exec, s[6:7]
	s_movk_i32 s4, 0xff
	v_and_b32_sdwa v3, v5, s4 dst_sel:DWORD dst_unused:UNUSED_PAD src0_sel:WORD_1 src1_sel:DWORD
	s_movk_i32 s4, 0x7f
	v_cmp_lt_i16_e32 vcc, s4, v3
	s_mov_b64 s[4:5], 0
                                        ; implicit-def: $sgpr10
	s_and_saveexec_b64 s[6:7], vcc
	s_xor_b64 s[6:7], exec, s[6:7]
	s_cbranch_execz .LBB1_9717
; %bb.45557:
	s_getpc_b64 s[14:15]
.Lpost_getpc8442:
	s_add_u32 s14, s14, (.LBB1_24053-.Lpost_getpc8442)&4294967295
	s_addc_u32 s15, s15, (.LBB1_24053-.Lpost_getpc8442)>>32
	s_setpc_b64 s[14:15]
.LBB1_9717:
	s_or_saveexec_b64 s[6:7], s[6:7]
	v_mov_b32_e32 v4, s10
	s_xor_b64 exec, exec, s[6:7]
	s_cbranch_execz .LBB1_9718
; %bb.45559:
	s_getpc_b64 s[14:15]
.Lpost_getpc8443:
	s_add_u32 s14, s14, (.LBB1_24056-.Lpost_getpc8443)&4294967295
	s_addc_u32 s15, s15, (.LBB1_24056-.Lpost_getpc8443)>>32
	s_setpc_b64 s[14:15]
.LBB1_9718:
	s_or_b64 exec, exec, s[6:7]
	s_and_saveexec_b64 s[6:7], s[4:5]
	s_cbranch_execz .LBB1_9720
.LBB1_9719:
	v_bfe_u32 v3, v5, 16, 3
	v_ffbh_u32_e32 v7, v3
	v_min_u32_e32 v7, 32, v7
	v_lshrrev_b32_e32 v4, 19, v5
	v_subrev_u32_e32 v8, 28, v7
	v_and_b32_e32 v4, 15, v4
	v_lshlrev_b32_sdwa v8, v8, v5 dst_sel:DWORD dst_unused:UNUSED_PAD src0_sel:DWORD src1_sel:WORD_1
	v_bfe_u32 v6, v5, 19, 4
	v_sub_u32_e32 v7, 29, v7
	v_and_b32_e32 v8, 7, v8
	v_cmp_eq_u16_e32 vcc, 0, v4
	v_cndmask_b32_e32 v3, v3, v8, vcc
	v_cndmask_b32_e32 v4, v6, v7, vcc
	v_lshlrev_b32_e32 v6, 8, v5
	v_mov_b32_e32 v7, 0x3b800000
	v_lshlrev_b32_e32 v3, 20, v3
	v_and_b32_e32 v6, 0x80000000, v6
	v_lshl_add_u32 v4, v4, 23, v7
	v_or3_b32 v4, v6, v4, v3
.LBB1_9720:
	s_or_b64 exec, exec, s[6:7]
	s_nop 0
	v_mfma_f32_16x16x4f32 a[0:3], v2, v4, a[0:3]
	s_movk_i32 s4, 0x7f
	v_cmp_gt_i16_sdwa s[6:7], v9, s4 src0_sel:BYTE_3 src1_sel:DWORD
	s_mov_b64 s[4:5], 0
                                        ; implicit-def: $sgpr10
	s_and_saveexec_b64 s[8:9], s[6:7]
	s_xor_b64 s[6:7], exec, s[8:9]
	s_cbranch_execz .LBB1_9721
; %bb.45561:
	s_getpc_b64 s[14:15]
.Lpost_getpc8444:
	s_add_u32 s14, s14, (.LBB1_24057-.Lpost_getpc8444)&4294967295
	s_addc_u32 s15, s15, (.LBB1_24057-.Lpost_getpc8444)>>32
	s_setpc_b64 s[14:15]
.LBB1_9721:
	s_or_saveexec_b64 s[6:7], s[6:7]
	v_mov_b32_e32 v2, s10
	s_xor_b64 exec, exec, s[6:7]
	s_cbranch_execz .LBB1_9722
; %bb.45563:
	s_getpc_b64 s[14:15]
.Lpost_getpc8445:
	s_add_u32 s14, s14, (.LBB1_24060-.Lpost_getpc8445)&4294967295
	s_addc_u32 s15, s15, (.LBB1_24060-.Lpost_getpc8445)>>32
	s_setpc_b64 s[14:15]
.LBB1_9722:
	s_or_b64 exec, exec, s[6:7]
	s_and_saveexec_b64 s[6:7], s[4:5]
	s_cbranch_execz .LBB1_9724
.LBB1_9723:
	v_bfe_u32 v2, v9, 24, 3
	v_ffbh_u32_e32 v7, v2
	v_min_u32_e32 v7, 32, v7
	v_lshrrev_b32_e32 v4, 27, v9
	v_subrev_u32_e32 v8, 28, v7
	v_and_b32_e32 v4, 15, v4
	v_lshlrev_b32_sdwa v8, v8, v9 dst_sel:DWORD dst_unused:UNUSED_PAD src0_sel:DWORD src1_sel:BYTE_3
	v_bfe_u32 v6, v9, 27, 4
	v_sub_u32_e32 v7, 29, v7
	v_and_b32_e32 v8, 7, v8
	v_cmp_eq_u16_e32 vcc, 0, v4
	v_cndmask_b32_e32 v2, v2, v8, vcc
	v_cndmask_b32_e32 v4, v6, v7, vcc
	v_mov_b32_e32 v6, 0x3b800000
	v_and_b32_e32 v3, 0x80000000, v9
	v_lshlrev_b32_e32 v2, 20, v2
	v_lshl_add_u32 v4, v4, 23, v6
	v_or3_b32 v2, v3, v4, v2
.LBB1_9724:
	s_or_b64 exec, exec, s[6:7]
	s_movk_i32 s4, 0x7f
	v_cmp_gt_i16_sdwa s[6:7], v5, s4 src0_sel:BYTE_3 src1_sel:DWORD
	s_mov_b64 s[4:5], 0
                                        ; implicit-def: $sgpr10
	s_and_saveexec_b64 s[8:9], s[6:7]
	s_xor_b64 s[6:7], exec, s[8:9]
	s_cbranch_execz .LBB1_9725
; %bb.45565:
	s_getpc_b64 s[14:15]
.Lpost_getpc8446:
	s_add_u32 s14, s14, (.LBB1_24061-.Lpost_getpc8446)&4294967295
	s_addc_u32 s15, s15, (.LBB1_24061-.Lpost_getpc8446)>>32
	s_setpc_b64 s[14:15]
.LBB1_9725:
	s_or_saveexec_b64 s[6:7], s[6:7]
	v_mov_b32_e32 v3, s10
	s_xor_b64 exec, exec, s[6:7]
	s_cbranch_execz .LBB1_9726
; %bb.45567:
	s_getpc_b64 s[14:15]
.Lpost_getpc8447:
	s_add_u32 s14, s14, (.LBB1_24064-.Lpost_getpc8447)&4294967295
	s_addc_u32 s15, s15, (.LBB1_24064-.Lpost_getpc8447)>>32
	s_setpc_b64 s[14:15]
.LBB1_9726:
	s_or_b64 exec, exec, s[6:7]
	s_and_saveexec_b64 s[6:7], s[4:5]
	s_cbranch_execz .LBB1_9728
.LBB1_9727:
	v_bfe_u32 v3, v5, 24, 3
	v_ffbh_u32_e32 v8, v3
	v_min_u32_e32 v8, 32, v8
	v_lshrrev_b32_e32 v6, 27, v5
	v_subrev_u32_e32 v9, 28, v8
	v_and_b32_e32 v4, 0x80000000, v5
	v_and_b32_e32 v6, 15, v6
	v_bfe_u32 v7, v5, 27, 4
	v_lshlrev_b32_sdwa v5, v9, v5 dst_sel:DWORD dst_unused:UNUSED_PAD src0_sel:DWORD src1_sel:BYTE_3
	v_sub_u32_e32 v8, 29, v8
	v_and_b32_e32 v5, 7, v5
	v_cmp_eq_u16_e32 vcc, 0, v6
	v_cndmask_b32_e32 v3, v3, v5, vcc
	v_cndmask_b32_e32 v5, v7, v8, vcc
	v_mov_b32_e32 v6, 0x3b800000
	v_lshlrev_b32_e32 v3, 20, v3
	v_lshl_add_u32 v5, v5, 23, v6
	v_or3_b32 v3, v4, v5, v3
.LBB1_9728:
	s_or_b64 exec, exec, s[6:7]
	s_nop 0
	v_mfma_f32_16x16x4f32 a[0:3], v2, v3, a[0:3]
	s_movk_i32 s4, 0x7f
                                        ; implicit-def: $sgpr10
	s_nop 7
	s_nop 1
	flat_store_dwordx4 v[10:11], a[0:3] offset:304
	flat_load_dwordx4 v[12:15], v[0:1]
	s_nop 0
	flat_load_dwordx2 v[10:11], v[0:1] offset:16
	s_waitcnt vmcnt(0) lgkmcnt(0)
	flat_load_dwordx4 v[6:9], v[12:13] offset:144
	flat_load_dwordx4 v[2:5], v[14:15] offset:192
	s_waitcnt vmcnt(0) lgkmcnt(0)
	v_cmp_gt_i16_sdwa s[6:7], v6, s4 src0_sel:BYTE_0 src1_sel:DWORD
	s_mov_b64 s[4:5], 0
	s_and_saveexec_b64 s[8:9], s[6:7]
	s_xor_b64 s[6:7], exec, s[8:9]
	s_cbranch_execz .LBB1_9729
; %bb.45569:
	s_getpc_b64 s[14:15]
.Lpost_getpc8448:
	s_add_u32 s14, s14, (.LBB1_24065-.Lpost_getpc8448)&4294967295
	s_addc_u32 s15, s15, (.LBB1_24065-.Lpost_getpc8448)>>32
	s_setpc_b64 s[14:15]
.LBB1_9729:
	s_or_saveexec_b64 s[6:7], s[6:7]
	v_mov_b32_e32 v12, s10
	s_xor_b64 exec, exec, s[6:7]
	s_cbranch_execz .LBB1_9730
; %bb.45571:
	s_getpc_b64 s[14:15]
.Lpost_getpc8449:
	s_add_u32 s14, s14, (.LBB1_24068-.Lpost_getpc8449)&4294967295
	s_addc_u32 s15, s15, (.LBB1_24068-.Lpost_getpc8449)>>32
	s_setpc_b64 s[14:15]
.LBB1_9730:
	s_or_b64 exec, exec, s[6:7]
	s_and_saveexec_b64 s[6:7], s[4:5]
	s_cbranch_execz .LBB1_9732
.LBB1_9731:
	v_and_b32_e32 v12, 7, v6
	v_ffbh_u32_e32 v14, v12
	v_min_u32_e32 v14, 32, v14
	v_lshrrev_b16_e32 v13, 3, v6
	v_subrev_u32_e32 v15, 28, v14
	v_and_b32_e32 v13, 15, v13
	v_lshlrev_b32_e32 v15, v15, v6
	v_sub_u32_e32 v14, 29, v14
	v_and_b32_e32 v15, 7, v15
	v_cmp_eq_u16_e32 vcc, 0, v13
	v_cndmask_b32_e32 v12, v12, v15, vcc
	v_cndmask_b32_e32 v13, v13, v14, vcc
	v_lshlrev_b32_e32 v14, 24, v6
	v_mov_b32_e32 v15, 0x3b800000
	v_lshlrev_b32_e32 v12, 20, v12
	v_and_b32_e32 v14, 0x80000000, v14
	v_lshl_add_u32 v13, v13, 23, v15
	v_or3_b32 v12, v14, v13, v12
.LBB1_9732:
	s_or_b64 exec, exec, s[6:7]
	s_movk_i32 s4, 0x7f
	v_cmp_gt_i16_sdwa s[6:7], v2, s4 src0_sel:BYTE_0 src1_sel:DWORD
	s_mov_b64 s[4:5], 0
                                        ; implicit-def: $sgpr10
	s_and_saveexec_b64 s[8:9], s[6:7]
	s_xor_b64 s[6:7], exec, s[8:9]
	s_cbranch_execz .LBB1_9733
; %bb.45573:
	s_getpc_b64 s[14:15]
.Lpost_getpc8450:
	s_add_u32 s14, s14, (.LBB1_24069-.Lpost_getpc8450)&4294967295
	s_addc_u32 s15, s15, (.LBB1_24069-.Lpost_getpc8450)>>32
	s_setpc_b64 s[14:15]
.LBB1_9733:
	s_or_saveexec_b64 s[6:7], s[6:7]
	v_mov_b32_e32 v13, s10
	s_xor_b64 exec, exec, s[6:7]
	s_cbranch_execz .LBB1_9734
; %bb.45575:
	s_getpc_b64 s[14:15]
.Lpost_getpc8451:
	s_add_u32 s14, s14, (.LBB1_24072-.Lpost_getpc8451)&4294967295
	s_addc_u32 s15, s15, (.LBB1_24072-.Lpost_getpc8451)>>32
	s_setpc_b64 s[14:15]
.LBB1_9734:
	s_or_b64 exec, exec, s[6:7]
	s_and_saveexec_b64 s[6:7], s[4:5]
	s_cbranch_execz .LBB1_9736
.LBB1_9735:
	v_and_b32_e32 v13, 7, v2
	v_ffbh_u32_e32 v15, v13
	v_min_u32_e32 v15, 32, v15
	v_lshrrev_b16_e32 v14, 3, v2
	v_subrev_u32_e32 v16, 28, v15
	v_and_b32_e32 v14, 15, v14
	v_lshlrev_b32_e32 v16, v16, v2
	v_sub_u32_e32 v15, 29, v15
	v_and_b32_e32 v16, 7, v16
	v_cmp_eq_u16_e32 vcc, 0, v14
	v_cndmask_b32_e32 v13, v13, v16, vcc
	v_cndmask_b32_e32 v14, v14, v15, vcc
	v_lshlrev_b32_e32 v15, 24, v2
	v_mov_b32_e32 v16, 0x3b800000
	v_lshlrev_b32_e32 v13, 20, v13
	v_and_b32_e32 v15, 0x80000000, v15
	v_lshl_add_u32 v14, v14, 23, v16
	v_or3_b32 v13, v15, v14, v13
.LBB1_9736:
	s_or_b64 exec, exec, s[6:7]
	flat_load_dwordx4 a[0:3], v[10:11] offset:320
	s_movk_i32 s4, 0x7f
                                        ; implicit-def: $sgpr10
	s_waitcnt vmcnt(0) lgkmcnt(0)
	v_mfma_f32_16x16x4f32 a[0:3], v12, v13, a[0:3]
	v_lshrrev_b32_e32 v13, 8, v6
	v_cmp_gt_i16_sdwa s[6:7], v13, s4 src0_sel:BYTE_0 src1_sel:DWORD
	s_mov_b64 s[4:5], 0
	s_and_saveexec_b64 s[8:9], s[6:7]
	s_xor_b64 s[6:7], exec, s[8:9]
	s_cbranch_execz .LBB1_9737
; %bb.45577:
	s_getpc_b64 s[14:15]
.Lpost_getpc8452:
	s_add_u32 s14, s14, (.LBB1_24073-.Lpost_getpc8452)&4294967295
	s_addc_u32 s15, s15, (.LBB1_24073-.Lpost_getpc8452)>>32
	s_setpc_b64 s[14:15]
.LBB1_9737:
	s_or_saveexec_b64 s[6:7], s[6:7]
	v_mov_b32_e32 v12, s10
	s_xor_b64 exec, exec, s[6:7]
	s_cbranch_execz .LBB1_9738
; %bb.45579:
	s_getpc_b64 s[14:15]
.Lpost_getpc8453:
	s_add_u32 s14, s14, (.LBB1_24076-.Lpost_getpc8453)&4294967295
	s_addc_u32 s15, s15, (.LBB1_24076-.Lpost_getpc8453)>>32
	s_setpc_b64 s[14:15]
.LBB1_9738:
	s_or_b64 exec, exec, s[6:7]
	s_and_saveexec_b64 s[6:7], s[4:5]
	s_cbranch_execz .LBB1_9740
.LBB1_9739:
	v_bfe_u32 v12, v6, 8, 3
	v_ffbh_u32_e32 v15, v12
	v_min_u32_e32 v15, 32, v15
	v_lshrrev_b16_e32 v14, 3, v13
	v_subrev_u32_e32 v16, 28, v15
	v_and_b32_e32 v14, 15, v14
	v_lshlrev_b32_e32 v13, v16, v13
	v_sub_u32_e32 v15, 29, v15
	v_and_b32_e32 v13, 7, v13
	v_cmp_eq_u16_e32 vcc, 0, v14
	v_cndmask_b32_e32 v12, v12, v13, vcc
	v_cndmask_b32_e32 v13, v14, v15, vcc
	v_lshlrev_b32_e32 v14, 16, v6
	v_mov_b32_e32 v15, 0x3b800000
	v_lshlrev_b32_e32 v12, 20, v12
	v_and_b32_e32 v14, 0x80000000, v14
	v_lshl_add_u32 v13, v13, 23, v15
	v_or3_b32 v12, v14, v13, v12
.LBB1_9740:
	s_or_b64 exec, exec, s[6:7]
	v_lshrrev_b32_e32 v13, 8, v2
	s_movk_i32 s4, 0x7f
	v_cmp_gt_i16_sdwa s[6:7], v13, s4 src0_sel:BYTE_0 src1_sel:DWORD
	s_mov_b64 s[4:5], 0
                                        ; implicit-def: $sgpr10
	s_and_saveexec_b64 s[8:9], s[6:7]
	s_xor_b64 s[6:7], exec, s[8:9]
	s_cbranch_execz .LBB1_9741
; %bb.45581:
	s_getpc_b64 s[14:15]
.Lpost_getpc8454:
	s_add_u32 s14, s14, (.LBB1_24077-.Lpost_getpc8454)&4294967295
	s_addc_u32 s15, s15, (.LBB1_24077-.Lpost_getpc8454)>>32
	s_setpc_b64 s[14:15]
.LBB1_9741:
	s_or_saveexec_b64 s[6:7], s[6:7]
	v_mov_b32_e32 v14, s10
	s_xor_b64 exec, exec, s[6:7]
	s_cbranch_execz .LBB1_9742
; %bb.45583:
	s_getpc_b64 s[14:15]
.Lpost_getpc8455:
	s_add_u32 s14, s14, (.LBB1_24080-.Lpost_getpc8455)&4294967295
	s_addc_u32 s15, s15, (.LBB1_24080-.Lpost_getpc8455)>>32
	s_setpc_b64 s[14:15]
.LBB1_9742:
	s_or_b64 exec, exec, s[6:7]
	s_and_saveexec_b64 s[6:7], s[4:5]
	s_cbranch_execz .LBB1_9744
.LBB1_9743:
	v_bfe_u32 v14, v2, 8, 3
	v_ffbh_u32_e32 v16, v14
	v_min_u32_e32 v16, 32, v16
	v_lshrrev_b16_e32 v15, 3, v13
	v_subrev_u32_e32 v17, 28, v16
	v_and_b32_e32 v15, 15, v15
	v_lshlrev_b32_e32 v13, v17, v13
	v_sub_u32_e32 v16, 29, v16
	v_and_b32_e32 v13, 7, v13
	v_cmp_eq_u16_e32 vcc, 0, v15
	v_cndmask_b32_e32 v13, v14, v13, vcc
	v_cndmask_b32_e32 v14, v15, v16, vcc
	v_lshlrev_b32_e32 v15, 16, v2
	v_mov_b32_e32 v16, 0x3b800000
	v_lshlrev_b32_e32 v13, 20, v13
	v_and_b32_e32 v15, 0x80000000, v15
	v_lshl_add_u32 v14, v14, 23, v16
	v_or3_b32 v14, v15, v14, v13
.LBB1_9744:
	s_or_b64 exec, exec, s[6:7]
	s_nop 0
	v_mfma_f32_16x16x4f32 a[0:3], v12, v14, a[0:3]
	s_movk_i32 s4, 0xff
	v_and_b32_sdwa v13, v6, s4 dst_sel:DWORD dst_unused:UNUSED_PAD src0_sel:WORD_1 src1_sel:DWORD
	s_movk_i32 s4, 0x7f
	v_cmp_lt_i16_e32 vcc, s4, v13
	s_mov_b64 s[4:5], 0
                                        ; implicit-def: $sgpr10
	s_and_saveexec_b64 s[6:7], vcc
	s_xor_b64 s[6:7], exec, s[6:7]
	s_cbranch_execz .LBB1_9745
; %bb.45585:
	s_getpc_b64 s[14:15]
.Lpost_getpc8456:
	s_add_u32 s14, s14, (.LBB1_24081-.Lpost_getpc8456)&4294967295
	s_addc_u32 s15, s15, (.LBB1_24081-.Lpost_getpc8456)>>32
	s_setpc_b64 s[14:15]
.LBB1_9745:
	s_or_saveexec_b64 s[6:7], s[6:7]
	v_mov_b32_e32 v12, s10
	s_xor_b64 exec, exec, s[6:7]
	s_cbranch_execz .LBB1_9746
; %bb.45587:
	s_getpc_b64 s[14:15]
.Lpost_getpc8457:
	s_add_u32 s14, s14, (.LBB1_24084-.Lpost_getpc8457)&4294967295
	s_addc_u32 s15, s15, (.LBB1_24084-.Lpost_getpc8457)>>32
	s_setpc_b64 s[14:15]
.LBB1_9746:
	s_or_b64 exec, exec, s[6:7]
	s_and_saveexec_b64 s[6:7], s[4:5]
	s_cbranch_execz .LBB1_9748
.LBB1_9747:
	v_bfe_u32 v12, v6, 16, 3
	v_ffbh_u32_e32 v15, v12
	v_min_u32_e32 v15, 32, v15
	v_lshrrev_b32_e32 v13, 19, v6
	v_subrev_u32_e32 v16, 28, v15
	v_and_b32_e32 v13, 15, v13
	v_lshlrev_b32_sdwa v16, v16, v6 dst_sel:DWORD dst_unused:UNUSED_PAD src0_sel:DWORD src1_sel:WORD_1
	v_bfe_u32 v14, v6, 19, 4
	v_sub_u32_e32 v15, 29, v15
	v_and_b32_e32 v16, 7, v16
	v_cmp_eq_u16_e32 vcc, 0, v13
	v_cndmask_b32_e32 v12, v12, v16, vcc
	v_cndmask_b32_e32 v13, v14, v15, vcc
	v_lshlrev_b32_e32 v14, 8, v6
	v_mov_b32_e32 v15, 0x3b800000
	v_lshlrev_b32_e32 v12, 20, v12
	v_and_b32_e32 v14, 0x80000000, v14
	v_lshl_add_u32 v13, v13, 23, v15
	v_or3_b32 v12, v14, v13, v12
.LBB1_9748:
	s_or_b64 exec, exec, s[6:7]
	s_movk_i32 s4, 0xff
	v_and_b32_sdwa v13, v2, s4 dst_sel:DWORD dst_unused:UNUSED_PAD src0_sel:WORD_1 src1_sel:DWORD
	s_movk_i32 s4, 0x7f
	v_cmp_lt_i16_e32 vcc, s4, v13
	s_mov_b64 s[4:5], 0
                                        ; implicit-def: $sgpr10
	s_and_saveexec_b64 s[6:7], vcc
	s_xor_b64 s[6:7], exec, s[6:7]
	s_cbranch_execz .LBB1_9749
; %bb.45589:
	s_getpc_b64 s[14:15]
.Lpost_getpc8458:
	s_add_u32 s14, s14, (.LBB1_24085-.Lpost_getpc8458)&4294967295
	s_addc_u32 s15, s15, (.LBB1_24085-.Lpost_getpc8458)>>32
	s_setpc_b64 s[14:15]
.LBB1_9749:
	s_or_saveexec_b64 s[6:7], s[6:7]
	v_mov_b32_e32 v14, s10
	s_xor_b64 exec, exec, s[6:7]
	s_cbranch_execz .LBB1_9750
; %bb.45591:
	s_getpc_b64 s[14:15]
.Lpost_getpc8459:
	s_add_u32 s14, s14, (.LBB1_24088-.Lpost_getpc8459)&4294967295
	s_addc_u32 s15, s15, (.LBB1_24088-.Lpost_getpc8459)>>32
	s_setpc_b64 s[14:15]
.LBB1_9750:
	s_or_b64 exec, exec, s[6:7]
	s_and_saveexec_b64 s[6:7], s[4:5]
	s_cbranch_execz .LBB1_9752
.LBB1_9751:
	v_bfe_u32 v13, v2, 16, 3
	v_ffbh_u32_e32 v16, v13
	v_min_u32_e32 v16, 32, v16
	v_lshrrev_b32_e32 v14, 19, v2
	v_subrev_u32_e32 v17, 28, v16
	v_and_b32_e32 v14, 15, v14
	v_lshlrev_b32_sdwa v17, v17, v2 dst_sel:DWORD dst_unused:UNUSED_PAD src0_sel:DWORD src1_sel:WORD_1
	v_bfe_u32 v15, v2, 19, 4
	v_sub_u32_e32 v16, 29, v16
	v_and_b32_e32 v17, 7, v17
	v_cmp_eq_u16_e32 vcc, 0, v14
	v_cndmask_b32_e32 v13, v13, v17, vcc
	v_cndmask_b32_e32 v14, v15, v16, vcc
	v_lshlrev_b32_e32 v15, 8, v2
	v_mov_b32_e32 v16, 0x3b800000
	v_lshlrev_b32_e32 v13, 20, v13
	v_and_b32_e32 v15, 0x80000000, v15
	v_lshl_add_u32 v14, v14, 23, v16
	v_or3_b32 v14, v15, v14, v13
.LBB1_9752:
	s_or_b64 exec, exec, s[6:7]
	s_nop 0
	v_mfma_f32_16x16x4f32 a[0:3], v12, v14, a[0:3]
	s_movk_i32 s4, 0x7f
	v_cmp_gt_i16_sdwa s[6:7], v6, s4 src0_sel:BYTE_3 src1_sel:DWORD
	s_mov_b64 s[4:5], 0
                                        ; implicit-def: $sgpr10
	s_and_saveexec_b64 s[8:9], s[6:7]
	s_xor_b64 s[6:7], exec, s[8:9]
	s_cbranch_execz .LBB1_9753
; %bb.45593:
	s_getpc_b64 s[14:15]
.Lpost_getpc8460:
	s_add_u32 s14, s14, (.LBB1_24089-.Lpost_getpc8460)&4294967295
	s_addc_u32 s15, s15, (.LBB1_24089-.Lpost_getpc8460)>>32
	s_setpc_b64 s[14:15]
.LBB1_9753:
	s_or_saveexec_b64 s[6:7], s[6:7]
	v_mov_b32_e32 v12, s10
	s_xor_b64 exec, exec, s[6:7]
	s_cbranch_execz .LBB1_9754
; %bb.45595:
	s_getpc_b64 s[14:15]
.Lpost_getpc8461:
	s_add_u32 s14, s14, (.LBB1_24092-.Lpost_getpc8461)&4294967295
	s_addc_u32 s15, s15, (.LBB1_24092-.Lpost_getpc8461)>>32
	s_setpc_b64 s[14:15]
.LBB1_9754:
	s_or_b64 exec, exec, s[6:7]
	s_and_saveexec_b64 s[6:7], s[4:5]
	s_cbranch_execz .LBB1_9756
.LBB1_9755:
	v_bfe_u32 v12, v6, 24, 3
	v_ffbh_u32_e32 v16, v12
	v_min_u32_e32 v16, 32, v16
	v_lshrrev_b32_e32 v14, 27, v6
	v_subrev_u32_e32 v17, 28, v16
	v_and_b32_e32 v13, 0x80000000, v6
	v_and_b32_e32 v14, 15, v14
	v_bfe_u32 v15, v6, 27, 4
	v_lshlrev_b32_sdwa v6, v17, v6 dst_sel:DWORD dst_unused:UNUSED_PAD src0_sel:DWORD src1_sel:BYTE_3
	v_sub_u32_e32 v16, 29, v16
	v_and_b32_e32 v6, 7, v6
	v_cmp_eq_u16_e32 vcc, 0, v14
	v_cndmask_b32_e32 v6, v12, v6, vcc
	v_cndmask_b32_e32 v12, v15, v16, vcc
	v_mov_b32_e32 v14, 0x3b800000
	v_lshlrev_b32_e32 v6, 20, v6
	v_lshl_add_u32 v12, v12, 23, v14
	v_or3_b32 v12, v13, v12, v6
.LBB1_9756:
	s_or_b64 exec, exec, s[6:7]
	s_movk_i32 s4, 0x7f
	v_cmp_gt_i16_sdwa s[6:7], v2, s4 src0_sel:BYTE_3 src1_sel:DWORD
	s_mov_b64 s[4:5], 0
                                        ; implicit-def: $sgpr10
	s_and_saveexec_b64 s[8:9], s[6:7]
	s_xor_b64 s[6:7], exec, s[8:9]
	s_cbranch_execz .LBB1_9757
; %bb.45597:
	s_getpc_b64 s[14:15]
.Lpost_getpc8462:
	s_add_u32 s14, s14, (.LBB1_24093-.Lpost_getpc8462)&4294967295
	s_addc_u32 s15, s15, (.LBB1_24093-.Lpost_getpc8462)>>32
	s_setpc_b64 s[14:15]
.LBB1_9757:
	s_or_saveexec_b64 s[6:7], s[6:7]
	v_mov_b32_e32 v6, s10
	s_xor_b64 exec, exec, s[6:7]
	s_cbranch_execz .LBB1_9758
; %bb.45599:
	s_getpc_b64 s[14:15]
.Lpost_getpc8463:
	s_add_u32 s14, s14, (.LBB1_24096-.Lpost_getpc8463)&4294967295
	s_addc_u32 s15, s15, (.LBB1_24096-.Lpost_getpc8463)>>32
	s_setpc_b64 s[14:15]
.LBB1_9758:
	s_or_b64 exec, exec, s[6:7]
	s_and_saveexec_b64 s[6:7], s[4:5]
	s_cbranch_execz .LBB1_9760
.LBB1_9759:
	v_bfe_u32 v6, v2, 24, 3
	v_ffbh_u32_e32 v16, v6
	v_min_u32_e32 v16, 32, v16
	v_lshrrev_b32_e32 v14, 27, v2
	v_subrev_u32_e32 v17, 28, v16
	v_and_b32_e32 v13, 0x80000000, v2
	v_and_b32_e32 v14, 15, v14
	v_bfe_u32 v15, v2, 27, 4
	v_lshlrev_b32_sdwa v2, v17, v2 dst_sel:DWORD dst_unused:UNUSED_PAD src0_sel:DWORD src1_sel:BYTE_3
	v_sub_u32_e32 v16, 29, v16
	v_and_b32_e32 v2, 7, v2
	v_cmp_eq_u16_e32 vcc, 0, v14
	v_cndmask_b32_e32 v2, v6, v2, vcc
	v_cndmask_b32_e32 v6, v15, v16, vcc
	v_mov_b32_e32 v14, 0x3b800000
	v_lshlrev_b32_e32 v2, 20, v2
	v_lshl_add_u32 v6, v6, 23, v14
	v_or3_b32 v6, v13, v6, v2
.LBB1_9760:
	s_or_b64 exec, exec, s[6:7]
	s_nop 0
	v_mfma_f32_16x16x4f32 a[0:3], v12, v6, a[0:3]
	s_movk_i32 s4, 0x7f
	v_cmp_gt_i16_sdwa s[6:7], v7, s4 src0_sel:BYTE_0 src1_sel:DWORD
	s_mov_b64 s[4:5], 0
                                        ; implicit-def: $sgpr10
	s_and_saveexec_b64 s[8:9], s[6:7]
	s_xor_b64 s[6:7], exec, s[8:9]
	s_cbranch_execz .LBB1_9761
; %bb.45601:
	s_getpc_b64 s[14:15]
.Lpost_getpc8464:
	s_add_u32 s14, s14, (.LBB1_24097-.Lpost_getpc8464)&4294967295
	s_addc_u32 s15, s15, (.LBB1_24097-.Lpost_getpc8464)>>32
	s_setpc_b64 s[14:15]
.LBB1_9761:
	s_or_saveexec_b64 s[6:7], s[6:7]
	v_mov_b32_e32 v2, s10
	s_xor_b64 exec, exec, s[6:7]
	s_cbranch_execz .LBB1_9762
; %bb.45603:
	s_getpc_b64 s[14:15]
.Lpost_getpc8465:
	s_add_u32 s14, s14, (.LBB1_24100-.Lpost_getpc8465)&4294967295
	s_addc_u32 s15, s15, (.LBB1_24100-.Lpost_getpc8465)>>32
	s_setpc_b64 s[14:15]
.LBB1_9762:
	s_or_b64 exec, exec, s[6:7]
	s_and_saveexec_b64 s[6:7], s[4:5]
	s_cbranch_execz .LBB1_9764
.LBB1_9763:
	v_and_b32_e32 v2, 7, v7
	v_ffbh_u32_e32 v12, v2
	v_min_u32_e32 v12, 32, v12
	v_lshrrev_b16_e32 v6, 3, v7
	v_subrev_u32_e32 v13, 28, v12
	v_and_b32_e32 v6, 15, v6
	v_lshlrev_b32_e32 v13, v13, v7
	v_sub_u32_e32 v12, 29, v12
	v_and_b32_e32 v13, 7, v13
	v_cmp_eq_u16_e32 vcc, 0, v6
	v_cndmask_b32_e32 v2, v2, v13, vcc
	v_cndmask_b32_e32 v6, v6, v12, vcc
	v_lshlrev_b32_e32 v12, 24, v7
	v_mov_b32_e32 v13, 0x3b800000
	v_lshlrev_b32_e32 v2, 20, v2
	v_and_b32_e32 v12, 0x80000000, v12
	v_lshl_add_u32 v6, v6, 23, v13
	v_or3_b32 v2, v12, v6, v2
.LBB1_9764:
	s_or_b64 exec, exec, s[6:7]
	s_movk_i32 s4, 0x7f
	v_cmp_gt_i16_sdwa s[6:7], v3, s4 src0_sel:BYTE_0 src1_sel:DWORD
	s_mov_b64 s[4:5], 0
                                        ; implicit-def: $sgpr10
	s_and_saveexec_b64 s[8:9], s[6:7]
	s_xor_b64 s[6:7], exec, s[8:9]
	s_cbranch_execz .LBB1_9765
; %bb.45605:
	s_getpc_b64 s[14:15]
.Lpost_getpc8466:
	s_add_u32 s14, s14, (.LBB1_24101-.Lpost_getpc8466)&4294967295
	s_addc_u32 s15, s15, (.LBB1_24101-.Lpost_getpc8466)>>32
	s_setpc_b64 s[14:15]
.LBB1_9765:
	s_or_saveexec_b64 s[6:7], s[6:7]
	v_mov_b32_e32 v6, s10
	s_xor_b64 exec, exec, s[6:7]
	s_cbranch_execz .LBB1_9766
; %bb.45607:
	s_getpc_b64 s[14:15]
.Lpost_getpc8467:
	s_add_u32 s14, s14, (.LBB1_24104-.Lpost_getpc8467)&4294967295
	s_addc_u32 s15, s15, (.LBB1_24104-.Lpost_getpc8467)>>32
	s_setpc_b64 s[14:15]
.LBB1_9766:
	s_or_b64 exec, exec, s[6:7]
	s_and_saveexec_b64 s[6:7], s[4:5]
	s_cbranch_execz .LBB1_9768
.LBB1_9767:
	v_and_b32_e32 v6, 7, v3
	v_ffbh_u32_e32 v13, v6
	v_min_u32_e32 v13, 32, v13
	v_lshrrev_b16_e32 v12, 3, v3
	v_subrev_u32_e32 v14, 28, v13
	v_and_b32_e32 v12, 15, v12
	v_lshlrev_b32_e32 v14, v14, v3
	v_sub_u32_e32 v13, 29, v13
	v_and_b32_e32 v14, 7, v14
	v_cmp_eq_u16_e32 vcc, 0, v12
	v_cndmask_b32_e32 v6, v6, v14, vcc
	v_cndmask_b32_e32 v12, v12, v13, vcc
	v_lshlrev_b32_e32 v13, 24, v3
	v_mov_b32_e32 v14, 0x3b800000
	v_lshlrev_b32_e32 v6, 20, v6
	v_and_b32_e32 v13, 0x80000000, v13
	v_lshl_add_u32 v12, v12, 23, v14
	v_or3_b32 v6, v13, v12, v6
.LBB1_9768:
	s_or_b64 exec, exec, s[6:7]
	s_nop 0
	v_mfma_f32_16x16x4f32 a[0:3], v2, v6, a[0:3]
	v_lshrrev_b32_e32 v6, 8, v7
	s_movk_i32 s4, 0x7f
	v_cmp_gt_i16_sdwa s[6:7], v6, s4 src0_sel:BYTE_0 src1_sel:DWORD
	s_mov_b64 s[4:5], 0
                                        ; implicit-def: $sgpr10
	s_and_saveexec_b64 s[8:9], s[6:7]
	s_xor_b64 s[6:7], exec, s[8:9]
	s_cbranch_execz .LBB1_9769
; %bb.45609:
	s_getpc_b64 s[14:15]
.Lpost_getpc8468:
	s_add_u32 s14, s14, (.LBB1_24105-.Lpost_getpc8468)&4294967295
	s_addc_u32 s15, s15, (.LBB1_24105-.Lpost_getpc8468)>>32
	s_setpc_b64 s[14:15]
.LBB1_9769:
	s_or_saveexec_b64 s[6:7], s[6:7]
	v_mov_b32_e32 v2, s10
	s_xor_b64 exec, exec, s[6:7]
	s_cbranch_execz .LBB1_9770
; %bb.45611:
	s_getpc_b64 s[14:15]
.Lpost_getpc8469:
	s_add_u32 s14, s14, (.LBB1_24108-.Lpost_getpc8469)&4294967295
	s_addc_u32 s15, s15, (.LBB1_24108-.Lpost_getpc8469)>>32
	s_setpc_b64 s[14:15]
.LBB1_9770:
	s_or_b64 exec, exec, s[6:7]
	s_and_saveexec_b64 s[6:7], s[4:5]
	s_cbranch_execz .LBB1_9772
.LBB1_9771:
	v_bfe_u32 v2, v7, 8, 3
	v_ffbh_u32_e32 v13, v2
	v_min_u32_e32 v13, 32, v13
	v_lshrrev_b16_e32 v12, 3, v6
	v_subrev_u32_e32 v14, 28, v13
	v_and_b32_e32 v12, 15, v12
	v_lshlrev_b32_e32 v6, v14, v6
	v_sub_u32_e32 v13, 29, v13
	v_and_b32_e32 v6, 7, v6
	v_cmp_eq_u16_e32 vcc, 0, v12
	v_cndmask_b32_e32 v2, v2, v6, vcc
	v_cndmask_b32_e32 v6, v12, v13, vcc
	v_lshlrev_b32_e32 v12, 16, v7
	v_mov_b32_e32 v13, 0x3b800000
	v_lshlrev_b32_e32 v2, 20, v2
	v_and_b32_e32 v12, 0x80000000, v12
	v_lshl_add_u32 v6, v6, 23, v13
	v_or3_b32 v2, v12, v6, v2
.LBB1_9772:
	s_or_b64 exec, exec, s[6:7]
	v_lshrrev_b32_e32 v6, 8, v3
	s_movk_i32 s4, 0x7f
	v_cmp_gt_i16_sdwa s[6:7], v6, s4 src0_sel:BYTE_0 src1_sel:DWORD
	s_mov_b64 s[4:5], 0
                                        ; implicit-def: $sgpr10
	s_and_saveexec_b64 s[8:9], s[6:7]
	s_xor_b64 s[6:7], exec, s[8:9]
	s_cbranch_execz .LBB1_9773
; %bb.45613:
	s_getpc_b64 s[14:15]
.Lpost_getpc8470:
	s_add_u32 s14, s14, (.LBB1_24109-.Lpost_getpc8470)&4294967295
	s_addc_u32 s15, s15, (.LBB1_24109-.Lpost_getpc8470)>>32
	s_setpc_b64 s[14:15]
.LBB1_9773:
	s_or_saveexec_b64 s[6:7], s[6:7]
	v_mov_b32_e32 v12, s10
	s_xor_b64 exec, exec, s[6:7]
	s_cbranch_execz .LBB1_9774
; %bb.45615:
	s_getpc_b64 s[14:15]
.Lpost_getpc8471:
	s_add_u32 s14, s14, (.LBB1_24112-.Lpost_getpc8471)&4294967295
	s_addc_u32 s15, s15, (.LBB1_24112-.Lpost_getpc8471)>>32
	s_setpc_b64 s[14:15]
.LBB1_9774:
	s_or_b64 exec, exec, s[6:7]
	s_and_saveexec_b64 s[6:7], s[4:5]
	s_cbranch_execz .LBB1_9776
.LBB1_9775:
	v_bfe_u32 v12, v3, 8, 3
	v_ffbh_u32_e32 v14, v12
	v_min_u32_e32 v14, 32, v14
	v_lshrrev_b16_e32 v13, 3, v6
	v_subrev_u32_e32 v15, 28, v14
	v_and_b32_e32 v13, 15, v13
	v_lshlrev_b32_e32 v6, v15, v6
	v_sub_u32_e32 v14, 29, v14
	v_and_b32_e32 v6, 7, v6
	v_cmp_eq_u16_e32 vcc, 0, v13
	v_cndmask_b32_e32 v6, v12, v6, vcc
	v_cndmask_b32_e32 v12, v13, v14, vcc
	v_lshlrev_b32_e32 v13, 16, v3
	v_mov_b32_e32 v14, 0x3b800000
	v_lshlrev_b32_e32 v6, 20, v6
	v_and_b32_e32 v13, 0x80000000, v13
	v_lshl_add_u32 v12, v12, 23, v14
	v_or3_b32 v12, v13, v12, v6
.LBB1_9776:
	s_or_b64 exec, exec, s[6:7]
	s_nop 0
	v_mfma_f32_16x16x4f32 a[0:3], v2, v12, a[0:3]
	s_movk_i32 s4, 0xff
	v_and_b32_sdwa v6, v7, s4 dst_sel:DWORD dst_unused:UNUSED_PAD src0_sel:WORD_1 src1_sel:DWORD
	s_movk_i32 s4, 0x7f
	v_cmp_lt_i16_e32 vcc, s4, v6
	s_mov_b64 s[4:5], 0
                                        ; implicit-def: $sgpr10
	s_and_saveexec_b64 s[6:7], vcc
	s_xor_b64 s[6:7], exec, s[6:7]
	s_cbranch_execz .LBB1_9777
; %bb.45617:
	s_getpc_b64 s[14:15]
.Lpost_getpc8472:
	s_add_u32 s14, s14, (.LBB1_24113-.Lpost_getpc8472)&4294967295
	s_addc_u32 s15, s15, (.LBB1_24113-.Lpost_getpc8472)>>32
	s_setpc_b64 s[14:15]
.LBB1_9777:
	s_or_saveexec_b64 s[6:7], s[6:7]
	v_mov_b32_e32 v2, s10
	s_xor_b64 exec, exec, s[6:7]
	s_cbranch_execz .LBB1_9778
; %bb.45619:
	s_getpc_b64 s[14:15]
.Lpost_getpc8473:
	s_add_u32 s14, s14, (.LBB1_24116-.Lpost_getpc8473)&4294967295
	s_addc_u32 s15, s15, (.LBB1_24116-.Lpost_getpc8473)>>32
	s_setpc_b64 s[14:15]
.LBB1_9778:
	s_or_b64 exec, exec, s[6:7]
	s_and_saveexec_b64 s[6:7], s[4:5]
	s_cbranch_execz .LBB1_9780
.LBB1_9779:
	v_bfe_u32 v2, v7, 16, 3
	v_ffbh_u32_e32 v13, v2
	v_min_u32_e32 v13, 32, v13
	v_lshrrev_b32_e32 v6, 19, v7
	v_subrev_u32_e32 v14, 28, v13
	v_and_b32_e32 v6, 15, v6
	v_lshlrev_b32_sdwa v14, v14, v7 dst_sel:DWORD dst_unused:UNUSED_PAD src0_sel:DWORD src1_sel:WORD_1
	v_bfe_u32 v12, v7, 19, 4
	v_sub_u32_e32 v13, 29, v13
	v_and_b32_e32 v14, 7, v14
	v_cmp_eq_u16_e32 vcc, 0, v6
	v_cndmask_b32_e32 v2, v2, v14, vcc
	v_cndmask_b32_e32 v6, v12, v13, vcc
	v_lshlrev_b32_e32 v12, 8, v7
	v_mov_b32_e32 v13, 0x3b800000
	v_lshlrev_b32_e32 v2, 20, v2
	v_and_b32_e32 v12, 0x80000000, v12
	v_lshl_add_u32 v6, v6, 23, v13
	v_or3_b32 v2, v12, v6, v2
.LBB1_9780:
	s_or_b64 exec, exec, s[6:7]
	s_movk_i32 s4, 0xff
	v_and_b32_sdwa v6, v3, s4 dst_sel:DWORD dst_unused:UNUSED_PAD src0_sel:WORD_1 src1_sel:DWORD
	s_movk_i32 s4, 0x7f
	v_cmp_lt_i16_e32 vcc, s4, v6
	s_mov_b64 s[4:5], 0
                                        ; implicit-def: $sgpr10
	s_and_saveexec_b64 s[6:7], vcc
	s_xor_b64 s[6:7], exec, s[6:7]
	s_cbranch_execz .LBB1_9781
; %bb.45621:
	s_getpc_b64 s[14:15]
.Lpost_getpc8474:
	s_add_u32 s14, s14, (.LBB1_24117-.Lpost_getpc8474)&4294967295
	s_addc_u32 s15, s15, (.LBB1_24117-.Lpost_getpc8474)>>32
	s_setpc_b64 s[14:15]
.LBB1_9781:
	s_or_saveexec_b64 s[6:7], s[6:7]
	v_mov_b32_e32 v12, s10
	s_xor_b64 exec, exec, s[6:7]
	s_cbranch_execz .LBB1_9782
; %bb.45623:
	s_getpc_b64 s[14:15]
.Lpost_getpc8475:
	s_add_u32 s14, s14, (.LBB1_24120-.Lpost_getpc8475)&4294967295
	s_addc_u32 s15, s15, (.LBB1_24120-.Lpost_getpc8475)>>32
	s_setpc_b64 s[14:15]
.LBB1_9782:
	s_or_b64 exec, exec, s[6:7]
	s_and_saveexec_b64 s[6:7], s[4:5]
	s_cbranch_execz .LBB1_9784
.LBB1_9783:
	v_bfe_u32 v6, v3, 16, 3
	v_ffbh_u32_e32 v14, v6
	v_min_u32_e32 v14, 32, v14
	v_lshrrev_b32_e32 v12, 19, v3
	v_subrev_u32_e32 v15, 28, v14
	v_and_b32_e32 v12, 15, v12
	v_lshlrev_b32_sdwa v15, v15, v3 dst_sel:DWORD dst_unused:UNUSED_PAD src0_sel:DWORD src1_sel:WORD_1
	v_bfe_u32 v13, v3, 19, 4
	v_sub_u32_e32 v14, 29, v14
	v_and_b32_e32 v15, 7, v15
	v_cmp_eq_u16_e32 vcc, 0, v12
	v_cndmask_b32_e32 v6, v6, v15, vcc
	v_cndmask_b32_e32 v12, v13, v14, vcc
	v_lshlrev_b32_e32 v13, 8, v3
	v_mov_b32_e32 v14, 0x3b800000
	v_lshlrev_b32_e32 v6, 20, v6
	v_and_b32_e32 v13, 0x80000000, v13
	v_lshl_add_u32 v12, v12, 23, v14
	v_or3_b32 v12, v13, v12, v6
.LBB1_9784:
	s_or_b64 exec, exec, s[6:7]
	s_nop 0
	v_mfma_f32_16x16x4f32 a[0:3], v2, v12, a[0:3]
	s_movk_i32 s4, 0x7f
	v_cmp_gt_i16_sdwa s[6:7], v7, s4 src0_sel:BYTE_3 src1_sel:DWORD
	s_mov_b64 s[4:5], 0
                                        ; implicit-def: $sgpr10
	s_and_saveexec_b64 s[8:9], s[6:7]
	s_xor_b64 s[6:7], exec, s[8:9]
	s_cbranch_execz .LBB1_9785
; %bb.45625:
	s_getpc_b64 s[14:15]
.Lpost_getpc8476:
	s_add_u32 s14, s14, (.LBB1_24121-.Lpost_getpc8476)&4294967295
	s_addc_u32 s15, s15, (.LBB1_24121-.Lpost_getpc8476)>>32
	s_setpc_b64 s[14:15]
.LBB1_9785:
	s_or_saveexec_b64 s[6:7], s[6:7]
	v_mov_b32_e32 v2, s10
	s_xor_b64 exec, exec, s[6:7]
	s_cbranch_execz .LBB1_9786
; %bb.45627:
	s_getpc_b64 s[14:15]
.Lpost_getpc8477:
	s_add_u32 s14, s14, (.LBB1_24124-.Lpost_getpc8477)&4294967295
	s_addc_u32 s15, s15, (.LBB1_24124-.Lpost_getpc8477)>>32
	s_setpc_b64 s[14:15]
.LBB1_9786:
	s_or_b64 exec, exec, s[6:7]
	s_and_saveexec_b64 s[6:7], s[4:5]
	s_cbranch_execz .LBB1_9788
.LBB1_9787:
	v_bfe_u32 v2, v7, 24, 3
	v_ffbh_u32_e32 v14, v2
	v_min_u32_e32 v14, 32, v14
	v_lshrrev_b32_e32 v12, 27, v7
	v_subrev_u32_e32 v15, 28, v14
	v_and_b32_e32 v6, 0x80000000, v7
	v_and_b32_e32 v12, 15, v12
	v_bfe_u32 v13, v7, 27, 4
	v_lshlrev_b32_sdwa v7, v15, v7 dst_sel:DWORD dst_unused:UNUSED_PAD src0_sel:DWORD src1_sel:BYTE_3
	v_sub_u32_e32 v14, 29, v14
	v_and_b32_e32 v7, 7, v7
	v_cmp_eq_u16_e32 vcc, 0, v12
	v_cndmask_b32_e32 v2, v2, v7, vcc
	v_cndmask_b32_e32 v7, v13, v14, vcc
	v_mov_b32_e32 v12, 0x3b800000
	v_lshlrev_b32_e32 v2, 20, v2
	v_lshl_add_u32 v7, v7, 23, v12
	v_or3_b32 v2, v6, v7, v2
.LBB1_9788:
	s_or_b64 exec, exec, s[6:7]
	s_movk_i32 s4, 0x7f
	v_cmp_gt_i16_sdwa s[6:7], v3, s4 src0_sel:BYTE_3 src1_sel:DWORD
	s_mov_b64 s[4:5], 0
                                        ; implicit-def: $sgpr10
	s_and_saveexec_b64 s[8:9], s[6:7]
	s_xor_b64 s[6:7], exec, s[8:9]
	s_cbranch_execz .LBB1_9789
; %bb.45629:
	s_getpc_b64 s[14:15]
.Lpost_getpc8478:
	s_add_u32 s14, s14, (.LBB1_24125-.Lpost_getpc8478)&4294967295
	s_addc_u32 s15, s15, (.LBB1_24125-.Lpost_getpc8478)>>32
	s_setpc_b64 s[14:15]
.LBB1_9789:
	s_or_saveexec_b64 s[6:7], s[6:7]
	v_mov_b32_e32 v6, s10
	s_xor_b64 exec, exec, s[6:7]
	s_cbranch_execz .LBB1_9790
; %bb.45631:
	s_getpc_b64 s[14:15]
.Lpost_getpc8479:
	s_add_u32 s14, s14, (.LBB1_24128-.Lpost_getpc8479)&4294967295
	s_addc_u32 s15, s15, (.LBB1_24128-.Lpost_getpc8479)>>32
	s_setpc_b64 s[14:15]
.LBB1_9790:
	s_or_b64 exec, exec, s[6:7]
	s_and_saveexec_b64 s[6:7], s[4:5]
	s_cbranch_execz .LBB1_9792
.LBB1_9791:
	v_bfe_u32 v6, v3, 24, 3
	v_ffbh_u32_e32 v14, v6
	v_min_u32_e32 v14, 32, v14
	v_lshrrev_b32_e32 v12, 27, v3
	v_subrev_u32_e32 v15, 28, v14
	v_and_b32_e32 v7, 0x80000000, v3
	v_and_b32_e32 v12, 15, v12
	v_bfe_u32 v13, v3, 27, 4
	v_lshlrev_b32_sdwa v3, v15, v3 dst_sel:DWORD dst_unused:UNUSED_PAD src0_sel:DWORD src1_sel:BYTE_3
	v_sub_u32_e32 v14, 29, v14
	v_and_b32_e32 v3, 7, v3
	v_cmp_eq_u16_e32 vcc, 0, v12
	v_cndmask_b32_e32 v3, v6, v3, vcc
	v_cndmask_b32_e32 v6, v13, v14, vcc
	v_mov_b32_e32 v12, 0x3b800000
	v_lshlrev_b32_e32 v3, 20, v3
	v_lshl_add_u32 v6, v6, 23, v12
	v_or3_b32 v6, v7, v6, v3
.LBB1_9792:
	s_or_b64 exec, exec, s[6:7]
	s_nop 0
	v_mfma_f32_16x16x4f32 a[0:3], v2, v6, a[0:3]
	s_movk_i32 s4, 0x7f
	v_cmp_gt_i16_sdwa s[6:7], v8, s4 src0_sel:BYTE_0 src1_sel:DWORD
	s_mov_b64 s[4:5], 0
                                        ; implicit-def: $sgpr10
	s_and_saveexec_b64 s[8:9], s[6:7]
	s_xor_b64 s[6:7], exec, s[8:9]
	s_cbranch_execz .LBB1_9793
; %bb.45633:
	s_getpc_b64 s[14:15]
.Lpost_getpc8480:
	s_add_u32 s14, s14, (.LBB1_24129-.Lpost_getpc8480)&4294967295
	s_addc_u32 s15, s15, (.LBB1_24129-.Lpost_getpc8480)>>32
	s_setpc_b64 s[14:15]
.LBB1_9793:
	s_or_saveexec_b64 s[6:7], s[6:7]
	v_mov_b32_e32 v2, s10
	s_xor_b64 exec, exec, s[6:7]
	s_cbranch_execz .LBB1_9794
; %bb.45635:
	s_getpc_b64 s[14:15]
.Lpost_getpc8481:
	s_add_u32 s14, s14, (.LBB1_24132-.Lpost_getpc8481)&4294967295
	s_addc_u32 s15, s15, (.LBB1_24132-.Lpost_getpc8481)>>32
	s_setpc_b64 s[14:15]
.LBB1_9794:
	s_or_b64 exec, exec, s[6:7]
	s_and_saveexec_b64 s[6:7], s[4:5]
	s_cbranch_execz .LBB1_9796
.LBB1_9795:
	v_and_b32_e32 v2, 7, v8
	v_ffbh_u32_e32 v6, v2
	v_min_u32_e32 v6, 32, v6
	v_lshrrev_b16_e32 v3, 3, v8
	v_subrev_u32_e32 v7, 28, v6
	v_and_b32_e32 v3, 15, v3
	v_lshlrev_b32_e32 v7, v7, v8
	v_sub_u32_e32 v6, 29, v6
	v_and_b32_e32 v7, 7, v7
	v_cmp_eq_u16_e32 vcc, 0, v3
	v_cndmask_b32_e32 v2, v2, v7, vcc
	v_cndmask_b32_e32 v3, v3, v6, vcc
	v_lshlrev_b32_e32 v6, 24, v8
	v_mov_b32_e32 v7, 0x3b800000
	v_lshlrev_b32_e32 v2, 20, v2
	v_and_b32_e32 v6, 0x80000000, v6
	v_lshl_add_u32 v3, v3, 23, v7
	v_or3_b32 v2, v6, v3, v2
.LBB1_9796:
	s_or_b64 exec, exec, s[6:7]
	s_movk_i32 s4, 0x7f
	v_cmp_gt_i16_sdwa s[6:7], v4, s4 src0_sel:BYTE_0 src1_sel:DWORD
	s_mov_b64 s[4:5], 0
                                        ; implicit-def: $sgpr10
	s_and_saveexec_b64 s[8:9], s[6:7]
	s_xor_b64 s[6:7], exec, s[8:9]
	s_cbranch_execz .LBB1_9797
; %bb.45637:
	s_getpc_b64 s[14:15]
.Lpost_getpc8482:
	s_add_u32 s14, s14, (.LBB1_24133-.Lpost_getpc8482)&4294967295
	s_addc_u32 s15, s15, (.LBB1_24133-.Lpost_getpc8482)>>32
	s_setpc_b64 s[14:15]
.LBB1_9797:
	s_or_saveexec_b64 s[6:7], s[6:7]
	v_mov_b32_e32 v3, s10
	s_xor_b64 exec, exec, s[6:7]
	s_cbranch_execz .LBB1_9798
; %bb.45639:
	s_getpc_b64 s[14:15]
.Lpost_getpc8483:
	s_add_u32 s14, s14, (.LBB1_24136-.Lpost_getpc8483)&4294967295
	s_addc_u32 s15, s15, (.LBB1_24136-.Lpost_getpc8483)>>32
	s_setpc_b64 s[14:15]
.LBB1_9798:
	s_or_b64 exec, exec, s[6:7]
	s_and_saveexec_b64 s[6:7], s[4:5]
	s_cbranch_execz .LBB1_9800
.LBB1_9799:
	v_and_b32_e32 v3, 7, v4
	v_ffbh_u32_e32 v7, v3
	v_min_u32_e32 v7, 32, v7
	v_lshrrev_b16_e32 v6, 3, v4
	v_subrev_u32_e32 v12, 28, v7
	v_and_b32_e32 v6, 15, v6
	v_lshlrev_b32_e32 v12, v12, v4
	v_sub_u32_e32 v7, 29, v7
	v_and_b32_e32 v12, 7, v12
	v_cmp_eq_u16_e32 vcc, 0, v6
	v_cndmask_b32_e32 v3, v3, v12, vcc
	v_cndmask_b32_e32 v6, v6, v7, vcc
	v_lshlrev_b32_e32 v7, 24, v4
	v_mov_b32_e32 v12, 0x3b800000
	v_lshlrev_b32_e32 v3, 20, v3
	v_and_b32_e32 v7, 0x80000000, v7
	v_lshl_add_u32 v6, v6, 23, v12
	v_or3_b32 v3, v7, v6, v3
.LBB1_9800:
	s_or_b64 exec, exec, s[6:7]
	s_nop 0
	v_mfma_f32_16x16x4f32 a[0:3], v2, v3, a[0:3]
	v_lshrrev_b32_e32 v3, 8, v8
	s_movk_i32 s4, 0x7f
	v_cmp_gt_i16_sdwa s[6:7], v3, s4 src0_sel:BYTE_0 src1_sel:DWORD
	s_mov_b64 s[4:5], 0
                                        ; implicit-def: $sgpr10
	s_and_saveexec_b64 s[8:9], s[6:7]
	s_xor_b64 s[6:7], exec, s[8:9]
	s_cbranch_execz .LBB1_9801
; %bb.45641:
	s_getpc_b64 s[14:15]
.Lpost_getpc8484:
	s_add_u32 s14, s14, (.LBB1_24137-.Lpost_getpc8484)&4294967295
	s_addc_u32 s15, s15, (.LBB1_24137-.Lpost_getpc8484)>>32
	s_setpc_b64 s[14:15]
.LBB1_9801:
	s_or_saveexec_b64 s[6:7], s[6:7]
	v_mov_b32_e32 v2, s10
	s_xor_b64 exec, exec, s[6:7]
	s_cbranch_execz .LBB1_9802
; %bb.45643:
	s_getpc_b64 s[14:15]
.Lpost_getpc8485:
	s_add_u32 s14, s14, (.LBB1_24140-.Lpost_getpc8485)&4294967295
	s_addc_u32 s15, s15, (.LBB1_24140-.Lpost_getpc8485)>>32
	s_setpc_b64 s[14:15]
.LBB1_9802:
	s_or_b64 exec, exec, s[6:7]
	s_and_saveexec_b64 s[6:7], s[4:5]
	s_cbranch_execz .LBB1_9804
.LBB1_9803:
	v_bfe_u32 v2, v8, 8, 3
	v_ffbh_u32_e32 v7, v2
	v_min_u32_e32 v7, 32, v7
	v_lshrrev_b16_e32 v6, 3, v3
	v_subrev_u32_e32 v12, 28, v7
	v_and_b32_e32 v6, 15, v6
	v_lshlrev_b32_e32 v3, v12, v3
	v_sub_u32_e32 v7, 29, v7
	v_and_b32_e32 v3, 7, v3
	v_cmp_eq_u16_e32 vcc, 0, v6
	v_cndmask_b32_e32 v2, v2, v3, vcc
	v_cndmask_b32_e32 v3, v6, v7, vcc
	v_lshlrev_b32_e32 v6, 16, v8
	v_mov_b32_e32 v7, 0x3b800000
	v_lshlrev_b32_e32 v2, 20, v2
	v_and_b32_e32 v6, 0x80000000, v6
	v_lshl_add_u32 v3, v3, 23, v7
	v_or3_b32 v2, v6, v3, v2
.LBB1_9804:
	s_or_b64 exec, exec, s[6:7]
	v_lshrrev_b32_e32 v3, 8, v4
	s_movk_i32 s4, 0x7f
	v_cmp_gt_i16_sdwa s[6:7], v3, s4 src0_sel:BYTE_0 src1_sel:DWORD
	s_mov_b64 s[4:5], 0
                                        ; implicit-def: $sgpr10
	s_and_saveexec_b64 s[8:9], s[6:7]
	s_xor_b64 s[6:7], exec, s[8:9]
	s_cbranch_execz .LBB1_9805
; %bb.45645:
	s_getpc_b64 s[14:15]
.Lpost_getpc8486:
	s_add_u32 s14, s14, (.LBB1_24141-.Lpost_getpc8486)&4294967295
	s_addc_u32 s15, s15, (.LBB1_24141-.Lpost_getpc8486)>>32
	s_setpc_b64 s[14:15]
.LBB1_9805:
	s_or_saveexec_b64 s[6:7], s[6:7]
	v_mov_b32_e32 v6, s10
	s_xor_b64 exec, exec, s[6:7]
	s_cbranch_execz .LBB1_9806
; %bb.45647:
	s_getpc_b64 s[14:15]
.Lpost_getpc8487:
	s_add_u32 s14, s14, (.LBB1_24144-.Lpost_getpc8487)&4294967295
	s_addc_u32 s15, s15, (.LBB1_24144-.Lpost_getpc8487)>>32
	s_setpc_b64 s[14:15]
.LBB1_9806:
	s_or_b64 exec, exec, s[6:7]
	s_and_saveexec_b64 s[6:7], s[4:5]
	s_cbranch_execz .LBB1_9808
.LBB1_9807:
	v_bfe_u32 v6, v4, 8, 3
	v_ffbh_u32_e32 v12, v6
	v_min_u32_e32 v12, 32, v12
	v_lshrrev_b16_e32 v7, 3, v3
	v_subrev_u32_e32 v13, 28, v12
	v_and_b32_e32 v7, 15, v7
	v_lshlrev_b32_e32 v3, v13, v3
	v_sub_u32_e32 v12, 29, v12
	v_and_b32_e32 v3, 7, v3
	v_cmp_eq_u16_e32 vcc, 0, v7
	v_cndmask_b32_e32 v3, v6, v3, vcc
	v_cndmask_b32_e32 v6, v7, v12, vcc
	v_lshlrev_b32_e32 v7, 16, v4
	v_mov_b32_e32 v12, 0x3b800000
	v_lshlrev_b32_e32 v3, 20, v3
	v_and_b32_e32 v7, 0x80000000, v7
	v_lshl_add_u32 v6, v6, 23, v12
	v_or3_b32 v6, v7, v6, v3
.LBB1_9808:
	s_or_b64 exec, exec, s[6:7]
	s_nop 0
	v_mfma_f32_16x16x4f32 a[0:3], v2, v6, a[0:3]
	s_movk_i32 s4, 0xff
	v_and_b32_sdwa v3, v8, s4 dst_sel:DWORD dst_unused:UNUSED_PAD src0_sel:WORD_1 src1_sel:DWORD
	s_movk_i32 s4, 0x7f
	v_cmp_lt_i16_e32 vcc, s4, v3
	s_mov_b64 s[4:5], 0
                                        ; implicit-def: $sgpr10
	s_and_saveexec_b64 s[6:7], vcc
	s_xor_b64 s[6:7], exec, s[6:7]
	s_cbranch_execz .LBB1_9809
; %bb.45649:
	s_getpc_b64 s[14:15]
.Lpost_getpc8488:
	s_add_u32 s14, s14, (.LBB1_24145-.Lpost_getpc8488)&4294967295
	s_addc_u32 s15, s15, (.LBB1_24145-.Lpost_getpc8488)>>32
	s_setpc_b64 s[14:15]
.LBB1_9809:
	s_or_saveexec_b64 s[6:7], s[6:7]
	v_mov_b32_e32 v2, s10
	s_xor_b64 exec, exec, s[6:7]
	s_cbranch_execz .LBB1_9810
; %bb.45651:
	s_getpc_b64 s[14:15]
.Lpost_getpc8489:
	s_add_u32 s14, s14, (.LBB1_24148-.Lpost_getpc8489)&4294967295
	s_addc_u32 s15, s15, (.LBB1_24148-.Lpost_getpc8489)>>32
	s_setpc_b64 s[14:15]
.LBB1_9810:
	s_or_b64 exec, exec, s[6:7]
	s_and_saveexec_b64 s[6:7], s[4:5]
	s_cbranch_execz .LBB1_9812
.LBB1_9811:
	v_bfe_u32 v2, v8, 16, 3
	v_ffbh_u32_e32 v7, v2
	v_min_u32_e32 v7, 32, v7
	v_lshrrev_b32_e32 v3, 19, v8
	v_subrev_u32_e32 v12, 28, v7
	v_and_b32_e32 v3, 15, v3
	v_lshlrev_b32_sdwa v12, v12, v8 dst_sel:DWORD dst_unused:UNUSED_PAD src0_sel:DWORD src1_sel:WORD_1
	v_bfe_u32 v6, v8, 19, 4
	v_sub_u32_e32 v7, 29, v7
	v_and_b32_e32 v12, 7, v12
	v_cmp_eq_u16_e32 vcc, 0, v3
	v_cndmask_b32_e32 v2, v2, v12, vcc
	v_cndmask_b32_e32 v3, v6, v7, vcc
	v_lshlrev_b32_e32 v6, 8, v8
	v_mov_b32_e32 v7, 0x3b800000
	v_lshlrev_b32_e32 v2, 20, v2
	v_and_b32_e32 v6, 0x80000000, v6
	v_lshl_add_u32 v3, v3, 23, v7
	v_or3_b32 v2, v6, v3, v2
.LBB1_9812:
	s_or_b64 exec, exec, s[6:7]
	s_movk_i32 s4, 0xff
	v_and_b32_sdwa v3, v4, s4 dst_sel:DWORD dst_unused:UNUSED_PAD src0_sel:WORD_1 src1_sel:DWORD
	s_movk_i32 s4, 0x7f
	v_cmp_lt_i16_e32 vcc, s4, v3
	s_mov_b64 s[4:5], 0
                                        ; implicit-def: $sgpr10
	s_and_saveexec_b64 s[6:7], vcc
	s_xor_b64 s[6:7], exec, s[6:7]
	s_cbranch_execz .LBB1_9813
; %bb.45653:
	s_getpc_b64 s[14:15]
.Lpost_getpc8490:
	s_add_u32 s14, s14, (.LBB1_24149-.Lpost_getpc8490)&4294967295
	s_addc_u32 s15, s15, (.LBB1_24149-.Lpost_getpc8490)>>32
	s_setpc_b64 s[14:15]
.LBB1_9813:
	s_or_saveexec_b64 s[6:7], s[6:7]
	v_mov_b32_e32 v6, s10
	s_xor_b64 exec, exec, s[6:7]
	s_cbranch_execz .LBB1_9814
; %bb.45655:
	s_getpc_b64 s[14:15]
.Lpost_getpc8491:
	s_add_u32 s14, s14, (.LBB1_24152-.Lpost_getpc8491)&4294967295
	s_addc_u32 s15, s15, (.LBB1_24152-.Lpost_getpc8491)>>32
	s_setpc_b64 s[14:15]
.LBB1_9814:
	s_or_b64 exec, exec, s[6:7]
	s_and_saveexec_b64 s[6:7], s[4:5]
	s_cbranch_execz .LBB1_9816
.LBB1_9815:
	v_bfe_u32 v3, v4, 16, 3
	v_ffbh_u32_e32 v12, v3
	v_min_u32_e32 v12, 32, v12
	v_lshrrev_b32_e32 v6, 19, v4
	v_subrev_u32_e32 v13, 28, v12
	v_and_b32_e32 v6, 15, v6
	v_lshlrev_b32_sdwa v13, v13, v4 dst_sel:DWORD dst_unused:UNUSED_PAD src0_sel:DWORD src1_sel:WORD_1
	v_bfe_u32 v7, v4, 19, 4
	v_sub_u32_e32 v12, 29, v12
	v_and_b32_e32 v13, 7, v13
	v_cmp_eq_u16_e32 vcc, 0, v6
	v_cndmask_b32_e32 v3, v3, v13, vcc
	v_cndmask_b32_e32 v6, v7, v12, vcc
	v_lshlrev_b32_e32 v7, 8, v4
	v_mov_b32_e32 v12, 0x3b800000
	v_lshlrev_b32_e32 v3, 20, v3
	v_and_b32_e32 v7, 0x80000000, v7
	v_lshl_add_u32 v6, v6, 23, v12
	v_or3_b32 v6, v7, v6, v3
.LBB1_9816:
	s_or_b64 exec, exec, s[6:7]
	s_nop 0
	v_mfma_f32_16x16x4f32 a[0:3], v2, v6, a[0:3]
	s_movk_i32 s4, 0x7f
	v_cmp_gt_i16_sdwa s[6:7], v8, s4 src0_sel:BYTE_3 src1_sel:DWORD
	s_mov_b64 s[4:5], 0
                                        ; implicit-def: $sgpr10
	s_and_saveexec_b64 s[8:9], s[6:7]
	s_xor_b64 s[6:7], exec, s[8:9]
	s_cbranch_execz .LBB1_9817
; %bb.45657:
	s_getpc_b64 s[14:15]
.Lpost_getpc8492:
	s_add_u32 s14, s14, (.LBB1_24153-.Lpost_getpc8492)&4294967295
	s_addc_u32 s15, s15, (.LBB1_24153-.Lpost_getpc8492)>>32
	s_setpc_b64 s[14:15]
.LBB1_9817:
	s_or_saveexec_b64 s[6:7], s[6:7]
	v_mov_b32_e32 v2, s10
	s_xor_b64 exec, exec, s[6:7]
	s_cbranch_execz .LBB1_9818
; %bb.45659:
	s_getpc_b64 s[14:15]
.Lpost_getpc8493:
	s_add_u32 s14, s14, (.LBB1_24156-.Lpost_getpc8493)&4294967295
	s_addc_u32 s15, s15, (.LBB1_24156-.Lpost_getpc8493)>>32
	s_setpc_b64 s[14:15]
.LBB1_9818:
	s_or_b64 exec, exec, s[6:7]
	s_and_saveexec_b64 s[6:7], s[4:5]
	s_cbranch_execz .LBB1_9820
.LBB1_9819:
	v_bfe_u32 v2, v8, 24, 3
	v_ffbh_u32_e32 v12, v2
	v_min_u32_e32 v12, 32, v12
	v_lshrrev_b32_e32 v6, 27, v8
	v_subrev_u32_e32 v13, 28, v12
	v_and_b32_e32 v3, 0x80000000, v8
	v_and_b32_e32 v6, 15, v6
	v_bfe_u32 v7, v8, 27, 4
	v_lshlrev_b32_sdwa v8, v13, v8 dst_sel:DWORD dst_unused:UNUSED_PAD src0_sel:DWORD src1_sel:BYTE_3
	v_sub_u32_e32 v12, 29, v12
	v_and_b32_e32 v8, 7, v8
	v_cmp_eq_u16_e32 vcc, 0, v6
	v_cndmask_b32_e32 v2, v2, v8, vcc
	v_cndmask_b32_e32 v6, v7, v12, vcc
	v_mov_b32_e32 v7, 0x3b800000
	v_lshlrev_b32_e32 v2, 20, v2
	v_lshl_add_u32 v6, v6, 23, v7
	v_or3_b32 v2, v3, v6, v2
.LBB1_9820:
	s_or_b64 exec, exec, s[6:7]
	s_movk_i32 s4, 0x7f
	v_cmp_gt_i16_sdwa s[6:7], v4, s4 src0_sel:BYTE_3 src1_sel:DWORD
	s_mov_b64 s[4:5], 0
                                        ; implicit-def: $sgpr10
	s_and_saveexec_b64 s[8:9], s[6:7]
	s_xor_b64 s[6:7], exec, s[8:9]
	s_cbranch_execz .LBB1_9821
; %bb.45661:
	s_getpc_b64 s[14:15]
.Lpost_getpc8494:
	s_add_u32 s14, s14, (.LBB1_24157-.Lpost_getpc8494)&4294967295
	s_addc_u32 s15, s15, (.LBB1_24157-.Lpost_getpc8494)>>32
	s_setpc_b64 s[14:15]
.LBB1_9821:
	s_or_saveexec_b64 s[6:7], s[6:7]
	v_mov_b32_e32 v3, s10
	s_xor_b64 exec, exec, s[6:7]
	s_cbranch_execz .LBB1_9822
; %bb.45663:
	s_getpc_b64 s[14:15]
.Lpost_getpc8495:
	s_add_u32 s14, s14, (.LBB1_24160-.Lpost_getpc8495)&4294967295
	s_addc_u32 s15, s15, (.LBB1_24160-.Lpost_getpc8495)>>32
	s_setpc_b64 s[14:15]
.LBB1_9822:
	s_or_b64 exec, exec, s[6:7]
	s_and_saveexec_b64 s[6:7], s[4:5]
	s_cbranch_execz .LBB1_9824
.LBB1_9823:
	v_bfe_u32 v3, v4, 24, 3
	v_ffbh_u32_e32 v12, v3
	v_min_u32_e32 v12, 32, v12
	v_lshrrev_b32_e32 v7, 27, v4
	v_subrev_u32_e32 v13, 28, v12
	v_and_b32_e32 v6, 0x80000000, v4
	v_and_b32_e32 v7, 15, v7
	v_bfe_u32 v8, v4, 27, 4
	v_lshlrev_b32_sdwa v4, v13, v4 dst_sel:DWORD dst_unused:UNUSED_PAD src0_sel:DWORD src1_sel:BYTE_3
	v_sub_u32_e32 v12, 29, v12
	v_and_b32_e32 v4, 7, v4
	v_cmp_eq_u16_e32 vcc, 0, v7
	v_cndmask_b32_e32 v3, v3, v4, vcc
	v_cndmask_b32_e32 v4, v8, v12, vcc
	v_mov_b32_e32 v7, 0x3b800000
	v_lshlrev_b32_e32 v3, 20, v3
	v_lshl_add_u32 v4, v4, 23, v7
	v_or3_b32 v3, v6, v4, v3
.LBB1_9824:
	s_or_b64 exec, exec, s[6:7]
	s_nop 0
	v_mfma_f32_16x16x4f32 a[0:3], v2, v3, a[0:3]
	s_movk_i32 s4, 0x7f
	v_cmp_gt_i16_sdwa s[6:7], v9, s4 src0_sel:BYTE_0 src1_sel:DWORD
	s_mov_b64 s[4:5], 0
                                        ; implicit-def: $sgpr10
	s_and_saveexec_b64 s[8:9], s[6:7]
	s_xor_b64 s[6:7], exec, s[8:9]
	s_cbranch_execz .LBB1_9825
; %bb.45665:
	s_getpc_b64 s[14:15]
.Lpost_getpc8496:
	s_add_u32 s14, s14, (.LBB1_24161-.Lpost_getpc8496)&4294967295
	s_addc_u32 s15, s15, (.LBB1_24161-.Lpost_getpc8496)>>32
	s_setpc_b64 s[14:15]
.LBB1_9825:
	s_or_saveexec_b64 s[6:7], s[6:7]
	v_mov_b32_e32 v2, s10
	s_xor_b64 exec, exec, s[6:7]
	s_cbranch_execz .LBB1_9826
; %bb.45667:
	s_getpc_b64 s[14:15]
.Lpost_getpc8497:
	s_add_u32 s14, s14, (.LBB1_24164-.Lpost_getpc8497)&4294967295
	s_addc_u32 s15, s15, (.LBB1_24164-.Lpost_getpc8497)>>32
	s_setpc_b64 s[14:15]
.LBB1_9826:
	s_or_b64 exec, exec, s[6:7]
	s_and_saveexec_b64 s[6:7], s[4:5]
	s_cbranch_execz .LBB1_9828
.LBB1_9827:
	v_mov_b32_e32 v2, 8
	v_and_b32_e32 v3, 7, v9
	v_lshrrev_b32_sdwa v2, v2, v9 dst_sel:BYTE_1 dst_unused:UNUSED_PAD src0_sel:DWORD src1_sel:DWORD
	v_ffbh_u32_e32 v4, v3
	v_or_b32_sdwa v2, v9, v2 dst_sel:DWORD dst_unused:UNUSED_PAD src0_sel:BYTE_0 src1_sel:DWORD
	v_min_u32_e32 v4, 32, v4
	v_lshrrev_b16_e32 v2, 3, v2
	v_subrev_u32_e32 v6, 28, v4
	v_and_b32_e32 v2, 15, v2
	v_lshlrev_b32_e32 v6, v6, v9
	v_sub_u32_e32 v4, 29, v4
	v_and_b32_e32 v6, 7, v6
	v_cmp_eq_u16_e32 vcc, 0, v2
	v_cndmask_b32_e32 v3, v3, v6, vcc
	v_cndmask_b32_e32 v2, v2, v4, vcc
	v_lshlrev_b32_e32 v4, 24, v9
	v_mov_b32_e32 v6, 0x3b800000
	v_lshlrev_b32_e32 v3, 20, v3
	v_and_b32_e32 v4, 0x80000000, v4
	v_lshl_add_u32 v2, v2, 23, v6
	v_or3_b32 v2, v4, v2, v3
.LBB1_9828:
	s_or_b64 exec, exec, s[6:7]
	s_movk_i32 s4, 0x7f
	v_cmp_gt_i16_sdwa s[6:7], v5, s4 src0_sel:BYTE_0 src1_sel:DWORD
	s_mov_b64 s[4:5], 0
                                        ; implicit-def: $sgpr10
	s_and_saveexec_b64 s[8:9], s[6:7]
	s_xor_b64 s[6:7], exec, s[8:9]
	s_cbranch_execz .LBB1_9829
; %bb.45669:
	s_getpc_b64 s[14:15]
.Lpost_getpc8498:
	s_add_u32 s14, s14, (.LBB1_24165-.Lpost_getpc8498)&4294967295
	s_addc_u32 s15, s15, (.LBB1_24165-.Lpost_getpc8498)>>32
	s_setpc_b64 s[14:15]
.LBB1_9829:
	s_or_saveexec_b64 s[6:7], s[6:7]
	v_mov_b32_e32 v3, s10
	s_xor_b64 exec, exec, s[6:7]
	s_cbranch_execz .LBB1_9830
; %bb.45671:
	s_getpc_b64 s[14:15]
.Lpost_getpc8499:
	s_add_u32 s14, s14, (.LBB1_24168-.Lpost_getpc8499)&4294967295
	s_addc_u32 s15, s15, (.LBB1_24168-.Lpost_getpc8499)>>32
	s_setpc_b64 s[14:15]
.LBB1_9830:
	s_or_b64 exec, exec, s[6:7]
	s_and_saveexec_b64 s[6:7], s[4:5]
	s_cbranch_execz .LBB1_9832
.LBB1_9831:
	v_mov_b32_e32 v3, 8
	v_and_b32_e32 v4, 7, v5
	v_lshrrev_b32_sdwa v3, v3, v5 dst_sel:BYTE_1 dst_unused:UNUSED_PAD src0_sel:DWORD src1_sel:DWORD
	v_ffbh_u32_e32 v6, v4
	v_or_b32_sdwa v3, v5, v3 dst_sel:DWORD dst_unused:UNUSED_PAD src0_sel:BYTE_0 src1_sel:DWORD
	v_min_u32_e32 v6, 32, v6
	v_lshrrev_b16_e32 v3, 3, v3
	v_subrev_u32_e32 v7, 28, v6
	v_and_b32_e32 v3, 15, v3
	v_lshlrev_b32_e32 v7, v7, v5
	v_sub_u32_e32 v6, 29, v6
	v_and_b32_e32 v7, 7, v7
	v_cmp_eq_u16_e32 vcc, 0, v3
	v_cndmask_b32_e32 v4, v4, v7, vcc
	v_cndmask_b32_e32 v3, v3, v6, vcc
	v_lshlrev_b32_e32 v6, 24, v5
	v_mov_b32_e32 v7, 0x3b800000
	v_lshlrev_b32_e32 v4, 20, v4
	v_and_b32_e32 v6, 0x80000000, v6
	v_lshl_add_u32 v3, v3, 23, v7
	v_or3_b32 v3, v6, v3, v4
.LBB1_9832:
	s_or_b64 exec, exec, s[6:7]
	s_nop 0
	v_mfma_f32_16x16x4f32 a[0:3], v2, v3, a[0:3]
	v_lshrrev_b32_e32 v3, 8, v9
	s_movk_i32 s4, 0x7f
	v_cmp_gt_i16_sdwa s[6:7], v3, s4 src0_sel:BYTE_0 src1_sel:DWORD
	s_mov_b64 s[4:5], 0
                                        ; implicit-def: $sgpr10
	s_and_saveexec_b64 s[8:9], s[6:7]
	s_xor_b64 s[6:7], exec, s[8:9]
	s_cbranch_execz .LBB1_9833
; %bb.45673:
	s_getpc_b64 s[14:15]
.Lpost_getpc8500:
	s_add_u32 s14, s14, (.LBB1_24169-.Lpost_getpc8500)&4294967295
	s_addc_u32 s15, s15, (.LBB1_24169-.Lpost_getpc8500)>>32
	s_setpc_b64 s[14:15]
.LBB1_9833:
	s_or_saveexec_b64 s[6:7], s[6:7]
	v_mov_b32_e32 v2, s10
	s_xor_b64 exec, exec, s[6:7]
	s_cbranch_execz .LBB1_9834
; %bb.45675:
	s_getpc_b64 s[14:15]
.Lpost_getpc8501:
	s_add_u32 s14, s14, (.LBB1_24172-.Lpost_getpc8501)&4294967295
	s_addc_u32 s15, s15, (.LBB1_24172-.Lpost_getpc8501)>>32
	s_setpc_b64 s[14:15]
.LBB1_9834:
	s_or_b64 exec, exec, s[6:7]
	s_and_saveexec_b64 s[6:7], s[4:5]
	s_cbranch_execz .LBB1_9836
.LBB1_9835:
	v_bfe_u32 v2, v9, 8, 3
	v_ffbh_u32_e32 v6, v2
	v_min_u32_e32 v6, 32, v6
	v_lshrrev_b16_e32 v4, 3, v3
	v_subrev_u32_e32 v7, 28, v6
	v_and_b32_e32 v4, 15, v4
	v_lshlrev_b32_e32 v3, v7, v3
	v_sub_u32_e32 v6, 29, v6
	v_and_b32_e32 v3, 7, v3
	v_cmp_eq_u16_e32 vcc, 0, v4
	v_cndmask_b32_e32 v2, v2, v3, vcc
	v_cndmask_b32_e32 v3, v4, v6, vcc
	v_lshlrev_b32_e32 v4, 16, v9
	v_mov_b32_e32 v6, 0x3b800000
	v_lshlrev_b32_e32 v2, 20, v2
	v_and_b32_e32 v4, 0x80000000, v4
	v_lshl_add_u32 v3, v3, 23, v6
	v_or3_b32 v2, v4, v3, v2
.LBB1_9836:
	s_or_b64 exec, exec, s[6:7]
	v_lshrrev_b32_e32 v3, 8, v5
	s_movk_i32 s4, 0x7f
	v_cmp_gt_i16_sdwa s[6:7], v3, s4 src0_sel:BYTE_0 src1_sel:DWORD
	s_mov_b64 s[4:5], 0
                                        ; implicit-def: $sgpr10
	s_and_saveexec_b64 s[8:9], s[6:7]
	s_xor_b64 s[6:7], exec, s[8:9]
	s_cbranch_execz .LBB1_9837
; %bb.45677:
	s_getpc_b64 s[14:15]
.Lpost_getpc8502:
	s_add_u32 s14, s14, (.LBB1_24173-.Lpost_getpc8502)&4294967295
	s_addc_u32 s15, s15, (.LBB1_24173-.Lpost_getpc8502)>>32
	s_setpc_b64 s[14:15]
.LBB1_9837:
	s_or_saveexec_b64 s[6:7], s[6:7]
	v_mov_b32_e32 v4, s10
	s_xor_b64 exec, exec, s[6:7]
	s_cbranch_execz .LBB1_9838
; %bb.45679:
	s_getpc_b64 s[14:15]
.Lpost_getpc8503:
	s_add_u32 s14, s14, (.LBB1_24176-.Lpost_getpc8503)&4294967295
	s_addc_u32 s15, s15, (.LBB1_24176-.Lpost_getpc8503)>>32
	s_setpc_b64 s[14:15]
.LBB1_9838:
	s_or_b64 exec, exec, s[6:7]
	s_and_saveexec_b64 s[6:7], s[4:5]
	s_cbranch_execz .LBB1_9840
.LBB1_9839:
	v_bfe_u32 v4, v5, 8, 3
	v_ffbh_u32_e32 v7, v4
	v_min_u32_e32 v7, 32, v7
	v_lshrrev_b16_e32 v6, 3, v3
	v_subrev_u32_e32 v8, 28, v7
	v_and_b32_e32 v6, 15, v6
	v_lshlrev_b32_e32 v3, v8, v3
	v_sub_u32_e32 v7, 29, v7
	v_and_b32_e32 v3, 7, v3
	v_cmp_eq_u16_e32 vcc, 0, v6
	v_cndmask_b32_e32 v3, v4, v3, vcc
	v_cndmask_b32_e32 v4, v6, v7, vcc
	v_lshlrev_b32_e32 v6, 16, v5
	v_mov_b32_e32 v7, 0x3b800000
	v_lshlrev_b32_e32 v3, 20, v3
	v_and_b32_e32 v6, 0x80000000, v6
	v_lshl_add_u32 v4, v4, 23, v7
	v_or3_b32 v4, v6, v4, v3
.LBB1_9840:
	s_or_b64 exec, exec, s[6:7]
	s_nop 0
	v_mfma_f32_16x16x4f32 a[0:3], v2, v4, a[0:3]
	s_movk_i32 s4, 0xff
	v_and_b32_sdwa v3, v9, s4 dst_sel:DWORD dst_unused:UNUSED_PAD src0_sel:WORD_1 src1_sel:DWORD
	s_movk_i32 s4, 0x7f
	v_cmp_lt_i16_e32 vcc, s4, v3
	s_mov_b64 s[4:5], 0
                                        ; implicit-def: $sgpr10
	s_and_saveexec_b64 s[6:7], vcc
	s_xor_b64 s[6:7], exec, s[6:7]
	s_cbranch_execz .LBB1_9841
; %bb.45681:
	s_getpc_b64 s[14:15]
.Lpost_getpc8504:
	s_add_u32 s14, s14, (.LBB1_24177-.Lpost_getpc8504)&4294967295
	s_addc_u32 s15, s15, (.LBB1_24177-.Lpost_getpc8504)>>32
	s_setpc_b64 s[14:15]
.LBB1_9841:
	s_or_saveexec_b64 s[6:7], s[6:7]
	v_mov_b32_e32 v2, s10
	s_xor_b64 exec, exec, s[6:7]
	s_cbranch_execz .LBB1_9842
; %bb.45683:
	s_getpc_b64 s[14:15]
.Lpost_getpc8505:
	s_add_u32 s14, s14, (.LBB1_24180-.Lpost_getpc8505)&4294967295
	s_addc_u32 s15, s15, (.LBB1_24180-.Lpost_getpc8505)>>32
	s_setpc_b64 s[14:15]
.LBB1_9842:
	s_or_b64 exec, exec, s[6:7]
	s_and_saveexec_b64 s[6:7], s[4:5]
	s_cbranch_execz .LBB1_9844
.LBB1_9843:
	v_bfe_u32 v2, v9, 16, 3
	v_ffbh_u32_e32 v6, v2
	v_min_u32_e32 v6, 32, v6
	v_lshrrev_b32_e32 v3, 19, v9
	v_subrev_u32_e32 v7, 28, v6
	v_and_b32_e32 v3, 15, v3
	v_lshlrev_b32_sdwa v7, v7, v9 dst_sel:DWORD dst_unused:UNUSED_PAD src0_sel:DWORD src1_sel:WORD_1
	v_bfe_u32 v4, v9, 19, 4
	v_sub_u32_e32 v6, 29, v6
	v_and_b32_e32 v7, 7, v7
	v_cmp_eq_u16_e32 vcc, 0, v3
	v_cndmask_b32_e32 v2, v2, v7, vcc
	v_cndmask_b32_e32 v3, v4, v6, vcc
	v_lshlrev_b32_e32 v4, 8, v9
	v_mov_b32_e32 v6, 0x3b800000
	v_lshlrev_b32_e32 v2, 20, v2
	v_and_b32_e32 v4, 0x80000000, v4
	v_lshl_add_u32 v3, v3, 23, v6
	v_or3_b32 v2, v4, v3, v2
.LBB1_9844:
	s_or_b64 exec, exec, s[6:7]
	s_movk_i32 s4, 0xff
	v_and_b32_sdwa v3, v5, s4 dst_sel:DWORD dst_unused:UNUSED_PAD src0_sel:WORD_1 src1_sel:DWORD
	s_movk_i32 s4, 0x7f
	v_cmp_lt_i16_e32 vcc, s4, v3
	s_mov_b64 s[4:5], 0
                                        ; implicit-def: $sgpr10
	s_and_saveexec_b64 s[6:7], vcc
	s_xor_b64 s[6:7], exec, s[6:7]
	s_cbranch_execz .LBB1_9845
; %bb.45685:
	s_getpc_b64 s[14:15]
.Lpost_getpc8506:
	s_add_u32 s14, s14, (.LBB1_24181-.Lpost_getpc8506)&4294967295
	s_addc_u32 s15, s15, (.LBB1_24181-.Lpost_getpc8506)>>32
	s_setpc_b64 s[14:15]
.LBB1_9845:
	s_or_saveexec_b64 s[6:7], s[6:7]
	v_mov_b32_e32 v4, s10
	s_xor_b64 exec, exec, s[6:7]
	s_cbranch_execz .LBB1_9846
; %bb.45687:
	s_getpc_b64 s[14:15]
.Lpost_getpc8507:
	s_add_u32 s14, s14, (.LBB1_24184-.Lpost_getpc8507)&4294967295
	s_addc_u32 s15, s15, (.LBB1_24184-.Lpost_getpc8507)>>32
	s_setpc_b64 s[14:15]
.LBB1_9846:
	s_or_b64 exec, exec, s[6:7]
	s_and_saveexec_b64 s[6:7], s[4:5]
	s_cbranch_execz .LBB1_9848
.LBB1_9847:
	v_bfe_u32 v3, v5, 16, 3
	v_ffbh_u32_e32 v7, v3
	v_min_u32_e32 v7, 32, v7
	v_lshrrev_b32_e32 v4, 19, v5
	v_subrev_u32_e32 v8, 28, v7
	v_and_b32_e32 v4, 15, v4
	v_lshlrev_b32_sdwa v8, v8, v5 dst_sel:DWORD dst_unused:UNUSED_PAD src0_sel:DWORD src1_sel:WORD_1
	v_bfe_u32 v6, v5, 19, 4
	v_sub_u32_e32 v7, 29, v7
	v_and_b32_e32 v8, 7, v8
	v_cmp_eq_u16_e32 vcc, 0, v4
	v_cndmask_b32_e32 v3, v3, v8, vcc
	v_cndmask_b32_e32 v4, v6, v7, vcc
	v_lshlrev_b32_e32 v6, 8, v5
	v_mov_b32_e32 v7, 0x3b800000
	v_lshlrev_b32_e32 v3, 20, v3
	v_and_b32_e32 v6, 0x80000000, v6
	v_lshl_add_u32 v4, v4, 23, v7
	v_or3_b32 v4, v6, v4, v3
.LBB1_9848:
	s_or_b64 exec, exec, s[6:7]
	s_nop 0
	v_mfma_f32_16x16x4f32 a[0:3], v2, v4, a[0:3]
	s_movk_i32 s4, 0x7f
	v_cmp_gt_i16_sdwa s[6:7], v9, s4 src0_sel:BYTE_3 src1_sel:DWORD
	s_mov_b64 s[4:5], 0
                                        ; implicit-def: $sgpr10
	s_and_saveexec_b64 s[8:9], s[6:7]
	s_xor_b64 s[6:7], exec, s[8:9]
	s_cbranch_execz .LBB1_9849
; %bb.45689:
	s_getpc_b64 s[14:15]
.Lpost_getpc8508:
	s_add_u32 s14, s14, (.LBB1_24185-.Lpost_getpc8508)&4294967295
	s_addc_u32 s15, s15, (.LBB1_24185-.Lpost_getpc8508)>>32
	s_setpc_b64 s[14:15]
.LBB1_9849:
	s_or_saveexec_b64 s[6:7], s[6:7]
	v_mov_b32_e32 v2, s10
	s_xor_b64 exec, exec, s[6:7]
	s_cbranch_execz .LBB1_9850
; %bb.45691:
	s_getpc_b64 s[14:15]
.Lpost_getpc8509:
	s_add_u32 s14, s14, (.LBB1_24188-.Lpost_getpc8509)&4294967295
	s_addc_u32 s15, s15, (.LBB1_24188-.Lpost_getpc8509)>>32
	s_setpc_b64 s[14:15]
.LBB1_9850:
	s_or_b64 exec, exec, s[6:7]
	s_and_saveexec_b64 s[6:7], s[4:5]
	s_cbranch_execz .LBB1_9852
.LBB1_9851:
	v_bfe_u32 v2, v9, 24, 3
	v_ffbh_u32_e32 v7, v2
	v_min_u32_e32 v7, 32, v7
	v_lshrrev_b32_e32 v4, 27, v9
	v_subrev_u32_e32 v8, 28, v7
	v_and_b32_e32 v4, 15, v4
	v_lshlrev_b32_sdwa v8, v8, v9 dst_sel:DWORD dst_unused:UNUSED_PAD src0_sel:DWORD src1_sel:BYTE_3
	v_bfe_u32 v6, v9, 27, 4
	v_sub_u32_e32 v7, 29, v7
	v_and_b32_e32 v8, 7, v8
	v_cmp_eq_u16_e32 vcc, 0, v4
	v_cndmask_b32_e32 v2, v2, v8, vcc
	v_cndmask_b32_e32 v4, v6, v7, vcc
	v_mov_b32_e32 v6, 0x3b800000
	v_and_b32_e32 v3, 0x80000000, v9
	v_lshlrev_b32_e32 v2, 20, v2
	v_lshl_add_u32 v4, v4, 23, v6
	v_or3_b32 v2, v3, v4, v2
.LBB1_9852:
	s_or_b64 exec, exec, s[6:7]
	s_movk_i32 s4, 0x7f
	v_cmp_gt_i16_sdwa s[6:7], v5, s4 src0_sel:BYTE_3 src1_sel:DWORD
	s_mov_b64 s[4:5], 0
                                        ; implicit-def: $sgpr10
	s_and_saveexec_b64 s[8:9], s[6:7]
	s_xor_b64 s[6:7], exec, s[8:9]
	s_cbranch_execz .LBB1_9853
; %bb.45693:
	s_getpc_b64 s[14:15]
.Lpost_getpc8510:
	s_add_u32 s14, s14, (.LBB1_24189-.Lpost_getpc8510)&4294967295
	s_addc_u32 s15, s15, (.LBB1_24189-.Lpost_getpc8510)>>32
	s_setpc_b64 s[14:15]
.LBB1_9853:
	s_or_saveexec_b64 s[6:7], s[6:7]
	v_mov_b32_e32 v3, s10
	s_xor_b64 exec, exec, s[6:7]
	s_cbranch_execz .LBB1_9854
; %bb.45695:
	s_getpc_b64 s[14:15]
.Lpost_getpc8511:
	s_add_u32 s14, s14, (.LBB1_24192-.Lpost_getpc8511)&4294967295
	s_addc_u32 s15, s15, (.LBB1_24192-.Lpost_getpc8511)>>32
	s_setpc_b64 s[14:15]
.LBB1_9854:
	s_or_b64 exec, exec, s[6:7]
	s_and_saveexec_b64 s[6:7], s[4:5]
	s_cbranch_execz .LBB1_9856
.LBB1_9855:
	v_bfe_u32 v3, v5, 24, 3
	v_ffbh_u32_e32 v8, v3
	v_min_u32_e32 v8, 32, v8
	v_lshrrev_b32_e32 v6, 27, v5
	v_subrev_u32_e32 v9, 28, v8
	v_and_b32_e32 v4, 0x80000000, v5
	v_and_b32_e32 v6, 15, v6
	v_bfe_u32 v7, v5, 27, 4
	v_lshlrev_b32_sdwa v5, v9, v5 dst_sel:DWORD dst_unused:UNUSED_PAD src0_sel:DWORD src1_sel:BYTE_3
	v_sub_u32_e32 v8, 29, v8
	v_and_b32_e32 v5, 7, v5
	v_cmp_eq_u16_e32 vcc, 0, v6
	v_cndmask_b32_e32 v3, v3, v5, vcc
	v_cndmask_b32_e32 v5, v7, v8, vcc
	v_mov_b32_e32 v6, 0x3b800000
	v_lshlrev_b32_e32 v3, 20, v3
	v_lshl_add_u32 v5, v5, 23, v6
	v_or3_b32 v3, v4, v5, v3
.LBB1_9856:
	s_or_b64 exec, exec, s[6:7]
	s_nop 0
	v_mfma_f32_16x16x4f32 a[0:3], v2, v3, a[0:3]
	s_movk_i32 s4, 0x7f
                                        ; implicit-def: $sgpr10
	s_nop 7
	s_nop 1
	flat_store_dwordx4 v[10:11], a[0:3] offset:320
	flat_load_dwordx4 v[12:15], v[0:1]
	s_nop 0
	flat_load_dwordx2 v[10:11], v[0:1] offset:16
	s_waitcnt vmcnt(0) lgkmcnt(0)
	flat_load_dwordx4 v[6:9], v[12:13] offset:144
	flat_load_dwordx4 v[2:5], v[14:15] offset:208
	s_waitcnt vmcnt(0) lgkmcnt(0)
	v_cmp_gt_i16_sdwa s[6:7], v6, s4 src0_sel:BYTE_0 src1_sel:DWORD
	s_mov_b64 s[4:5], 0
	s_and_saveexec_b64 s[8:9], s[6:7]
	s_xor_b64 s[6:7], exec, s[8:9]
	s_cbranch_execz .LBB1_9857
; %bb.45697:
	s_getpc_b64 s[14:15]
.Lpost_getpc8512:
	s_add_u32 s14, s14, (.LBB1_24193-.Lpost_getpc8512)&4294967295
	s_addc_u32 s15, s15, (.LBB1_24193-.Lpost_getpc8512)>>32
	s_setpc_b64 s[14:15]
.LBB1_9857:
	s_or_saveexec_b64 s[6:7], s[6:7]
	v_mov_b32_e32 v12, s10
	s_xor_b64 exec, exec, s[6:7]
	s_cbranch_execz .LBB1_9858
; %bb.45699:
	s_getpc_b64 s[14:15]
.Lpost_getpc8513:
	s_add_u32 s14, s14, (.LBB1_24196-.Lpost_getpc8513)&4294967295
	s_addc_u32 s15, s15, (.LBB1_24196-.Lpost_getpc8513)>>32
	s_setpc_b64 s[14:15]
.LBB1_9858:
	s_or_b64 exec, exec, s[6:7]
	s_and_saveexec_b64 s[6:7], s[4:5]
	s_cbranch_execz .LBB1_9860
.LBB1_9859:
	v_and_b32_e32 v12, 7, v6
	v_ffbh_u32_e32 v14, v12
	v_min_u32_e32 v14, 32, v14
	v_lshrrev_b16_e32 v13, 3, v6
	v_subrev_u32_e32 v15, 28, v14
	v_and_b32_e32 v13, 15, v13
	v_lshlrev_b32_e32 v15, v15, v6
	v_sub_u32_e32 v14, 29, v14
	v_and_b32_e32 v15, 7, v15
	v_cmp_eq_u16_e32 vcc, 0, v13
	v_cndmask_b32_e32 v12, v12, v15, vcc
	v_cndmask_b32_e32 v13, v13, v14, vcc
	v_lshlrev_b32_e32 v14, 24, v6
	v_mov_b32_e32 v15, 0x3b800000
	v_lshlrev_b32_e32 v12, 20, v12
	v_and_b32_e32 v14, 0x80000000, v14
	v_lshl_add_u32 v13, v13, 23, v15
	v_or3_b32 v12, v14, v13, v12
.LBB1_9860:
	s_or_b64 exec, exec, s[6:7]
	s_movk_i32 s4, 0x7f
	v_cmp_gt_i16_sdwa s[6:7], v2, s4 src0_sel:BYTE_0 src1_sel:DWORD
	s_mov_b64 s[4:5], 0
                                        ; implicit-def: $sgpr10
	s_and_saveexec_b64 s[8:9], s[6:7]
	s_xor_b64 s[6:7], exec, s[8:9]
	s_cbranch_execz .LBB1_9861
; %bb.45701:
	s_getpc_b64 s[14:15]
.Lpost_getpc8514:
	s_add_u32 s14, s14, (.LBB1_24197-.Lpost_getpc8514)&4294967295
	s_addc_u32 s15, s15, (.LBB1_24197-.Lpost_getpc8514)>>32
	s_setpc_b64 s[14:15]
.LBB1_9861:
	s_or_saveexec_b64 s[6:7], s[6:7]
	v_mov_b32_e32 v13, s10
	s_xor_b64 exec, exec, s[6:7]
	s_cbranch_execz .LBB1_9862
; %bb.45703:
	s_getpc_b64 s[14:15]
.Lpost_getpc8515:
	s_add_u32 s14, s14, (.LBB1_24200-.Lpost_getpc8515)&4294967295
	s_addc_u32 s15, s15, (.LBB1_24200-.Lpost_getpc8515)>>32
	s_setpc_b64 s[14:15]
.LBB1_9862:
	s_or_b64 exec, exec, s[6:7]
	s_and_saveexec_b64 s[6:7], s[4:5]
	s_cbranch_execz .LBB1_9864
.LBB1_9863:
	v_and_b32_e32 v13, 7, v2
	v_ffbh_u32_e32 v15, v13
	v_min_u32_e32 v15, 32, v15
	v_lshrrev_b16_e32 v14, 3, v2
	v_subrev_u32_e32 v16, 28, v15
	v_and_b32_e32 v14, 15, v14
	v_lshlrev_b32_e32 v16, v16, v2
	v_sub_u32_e32 v15, 29, v15
	v_and_b32_e32 v16, 7, v16
	v_cmp_eq_u16_e32 vcc, 0, v14
	v_cndmask_b32_e32 v13, v13, v16, vcc
	v_cndmask_b32_e32 v14, v14, v15, vcc
	v_lshlrev_b32_e32 v15, 24, v2
	v_mov_b32_e32 v16, 0x3b800000
	v_lshlrev_b32_e32 v13, 20, v13
	v_and_b32_e32 v15, 0x80000000, v15
	v_lshl_add_u32 v14, v14, 23, v16
	v_or3_b32 v13, v15, v14, v13
.LBB1_9864:
	s_or_b64 exec, exec, s[6:7]
	flat_load_dwordx4 a[0:3], v[10:11] offset:336
	s_movk_i32 s4, 0x7f
                                        ; implicit-def: $sgpr10
	s_waitcnt vmcnt(0) lgkmcnt(0)
	v_mfma_f32_16x16x4f32 a[0:3], v12, v13, a[0:3]
	v_lshrrev_b32_e32 v13, 8, v6
	v_cmp_gt_i16_sdwa s[6:7], v13, s4 src0_sel:BYTE_0 src1_sel:DWORD
	s_mov_b64 s[4:5], 0
	s_and_saveexec_b64 s[8:9], s[6:7]
	s_xor_b64 s[6:7], exec, s[8:9]
	s_cbranch_execz .LBB1_9865
; %bb.45705:
	s_getpc_b64 s[14:15]
.Lpost_getpc8516:
	s_add_u32 s14, s14, (.LBB1_24201-.Lpost_getpc8516)&4294967295
	s_addc_u32 s15, s15, (.LBB1_24201-.Lpost_getpc8516)>>32
	s_setpc_b64 s[14:15]
.LBB1_9865:
	s_or_saveexec_b64 s[6:7], s[6:7]
	v_mov_b32_e32 v12, s10
	s_xor_b64 exec, exec, s[6:7]
	s_cbranch_execz .LBB1_9866
; %bb.45707:
	s_getpc_b64 s[14:15]
.Lpost_getpc8517:
	s_add_u32 s14, s14, (.LBB1_24204-.Lpost_getpc8517)&4294967295
	s_addc_u32 s15, s15, (.LBB1_24204-.Lpost_getpc8517)>>32
	s_setpc_b64 s[14:15]
.LBB1_9866:
	s_or_b64 exec, exec, s[6:7]
	s_and_saveexec_b64 s[6:7], s[4:5]
	s_cbranch_execz .LBB1_9868
.LBB1_9867:
	v_bfe_u32 v12, v6, 8, 3
	v_ffbh_u32_e32 v15, v12
	v_min_u32_e32 v15, 32, v15
	v_lshrrev_b16_e32 v14, 3, v13
	v_subrev_u32_e32 v16, 28, v15
	v_and_b32_e32 v14, 15, v14
	v_lshlrev_b32_e32 v13, v16, v13
	v_sub_u32_e32 v15, 29, v15
	v_and_b32_e32 v13, 7, v13
	v_cmp_eq_u16_e32 vcc, 0, v14
	v_cndmask_b32_e32 v12, v12, v13, vcc
	v_cndmask_b32_e32 v13, v14, v15, vcc
	v_lshlrev_b32_e32 v14, 16, v6
	v_mov_b32_e32 v15, 0x3b800000
	v_lshlrev_b32_e32 v12, 20, v12
	v_and_b32_e32 v14, 0x80000000, v14
	v_lshl_add_u32 v13, v13, 23, v15
	v_or3_b32 v12, v14, v13, v12
.LBB1_9868:
	s_or_b64 exec, exec, s[6:7]
	v_lshrrev_b32_e32 v13, 8, v2
	s_movk_i32 s4, 0x7f
	v_cmp_gt_i16_sdwa s[6:7], v13, s4 src0_sel:BYTE_0 src1_sel:DWORD
	s_mov_b64 s[4:5], 0
                                        ; implicit-def: $sgpr10
	s_and_saveexec_b64 s[8:9], s[6:7]
	s_xor_b64 s[6:7], exec, s[8:9]
	s_cbranch_execz .LBB1_9869
; %bb.45709:
	s_getpc_b64 s[14:15]
.Lpost_getpc8518:
	s_add_u32 s14, s14, (.LBB1_24205-.Lpost_getpc8518)&4294967295
	s_addc_u32 s15, s15, (.LBB1_24205-.Lpost_getpc8518)>>32
	s_setpc_b64 s[14:15]
.LBB1_9869:
	s_or_saveexec_b64 s[6:7], s[6:7]
	v_mov_b32_e32 v14, s10
	s_xor_b64 exec, exec, s[6:7]
	s_cbranch_execz .LBB1_9870
; %bb.45711:
	s_getpc_b64 s[14:15]
.Lpost_getpc8519:
	s_add_u32 s14, s14, (.LBB1_24208-.Lpost_getpc8519)&4294967295
	s_addc_u32 s15, s15, (.LBB1_24208-.Lpost_getpc8519)>>32
	s_setpc_b64 s[14:15]
.LBB1_9870:
	s_or_b64 exec, exec, s[6:7]
	s_and_saveexec_b64 s[6:7], s[4:5]
	s_cbranch_execz .LBB1_9872
.LBB1_9871:
	v_bfe_u32 v14, v2, 8, 3
	v_ffbh_u32_e32 v16, v14
	v_min_u32_e32 v16, 32, v16
	v_lshrrev_b16_e32 v15, 3, v13
	v_subrev_u32_e32 v17, 28, v16
	v_and_b32_e32 v15, 15, v15
	v_lshlrev_b32_e32 v13, v17, v13
	v_sub_u32_e32 v16, 29, v16
	v_and_b32_e32 v13, 7, v13
	v_cmp_eq_u16_e32 vcc, 0, v15
	v_cndmask_b32_e32 v13, v14, v13, vcc
	v_cndmask_b32_e32 v14, v15, v16, vcc
	v_lshlrev_b32_e32 v15, 16, v2
	v_mov_b32_e32 v16, 0x3b800000
	v_lshlrev_b32_e32 v13, 20, v13
	v_and_b32_e32 v15, 0x80000000, v15
	v_lshl_add_u32 v14, v14, 23, v16
	v_or3_b32 v14, v15, v14, v13
.LBB1_9872:
	s_or_b64 exec, exec, s[6:7]
	s_nop 0
	v_mfma_f32_16x16x4f32 a[0:3], v12, v14, a[0:3]
	s_movk_i32 s4, 0xff
	v_and_b32_sdwa v13, v6, s4 dst_sel:DWORD dst_unused:UNUSED_PAD src0_sel:WORD_1 src1_sel:DWORD
	s_movk_i32 s4, 0x7f
	v_cmp_lt_i16_e32 vcc, s4, v13
	s_mov_b64 s[4:5], 0
                                        ; implicit-def: $sgpr10
	s_and_saveexec_b64 s[6:7], vcc
	s_xor_b64 s[6:7], exec, s[6:7]
	s_cbranch_execz .LBB1_9873
; %bb.45713:
	s_getpc_b64 s[14:15]
.Lpost_getpc8520:
	s_add_u32 s14, s14, (.LBB1_24209-.Lpost_getpc8520)&4294967295
	s_addc_u32 s15, s15, (.LBB1_24209-.Lpost_getpc8520)>>32
	s_setpc_b64 s[14:15]
.LBB1_9873:
	s_or_saveexec_b64 s[6:7], s[6:7]
	v_mov_b32_e32 v12, s10
	s_xor_b64 exec, exec, s[6:7]
	s_cbranch_execz .LBB1_9874
; %bb.45715:
	s_getpc_b64 s[14:15]
.Lpost_getpc8521:
	s_add_u32 s14, s14, (.LBB1_24212-.Lpost_getpc8521)&4294967295
	s_addc_u32 s15, s15, (.LBB1_24212-.Lpost_getpc8521)>>32
	s_setpc_b64 s[14:15]
.LBB1_9874:
	s_or_b64 exec, exec, s[6:7]
	s_and_saveexec_b64 s[6:7], s[4:5]
	s_cbranch_execz .LBB1_9876
.LBB1_9875:
	v_bfe_u32 v12, v6, 16, 3
	v_ffbh_u32_e32 v15, v12
	v_min_u32_e32 v15, 32, v15
	v_lshrrev_b32_e32 v13, 19, v6
	v_subrev_u32_e32 v16, 28, v15
	v_and_b32_e32 v13, 15, v13
	v_lshlrev_b32_sdwa v16, v16, v6 dst_sel:DWORD dst_unused:UNUSED_PAD src0_sel:DWORD src1_sel:WORD_1
	v_bfe_u32 v14, v6, 19, 4
	v_sub_u32_e32 v15, 29, v15
	v_and_b32_e32 v16, 7, v16
	v_cmp_eq_u16_e32 vcc, 0, v13
	v_cndmask_b32_e32 v12, v12, v16, vcc
	v_cndmask_b32_e32 v13, v14, v15, vcc
	v_lshlrev_b32_e32 v14, 8, v6
	v_mov_b32_e32 v15, 0x3b800000
	v_lshlrev_b32_e32 v12, 20, v12
	v_and_b32_e32 v14, 0x80000000, v14
	v_lshl_add_u32 v13, v13, 23, v15
	v_or3_b32 v12, v14, v13, v12
.LBB1_9876:
	s_or_b64 exec, exec, s[6:7]
	s_movk_i32 s4, 0xff
	v_and_b32_sdwa v13, v2, s4 dst_sel:DWORD dst_unused:UNUSED_PAD src0_sel:WORD_1 src1_sel:DWORD
	s_movk_i32 s4, 0x7f
	v_cmp_lt_i16_e32 vcc, s4, v13
	s_mov_b64 s[4:5], 0
                                        ; implicit-def: $sgpr10
	s_and_saveexec_b64 s[6:7], vcc
	s_xor_b64 s[6:7], exec, s[6:7]
	s_cbranch_execz .LBB1_9877
; %bb.45717:
	s_getpc_b64 s[14:15]
.Lpost_getpc8522:
	s_add_u32 s14, s14, (.LBB1_24213-.Lpost_getpc8522)&4294967295
	s_addc_u32 s15, s15, (.LBB1_24213-.Lpost_getpc8522)>>32
	s_setpc_b64 s[14:15]
.LBB1_9877:
	s_or_saveexec_b64 s[6:7], s[6:7]
	v_mov_b32_e32 v14, s10
	s_xor_b64 exec, exec, s[6:7]
	s_cbranch_execz .LBB1_9878
; %bb.45719:
	s_getpc_b64 s[14:15]
.Lpost_getpc8523:
	s_add_u32 s14, s14, (.LBB1_24216-.Lpost_getpc8523)&4294967295
	s_addc_u32 s15, s15, (.LBB1_24216-.Lpost_getpc8523)>>32
	s_setpc_b64 s[14:15]
.LBB1_9878:
	s_or_b64 exec, exec, s[6:7]
	s_and_saveexec_b64 s[6:7], s[4:5]
	s_cbranch_execz .LBB1_9880
.LBB1_9879:
	v_bfe_u32 v13, v2, 16, 3
	v_ffbh_u32_e32 v16, v13
	v_min_u32_e32 v16, 32, v16
	v_lshrrev_b32_e32 v14, 19, v2
	v_subrev_u32_e32 v17, 28, v16
	v_and_b32_e32 v14, 15, v14
	v_lshlrev_b32_sdwa v17, v17, v2 dst_sel:DWORD dst_unused:UNUSED_PAD src0_sel:DWORD src1_sel:WORD_1
	v_bfe_u32 v15, v2, 19, 4
	v_sub_u32_e32 v16, 29, v16
	v_and_b32_e32 v17, 7, v17
	v_cmp_eq_u16_e32 vcc, 0, v14
	v_cndmask_b32_e32 v13, v13, v17, vcc
	v_cndmask_b32_e32 v14, v15, v16, vcc
	v_lshlrev_b32_e32 v15, 8, v2
	v_mov_b32_e32 v16, 0x3b800000
	v_lshlrev_b32_e32 v13, 20, v13
	v_and_b32_e32 v15, 0x80000000, v15
	v_lshl_add_u32 v14, v14, 23, v16
	v_or3_b32 v14, v15, v14, v13
.LBB1_9880:
	s_or_b64 exec, exec, s[6:7]
	s_nop 0
	v_mfma_f32_16x16x4f32 a[0:3], v12, v14, a[0:3]
	s_movk_i32 s4, 0x7f
	v_cmp_gt_i16_sdwa s[6:7], v6, s4 src0_sel:BYTE_3 src1_sel:DWORD
	s_mov_b64 s[4:5], 0
                                        ; implicit-def: $sgpr10
	s_and_saveexec_b64 s[8:9], s[6:7]
	s_xor_b64 s[6:7], exec, s[8:9]
	s_cbranch_execz .LBB1_9881
; %bb.45721:
	s_getpc_b64 s[14:15]
.Lpost_getpc8524:
	s_add_u32 s14, s14, (.LBB1_24217-.Lpost_getpc8524)&4294967295
	s_addc_u32 s15, s15, (.LBB1_24217-.Lpost_getpc8524)>>32
	s_setpc_b64 s[14:15]
.LBB1_9881:
	s_or_saveexec_b64 s[6:7], s[6:7]
	v_mov_b32_e32 v12, s10
	s_xor_b64 exec, exec, s[6:7]
	s_cbranch_execz .LBB1_9882
; %bb.45723:
	s_getpc_b64 s[14:15]
.Lpost_getpc8525:
	s_add_u32 s14, s14, (.LBB1_24220-.Lpost_getpc8525)&4294967295
	s_addc_u32 s15, s15, (.LBB1_24220-.Lpost_getpc8525)>>32
	s_setpc_b64 s[14:15]
.LBB1_9882:
	s_or_b64 exec, exec, s[6:7]
	s_and_saveexec_b64 s[6:7], s[4:5]
	s_cbranch_execz .LBB1_9884
.LBB1_9883:
	v_bfe_u32 v12, v6, 24, 3
	v_ffbh_u32_e32 v16, v12
	v_min_u32_e32 v16, 32, v16
	v_lshrrev_b32_e32 v14, 27, v6
	v_subrev_u32_e32 v17, 28, v16
	v_and_b32_e32 v13, 0x80000000, v6
	v_and_b32_e32 v14, 15, v14
	v_bfe_u32 v15, v6, 27, 4
	v_lshlrev_b32_sdwa v6, v17, v6 dst_sel:DWORD dst_unused:UNUSED_PAD src0_sel:DWORD src1_sel:BYTE_3
	v_sub_u32_e32 v16, 29, v16
	v_and_b32_e32 v6, 7, v6
	v_cmp_eq_u16_e32 vcc, 0, v14
	v_cndmask_b32_e32 v6, v12, v6, vcc
	v_cndmask_b32_e32 v12, v15, v16, vcc
	v_mov_b32_e32 v14, 0x3b800000
	v_lshlrev_b32_e32 v6, 20, v6
	v_lshl_add_u32 v12, v12, 23, v14
	v_or3_b32 v12, v13, v12, v6
.LBB1_9884:
	s_or_b64 exec, exec, s[6:7]
	s_movk_i32 s4, 0x7f
	v_cmp_gt_i16_sdwa s[6:7], v2, s4 src0_sel:BYTE_3 src1_sel:DWORD
	s_mov_b64 s[4:5], 0
                                        ; implicit-def: $sgpr10
	s_and_saveexec_b64 s[8:9], s[6:7]
	s_xor_b64 s[6:7], exec, s[8:9]
	s_cbranch_execz .LBB1_9885
; %bb.45725:
	s_getpc_b64 s[14:15]
.Lpost_getpc8526:
	s_add_u32 s14, s14, (.LBB1_24221-.Lpost_getpc8526)&4294967295
	s_addc_u32 s15, s15, (.LBB1_24221-.Lpost_getpc8526)>>32
	s_setpc_b64 s[14:15]
.LBB1_9885:
	s_or_saveexec_b64 s[6:7], s[6:7]
	v_mov_b32_e32 v6, s10
	s_xor_b64 exec, exec, s[6:7]
	s_cbranch_execz .LBB1_9886
; %bb.45727:
	s_getpc_b64 s[14:15]
.Lpost_getpc8527:
	s_add_u32 s14, s14, (.LBB1_24224-.Lpost_getpc8527)&4294967295
	s_addc_u32 s15, s15, (.LBB1_24224-.Lpost_getpc8527)>>32
	s_setpc_b64 s[14:15]
.LBB1_9886:
	s_or_b64 exec, exec, s[6:7]
	s_and_saveexec_b64 s[6:7], s[4:5]
	s_cbranch_execz .LBB1_9888
.LBB1_9887:
	v_bfe_u32 v6, v2, 24, 3
	v_ffbh_u32_e32 v16, v6
	v_min_u32_e32 v16, 32, v16
	v_lshrrev_b32_e32 v14, 27, v2
	v_subrev_u32_e32 v17, 28, v16
	v_and_b32_e32 v13, 0x80000000, v2
	v_and_b32_e32 v14, 15, v14
	v_bfe_u32 v15, v2, 27, 4
	v_lshlrev_b32_sdwa v2, v17, v2 dst_sel:DWORD dst_unused:UNUSED_PAD src0_sel:DWORD src1_sel:BYTE_3
	v_sub_u32_e32 v16, 29, v16
	v_and_b32_e32 v2, 7, v2
	v_cmp_eq_u16_e32 vcc, 0, v14
	v_cndmask_b32_e32 v2, v6, v2, vcc
	v_cndmask_b32_e32 v6, v15, v16, vcc
	v_mov_b32_e32 v14, 0x3b800000
	v_lshlrev_b32_e32 v2, 20, v2
	v_lshl_add_u32 v6, v6, 23, v14
	v_or3_b32 v6, v13, v6, v2
.LBB1_9888:
	s_or_b64 exec, exec, s[6:7]
	s_nop 0
	v_mfma_f32_16x16x4f32 a[0:3], v12, v6, a[0:3]
	s_movk_i32 s4, 0x7f
	v_cmp_gt_i16_sdwa s[6:7], v7, s4 src0_sel:BYTE_0 src1_sel:DWORD
	s_mov_b64 s[4:5], 0
                                        ; implicit-def: $sgpr10
	s_and_saveexec_b64 s[8:9], s[6:7]
	s_xor_b64 s[6:7], exec, s[8:9]
	s_cbranch_execz .LBB1_9889
; %bb.45729:
	s_getpc_b64 s[14:15]
.Lpost_getpc8528:
	s_add_u32 s14, s14, (.LBB1_24225-.Lpost_getpc8528)&4294967295
	s_addc_u32 s15, s15, (.LBB1_24225-.Lpost_getpc8528)>>32
	s_setpc_b64 s[14:15]
.LBB1_9889:
	s_or_saveexec_b64 s[6:7], s[6:7]
	v_mov_b32_e32 v2, s10
	s_xor_b64 exec, exec, s[6:7]
	s_cbranch_execz .LBB1_9890
; %bb.45731:
	s_getpc_b64 s[14:15]
.Lpost_getpc8529:
	s_add_u32 s14, s14, (.LBB1_24228-.Lpost_getpc8529)&4294967295
	s_addc_u32 s15, s15, (.LBB1_24228-.Lpost_getpc8529)>>32
	s_setpc_b64 s[14:15]
.LBB1_9890:
	s_or_b64 exec, exec, s[6:7]
	s_and_saveexec_b64 s[6:7], s[4:5]
	s_cbranch_execz .LBB1_9892
.LBB1_9891:
	v_and_b32_e32 v2, 7, v7
	v_ffbh_u32_e32 v12, v2
	v_min_u32_e32 v12, 32, v12
	v_lshrrev_b16_e32 v6, 3, v7
	v_subrev_u32_e32 v13, 28, v12
	v_and_b32_e32 v6, 15, v6
	v_lshlrev_b32_e32 v13, v13, v7
	v_sub_u32_e32 v12, 29, v12
	v_and_b32_e32 v13, 7, v13
	v_cmp_eq_u16_e32 vcc, 0, v6
	v_cndmask_b32_e32 v2, v2, v13, vcc
	v_cndmask_b32_e32 v6, v6, v12, vcc
	v_lshlrev_b32_e32 v12, 24, v7
	v_mov_b32_e32 v13, 0x3b800000
	v_lshlrev_b32_e32 v2, 20, v2
	v_and_b32_e32 v12, 0x80000000, v12
	v_lshl_add_u32 v6, v6, 23, v13
	v_or3_b32 v2, v12, v6, v2
.LBB1_9892:
	s_or_b64 exec, exec, s[6:7]
	s_movk_i32 s4, 0x7f
	v_cmp_gt_i16_sdwa s[6:7], v3, s4 src0_sel:BYTE_0 src1_sel:DWORD
	s_mov_b64 s[4:5], 0
                                        ; implicit-def: $sgpr10
	s_and_saveexec_b64 s[8:9], s[6:7]
	s_xor_b64 s[6:7], exec, s[8:9]
	s_cbranch_execz .LBB1_9893
; %bb.45733:
	s_getpc_b64 s[14:15]
.Lpost_getpc8530:
	s_add_u32 s14, s14, (.LBB1_24229-.Lpost_getpc8530)&4294967295
	s_addc_u32 s15, s15, (.LBB1_24229-.Lpost_getpc8530)>>32
	s_setpc_b64 s[14:15]
.LBB1_9893:
	s_or_saveexec_b64 s[6:7], s[6:7]
	v_mov_b32_e32 v6, s10
	s_xor_b64 exec, exec, s[6:7]
	s_cbranch_execz .LBB1_9894
; %bb.45735:
	s_getpc_b64 s[14:15]
.Lpost_getpc8531:
	s_add_u32 s14, s14, (.LBB1_24232-.Lpost_getpc8531)&4294967295
	s_addc_u32 s15, s15, (.LBB1_24232-.Lpost_getpc8531)>>32
	s_setpc_b64 s[14:15]
.LBB1_9894:
	s_or_b64 exec, exec, s[6:7]
	s_and_saveexec_b64 s[6:7], s[4:5]
	s_cbranch_execz .LBB1_9896
.LBB1_9895:
	v_and_b32_e32 v6, 7, v3
	v_ffbh_u32_e32 v13, v6
	v_min_u32_e32 v13, 32, v13
	v_lshrrev_b16_e32 v12, 3, v3
	v_subrev_u32_e32 v14, 28, v13
	v_and_b32_e32 v12, 15, v12
	v_lshlrev_b32_e32 v14, v14, v3
	v_sub_u32_e32 v13, 29, v13
	v_and_b32_e32 v14, 7, v14
	v_cmp_eq_u16_e32 vcc, 0, v12
	v_cndmask_b32_e32 v6, v6, v14, vcc
	v_cndmask_b32_e32 v12, v12, v13, vcc
	v_lshlrev_b32_e32 v13, 24, v3
	v_mov_b32_e32 v14, 0x3b800000
	v_lshlrev_b32_e32 v6, 20, v6
	v_and_b32_e32 v13, 0x80000000, v13
	v_lshl_add_u32 v12, v12, 23, v14
	v_or3_b32 v6, v13, v12, v6
.LBB1_9896:
	s_or_b64 exec, exec, s[6:7]
	s_nop 0
	v_mfma_f32_16x16x4f32 a[0:3], v2, v6, a[0:3]
	v_lshrrev_b32_e32 v6, 8, v7
	s_movk_i32 s4, 0x7f
	v_cmp_gt_i16_sdwa s[6:7], v6, s4 src0_sel:BYTE_0 src1_sel:DWORD
	s_mov_b64 s[4:5], 0
                                        ; implicit-def: $sgpr10
	s_and_saveexec_b64 s[8:9], s[6:7]
	s_xor_b64 s[6:7], exec, s[8:9]
	s_cbranch_execz .LBB1_9897
; %bb.45737:
	s_getpc_b64 s[14:15]
.Lpost_getpc8532:
	s_add_u32 s14, s14, (.LBB1_24233-.Lpost_getpc8532)&4294967295
	s_addc_u32 s15, s15, (.LBB1_24233-.Lpost_getpc8532)>>32
	s_setpc_b64 s[14:15]
.LBB1_9897:
	s_or_saveexec_b64 s[6:7], s[6:7]
	v_mov_b32_e32 v2, s10
	s_xor_b64 exec, exec, s[6:7]
	s_cbranch_execz .LBB1_9898
; %bb.45739:
	s_getpc_b64 s[14:15]
.Lpost_getpc8533:
	s_add_u32 s14, s14, (.LBB1_24236-.Lpost_getpc8533)&4294967295
	s_addc_u32 s15, s15, (.LBB1_24236-.Lpost_getpc8533)>>32
	s_setpc_b64 s[14:15]
.LBB1_9898:
	s_or_b64 exec, exec, s[6:7]
	s_and_saveexec_b64 s[6:7], s[4:5]
	s_cbranch_execz .LBB1_9900
.LBB1_9899:
	v_bfe_u32 v2, v7, 8, 3
	v_ffbh_u32_e32 v13, v2
	v_min_u32_e32 v13, 32, v13
	v_lshrrev_b16_e32 v12, 3, v6
	v_subrev_u32_e32 v14, 28, v13
	v_and_b32_e32 v12, 15, v12
	v_lshlrev_b32_e32 v6, v14, v6
	v_sub_u32_e32 v13, 29, v13
	v_and_b32_e32 v6, 7, v6
	v_cmp_eq_u16_e32 vcc, 0, v12
	v_cndmask_b32_e32 v2, v2, v6, vcc
	v_cndmask_b32_e32 v6, v12, v13, vcc
	v_lshlrev_b32_e32 v12, 16, v7
	v_mov_b32_e32 v13, 0x3b800000
	v_lshlrev_b32_e32 v2, 20, v2
	v_and_b32_e32 v12, 0x80000000, v12
	v_lshl_add_u32 v6, v6, 23, v13
	v_or3_b32 v2, v12, v6, v2
.LBB1_9900:
	s_or_b64 exec, exec, s[6:7]
	v_lshrrev_b32_e32 v6, 8, v3
	s_movk_i32 s4, 0x7f
	v_cmp_gt_i16_sdwa s[6:7], v6, s4 src0_sel:BYTE_0 src1_sel:DWORD
	s_mov_b64 s[4:5], 0
                                        ; implicit-def: $sgpr10
	s_and_saveexec_b64 s[8:9], s[6:7]
	s_xor_b64 s[6:7], exec, s[8:9]
	s_cbranch_execz .LBB1_9901
; %bb.45741:
	s_getpc_b64 s[14:15]
.Lpost_getpc8534:
	s_add_u32 s14, s14, (.LBB1_24237-.Lpost_getpc8534)&4294967295
	s_addc_u32 s15, s15, (.LBB1_24237-.Lpost_getpc8534)>>32
	s_setpc_b64 s[14:15]
.LBB1_9901:
	s_or_saveexec_b64 s[6:7], s[6:7]
	v_mov_b32_e32 v12, s10
	s_xor_b64 exec, exec, s[6:7]
	s_cbranch_execz .LBB1_9902
; %bb.45743:
	s_getpc_b64 s[14:15]
.Lpost_getpc8535:
	s_add_u32 s14, s14, (.LBB1_24240-.Lpost_getpc8535)&4294967295
	s_addc_u32 s15, s15, (.LBB1_24240-.Lpost_getpc8535)>>32
	s_setpc_b64 s[14:15]
.LBB1_9902:
	s_or_b64 exec, exec, s[6:7]
	s_and_saveexec_b64 s[6:7], s[4:5]
	s_cbranch_execz .LBB1_9904
.LBB1_9903:
	v_bfe_u32 v12, v3, 8, 3
	v_ffbh_u32_e32 v14, v12
	v_min_u32_e32 v14, 32, v14
	v_lshrrev_b16_e32 v13, 3, v6
	v_subrev_u32_e32 v15, 28, v14
	v_and_b32_e32 v13, 15, v13
	v_lshlrev_b32_e32 v6, v15, v6
	v_sub_u32_e32 v14, 29, v14
	v_and_b32_e32 v6, 7, v6
	v_cmp_eq_u16_e32 vcc, 0, v13
	v_cndmask_b32_e32 v6, v12, v6, vcc
	v_cndmask_b32_e32 v12, v13, v14, vcc
	v_lshlrev_b32_e32 v13, 16, v3
	v_mov_b32_e32 v14, 0x3b800000
	v_lshlrev_b32_e32 v6, 20, v6
	v_and_b32_e32 v13, 0x80000000, v13
	v_lshl_add_u32 v12, v12, 23, v14
	v_or3_b32 v12, v13, v12, v6
.LBB1_9904:
	s_or_b64 exec, exec, s[6:7]
	s_nop 0
	v_mfma_f32_16x16x4f32 a[0:3], v2, v12, a[0:3]
	s_movk_i32 s4, 0xff
	v_and_b32_sdwa v6, v7, s4 dst_sel:DWORD dst_unused:UNUSED_PAD src0_sel:WORD_1 src1_sel:DWORD
	s_movk_i32 s4, 0x7f
	v_cmp_lt_i16_e32 vcc, s4, v6
	s_mov_b64 s[4:5], 0
                                        ; implicit-def: $sgpr10
	s_and_saveexec_b64 s[6:7], vcc
	s_xor_b64 s[6:7], exec, s[6:7]
	s_cbranch_execz .LBB1_9905
; %bb.45745:
	s_getpc_b64 s[14:15]
.Lpost_getpc8536:
	s_add_u32 s14, s14, (.LBB1_24241-.Lpost_getpc8536)&4294967295
	s_addc_u32 s15, s15, (.LBB1_24241-.Lpost_getpc8536)>>32
	s_setpc_b64 s[14:15]
.LBB1_9905:
	s_or_saveexec_b64 s[6:7], s[6:7]
	v_mov_b32_e32 v2, s10
	s_xor_b64 exec, exec, s[6:7]
	s_cbranch_execz .LBB1_9906
; %bb.45747:
	s_getpc_b64 s[14:15]
.Lpost_getpc8537:
	s_add_u32 s14, s14, (.LBB1_24244-.Lpost_getpc8537)&4294967295
	s_addc_u32 s15, s15, (.LBB1_24244-.Lpost_getpc8537)>>32
	s_setpc_b64 s[14:15]
.LBB1_9906:
	s_or_b64 exec, exec, s[6:7]
	s_and_saveexec_b64 s[6:7], s[4:5]
	s_cbranch_execz .LBB1_9908
.LBB1_9907:
	v_bfe_u32 v2, v7, 16, 3
	v_ffbh_u32_e32 v13, v2
	v_min_u32_e32 v13, 32, v13
	v_lshrrev_b32_e32 v6, 19, v7
	v_subrev_u32_e32 v14, 28, v13
	v_and_b32_e32 v6, 15, v6
	v_lshlrev_b32_sdwa v14, v14, v7 dst_sel:DWORD dst_unused:UNUSED_PAD src0_sel:DWORD src1_sel:WORD_1
	v_bfe_u32 v12, v7, 19, 4
	v_sub_u32_e32 v13, 29, v13
	v_and_b32_e32 v14, 7, v14
	v_cmp_eq_u16_e32 vcc, 0, v6
	v_cndmask_b32_e32 v2, v2, v14, vcc
	v_cndmask_b32_e32 v6, v12, v13, vcc
	v_lshlrev_b32_e32 v12, 8, v7
	v_mov_b32_e32 v13, 0x3b800000
	v_lshlrev_b32_e32 v2, 20, v2
	v_and_b32_e32 v12, 0x80000000, v12
	v_lshl_add_u32 v6, v6, 23, v13
	v_or3_b32 v2, v12, v6, v2
.LBB1_9908:
	s_or_b64 exec, exec, s[6:7]
	s_movk_i32 s4, 0xff
	v_and_b32_sdwa v6, v3, s4 dst_sel:DWORD dst_unused:UNUSED_PAD src0_sel:WORD_1 src1_sel:DWORD
	s_movk_i32 s4, 0x7f
	v_cmp_lt_i16_e32 vcc, s4, v6
	s_mov_b64 s[4:5], 0
                                        ; implicit-def: $sgpr10
	s_and_saveexec_b64 s[6:7], vcc
	s_xor_b64 s[6:7], exec, s[6:7]
	s_cbranch_execz .LBB1_9909
; %bb.45749:
	s_getpc_b64 s[14:15]
.Lpost_getpc8538:
	s_add_u32 s14, s14, (.LBB1_24245-.Lpost_getpc8538)&4294967295
	s_addc_u32 s15, s15, (.LBB1_24245-.Lpost_getpc8538)>>32
	s_setpc_b64 s[14:15]
.LBB1_9909:
	s_or_saveexec_b64 s[6:7], s[6:7]
	v_mov_b32_e32 v12, s10
	s_xor_b64 exec, exec, s[6:7]
	s_cbranch_execz .LBB1_9910
; %bb.45751:
	s_getpc_b64 s[14:15]
.Lpost_getpc8539:
	s_add_u32 s14, s14, (.LBB1_24248-.Lpost_getpc8539)&4294967295
	s_addc_u32 s15, s15, (.LBB1_24248-.Lpost_getpc8539)>>32
	s_setpc_b64 s[14:15]
.LBB1_9910:
	s_or_b64 exec, exec, s[6:7]
	s_and_saveexec_b64 s[6:7], s[4:5]
	s_cbranch_execz .LBB1_9912
.LBB1_9911:
	v_bfe_u32 v6, v3, 16, 3
	v_ffbh_u32_e32 v14, v6
	v_min_u32_e32 v14, 32, v14
	v_lshrrev_b32_e32 v12, 19, v3
	v_subrev_u32_e32 v15, 28, v14
	v_and_b32_e32 v12, 15, v12
	v_lshlrev_b32_sdwa v15, v15, v3 dst_sel:DWORD dst_unused:UNUSED_PAD src0_sel:DWORD src1_sel:WORD_1
	v_bfe_u32 v13, v3, 19, 4
	v_sub_u32_e32 v14, 29, v14
	v_and_b32_e32 v15, 7, v15
	v_cmp_eq_u16_e32 vcc, 0, v12
	v_cndmask_b32_e32 v6, v6, v15, vcc
	v_cndmask_b32_e32 v12, v13, v14, vcc
	v_lshlrev_b32_e32 v13, 8, v3
	v_mov_b32_e32 v14, 0x3b800000
	v_lshlrev_b32_e32 v6, 20, v6
	v_and_b32_e32 v13, 0x80000000, v13
	v_lshl_add_u32 v12, v12, 23, v14
	v_or3_b32 v12, v13, v12, v6
.LBB1_9912:
	s_or_b64 exec, exec, s[6:7]
	s_nop 0
	v_mfma_f32_16x16x4f32 a[0:3], v2, v12, a[0:3]
	s_movk_i32 s4, 0x7f
	v_cmp_gt_i16_sdwa s[6:7], v7, s4 src0_sel:BYTE_3 src1_sel:DWORD
	s_mov_b64 s[4:5], 0
                                        ; implicit-def: $sgpr10
	s_and_saveexec_b64 s[8:9], s[6:7]
	s_xor_b64 s[6:7], exec, s[8:9]
	s_cbranch_execz .LBB1_9913
; %bb.45753:
	s_getpc_b64 s[14:15]
.Lpost_getpc8540:
	s_add_u32 s14, s14, (.LBB1_24249-.Lpost_getpc8540)&4294967295
	s_addc_u32 s15, s15, (.LBB1_24249-.Lpost_getpc8540)>>32
	s_setpc_b64 s[14:15]
.LBB1_9913:
	s_or_saveexec_b64 s[6:7], s[6:7]
	v_mov_b32_e32 v2, s10
	s_xor_b64 exec, exec, s[6:7]
	s_cbranch_execz .LBB1_9914
; %bb.45755:
	s_getpc_b64 s[14:15]
.Lpost_getpc8541:
	s_add_u32 s14, s14, (.LBB1_24252-.Lpost_getpc8541)&4294967295
	s_addc_u32 s15, s15, (.LBB1_24252-.Lpost_getpc8541)>>32
	s_setpc_b64 s[14:15]
.LBB1_9914:
	s_or_b64 exec, exec, s[6:7]
	s_and_saveexec_b64 s[6:7], s[4:5]
	s_cbranch_execz .LBB1_9916
.LBB1_9915:
	v_bfe_u32 v2, v7, 24, 3
	v_ffbh_u32_e32 v14, v2
	v_min_u32_e32 v14, 32, v14
	v_lshrrev_b32_e32 v12, 27, v7
	v_subrev_u32_e32 v15, 28, v14
	v_and_b32_e32 v6, 0x80000000, v7
	v_and_b32_e32 v12, 15, v12
	v_bfe_u32 v13, v7, 27, 4
	v_lshlrev_b32_sdwa v7, v15, v7 dst_sel:DWORD dst_unused:UNUSED_PAD src0_sel:DWORD src1_sel:BYTE_3
	v_sub_u32_e32 v14, 29, v14
	v_and_b32_e32 v7, 7, v7
	v_cmp_eq_u16_e32 vcc, 0, v12
	v_cndmask_b32_e32 v2, v2, v7, vcc
	v_cndmask_b32_e32 v7, v13, v14, vcc
	v_mov_b32_e32 v12, 0x3b800000
	v_lshlrev_b32_e32 v2, 20, v2
	v_lshl_add_u32 v7, v7, 23, v12
	v_or3_b32 v2, v6, v7, v2
.LBB1_9916:
	s_or_b64 exec, exec, s[6:7]
	s_movk_i32 s4, 0x7f
	v_cmp_gt_i16_sdwa s[6:7], v3, s4 src0_sel:BYTE_3 src1_sel:DWORD
	s_mov_b64 s[4:5], 0
                                        ; implicit-def: $sgpr10
	s_and_saveexec_b64 s[8:9], s[6:7]
	s_xor_b64 s[6:7], exec, s[8:9]
	s_cbranch_execz .LBB1_9917
; %bb.45757:
	s_getpc_b64 s[14:15]
.Lpost_getpc8542:
	s_add_u32 s14, s14, (.LBB1_24253-.Lpost_getpc8542)&4294967295
	s_addc_u32 s15, s15, (.LBB1_24253-.Lpost_getpc8542)>>32
	s_setpc_b64 s[14:15]
.LBB1_9917:
	s_or_saveexec_b64 s[6:7], s[6:7]
	v_mov_b32_e32 v6, s10
	s_xor_b64 exec, exec, s[6:7]
	s_cbranch_execz .LBB1_9918
; %bb.45759:
	s_getpc_b64 s[14:15]
.Lpost_getpc8543:
	s_add_u32 s14, s14, (.LBB1_24256-.Lpost_getpc8543)&4294967295
	s_addc_u32 s15, s15, (.LBB1_24256-.Lpost_getpc8543)>>32
	s_setpc_b64 s[14:15]
.LBB1_9918:
	s_or_b64 exec, exec, s[6:7]
	s_and_saveexec_b64 s[6:7], s[4:5]
	s_cbranch_execz .LBB1_9920
.LBB1_9919:
	v_bfe_u32 v6, v3, 24, 3
	v_ffbh_u32_e32 v14, v6
	v_min_u32_e32 v14, 32, v14
	v_lshrrev_b32_e32 v12, 27, v3
	v_subrev_u32_e32 v15, 28, v14
	v_and_b32_e32 v7, 0x80000000, v3
	v_and_b32_e32 v12, 15, v12
	v_bfe_u32 v13, v3, 27, 4
	v_lshlrev_b32_sdwa v3, v15, v3 dst_sel:DWORD dst_unused:UNUSED_PAD src0_sel:DWORD src1_sel:BYTE_3
	v_sub_u32_e32 v14, 29, v14
	v_and_b32_e32 v3, 7, v3
	v_cmp_eq_u16_e32 vcc, 0, v12
	v_cndmask_b32_e32 v3, v6, v3, vcc
	v_cndmask_b32_e32 v6, v13, v14, vcc
	v_mov_b32_e32 v12, 0x3b800000
	v_lshlrev_b32_e32 v3, 20, v3
	v_lshl_add_u32 v6, v6, 23, v12
	v_or3_b32 v6, v7, v6, v3
.LBB1_9920:
	s_or_b64 exec, exec, s[6:7]
	s_nop 0
	v_mfma_f32_16x16x4f32 a[0:3], v2, v6, a[0:3]
	s_movk_i32 s4, 0x7f
	v_cmp_gt_i16_sdwa s[6:7], v8, s4 src0_sel:BYTE_0 src1_sel:DWORD
	s_mov_b64 s[4:5], 0
                                        ; implicit-def: $sgpr10
	s_and_saveexec_b64 s[8:9], s[6:7]
	s_xor_b64 s[6:7], exec, s[8:9]
	s_cbranch_execz .LBB1_9921
; %bb.45761:
	s_getpc_b64 s[14:15]
.Lpost_getpc8544:
	s_add_u32 s14, s14, (.LBB1_24257-.Lpost_getpc8544)&4294967295
	s_addc_u32 s15, s15, (.LBB1_24257-.Lpost_getpc8544)>>32
	s_setpc_b64 s[14:15]
.LBB1_9921:
	s_or_saveexec_b64 s[6:7], s[6:7]
	v_mov_b32_e32 v2, s10
	s_xor_b64 exec, exec, s[6:7]
	s_cbranch_execz .LBB1_9922
; %bb.45763:
	s_getpc_b64 s[14:15]
.Lpost_getpc8545:
	s_add_u32 s14, s14, (.LBB1_24260-.Lpost_getpc8545)&4294967295
	s_addc_u32 s15, s15, (.LBB1_24260-.Lpost_getpc8545)>>32
	s_setpc_b64 s[14:15]
.LBB1_9922:
	s_or_b64 exec, exec, s[6:7]
	s_and_saveexec_b64 s[6:7], s[4:5]
	s_cbranch_execz .LBB1_9924
.LBB1_9923:
	v_and_b32_e32 v2, 7, v8
	v_ffbh_u32_e32 v6, v2
	v_min_u32_e32 v6, 32, v6
	v_lshrrev_b16_e32 v3, 3, v8
	v_subrev_u32_e32 v7, 28, v6
	v_and_b32_e32 v3, 15, v3
	v_lshlrev_b32_e32 v7, v7, v8
	v_sub_u32_e32 v6, 29, v6
	v_and_b32_e32 v7, 7, v7
	v_cmp_eq_u16_e32 vcc, 0, v3
	v_cndmask_b32_e32 v2, v2, v7, vcc
	v_cndmask_b32_e32 v3, v3, v6, vcc
	v_lshlrev_b32_e32 v6, 24, v8
	v_mov_b32_e32 v7, 0x3b800000
	v_lshlrev_b32_e32 v2, 20, v2
	v_and_b32_e32 v6, 0x80000000, v6
	v_lshl_add_u32 v3, v3, 23, v7
	v_or3_b32 v2, v6, v3, v2
.LBB1_9924:
	s_or_b64 exec, exec, s[6:7]
	s_movk_i32 s4, 0x7f
	v_cmp_gt_i16_sdwa s[6:7], v4, s4 src0_sel:BYTE_0 src1_sel:DWORD
	s_mov_b64 s[4:5], 0
                                        ; implicit-def: $sgpr10
	s_and_saveexec_b64 s[8:9], s[6:7]
	s_xor_b64 s[6:7], exec, s[8:9]
	s_cbranch_execz .LBB1_9925
; %bb.45765:
	s_getpc_b64 s[14:15]
.Lpost_getpc8546:
	s_add_u32 s14, s14, (.LBB1_24261-.Lpost_getpc8546)&4294967295
	s_addc_u32 s15, s15, (.LBB1_24261-.Lpost_getpc8546)>>32
	s_setpc_b64 s[14:15]
.LBB1_9925:
	s_or_saveexec_b64 s[6:7], s[6:7]
	v_mov_b32_e32 v3, s10
	s_xor_b64 exec, exec, s[6:7]
	s_cbranch_execz .LBB1_9926
; %bb.45767:
	s_getpc_b64 s[14:15]
.Lpost_getpc8547:
	s_add_u32 s14, s14, (.LBB1_24264-.Lpost_getpc8547)&4294967295
	s_addc_u32 s15, s15, (.LBB1_24264-.Lpost_getpc8547)>>32
	s_setpc_b64 s[14:15]
.LBB1_9926:
	s_or_b64 exec, exec, s[6:7]
	s_and_saveexec_b64 s[6:7], s[4:5]
	s_cbranch_execz .LBB1_9928
.LBB1_9927:
	v_and_b32_e32 v3, 7, v4
	v_ffbh_u32_e32 v7, v3
	v_min_u32_e32 v7, 32, v7
	v_lshrrev_b16_e32 v6, 3, v4
	v_subrev_u32_e32 v12, 28, v7
	v_and_b32_e32 v6, 15, v6
	v_lshlrev_b32_e32 v12, v12, v4
	v_sub_u32_e32 v7, 29, v7
	v_and_b32_e32 v12, 7, v12
	v_cmp_eq_u16_e32 vcc, 0, v6
	v_cndmask_b32_e32 v3, v3, v12, vcc
	v_cndmask_b32_e32 v6, v6, v7, vcc
	v_lshlrev_b32_e32 v7, 24, v4
	v_mov_b32_e32 v12, 0x3b800000
	v_lshlrev_b32_e32 v3, 20, v3
	v_and_b32_e32 v7, 0x80000000, v7
	v_lshl_add_u32 v6, v6, 23, v12
	v_or3_b32 v3, v7, v6, v3
.LBB1_9928:
	s_or_b64 exec, exec, s[6:7]
	s_nop 0
	v_mfma_f32_16x16x4f32 a[0:3], v2, v3, a[0:3]
	v_lshrrev_b32_e32 v3, 8, v8
	s_movk_i32 s4, 0x7f
	v_cmp_gt_i16_sdwa s[6:7], v3, s4 src0_sel:BYTE_0 src1_sel:DWORD
	s_mov_b64 s[4:5], 0
                                        ; implicit-def: $sgpr10
	s_and_saveexec_b64 s[8:9], s[6:7]
	s_xor_b64 s[6:7], exec, s[8:9]
	s_cbranch_execz .LBB1_9929
; %bb.45769:
	s_getpc_b64 s[14:15]
.Lpost_getpc8548:
	s_add_u32 s14, s14, (.LBB1_24265-.Lpost_getpc8548)&4294967295
	s_addc_u32 s15, s15, (.LBB1_24265-.Lpost_getpc8548)>>32
	s_setpc_b64 s[14:15]
.LBB1_9929:
	s_or_saveexec_b64 s[6:7], s[6:7]
	v_mov_b32_e32 v2, s10
	s_xor_b64 exec, exec, s[6:7]
	s_cbranch_execz .LBB1_9930
; %bb.45771:
	s_getpc_b64 s[14:15]
.Lpost_getpc8549:
	s_add_u32 s14, s14, (.LBB1_24268-.Lpost_getpc8549)&4294967295
	s_addc_u32 s15, s15, (.LBB1_24268-.Lpost_getpc8549)>>32
	s_setpc_b64 s[14:15]
.LBB1_9930:
	s_or_b64 exec, exec, s[6:7]
	s_and_saveexec_b64 s[6:7], s[4:5]
	s_cbranch_execz .LBB1_9932
.LBB1_9931:
	v_bfe_u32 v2, v8, 8, 3
	v_ffbh_u32_e32 v7, v2
	v_min_u32_e32 v7, 32, v7
	v_lshrrev_b16_e32 v6, 3, v3
	v_subrev_u32_e32 v12, 28, v7
	v_and_b32_e32 v6, 15, v6
	v_lshlrev_b32_e32 v3, v12, v3
	v_sub_u32_e32 v7, 29, v7
	v_and_b32_e32 v3, 7, v3
	v_cmp_eq_u16_e32 vcc, 0, v6
	v_cndmask_b32_e32 v2, v2, v3, vcc
	v_cndmask_b32_e32 v3, v6, v7, vcc
	v_lshlrev_b32_e32 v6, 16, v8
	v_mov_b32_e32 v7, 0x3b800000
	v_lshlrev_b32_e32 v2, 20, v2
	v_and_b32_e32 v6, 0x80000000, v6
	v_lshl_add_u32 v3, v3, 23, v7
	v_or3_b32 v2, v6, v3, v2
.LBB1_9932:
	s_or_b64 exec, exec, s[6:7]
	v_lshrrev_b32_e32 v3, 8, v4
	s_movk_i32 s4, 0x7f
	v_cmp_gt_i16_sdwa s[6:7], v3, s4 src0_sel:BYTE_0 src1_sel:DWORD
	s_mov_b64 s[4:5], 0
                                        ; implicit-def: $sgpr10
	s_and_saveexec_b64 s[8:9], s[6:7]
	s_xor_b64 s[6:7], exec, s[8:9]
	s_cbranch_execz .LBB1_9933
; %bb.45773:
	s_getpc_b64 s[14:15]
.Lpost_getpc8550:
	s_add_u32 s14, s14, (.LBB1_24269-.Lpost_getpc8550)&4294967295
	s_addc_u32 s15, s15, (.LBB1_24269-.Lpost_getpc8550)>>32
	s_setpc_b64 s[14:15]
.LBB1_9933:
	s_or_saveexec_b64 s[6:7], s[6:7]
	v_mov_b32_e32 v6, s10
	s_xor_b64 exec, exec, s[6:7]
	s_cbranch_execz .LBB1_9934
; %bb.45775:
	s_getpc_b64 s[14:15]
.Lpost_getpc8551:
	s_add_u32 s14, s14, (.LBB1_24272-.Lpost_getpc8551)&4294967295
	s_addc_u32 s15, s15, (.LBB1_24272-.Lpost_getpc8551)>>32
	s_setpc_b64 s[14:15]
.LBB1_9934:
	s_or_b64 exec, exec, s[6:7]
	s_and_saveexec_b64 s[6:7], s[4:5]
	s_cbranch_execz .LBB1_9936
.LBB1_9935:
	v_bfe_u32 v6, v4, 8, 3
	v_ffbh_u32_e32 v12, v6
	v_min_u32_e32 v12, 32, v12
	v_lshrrev_b16_e32 v7, 3, v3
	v_subrev_u32_e32 v13, 28, v12
	v_and_b32_e32 v7, 15, v7
	v_lshlrev_b32_e32 v3, v13, v3
	v_sub_u32_e32 v12, 29, v12
	v_and_b32_e32 v3, 7, v3
	v_cmp_eq_u16_e32 vcc, 0, v7
	v_cndmask_b32_e32 v3, v6, v3, vcc
	v_cndmask_b32_e32 v6, v7, v12, vcc
	v_lshlrev_b32_e32 v7, 16, v4
	v_mov_b32_e32 v12, 0x3b800000
	v_lshlrev_b32_e32 v3, 20, v3
	v_and_b32_e32 v7, 0x80000000, v7
	v_lshl_add_u32 v6, v6, 23, v12
	v_or3_b32 v6, v7, v6, v3
.LBB1_9936:
	s_or_b64 exec, exec, s[6:7]
	s_nop 0
	v_mfma_f32_16x16x4f32 a[0:3], v2, v6, a[0:3]
	s_movk_i32 s4, 0xff
	v_and_b32_sdwa v3, v8, s4 dst_sel:DWORD dst_unused:UNUSED_PAD src0_sel:WORD_1 src1_sel:DWORD
	s_movk_i32 s4, 0x7f
	v_cmp_lt_i16_e32 vcc, s4, v3
	s_mov_b64 s[4:5], 0
                                        ; implicit-def: $sgpr10
	s_and_saveexec_b64 s[6:7], vcc
	s_xor_b64 s[6:7], exec, s[6:7]
	s_cbranch_execz .LBB1_9937
; %bb.45777:
	s_getpc_b64 s[14:15]
.Lpost_getpc8552:
	s_add_u32 s14, s14, (.LBB1_24273-.Lpost_getpc8552)&4294967295
	s_addc_u32 s15, s15, (.LBB1_24273-.Lpost_getpc8552)>>32
	s_setpc_b64 s[14:15]
.LBB1_9937:
	s_or_saveexec_b64 s[6:7], s[6:7]
	v_mov_b32_e32 v2, s10
	s_xor_b64 exec, exec, s[6:7]
	s_cbranch_execz .LBB1_9938
; %bb.45779:
	s_getpc_b64 s[14:15]
.Lpost_getpc8553:
	s_add_u32 s14, s14, (.LBB1_24276-.Lpost_getpc8553)&4294967295
	s_addc_u32 s15, s15, (.LBB1_24276-.Lpost_getpc8553)>>32
	s_setpc_b64 s[14:15]
.LBB1_9938:
	s_or_b64 exec, exec, s[6:7]
	s_and_saveexec_b64 s[6:7], s[4:5]
	s_cbranch_execz .LBB1_9940
.LBB1_9939:
	v_bfe_u32 v2, v8, 16, 3
	v_ffbh_u32_e32 v7, v2
	v_min_u32_e32 v7, 32, v7
	v_lshrrev_b32_e32 v3, 19, v8
	v_subrev_u32_e32 v12, 28, v7
	v_and_b32_e32 v3, 15, v3
	v_lshlrev_b32_sdwa v12, v12, v8 dst_sel:DWORD dst_unused:UNUSED_PAD src0_sel:DWORD src1_sel:WORD_1
	v_bfe_u32 v6, v8, 19, 4
	v_sub_u32_e32 v7, 29, v7
	v_and_b32_e32 v12, 7, v12
	v_cmp_eq_u16_e32 vcc, 0, v3
	v_cndmask_b32_e32 v2, v2, v12, vcc
	v_cndmask_b32_e32 v3, v6, v7, vcc
	v_lshlrev_b32_e32 v6, 8, v8
	v_mov_b32_e32 v7, 0x3b800000
	v_lshlrev_b32_e32 v2, 20, v2
	v_and_b32_e32 v6, 0x80000000, v6
	v_lshl_add_u32 v3, v3, 23, v7
	v_or3_b32 v2, v6, v3, v2
.LBB1_9940:
	s_or_b64 exec, exec, s[6:7]
	s_movk_i32 s4, 0xff
	v_and_b32_sdwa v3, v4, s4 dst_sel:DWORD dst_unused:UNUSED_PAD src0_sel:WORD_1 src1_sel:DWORD
	s_movk_i32 s4, 0x7f
	v_cmp_lt_i16_e32 vcc, s4, v3
	s_mov_b64 s[4:5], 0
                                        ; implicit-def: $sgpr10
	s_and_saveexec_b64 s[6:7], vcc
	s_xor_b64 s[6:7], exec, s[6:7]
	s_cbranch_execz .LBB1_9941
; %bb.45781:
	s_getpc_b64 s[14:15]
.Lpost_getpc8554:
	s_add_u32 s14, s14, (.LBB1_24277-.Lpost_getpc8554)&4294967295
	s_addc_u32 s15, s15, (.LBB1_24277-.Lpost_getpc8554)>>32
	s_setpc_b64 s[14:15]
.LBB1_9941:
	s_or_saveexec_b64 s[6:7], s[6:7]
	v_mov_b32_e32 v6, s10
	s_xor_b64 exec, exec, s[6:7]
	s_cbranch_execz .LBB1_9942
; %bb.45783:
	s_getpc_b64 s[14:15]
.Lpost_getpc8555:
	s_add_u32 s14, s14, (.LBB1_24280-.Lpost_getpc8555)&4294967295
	s_addc_u32 s15, s15, (.LBB1_24280-.Lpost_getpc8555)>>32
	s_setpc_b64 s[14:15]
.LBB1_9942:
	s_or_b64 exec, exec, s[6:7]
	s_and_saveexec_b64 s[6:7], s[4:5]
	s_cbranch_execz .LBB1_9944
.LBB1_9943:
	v_bfe_u32 v3, v4, 16, 3
	v_ffbh_u32_e32 v12, v3
	v_min_u32_e32 v12, 32, v12
	v_lshrrev_b32_e32 v6, 19, v4
	v_subrev_u32_e32 v13, 28, v12
	v_and_b32_e32 v6, 15, v6
	v_lshlrev_b32_sdwa v13, v13, v4 dst_sel:DWORD dst_unused:UNUSED_PAD src0_sel:DWORD src1_sel:WORD_1
	v_bfe_u32 v7, v4, 19, 4
	v_sub_u32_e32 v12, 29, v12
	v_and_b32_e32 v13, 7, v13
	v_cmp_eq_u16_e32 vcc, 0, v6
	v_cndmask_b32_e32 v3, v3, v13, vcc
	v_cndmask_b32_e32 v6, v7, v12, vcc
	v_lshlrev_b32_e32 v7, 8, v4
	v_mov_b32_e32 v12, 0x3b800000
	v_lshlrev_b32_e32 v3, 20, v3
	v_and_b32_e32 v7, 0x80000000, v7
	v_lshl_add_u32 v6, v6, 23, v12
	v_or3_b32 v6, v7, v6, v3
.LBB1_9944:
	s_or_b64 exec, exec, s[6:7]
	s_nop 0
	v_mfma_f32_16x16x4f32 a[0:3], v2, v6, a[0:3]
	s_movk_i32 s4, 0x7f
	v_cmp_gt_i16_sdwa s[6:7], v8, s4 src0_sel:BYTE_3 src1_sel:DWORD
	s_mov_b64 s[4:5], 0
                                        ; implicit-def: $sgpr10
	s_and_saveexec_b64 s[8:9], s[6:7]
	s_xor_b64 s[6:7], exec, s[8:9]
	s_cbranch_execz .LBB1_9945
; %bb.45785:
	s_getpc_b64 s[14:15]
.Lpost_getpc8556:
	s_add_u32 s14, s14, (.LBB1_24281-.Lpost_getpc8556)&4294967295
	s_addc_u32 s15, s15, (.LBB1_24281-.Lpost_getpc8556)>>32
	s_setpc_b64 s[14:15]
.LBB1_9945:
	s_or_saveexec_b64 s[6:7], s[6:7]
	v_mov_b32_e32 v2, s10
	s_xor_b64 exec, exec, s[6:7]
	s_cbranch_execz .LBB1_9946
; %bb.45787:
	s_getpc_b64 s[14:15]
.Lpost_getpc8557:
	s_add_u32 s14, s14, (.LBB1_24284-.Lpost_getpc8557)&4294967295
	s_addc_u32 s15, s15, (.LBB1_24284-.Lpost_getpc8557)>>32
	s_setpc_b64 s[14:15]
.LBB1_9946:
	s_or_b64 exec, exec, s[6:7]
	s_and_saveexec_b64 s[6:7], s[4:5]
	s_cbranch_execz .LBB1_9948
.LBB1_9947:
	v_bfe_u32 v2, v8, 24, 3
	v_ffbh_u32_e32 v12, v2
	v_min_u32_e32 v12, 32, v12
	v_lshrrev_b32_e32 v6, 27, v8
	v_subrev_u32_e32 v13, 28, v12
	v_and_b32_e32 v3, 0x80000000, v8
	v_and_b32_e32 v6, 15, v6
	v_bfe_u32 v7, v8, 27, 4
	v_lshlrev_b32_sdwa v8, v13, v8 dst_sel:DWORD dst_unused:UNUSED_PAD src0_sel:DWORD src1_sel:BYTE_3
	v_sub_u32_e32 v12, 29, v12
	v_and_b32_e32 v8, 7, v8
	v_cmp_eq_u16_e32 vcc, 0, v6
	v_cndmask_b32_e32 v2, v2, v8, vcc
	v_cndmask_b32_e32 v6, v7, v12, vcc
	v_mov_b32_e32 v7, 0x3b800000
	v_lshlrev_b32_e32 v2, 20, v2
	v_lshl_add_u32 v6, v6, 23, v7
	v_or3_b32 v2, v3, v6, v2
.LBB1_9948:
	s_or_b64 exec, exec, s[6:7]
	s_movk_i32 s4, 0x7f
	v_cmp_gt_i16_sdwa s[6:7], v4, s4 src0_sel:BYTE_3 src1_sel:DWORD
	s_mov_b64 s[4:5], 0
                                        ; implicit-def: $sgpr10
	s_and_saveexec_b64 s[8:9], s[6:7]
	s_xor_b64 s[6:7], exec, s[8:9]
	s_cbranch_execz .LBB1_9949
; %bb.45789:
	s_getpc_b64 s[14:15]
.Lpost_getpc8558:
	s_add_u32 s14, s14, (.LBB1_24285-.Lpost_getpc8558)&4294967295
	s_addc_u32 s15, s15, (.LBB1_24285-.Lpost_getpc8558)>>32
	s_setpc_b64 s[14:15]
.LBB1_9949:
	s_or_saveexec_b64 s[6:7], s[6:7]
	v_mov_b32_e32 v3, s10
	s_xor_b64 exec, exec, s[6:7]
	s_cbranch_execz .LBB1_9950
; %bb.45791:
	s_getpc_b64 s[14:15]
.Lpost_getpc8559:
	s_add_u32 s14, s14, (.LBB1_24288-.Lpost_getpc8559)&4294967295
	s_addc_u32 s15, s15, (.LBB1_24288-.Lpost_getpc8559)>>32
	s_setpc_b64 s[14:15]
.LBB1_9950:
	s_or_b64 exec, exec, s[6:7]
	s_and_saveexec_b64 s[6:7], s[4:5]
	s_cbranch_execz .LBB1_9952
.LBB1_9951:
	v_bfe_u32 v3, v4, 24, 3
	v_ffbh_u32_e32 v12, v3
	v_min_u32_e32 v12, 32, v12
	v_lshrrev_b32_e32 v7, 27, v4
	v_subrev_u32_e32 v13, 28, v12
	v_and_b32_e32 v6, 0x80000000, v4
	v_and_b32_e32 v7, 15, v7
	v_bfe_u32 v8, v4, 27, 4
	v_lshlrev_b32_sdwa v4, v13, v4 dst_sel:DWORD dst_unused:UNUSED_PAD src0_sel:DWORD src1_sel:BYTE_3
	v_sub_u32_e32 v12, 29, v12
	v_and_b32_e32 v4, 7, v4
	v_cmp_eq_u16_e32 vcc, 0, v7
	v_cndmask_b32_e32 v3, v3, v4, vcc
	v_cndmask_b32_e32 v4, v8, v12, vcc
	v_mov_b32_e32 v7, 0x3b800000
	v_lshlrev_b32_e32 v3, 20, v3
	v_lshl_add_u32 v4, v4, 23, v7
	v_or3_b32 v3, v6, v4, v3
.LBB1_9952:
	s_or_b64 exec, exec, s[6:7]
	s_nop 0
	v_mfma_f32_16x16x4f32 a[0:3], v2, v3, a[0:3]
	s_movk_i32 s4, 0x7f
	v_cmp_gt_i16_sdwa s[6:7], v9, s4 src0_sel:BYTE_0 src1_sel:DWORD
	s_mov_b64 s[4:5], 0
                                        ; implicit-def: $sgpr10
	s_and_saveexec_b64 s[8:9], s[6:7]
	s_xor_b64 s[6:7], exec, s[8:9]
	s_cbranch_execz .LBB1_9953
; %bb.45793:
	s_getpc_b64 s[14:15]
.Lpost_getpc8560:
	s_add_u32 s14, s14, (.LBB1_24289-.Lpost_getpc8560)&4294967295
	s_addc_u32 s15, s15, (.LBB1_24289-.Lpost_getpc8560)>>32
	s_setpc_b64 s[14:15]
.LBB1_9953:
	s_or_saveexec_b64 s[6:7], s[6:7]
	v_mov_b32_e32 v2, s10
	s_xor_b64 exec, exec, s[6:7]
	s_cbranch_execz .LBB1_9954
; %bb.45795:
	s_getpc_b64 s[14:15]
.Lpost_getpc8561:
	s_add_u32 s14, s14, (.LBB1_24292-.Lpost_getpc8561)&4294967295
	s_addc_u32 s15, s15, (.LBB1_24292-.Lpost_getpc8561)>>32
	s_setpc_b64 s[14:15]
.LBB1_9954:
	s_or_b64 exec, exec, s[6:7]
	s_and_saveexec_b64 s[6:7], s[4:5]
	s_cbranch_execz .LBB1_9956
.LBB1_9955:
	v_mov_b32_e32 v2, 8
	v_and_b32_e32 v3, 7, v9
	v_lshrrev_b32_sdwa v2, v2, v9 dst_sel:BYTE_1 dst_unused:UNUSED_PAD src0_sel:DWORD src1_sel:DWORD
	v_ffbh_u32_e32 v4, v3
	v_or_b32_sdwa v2, v9, v2 dst_sel:DWORD dst_unused:UNUSED_PAD src0_sel:BYTE_0 src1_sel:DWORD
	v_min_u32_e32 v4, 32, v4
	v_lshrrev_b16_e32 v2, 3, v2
	v_subrev_u32_e32 v6, 28, v4
	v_and_b32_e32 v2, 15, v2
	v_lshlrev_b32_e32 v6, v6, v9
	v_sub_u32_e32 v4, 29, v4
	v_and_b32_e32 v6, 7, v6
	v_cmp_eq_u16_e32 vcc, 0, v2
	v_cndmask_b32_e32 v3, v3, v6, vcc
	v_cndmask_b32_e32 v2, v2, v4, vcc
	v_lshlrev_b32_e32 v4, 24, v9
	v_mov_b32_e32 v6, 0x3b800000
	v_lshlrev_b32_e32 v3, 20, v3
	v_and_b32_e32 v4, 0x80000000, v4
	v_lshl_add_u32 v2, v2, 23, v6
	v_or3_b32 v2, v4, v2, v3
.LBB1_9956:
	s_or_b64 exec, exec, s[6:7]
	s_movk_i32 s4, 0x7f
	v_cmp_gt_i16_sdwa s[6:7], v5, s4 src0_sel:BYTE_0 src1_sel:DWORD
	s_mov_b64 s[4:5], 0
                                        ; implicit-def: $sgpr10
	s_and_saveexec_b64 s[8:9], s[6:7]
	s_xor_b64 s[6:7], exec, s[8:9]
	s_cbranch_execz .LBB1_9957
; %bb.45797:
	s_getpc_b64 s[14:15]
.Lpost_getpc8562:
	s_add_u32 s14, s14, (.LBB1_24293-.Lpost_getpc8562)&4294967295
	s_addc_u32 s15, s15, (.LBB1_24293-.Lpost_getpc8562)>>32
	s_setpc_b64 s[14:15]
.LBB1_9957:
	s_or_saveexec_b64 s[6:7], s[6:7]
	v_mov_b32_e32 v3, s10
	s_xor_b64 exec, exec, s[6:7]
	s_cbranch_execz .LBB1_9958
; %bb.45799:
	s_getpc_b64 s[14:15]
.Lpost_getpc8563:
	s_add_u32 s14, s14, (.LBB1_24296-.Lpost_getpc8563)&4294967295
	s_addc_u32 s15, s15, (.LBB1_24296-.Lpost_getpc8563)>>32
	s_setpc_b64 s[14:15]
.LBB1_9958:
	s_or_b64 exec, exec, s[6:7]
	s_and_saveexec_b64 s[6:7], s[4:5]
	s_cbranch_execz .LBB1_9960
.LBB1_9959:
	v_mov_b32_e32 v3, 8
	v_and_b32_e32 v4, 7, v5
	v_lshrrev_b32_sdwa v3, v3, v5 dst_sel:BYTE_1 dst_unused:UNUSED_PAD src0_sel:DWORD src1_sel:DWORD
	v_ffbh_u32_e32 v6, v4
	v_or_b32_sdwa v3, v5, v3 dst_sel:DWORD dst_unused:UNUSED_PAD src0_sel:BYTE_0 src1_sel:DWORD
	v_min_u32_e32 v6, 32, v6
	v_lshrrev_b16_e32 v3, 3, v3
	v_subrev_u32_e32 v7, 28, v6
	v_and_b32_e32 v3, 15, v3
	v_lshlrev_b32_e32 v7, v7, v5
	v_sub_u32_e32 v6, 29, v6
	v_and_b32_e32 v7, 7, v7
	v_cmp_eq_u16_e32 vcc, 0, v3
	v_cndmask_b32_e32 v4, v4, v7, vcc
	v_cndmask_b32_e32 v3, v3, v6, vcc
	v_lshlrev_b32_e32 v6, 24, v5
	v_mov_b32_e32 v7, 0x3b800000
	v_lshlrev_b32_e32 v4, 20, v4
	v_and_b32_e32 v6, 0x80000000, v6
	v_lshl_add_u32 v3, v3, 23, v7
	v_or3_b32 v3, v6, v3, v4
.LBB1_9960:
	s_or_b64 exec, exec, s[6:7]
	s_nop 0
	v_mfma_f32_16x16x4f32 a[0:3], v2, v3, a[0:3]
	v_lshrrev_b32_e32 v3, 8, v9
	s_movk_i32 s4, 0x7f
	v_cmp_gt_i16_sdwa s[6:7], v3, s4 src0_sel:BYTE_0 src1_sel:DWORD
	s_mov_b64 s[4:5], 0
                                        ; implicit-def: $sgpr10
	s_and_saveexec_b64 s[8:9], s[6:7]
	s_xor_b64 s[6:7], exec, s[8:9]
	s_cbranch_execz .LBB1_9961
; %bb.45801:
	s_getpc_b64 s[14:15]
.Lpost_getpc8564:
	s_add_u32 s14, s14, (.LBB1_24297-.Lpost_getpc8564)&4294967295
	s_addc_u32 s15, s15, (.LBB1_24297-.Lpost_getpc8564)>>32
	s_setpc_b64 s[14:15]
.LBB1_9961:
	s_or_saveexec_b64 s[6:7], s[6:7]
	v_mov_b32_e32 v2, s10
	s_xor_b64 exec, exec, s[6:7]
	s_cbranch_execz .LBB1_9962
; %bb.45803:
	s_getpc_b64 s[14:15]
.Lpost_getpc8565:
	s_add_u32 s14, s14, (.LBB1_24300-.Lpost_getpc8565)&4294967295
	s_addc_u32 s15, s15, (.LBB1_24300-.Lpost_getpc8565)>>32
	s_setpc_b64 s[14:15]
.LBB1_9962:
	s_or_b64 exec, exec, s[6:7]
	s_and_saveexec_b64 s[6:7], s[4:5]
	s_cbranch_execz .LBB1_9964
.LBB1_9963:
	v_bfe_u32 v2, v9, 8, 3
	v_ffbh_u32_e32 v6, v2
	v_min_u32_e32 v6, 32, v6
	v_lshrrev_b16_e32 v4, 3, v3
	v_subrev_u32_e32 v7, 28, v6
	v_and_b32_e32 v4, 15, v4
	v_lshlrev_b32_e32 v3, v7, v3
	v_sub_u32_e32 v6, 29, v6
	v_and_b32_e32 v3, 7, v3
	v_cmp_eq_u16_e32 vcc, 0, v4
	v_cndmask_b32_e32 v2, v2, v3, vcc
	v_cndmask_b32_e32 v3, v4, v6, vcc
	v_lshlrev_b32_e32 v4, 16, v9
	v_mov_b32_e32 v6, 0x3b800000
	v_lshlrev_b32_e32 v2, 20, v2
	v_and_b32_e32 v4, 0x80000000, v4
	v_lshl_add_u32 v3, v3, 23, v6
	v_or3_b32 v2, v4, v3, v2
.LBB1_9964:
	s_or_b64 exec, exec, s[6:7]
	v_lshrrev_b32_e32 v3, 8, v5
	s_movk_i32 s4, 0x7f
	v_cmp_gt_i16_sdwa s[6:7], v3, s4 src0_sel:BYTE_0 src1_sel:DWORD
	s_mov_b64 s[4:5], 0
                                        ; implicit-def: $sgpr10
	s_and_saveexec_b64 s[8:9], s[6:7]
	s_xor_b64 s[6:7], exec, s[8:9]
	s_cbranch_execz .LBB1_9965
; %bb.45805:
	s_getpc_b64 s[14:15]
.Lpost_getpc8566:
	s_add_u32 s14, s14, (.LBB1_24301-.Lpost_getpc8566)&4294967295
	s_addc_u32 s15, s15, (.LBB1_24301-.Lpost_getpc8566)>>32
	s_setpc_b64 s[14:15]
.LBB1_9965:
	s_or_saveexec_b64 s[6:7], s[6:7]
	v_mov_b32_e32 v4, s10
	s_xor_b64 exec, exec, s[6:7]
	s_cbranch_execz .LBB1_9966
; %bb.45807:
	s_getpc_b64 s[14:15]
.Lpost_getpc8567:
	s_add_u32 s14, s14, (.LBB1_24304-.Lpost_getpc8567)&4294967295
	s_addc_u32 s15, s15, (.LBB1_24304-.Lpost_getpc8567)>>32
	s_setpc_b64 s[14:15]
.LBB1_9966:
	s_or_b64 exec, exec, s[6:7]
	s_and_saveexec_b64 s[6:7], s[4:5]
	s_cbranch_execz .LBB1_9968
.LBB1_9967:
	v_bfe_u32 v4, v5, 8, 3
	v_ffbh_u32_e32 v7, v4
	v_min_u32_e32 v7, 32, v7
	v_lshrrev_b16_e32 v6, 3, v3
	v_subrev_u32_e32 v8, 28, v7
	v_and_b32_e32 v6, 15, v6
	v_lshlrev_b32_e32 v3, v8, v3
	v_sub_u32_e32 v7, 29, v7
	v_and_b32_e32 v3, 7, v3
	v_cmp_eq_u16_e32 vcc, 0, v6
	v_cndmask_b32_e32 v3, v4, v3, vcc
	v_cndmask_b32_e32 v4, v6, v7, vcc
	v_lshlrev_b32_e32 v6, 16, v5
	v_mov_b32_e32 v7, 0x3b800000
	v_lshlrev_b32_e32 v3, 20, v3
	v_and_b32_e32 v6, 0x80000000, v6
	v_lshl_add_u32 v4, v4, 23, v7
	v_or3_b32 v4, v6, v4, v3
.LBB1_9968:
	s_or_b64 exec, exec, s[6:7]
	s_nop 0
	v_mfma_f32_16x16x4f32 a[0:3], v2, v4, a[0:3]
	s_movk_i32 s4, 0xff
	v_and_b32_sdwa v3, v9, s4 dst_sel:DWORD dst_unused:UNUSED_PAD src0_sel:WORD_1 src1_sel:DWORD
	s_movk_i32 s4, 0x7f
	v_cmp_lt_i16_e32 vcc, s4, v3
	s_mov_b64 s[4:5], 0
                                        ; implicit-def: $sgpr10
	s_and_saveexec_b64 s[6:7], vcc
	s_xor_b64 s[6:7], exec, s[6:7]
	s_cbranch_execz .LBB1_9969
; %bb.45809:
	s_getpc_b64 s[14:15]
.Lpost_getpc8568:
	s_add_u32 s14, s14, (.LBB1_24305-.Lpost_getpc8568)&4294967295
	s_addc_u32 s15, s15, (.LBB1_24305-.Lpost_getpc8568)>>32
	s_setpc_b64 s[14:15]
.LBB1_9969:
	s_or_saveexec_b64 s[6:7], s[6:7]
	v_mov_b32_e32 v2, s10
	s_xor_b64 exec, exec, s[6:7]
	s_cbranch_execz .LBB1_9970
; %bb.45811:
	s_getpc_b64 s[14:15]
.Lpost_getpc8569:
	s_add_u32 s14, s14, (.LBB1_24308-.Lpost_getpc8569)&4294967295
	s_addc_u32 s15, s15, (.LBB1_24308-.Lpost_getpc8569)>>32
	s_setpc_b64 s[14:15]
.LBB1_9970:
	s_or_b64 exec, exec, s[6:7]
	s_and_saveexec_b64 s[6:7], s[4:5]
	s_cbranch_execz .LBB1_9972
.LBB1_9971:
	v_bfe_u32 v2, v9, 16, 3
	v_ffbh_u32_e32 v6, v2
	v_min_u32_e32 v6, 32, v6
	v_lshrrev_b32_e32 v3, 19, v9
	v_subrev_u32_e32 v7, 28, v6
	v_and_b32_e32 v3, 15, v3
	v_lshlrev_b32_sdwa v7, v7, v9 dst_sel:DWORD dst_unused:UNUSED_PAD src0_sel:DWORD src1_sel:WORD_1
	v_bfe_u32 v4, v9, 19, 4
	v_sub_u32_e32 v6, 29, v6
	v_and_b32_e32 v7, 7, v7
	v_cmp_eq_u16_e32 vcc, 0, v3
	v_cndmask_b32_e32 v2, v2, v7, vcc
	v_cndmask_b32_e32 v3, v4, v6, vcc
	v_lshlrev_b32_e32 v4, 8, v9
	v_mov_b32_e32 v6, 0x3b800000
	v_lshlrev_b32_e32 v2, 20, v2
	v_and_b32_e32 v4, 0x80000000, v4
	v_lshl_add_u32 v3, v3, 23, v6
	v_or3_b32 v2, v4, v3, v2
.LBB1_9972:
	s_or_b64 exec, exec, s[6:7]
	s_movk_i32 s4, 0xff
	v_and_b32_sdwa v3, v5, s4 dst_sel:DWORD dst_unused:UNUSED_PAD src0_sel:WORD_1 src1_sel:DWORD
	s_movk_i32 s4, 0x7f
	v_cmp_lt_i16_e32 vcc, s4, v3
	s_mov_b64 s[4:5], 0
                                        ; implicit-def: $sgpr10
	s_and_saveexec_b64 s[6:7], vcc
	s_xor_b64 s[6:7], exec, s[6:7]
	s_cbranch_execz .LBB1_9973
; %bb.45813:
	s_getpc_b64 s[14:15]
.Lpost_getpc8570:
	s_add_u32 s14, s14, (.LBB1_24309-.Lpost_getpc8570)&4294967295
	s_addc_u32 s15, s15, (.LBB1_24309-.Lpost_getpc8570)>>32
	s_setpc_b64 s[14:15]
.LBB1_9973:
	s_or_saveexec_b64 s[6:7], s[6:7]
	v_mov_b32_e32 v4, s10
	s_xor_b64 exec, exec, s[6:7]
	s_cbranch_execz .LBB1_9974
; %bb.45815:
	s_getpc_b64 s[14:15]
.Lpost_getpc8571:
	s_add_u32 s14, s14, (.LBB1_24312-.Lpost_getpc8571)&4294967295
	s_addc_u32 s15, s15, (.LBB1_24312-.Lpost_getpc8571)>>32
	s_setpc_b64 s[14:15]
.LBB1_9974:
	s_or_b64 exec, exec, s[6:7]
	s_and_saveexec_b64 s[6:7], s[4:5]
	s_cbranch_execz .LBB1_9976
.LBB1_9975:
	v_bfe_u32 v3, v5, 16, 3
	v_ffbh_u32_e32 v7, v3
	v_min_u32_e32 v7, 32, v7
	v_lshrrev_b32_e32 v4, 19, v5
	v_subrev_u32_e32 v8, 28, v7
	v_and_b32_e32 v4, 15, v4
	v_lshlrev_b32_sdwa v8, v8, v5 dst_sel:DWORD dst_unused:UNUSED_PAD src0_sel:DWORD src1_sel:WORD_1
	v_bfe_u32 v6, v5, 19, 4
	v_sub_u32_e32 v7, 29, v7
	v_and_b32_e32 v8, 7, v8
	v_cmp_eq_u16_e32 vcc, 0, v4
	v_cndmask_b32_e32 v3, v3, v8, vcc
	v_cndmask_b32_e32 v4, v6, v7, vcc
	v_lshlrev_b32_e32 v6, 8, v5
	v_mov_b32_e32 v7, 0x3b800000
	v_lshlrev_b32_e32 v3, 20, v3
	v_and_b32_e32 v6, 0x80000000, v6
	v_lshl_add_u32 v4, v4, 23, v7
	v_or3_b32 v4, v6, v4, v3
.LBB1_9976:
	s_or_b64 exec, exec, s[6:7]
	s_nop 0
	v_mfma_f32_16x16x4f32 a[0:3], v2, v4, a[0:3]
	s_movk_i32 s4, 0x7f
	v_cmp_gt_i16_sdwa s[6:7], v9, s4 src0_sel:BYTE_3 src1_sel:DWORD
	s_mov_b64 s[4:5], 0
                                        ; implicit-def: $sgpr10
	s_and_saveexec_b64 s[8:9], s[6:7]
	s_xor_b64 s[6:7], exec, s[8:9]
	s_cbranch_execz .LBB1_9977
; %bb.45817:
	s_getpc_b64 s[14:15]
.Lpost_getpc8572:
	s_add_u32 s14, s14, (.LBB1_24313-.Lpost_getpc8572)&4294967295
	s_addc_u32 s15, s15, (.LBB1_24313-.Lpost_getpc8572)>>32
	s_setpc_b64 s[14:15]
.LBB1_9977:
	s_or_saveexec_b64 s[6:7], s[6:7]
	v_mov_b32_e32 v2, s10
	s_xor_b64 exec, exec, s[6:7]
	s_cbranch_execz .LBB1_9978
; %bb.45819:
	s_getpc_b64 s[14:15]
.Lpost_getpc8573:
	s_add_u32 s14, s14, (.LBB1_24316-.Lpost_getpc8573)&4294967295
	s_addc_u32 s15, s15, (.LBB1_24316-.Lpost_getpc8573)>>32
	s_setpc_b64 s[14:15]
.LBB1_9978:
	s_or_b64 exec, exec, s[6:7]
	s_and_saveexec_b64 s[6:7], s[4:5]
	s_cbranch_execz .LBB1_9980
.LBB1_9979:
	v_bfe_u32 v2, v9, 24, 3
	v_ffbh_u32_e32 v7, v2
	v_min_u32_e32 v7, 32, v7
	v_lshrrev_b32_e32 v4, 27, v9
	v_subrev_u32_e32 v8, 28, v7
	v_and_b32_e32 v4, 15, v4
	v_lshlrev_b32_sdwa v8, v8, v9 dst_sel:DWORD dst_unused:UNUSED_PAD src0_sel:DWORD src1_sel:BYTE_3
	v_bfe_u32 v6, v9, 27, 4
	v_sub_u32_e32 v7, 29, v7
	v_and_b32_e32 v8, 7, v8
	v_cmp_eq_u16_e32 vcc, 0, v4
	v_cndmask_b32_e32 v2, v2, v8, vcc
	v_cndmask_b32_e32 v4, v6, v7, vcc
	v_mov_b32_e32 v6, 0x3b800000
	v_and_b32_e32 v3, 0x80000000, v9
	v_lshlrev_b32_e32 v2, 20, v2
	v_lshl_add_u32 v4, v4, 23, v6
	v_or3_b32 v2, v3, v4, v2
.LBB1_9980:
	s_or_b64 exec, exec, s[6:7]
	s_movk_i32 s4, 0x7f
	v_cmp_gt_i16_sdwa s[6:7], v5, s4 src0_sel:BYTE_3 src1_sel:DWORD
	s_mov_b64 s[4:5], 0
                                        ; implicit-def: $sgpr10
	s_and_saveexec_b64 s[8:9], s[6:7]
	s_xor_b64 s[6:7], exec, s[8:9]
	s_cbranch_execz .LBB1_9981
; %bb.45821:
	s_getpc_b64 s[14:15]
.Lpost_getpc8574:
	s_add_u32 s14, s14, (.LBB1_24317-.Lpost_getpc8574)&4294967295
	s_addc_u32 s15, s15, (.LBB1_24317-.Lpost_getpc8574)>>32
	s_setpc_b64 s[14:15]
.LBB1_9981:
	s_or_saveexec_b64 s[6:7], s[6:7]
	v_mov_b32_e32 v3, s10
	s_xor_b64 exec, exec, s[6:7]
	s_cbranch_execz .LBB1_9982
; %bb.45823:
	s_getpc_b64 s[14:15]
.Lpost_getpc8575:
	s_add_u32 s14, s14, (.LBB1_24320-.Lpost_getpc8575)&4294967295
	s_addc_u32 s15, s15, (.LBB1_24320-.Lpost_getpc8575)>>32
	s_setpc_b64 s[14:15]
.LBB1_9982:
	s_or_b64 exec, exec, s[6:7]
	s_and_saveexec_b64 s[6:7], s[4:5]
	s_cbranch_execz .LBB1_9984
.LBB1_9983:
	v_bfe_u32 v3, v5, 24, 3
	v_ffbh_u32_e32 v8, v3
	v_min_u32_e32 v8, 32, v8
	v_lshrrev_b32_e32 v6, 27, v5
	v_subrev_u32_e32 v9, 28, v8
	v_and_b32_e32 v4, 0x80000000, v5
	v_and_b32_e32 v6, 15, v6
	v_bfe_u32 v7, v5, 27, 4
	v_lshlrev_b32_sdwa v5, v9, v5 dst_sel:DWORD dst_unused:UNUSED_PAD src0_sel:DWORD src1_sel:BYTE_3
	v_sub_u32_e32 v8, 29, v8
	v_and_b32_e32 v5, 7, v5
	v_cmp_eq_u16_e32 vcc, 0, v6
	v_cndmask_b32_e32 v3, v3, v5, vcc
	v_cndmask_b32_e32 v5, v7, v8, vcc
	v_mov_b32_e32 v6, 0x3b800000
	v_lshlrev_b32_e32 v3, 20, v3
	v_lshl_add_u32 v5, v5, 23, v6
	v_or3_b32 v3, v4, v5, v3
.LBB1_9984:
	s_or_b64 exec, exec, s[6:7]
	s_nop 0
	v_mfma_f32_16x16x4f32 a[0:3], v2, v3, a[0:3]
	s_movk_i32 s4, 0x7f
                                        ; implicit-def: $sgpr10
	s_nop 7
	s_nop 1
	flat_store_dwordx4 v[10:11], a[0:3] offset:336
	flat_load_dwordx4 v[12:15], v[0:1]
	s_nop 0
	flat_load_dwordx2 v[10:11], v[0:1] offset:16
	s_waitcnt vmcnt(0) lgkmcnt(0)
	flat_load_dwordx4 v[6:9], v[12:13] offset:144
	flat_load_dwordx4 v[2:5], v[14:15] offset:224
	s_waitcnt vmcnt(0) lgkmcnt(0)
	v_cmp_gt_i16_sdwa s[6:7], v6, s4 src0_sel:BYTE_0 src1_sel:DWORD
	s_mov_b64 s[4:5], 0
	s_and_saveexec_b64 s[8:9], s[6:7]
	s_xor_b64 s[6:7], exec, s[8:9]
	s_cbranch_execz .LBB1_9985
; %bb.45825:
	s_getpc_b64 s[14:15]
.Lpost_getpc8576:
	s_add_u32 s14, s14, (.LBB1_24321-.Lpost_getpc8576)&4294967295
	s_addc_u32 s15, s15, (.LBB1_24321-.Lpost_getpc8576)>>32
	s_setpc_b64 s[14:15]
.LBB1_9985:
	s_or_saveexec_b64 s[6:7], s[6:7]
	v_mov_b32_e32 v12, s10
	s_xor_b64 exec, exec, s[6:7]
	s_cbranch_execz .LBB1_9986
; %bb.45827:
	s_getpc_b64 s[14:15]
.Lpost_getpc8577:
	s_add_u32 s14, s14, (.LBB1_24324-.Lpost_getpc8577)&4294967295
	s_addc_u32 s15, s15, (.LBB1_24324-.Lpost_getpc8577)>>32
	s_setpc_b64 s[14:15]
.LBB1_9986:
	s_or_b64 exec, exec, s[6:7]
	s_and_saveexec_b64 s[6:7], s[4:5]
	s_cbranch_execz .LBB1_9988
.LBB1_9987:
	v_and_b32_e32 v12, 7, v6
	v_ffbh_u32_e32 v14, v12
	v_min_u32_e32 v14, 32, v14
	v_lshrrev_b16_e32 v13, 3, v6
	v_subrev_u32_e32 v15, 28, v14
	v_and_b32_e32 v13, 15, v13
	v_lshlrev_b32_e32 v15, v15, v6
	v_sub_u32_e32 v14, 29, v14
	v_and_b32_e32 v15, 7, v15
	v_cmp_eq_u16_e32 vcc, 0, v13
	v_cndmask_b32_e32 v12, v12, v15, vcc
	v_cndmask_b32_e32 v13, v13, v14, vcc
	v_lshlrev_b32_e32 v14, 24, v6
	v_mov_b32_e32 v15, 0x3b800000
	v_lshlrev_b32_e32 v12, 20, v12
	v_and_b32_e32 v14, 0x80000000, v14
	v_lshl_add_u32 v13, v13, 23, v15
	v_or3_b32 v12, v14, v13, v12
.LBB1_9988:
	s_or_b64 exec, exec, s[6:7]
	s_movk_i32 s4, 0x7f
	v_cmp_gt_i16_sdwa s[6:7], v2, s4 src0_sel:BYTE_0 src1_sel:DWORD
	s_mov_b64 s[4:5], 0
                                        ; implicit-def: $sgpr10
	s_and_saveexec_b64 s[8:9], s[6:7]
	s_xor_b64 s[6:7], exec, s[8:9]
	s_cbranch_execz .LBB1_9989
; %bb.45829:
	s_getpc_b64 s[14:15]
.Lpost_getpc8578:
	s_add_u32 s14, s14, (.LBB1_24325-.Lpost_getpc8578)&4294967295
	s_addc_u32 s15, s15, (.LBB1_24325-.Lpost_getpc8578)>>32
	s_setpc_b64 s[14:15]
.LBB1_9989:
	s_or_saveexec_b64 s[6:7], s[6:7]
	v_mov_b32_e32 v13, s10
	s_xor_b64 exec, exec, s[6:7]
	s_cbranch_execz .LBB1_9990
; %bb.45831:
	s_getpc_b64 s[14:15]
.Lpost_getpc8579:
	s_add_u32 s14, s14, (.LBB1_24328-.Lpost_getpc8579)&4294967295
	s_addc_u32 s15, s15, (.LBB1_24328-.Lpost_getpc8579)>>32
	s_setpc_b64 s[14:15]
.LBB1_9990:
	s_or_b64 exec, exec, s[6:7]
	s_and_saveexec_b64 s[6:7], s[4:5]
	s_cbranch_execz .LBB1_9992
.LBB1_9991:
	v_and_b32_e32 v13, 7, v2
	v_ffbh_u32_e32 v15, v13
	v_min_u32_e32 v15, 32, v15
	v_lshrrev_b16_e32 v14, 3, v2
	v_subrev_u32_e32 v16, 28, v15
	v_and_b32_e32 v14, 15, v14
	v_lshlrev_b32_e32 v16, v16, v2
	v_sub_u32_e32 v15, 29, v15
	v_and_b32_e32 v16, 7, v16
	v_cmp_eq_u16_e32 vcc, 0, v14
	v_cndmask_b32_e32 v13, v13, v16, vcc
	v_cndmask_b32_e32 v14, v14, v15, vcc
	v_lshlrev_b32_e32 v15, 24, v2
	v_mov_b32_e32 v16, 0x3b800000
	v_lshlrev_b32_e32 v13, 20, v13
	v_and_b32_e32 v15, 0x80000000, v15
	v_lshl_add_u32 v14, v14, 23, v16
	v_or3_b32 v13, v15, v14, v13
.LBB1_9992:
	s_or_b64 exec, exec, s[6:7]
	flat_load_dwordx4 a[0:3], v[10:11] offset:352
	s_movk_i32 s4, 0x7f
                                        ; implicit-def: $sgpr10
	s_waitcnt vmcnt(0) lgkmcnt(0)
	v_mfma_f32_16x16x4f32 a[0:3], v12, v13, a[0:3]
	v_lshrrev_b32_e32 v13, 8, v6
	v_cmp_gt_i16_sdwa s[6:7], v13, s4 src0_sel:BYTE_0 src1_sel:DWORD
	s_mov_b64 s[4:5], 0
	s_and_saveexec_b64 s[8:9], s[6:7]
	s_xor_b64 s[6:7], exec, s[8:9]
	s_cbranch_execz .LBB1_9993
; %bb.45833:
	s_getpc_b64 s[14:15]
.Lpost_getpc8580:
	s_add_u32 s14, s14, (.LBB1_24329-.Lpost_getpc8580)&4294967295
	s_addc_u32 s15, s15, (.LBB1_24329-.Lpost_getpc8580)>>32
	s_setpc_b64 s[14:15]
.LBB1_9993:
	s_or_saveexec_b64 s[6:7], s[6:7]
	v_mov_b32_e32 v12, s10
	s_xor_b64 exec, exec, s[6:7]
	s_cbranch_execz .LBB1_9994
; %bb.45835:
	s_getpc_b64 s[14:15]
.Lpost_getpc8581:
	s_add_u32 s14, s14, (.LBB1_24332-.Lpost_getpc8581)&4294967295
	s_addc_u32 s15, s15, (.LBB1_24332-.Lpost_getpc8581)>>32
	s_setpc_b64 s[14:15]
.LBB1_9994:
	s_or_b64 exec, exec, s[6:7]
	s_and_saveexec_b64 s[6:7], s[4:5]
	s_cbranch_execz .LBB1_9996
.LBB1_9995:
	v_bfe_u32 v12, v6, 8, 3
	v_ffbh_u32_e32 v15, v12
	v_min_u32_e32 v15, 32, v15
	v_lshrrev_b16_e32 v14, 3, v13
	v_subrev_u32_e32 v16, 28, v15
	v_and_b32_e32 v14, 15, v14
	v_lshlrev_b32_e32 v13, v16, v13
	v_sub_u32_e32 v15, 29, v15
	v_and_b32_e32 v13, 7, v13
	v_cmp_eq_u16_e32 vcc, 0, v14
	v_cndmask_b32_e32 v12, v12, v13, vcc
	v_cndmask_b32_e32 v13, v14, v15, vcc
	v_lshlrev_b32_e32 v14, 16, v6
	v_mov_b32_e32 v15, 0x3b800000
	v_lshlrev_b32_e32 v12, 20, v12
	v_and_b32_e32 v14, 0x80000000, v14
	v_lshl_add_u32 v13, v13, 23, v15
	v_or3_b32 v12, v14, v13, v12
.LBB1_9996:
	s_or_b64 exec, exec, s[6:7]
	v_lshrrev_b32_e32 v13, 8, v2
	s_movk_i32 s4, 0x7f
	v_cmp_gt_i16_sdwa s[6:7], v13, s4 src0_sel:BYTE_0 src1_sel:DWORD
	s_mov_b64 s[4:5], 0
                                        ; implicit-def: $sgpr10
	s_and_saveexec_b64 s[8:9], s[6:7]
	s_xor_b64 s[6:7], exec, s[8:9]
	s_cbranch_execz .LBB1_9997
; %bb.45837:
	s_getpc_b64 s[14:15]
.Lpost_getpc8582:
	s_add_u32 s14, s14, (.LBB1_24333-.Lpost_getpc8582)&4294967295
	s_addc_u32 s15, s15, (.LBB1_24333-.Lpost_getpc8582)>>32
	s_setpc_b64 s[14:15]
.LBB1_9997:
	s_or_saveexec_b64 s[6:7], s[6:7]
	v_mov_b32_e32 v14, s10
	s_xor_b64 exec, exec, s[6:7]
	s_cbranch_execz .LBB1_9998
; %bb.45839:
	s_getpc_b64 s[14:15]
.Lpost_getpc8583:
	s_add_u32 s14, s14, (.LBB1_24336-.Lpost_getpc8583)&4294967295
	s_addc_u32 s15, s15, (.LBB1_24336-.Lpost_getpc8583)>>32
	s_setpc_b64 s[14:15]
.LBB1_9998:
	s_or_b64 exec, exec, s[6:7]
	s_and_saveexec_b64 s[6:7], s[4:5]
	s_cbranch_execz .LBB1_10000
.LBB1_9999:
	v_bfe_u32 v14, v2, 8, 3
	v_ffbh_u32_e32 v16, v14
	v_min_u32_e32 v16, 32, v16
	v_lshrrev_b16_e32 v15, 3, v13
	v_subrev_u32_e32 v17, 28, v16
	v_and_b32_e32 v15, 15, v15
	v_lshlrev_b32_e32 v13, v17, v13
	v_sub_u32_e32 v16, 29, v16
	v_and_b32_e32 v13, 7, v13
	v_cmp_eq_u16_e32 vcc, 0, v15
	v_cndmask_b32_e32 v13, v14, v13, vcc
	v_cndmask_b32_e32 v14, v15, v16, vcc
	v_lshlrev_b32_e32 v15, 16, v2
	v_mov_b32_e32 v16, 0x3b800000
	v_lshlrev_b32_e32 v13, 20, v13
	v_and_b32_e32 v15, 0x80000000, v15
	v_lshl_add_u32 v14, v14, 23, v16
	v_or3_b32 v14, v15, v14, v13
.LBB1_10000:
	s_or_b64 exec, exec, s[6:7]
	s_nop 0
	v_mfma_f32_16x16x4f32 a[0:3], v12, v14, a[0:3]
	s_movk_i32 s4, 0xff
	v_and_b32_sdwa v13, v6, s4 dst_sel:DWORD dst_unused:UNUSED_PAD src0_sel:WORD_1 src1_sel:DWORD
	s_movk_i32 s4, 0x7f
	v_cmp_lt_i16_e32 vcc, s4, v13
	s_mov_b64 s[4:5], 0
                                        ; implicit-def: $sgpr10
	s_and_saveexec_b64 s[6:7], vcc
	s_xor_b64 s[6:7], exec, s[6:7]
	s_cbranch_execz .LBB1_10001
; %bb.45841:
	s_getpc_b64 s[14:15]
.Lpost_getpc8584:
	s_add_u32 s14, s14, (.LBB1_24337-.Lpost_getpc8584)&4294967295
	s_addc_u32 s15, s15, (.LBB1_24337-.Lpost_getpc8584)>>32
	s_setpc_b64 s[14:15]
.LBB1_10001:
	s_or_saveexec_b64 s[6:7], s[6:7]
	v_mov_b32_e32 v12, s10
	s_xor_b64 exec, exec, s[6:7]
	s_cbranch_execz .LBB1_10002
; %bb.45843:
	s_getpc_b64 s[14:15]
.Lpost_getpc8585:
	s_add_u32 s14, s14, (.LBB1_24340-.Lpost_getpc8585)&4294967295
	s_addc_u32 s15, s15, (.LBB1_24340-.Lpost_getpc8585)>>32
	s_setpc_b64 s[14:15]
.LBB1_10002:
	s_or_b64 exec, exec, s[6:7]
	s_and_saveexec_b64 s[6:7], s[4:5]
	s_cbranch_execz .LBB1_10004
.LBB1_10003:
	v_bfe_u32 v12, v6, 16, 3
	v_ffbh_u32_e32 v15, v12
	v_min_u32_e32 v15, 32, v15
	v_lshrrev_b32_e32 v13, 19, v6
	v_subrev_u32_e32 v16, 28, v15
	v_and_b32_e32 v13, 15, v13
	v_lshlrev_b32_sdwa v16, v16, v6 dst_sel:DWORD dst_unused:UNUSED_PAD src0_sel:DWORD src1_sel:WORD_1
	v_bfe_u32 v14, v6, 19, 4
	v_sub_u32_e32 v15, 29, v15
	v_and_b32_e32 v16, 7, v16
	v_cmp_eq_u16_e32 vcc, 0, v13
	v_cndmask_b32_e32 v12, v12, v16, vcc
	v_cndmask_b32_e32 v13, v14, v15, vcc
	v_lshlrev_b32_e32 v14, 8, v6
	v_mov_b32_e32 v15, 0x3b800000
	v_lshlrev_b32_e32 v12, 20, v12
	v_and_b32_e32 v14, 0x80000000, v14
	v_lshl_add_u32 v13, v13, 23, v15
	v_or3_b32 v12, v14, v13, v12
.LBB1_10004:
	s_or_b64 exec, exec, s[6:7]
	s_movk_i32 s4, 0xff
	v_and_b32_sdwa v13, v2, s4 dst_sel:DWORD dst_unused:UNUSED_PAD src0_sel:WORD_1 src1_sel:DWORD
	s_movk_i32 s4, 0x7f
	v_cmp_lt_i16_e32 vcc, s4, v13
	s_mov_b64 s[4:5], 0
                                        ; implicit-def: $sgpr10
	s_and_saveexec_b64 s[6:7], vcc
	s_xor_b64 s[6:7], exec, s[6:7]
	s_cbranch_execz .LBB1_10005
; %bb.45845:
	s_getpc_b64 s[14:15]
.Lpost_getpc8586:
	s_add_u32 s14, s14, (.LBB1_24341-.Lpost_getpc8586)&4294967295
	s_addc_u32 s15, s15, (.LBB1_24341-.Lpost_getpc8586)>>32
	s_setpc_b64 s[14:15]
.LBB1_10005:
	s_or_saveexec_b64 s[6:7], s[6:7]
	v_mov_b32_e32 v14, s10
	s_xor_b64 exec, exec, s[6:7]
	s_cbranch_execz .LBB1_10006
; %bb.45847:
	s_getpc_b64 s[14:15]
.Lpost_getpc8587:
	s_add_u32 s14, s14, (.LBB1_24344-.Lpost_getpc8587)&4294967295
	s_addc_u32 s15, s15, (.LBB1_24344-.Lpost_getpc8587)>>32
	s_setpc_b64 s[14:15]
.LBB1_10006:
	s_or_b64 exec, exec, s[6:7]
	s_and_saveexec_b64 s[6:7], s[4:5]
	s_cbranch_execz .LBB1_10008
.LBB1_10007:
	v_bfe_u32 v13, v2, 16, 3
	v_ffbh_u32_e32 v16, v13
	v_min_u32_e32 v16, 32, v16
	v_lshrrev_b32_e32 v14, 19, v2
	v_subrev_u32_e32 v17, 28, v16
	v_and_b32_e32 v14, 15, v14
	v_lshlrev_b32_sdwa v17, v17, v2 dst_sel:DWORD dst_unused:UNUSED_PAD src0_sel:DWORD src1_sel:WORD_1
	v_bfe_u32 v15, v2, 19, 4
	v_sub_u32_e32 v16, 29, v16
	v_and_b32_e32 v17, 7, v17
	v_cmp_eq_u16_e32 vcc, 0, v14
	v_cndmask_b32_e32 v13, v13, v17, vcc
	v_cndmask_b32_e32 v14, v15, v16, vcc
	v_lshlrev_b32_e32 v15, 8, v2
	v_mov_b32_e32 v16, 0x3b800000
	v_lshlrev_b32_e32 v13, 20, v13
	v_and_b32_e32 v15, 0x80000000, v15
	v_lshl_add_u32 v14, v14, 23, v16
	v_or3_b32 v14, v15, v14, v13
.LBB1_10008:
	s_or_b64 exec, exec, s[6:7]
	s_nop 0
	v_mfma_f32_16x16x4f32 a[0:3], v12, v14, a[0:3]
	s_movk_i32 s4, 0x7f
	v_cmp_gt_i16_sdwa s[6:7], v6, s4 src0_sel:BYTE_3 src1_sel:DWORD
	s_mov_b64 s[4:5], 0
                                        ; implicit-def: $sgpr10
	s_and_saveexec_b64 s[8:9], s[6:7]
	s_xor_b64 s[6:7], exec, s[8:9]
	s_cbranch_execz .LBB1_10009
; %bb.45849:
	s_getpc_b64 s[14:15]
.Lpost_getpc8588:
	s_add_u32 s14, s14, (.LBB1_24345-.Lpost_getpc8588)&4294967295
	s_addc_u32 s15, s15, (.LBB1_24345-.Lpost_getpc8588)>>32
	s_setpc_b64 s[14:15]
.LBB1_10009:
	s_or_saveexec_b64 s[6:7], s[6:7]
	v_mov_b32_e32 v12, s10
	s_xor_b64 exec, exec, s[6:7]
	s_cbranch_execz .LBB1_10010
; %bb.45851:
	s_getpc_b64 s[14:15]
.Lpost_getpc8589:
	s_add_u32 s14, s14, (.LBB1_24348-.Lpost_getpc8589)&4294967295
	s_addc_u32 s15, s15, (.LBB1_24348-.Lpost_getpc8589)>>32
	s_setpc_b64 s[14:15]
.LBB1_10010:
	s_or_b64 exec, exec, s[6:7]
	s_and_saveexec_b64 s[6:7], s[4:5]
	s_cbranch_execz .LBB1_10012
.LBB1_10011:
	v_bfe_u32 v12, v6, 24, 3
	v_ffbh_u32_e32 v16, v12
	v_min_u32_e32 v16, 32, v16
	v_lshrrev_b32_e32 v14, 27, v6
	v_subrev_u32_e32 v17, 28, v16
	v_and_b32_e32 v13, 0x80000000, v6
	v_and_b32_e32 v14, 15, v14
	v_bfe_u32 v15, v6, 27, 4
	v_lshlrev_b32_sdwa v6, v17, v6 dst_sel:DWORD dst_unused:UNUSED_PAD src0_sel:DWORD src1_sel:BYTE_3
	v_sub_u32_e32 v16, 29, v16
	v_and_b32_e32 v6, 7, v6
	v_cmp_eq_u16_e32 vcc, 0, v14
	v_cndmask_b32_e32 v6, v12, v6, vcc
	v_cndmask_b32_e32 v12, v15, v16, vcc
	v_mov_b32_e32 v14, 0x3b800000
	v_lshlrev_b32_e32 v6, 20, v6
	v_lshl_add_u32 v12, v12, 23, v14
	v_or3_b32 v12, v13, v12, v6
.LBB1_10012:
	s_or_b64 exec, exec, s[6:7]
	s_movk_i32 s4, 0x7f
	v_cmp_gt_i16_sdwa s[6:7], v2, s4 src0_sel:BYTE_3 src1_sel:DWORD
	s_mov_b64 s[4:5], 0
                                        ; implicit-def: $sgpr10
	s_and_saveexec_b64 s[8:9], s[6:7]
	s_xor_b64 s[6:7], exec, s[8:9]
	s_cbranch_execz .LBB1_10013
; %bb.45853:
	s_getpc_b64 s[14:15]
.Lpost_getpc8590:
	s_add_u32 s14, s14, (.LBB1_24349-.Lpost_getpc8590)&4294967295
	s_addc_u32 s15, s15, (.LBB1_24349-.Lpost_getpc8590)>>32
	s_setpc_b64 s[14:15]
.LBB1_10013:
	s_or_saveexec_b64 s[6:7], s[6:7]
	v_mov_b32_e32 v6, s10
	s_xor_b64 exec, exec, s[6:7]
	s_cbranch_execz .LBB1_10014
; %bb.45855:
	s_getpc_b64 s[14:15]
.Lpost_getpc8591:
	s_add_u32 s14, s14, (.LBB1_24352-.Lpost_getpc8591)&4294967295
	s_addc_u32 s15, s15, (.LBB1_24352-.Lpost_getpc8591)>>32
	s_setpc_b64 s[14:15]
.LBB1_10014:
	s_or_b64 exec, exec, s[6:7]
	s_and_saveexec_b64 s[6:7], s[4:5]
	s_cbranch_execz .LBB1_10016
.LBB1_10015:
	v_bfe_u32 v6, v2, 24, 3
	v_ffbh_u32_e32 v16, v6
	v_min_u32_e32 v16, 32, v16
	v_lshrrev_b32_e32 v14, 27, v2
	v_subrev_u32_e32 v17, 28, v16
	v_and_b32_e32 v13, 0x80000000, v2
	v_and_b32_e32 v14, 15, v14
	v_bfe_u32 v15, v2, 27, 4
	v_lshlrev_b32_sdwa v2, v17, v2 dst_sel:DWORD dst_unused:UNUSED_PAD src0_sel:DWORD src1_sel:BYTE_3
	v_sub_u32_e32 v16, 29, v16
	v_and_b32_e32 v2, 7, v2
	v_cmp_eq_u16_e32 vcc, 0, v14
	v_cndmask_b32_e32 v2, v6, v2, vcc
	v_cndmask_b32_e32 v6, v15, v16, vcc
	v_mov_b32_e32 v14, 0x3b800000
	v_lshlrev_b32_e32 v2, 20, v2
	v_lshl_add_u32 v6, v6, 23, v14
	v_or3_b32 v6, v13, v6, v2
.LBB1_10016:
	s_or_b64 exec, exec, s[6:7]
	s_nop 0
	v_mfma_f32_16x16x4f32 a[0:3], v12, v6, a[0:3]
	s_movk_i32 s4, 0x7f
	v_cmp_gt_i16_sdwa s[6:7], v7, s4 src0_sel:BYTE_0 src1_sel:DWORD
	s_mov_b64 s[4:5], 0
                                        ; implicit-def: $sgpr10
	s_and_saveexec_b64 s[8:9], s[6:7]
	s_xor_b64 s[6:7], exec, s[8:9]
	s_cbranch_execz .LBB1_10017
; %bb.45857:
	s_getpc_b64 s[14:15]
.Lpost_getpc8592:
	s_add_u32 s14, s14, (.LBB1_24353-.Lpost_getpc8592)&4294967295
	s_addc_u32 s15, s15, (.LBB1_24353-.Lpost_getpc8592)>>32
	s_setpc_b64 s[14:15]
.LBB1_10017:
	s_or_saveexec_b64 s[6:7], s[6:7]
	v_mov_b32_e32 v2, s10
	s_xor_b64 exec, exec, s[6:7]
	s_cbranch_execz .LBB1_10018
; %bb.45859:
	s_getpc_b64 s[14:15]
.Lpost_getpc8593:
	s_add_u32 s14, s14, (.LBB1_24356-.Lpost_getpc8593)&4294967295
	s_addc_u32 s15, s15, (.LBB1_24356-.Lpost_getpc8593)>>32
	s_setpc_b64 s[14:15]
.LBB1_10018:
	s_or_b64 exec, exec, s[6:7]
	s_and_saveexec_b64 s[6:7], s[4:5]
	s_cbranch_execz .LBB1_10020
.LBB1_10019:
	v_and_b32_e32 v2, 7, v7
	v_ffbh_u32_e32 v12, v2
	v_min_u32_e32 v12, 32, v12
	v_lshrrev_b16_e32 v6, 3, v7
	v_subrev_u32_e32 v13, 28, v12
	v_and_b32_e32 v6, 15, v6
	v_lshlrev_b32_e32 v13, v13, v7
	v_sub_u32_e32 v12, 29, v12
	v_and_b32_e32 v13, 7, v13
	v_cmp_eq_u16_e32 vcc, 0, v6
	v_cndmask_b32_e32 v2, v2, v13, vcc
	v_cndmask_b32_e32 v6, v6, v12, vcc
	v_lshlrev_b32_e32 v12, 24, v7
	v_mov_b32_e32 v13, 0x3b800000
	v_lshlrev_b32_e32 v2, 20, v2
	v_and_b32_e32 v12, 0x80000000, v12
	v_lshl_add_u32 v6, v6, 23, v13
	v_or3_b32 v2, v12, v6, v2
.LBB1_10020:
	s_or_b64 exec, exec, s[6:7]
	s_movk_i32 s4, 0x7f
	v_cmp_gt_i16_sdwa s[6:7], v3, s4 src0_sel:BYTE_0 src1_sel:DWORD
	s_mov_b64 s[4:5], 0
                                        ; implicit-def: $sgpr10
	s_and_saveexec_b64 s[8:9], s[6:7]
	s_xor_b64 s[6:7], exec, s[8:9]
	s_cbranch_execz .LBB1_10021
; %bb.45861:
	s_getpc_b64 s[14:15]
.Lpost_getpc8594:
	s_add_u32 s14, s14, (.LBB1_24357-.Lpost_getpc8594)&4294967295
	s_addc_u32 s15, s15, (.LBB1_24357-.Lpost_getpc8594)>>32
	s_setpc_b64 s[14:15]
.LBB1_10021:
	s_or_saveexec_b64 s[6:7], s[6:7]
	v_mov_b32_e32 v6, s10
	s_xor_b64 exec, exec, s[6:7]
	s_cbranch_execz .LBB1_10022
; %bb.45863:
	s_getpc_b64 s[14:15]
.Lpost_getpc8595:
	s_add_u32 s14, s14, (.LBB1_24360-.Lpost_getpc8595)&4294967295
	s_addc_u32 s15, s15, (.LBB1_24360-.Lpost_getpc8595)>>32
	s_setpc_b64 s[14:15]
.LBB1_10022:
	s_or_b64 exec, exec, s[6:7]
	s_and_saveexec_b64 s[6:7], s[4:5]
	s_cbranch_execz .LBB1_10024
.LBB1_10023:
	v_and_b32_e32 v6, 7, v3
	v_ffbh_u32_e32 v13, v6
	v_min_u32_e32 v13, 32, v13
	v_lshrrev_b16_e32 v12, 3, v3
	v_subrev_u32_e32 v14, 28, v13
	v_and_b32_e32 v12, 15, v12
	v_lshlrev_b32_e32 v14, v14, v3
	v_sub_u32_e32 v13, 29, v13
	v_and_b32_e32 v14, 7, v14
	v_cmp_eq_u16_e32 vcc, 0, v12
	v_cndmask_b32_e32 v6, v6, v14, vcc
	v_cndmask_b32_e32 v12, v12, v13, vcc
	v_lshlrev_b32_e32 v13, 24, v3
	v_mov_b32_e32 v14, 0x3b800000
	v_lshlrev_b32_e32 v6, 20, v6
	v_and_b32_e32 v13, 0x80000000, v13
	v_lshl_add_u32 v12, v12, 23, v14
	v_or3_b32 v6, v13, v12, v6
.LBB1_10024:
	s_or_b64 exec, exec, s[6:7]
	s_nop 0
	v_mfma_f32_16x16x4f32 a[0:3], v2, v6, a[0:3]
	v_lshrrev_b32_e32 v6, 8, v7
	s_movk_i32 s4, 0x7f
	v_cmp_gt_i16_sdwa s[6:7], v6, s4 src0_sel:BYTE_0 src1_sel:DWORD
	s_mov_b64 s[4:5], 0
                                        ; implicit-def: $sgpr10
	s_and_saveexec_b64 s[8:9], s[6:7]
	s_xor_b64 s[6:7], exec, s[8:9]
	s_cbranch_execz .LBB1_10025
; %bb.45865:
	s_getpc_b64 s[14:15]
.Lpost_getpc8596:
	s_add_u32 s14, s14, (.LBB1_24361-.Lpost_getpc8596)&4294967295
	s_addc_u32 s15, s15, (.LBB1_24361-.Lpost_getpc8596)>>32
	s_setpc_b64 s[14:15]
.LBB1_10025:
	s_or_saveexec_b64 s[6:7], s[6:7]
	v_mov_b32_e32 v2, s10
	s_xor_b64 exec, exec, s[6:7]
	s_cbranch_execz .LBB1_10026
; %bb.45867:
	s_getpc_b64 s[14:15]
.Lpost_getpc8597:
	s_add_u32 s14, s14, (.LBB1_24364-.Lpost_getpc8597)&4294967295
	s_addc_u32 s15, s15, (.LBB1_24364-.Lpost_getpc8597)>>32
	s_setpc_b64 s[14:15]
.LBB1_10026:
	s_or_b64 exec, exec, s[6:7]
	s_and_saveexec_b64 s[6:7], s[4:5]
	s_cbranch_execz .LBB1_10028
.LBB1_10027:
	v_bfe_u32 v2, v7, 8, 3
	v_ffbh_u32_e32 v13, v2
	v_min_u32_e32 v13, 32, v13
	v_lshrrev_b16_e32 v12, 3, v6
	v_subrev_u32_e32 v14, 28, v13
	v_and_b32_e32 v12, 15, v12
	v_lshlrev_b32_e32 v6, v14, v6
	v_sub_u32_e32 v13, 29, v13
	v_and_b32_e32 v6, 7, v6
	v_cmp_eq_u16_e32 vcc, 0, v12
	v_cndmask_b32_e32 v2, v2, v6, vcc
	v_cndmask_b32_e32 v6, v12, v13, vcc
	v_lshlrev_b32_e32 v12, 16, v7
	v_mov_b32_e32 v13, 0x3b800000
	v_lshlrev_b32_e32 v2, 20, v2
	v_and_b32_e32 v12, 0x80000000, v12
	v_lshl_add_u32 v6, v6, 23, v13
	v_or3_b32 v2, v12, v6, v2
.LBB1_10028:
	s_or_b64 exec, exec, s[6:7]
	v_lshrrev_b32_e32 v6, 8, v3
	s_movk_i32 s4, 0x7f
	v_cmp_gt_i16_sdwa s[6:7], v6, s4 src0_sel:BYTE_0 src1_sel:DWORD
	s_mov_b64 s[4:5], 0
                                        ; implicit-def: $sgpr10
	s_and_saveexec_b64 s[8:9], s[6:7]
	s_xor_b64 s[6:7], exec, s[8:9]
	s_cbranch_execz .LBB1_10029
; %bb.45869:
	s_getpc_b64 s[14:15]
.Lpost_getpc8598:
	s_add_u32 s14, s14, (.LBB1_24365-.Lpost_getpc8598)&4294967295
	s_addc_u32 s15, s15, (.LBB1_24365-.Lpost_getpc8598)>>32
	s_setpc_b64 s[14:15]
.LBB1_10029:
	s_or_saveexec_b64 s[6:7], s[6:7]
	v_mov_b32_e32 v12, s10
	s_xor_b64 exec, exec, s[6:7]
	s_cbranch_execz .LBB1_10030
; %bb.45871:
	s_getpc_b64 s[14:15]
.Lpost_getpc8599:
	s_add_u32 s14, s14, (.LBB1_24368-.Lpost_getpc8599)&4294967295
	s_addc_u32 s15, s15, (.LBB1_24368-.Lpost_getpc8599)>>32
	s_setpc_b64 s[14:15]
.LBB1_10030:
	s_or_b64 exec, exec, s[6:7]
	s_and_saveexec_b64 s[6:7], s[4:5]
	s_cbranch_execz .LBB1_10032
.LBB1_10031:
	v_bfe_u32 v12, v3, 8, 3
	v_ffbh_u32_e32 v14, v12
	v_min_u32_e32 v14, 32, v14
	v_lshrrev_b16_e32 v13, 3, v6
	v_subrev_u32_e32 v15, 28, v14
	v_and_b32_e32 v13, 15, v13
	v_lshlrev_b32_e32 v6, v15, v6
	v_sub_u32_e32 v14, 29, v14
	v_and_b32_e32 v6, 7, v6
	v_cmp_eq_u16_e32 vcc, 0, v13
	v_cndmask_b32_e32 v6, v12, v6, vcc
	v_cndmask_b32_e32 v12, v13, v14, vcc
	v_lshlrev_b32_e32 v13, 16, v3
	v_mov_b32_e32 v14, 0x3b800000
	v_lshlrev_b32_e32 v6, 20, v6
	v_and_b32_e32 v13, 0x80000000, v13
	v_lshl_add_u32 v12, v12, 23, v14
	v_or3_b32 v12, v13, v12, v6
.LBB1_10032:
	s_or_b64 exec, exec, s[6:7]
	s_nop 0
	v_mfma_f32_16x16x4f32 a[0:3], v2, v12, a[0:3]
	s_movk_i32 s4, 0xff
	v_and_b32_sdwa v6, v7, s4 dst_sel:DWORD dst_unused:UNUSED_PAD src0_sel:WORD_1 src1_sel:DWORD
	s_movk_i32 s4, 0x7f
	v_cmp_lt_i16_e32 vcc, s4, v6
	s_mov_b64 s[4:5], 0
                                        ; implicit-def: $sgpr10
	s_and_saveexec_b64 s[6:7], vcc
	s_xor_b64 s[6:7], exec, s[6:7]
	s_cbranch_execz .LBB1_10033
; %bb.45873:
	s_getpc_b64 s[14:15]
.Lpost_getpc8600:
	s_add_u32 s14, s14, (.LBB1_24369-.Lpost_getpc8600)&4294967295
	s_addc_u32 s15, s15, (.LBB1_24369-.Lpost_getpc8600)>>32
	s_setpc_b64 s[14:15]
.LBB1_10033:
	s_or_saveexec_b64 s[6:7], s[6:7]
	v_mov_b32_e32 v2, s10
	s_xor_b64 exec, exec, s[6:7]
	s_cbranch_execz .LBB1_10034
; %bb.45875:
	s_getpc_b64 s[14:15]
.Lpost_getpc8601:
	s_add_u32 s14, s14, (.LBB1_24372-.Lpost_getpc8601)&4294967295
	s_addc_u32 s15, s15, (.LBB1_24372-.Lpost_getpc8601)>>32
	s_setpc_b64 s[14:15]
.LBB1_10034:
	s_or_b64 exec, exec, s[6:7]
	s_and_saveexec_b64 s[6:7], s[4:5]
	s_cbranch_execz .LBB1_10036
.LBB1_10035:
	v_bfe_u32 v2, v7, 16, 3
	v_ffbh_u32_e32 v13, v2
	v_min_u32_e32 v13, 32, v13
	v_lshrrev_b32_e32 v6, 19, v7
	v_subrev_u32_e32 v14, 28, v13
	v_and_b32_e32 v6, 15, v6
	v_lshlrev_b32_sdwa v14, v14, v7 dst_sel:DWORD dst_unused:UNUSED_PAD src0_sel:DWORD src1_sel:WORD_1
	v_bfe_u32 v12, v7, 19, 4
	v_sub_u32_e32 v13, 29, v13
	v_and_b32_e32 v14, 7, v14
	v_cmp_eq_u16_e32 vcc, 0, v6
	v_cndmask_b32_e32 v2, v2, v14, vcc
	v_cndmask_b32_e32 v6, v12, v13, vcc
	v_lshlrev_b32_e32 v12, 8, v7
	v_mov_b32_e32 v13, 0x3b800000
	v_lshlrev_b32_e32 v2, 20, v2
	v_and_b32_e32 v12, 0x80000000, v12
	v_lshl_add_u32 v6, v6, 23, v13
	v_or3_b32 v2, v12, v6, v2
.LBB1_10036:
	s_or_b64 exec, exec, s[6:7]
	s_movk_i32 s4, 0xff
	v_and_b32_sdwa v6, v3, s4 dst_sel:DWORD dst_unused:UNUSED_PAD src0_sel:WORD_1 src1_sel:DWORD
	s_movk_i32 s4, 0x7f
	v_cmp_lt_i16_e32 vcc, s4, v6
	s_mov_b64 s[4:5], 0
                                        ; implicit-def: $sgpr10
	s_and_saveexec_b64 s[6:7], vcc
	s_xor_b64 s[6:7], exec, s[6:7]
	s_cbranch_execz .LBB1_10037
; %bb.45877:
	s_getpc_b64 s[14:15]
.Lpost_getpc8602:
	s_add_u32 s14, s14, (.LBB1_24373-.Lpost_getpc8602)&4294967295
	s_addc_u32 s15, s15, (.LBB1_24373-.Lpost_getpc8602)>>32
	s_setpc_b64 s[14:15]
.LBB1_10037:
	s_or_saveexec_b64 s[6:7], s[6:7]
	v_mov_b32_e32 v12, s10
	s_xor_b64 exec, exec, s[6:7]
	s_cbranch_execz .LBB1_10038
; %bb.45879:
	s_getpc_b64 s[14:15]
.Lpost_getpc8603:
	s_add_u32 s14, s14, (.LBB1_24376-.Lpost_getpc8603)&4294967295
	s_addc_u32 s15, s15, (.LBB1_24376-.Lpost_getpc8603)>>32
	s_setpc_b64 s[14:15]
.LBB1_10038:
	s_or_b64 exec, exec, s[6:7]
	s_and_saveexec_b64 s[6:7], s[4:5]
	s_cbranch_execz .LBB1_10040
.LBB1_10039:
	v_bfe_u32 v6, v3, 16, 3
	v_ffbh_u32_e32 v14, v6
	v_min_u32_e32 v14, 32, v14
	v_lshrrev_b32_e32 v12, 19, v3
	v_subrev_u32_e32 v15, 28, v14
	v_and_b32_e32 v12, 15, v12
	v_lshlrev_b32_sdwa v15, v15, v3 dst_sel:DWORD dst_unused:UNUSED_PAD src0_sel:DWORD src1_sel:WORD_1
	v_bfe_u32 v13, v3, 19, 4
	v_sub_u32_e32 v14, 29, v14
	v_and_b32_e32 v15, 7, v15
	v_cmp_eq_u16_e32 vcc, 0, v12
	v_cndmask_b32_e32 v6, v6, v15, vcc
	v_cndmask_b32_e32 v12, v13, v14, vcc
	v_lshlrev_b32_e32 v13, 8, v3
	v_mov_b32_e32 v14, 0x3b800000
	v_lshlrev_b32_e32 v6, 20, v6
	v_and_b32_e32 v13, 0x80000000, v13
	v_lshl_add_u32 v12, v12, 23, v14
	v_or3_b32 v12, v13, v12, v6
.LBB1_10040:
	s_or_b64 exec, exec, s[6:7]
	s_nop 0
	v_mfma_f32_16x16x4f32 a[0:3], v2, v12, a[0:3]
	s_movk_i32 s4, 0x7f
	v_cmp_gt_i16_sdwa s[6:7], v7, s4 src0_sel:BYTE_3 src1_sel:DWORD
	s_mov_b64 s[4:5], 0
                                        ; implicit-def: $sgpr10
	s_and_saveexec_b64 s[8:9], s[6:7]
	s_xor_b64 s[6:7], exec, s[8:9]
	s_cbranch_execz .LBB1_10041
; %bb.45881:
	s_getpc_b64 s[14:15]
.Lpost_getpc8604:
	s_add_u32 s14, s14, (.LBB1_24377-.Lpost_getpc8604)&4294967295
	s_addc_u32 s15, s15, (.LBB1_24377-.Lpost_getpc8604)>>32
	s_setpc_b64 s[14:15]
.LBB1_10041:
	s_or_saveexec_b64 s[6:7], s[6:7]
	v_mov_b32_e32 v2, s10
	s_xor_b64 exec, exec, s[6:7]
	s_cbranch_execz .LBB1_10042
; %bb.45883:
	s_getpc_b64 s[14:15]
.Lpost_getpc8605:
	s_add_u32 s14, s14, (.LBB1_24380-.Lpost_getpc8605)&4294967295
	s_addc_u32 s15, s15, (.LBB1_24380-.Lpost_getpc8605)>>32
	s_setpc_b64 s[14:15]
.LBB1_10042:
	s_or_b64 exec, exec, s[6:7]
	s_and_saveexec_b64 s[6:7], s[4:5]
	s_cbranch_execz .LBB1_10044
.LBB1_10043:
	v_bfe_u32 v2, v7, 24, 3
	v_ffbh_u32_e32 v14, v2
	v_min_u32_e32 v14, 32, v14
	v_lshrrev_b32_e32 v12, 27, v7
	v_subrev_u32_e32 v15, 28, v14
	v_and_b32_e32 v6, 0x80000000, v7
	v_and_b32_e32 v12, 15, v12
	v_bfe_u32 v13, v7, 27, 4
	v_lshlrev_b32_sdwa v7, v15, v7 dst_sel:DWORD dst_unused:UNUSED_PAD src0_sel:DWORD src1_sel:BYTE_3
	v_sub_u32_e32 v14, 29, v14
	v_and_b32_e32 v7, 7, v7
	v_cmp_eq_u16_e32 vcc, 0, v12
	v_cndmask_b32_e32 v2, v2, v7, vcc
	v_cndmask_b32_e32 v7, v13, v14, vcc
	v_mov_b32_e32 v12, 0x3b800000
	v_lshlrev_b32_e32 v2, 20, v2
	v_lshl_add_u32 v7, v7, 23, v12
	v_or3_b32 v2, v6, v7, v2
.LBB1_10044:
	s_or_b64 exec, exec, s[6:7]
	s_movk_i32 s4, 0x7f
	v_cmp_gt_i16_sdwa s[6:7], v3, s4 src0_sel:BYTE_3 src1_sel:DWORD
	s_mov_b64 s[4:5], 0
                                        ; implicit-def: $sgpr10
	s_and_saveexec_b64 s[8:9], s[6:7]
	s_xor_b64 s[6:7], exec, s[8:9]
	s_cbranch_execz .LBB1_10045
; %bb.45885:
	s_getpc_b64 s[14:15]
.Lpost_getpc8606:
	s_add_u32 s14, s14, (.LBB1_24381-.Lpost_getpc8606)&4294967295
	s_addc_u32 s15, s15, (.LBB1_24381-.Lpost_getpc8606)>>32
	s_setpc_b64 s[14:15]
.LBB1_10045:
	s_or_saveexec_b64 s[6:7], s[6:7]
	v_mov_b32_e32 v6, s10
	s_xor_b64 exec, exec, s[6:7]
	s_cbranch_execz .LBB1_10046
; %bb.45887:
	s_getpc_b64 s[14:15]
.Lpost_getpc8607:
	s_add_u32 s14, s14, (.LBB1_24384-.Lpost_getpc8607)&4294967295
	s_addc_u32 s15, s15, (.LBB1_24384-.Lpost_getpc8607)>>32
	s_setpc_b64 s[14:15]
.LBB1_10046:
	s_or_b64 exec, exec, s[6:7]
	s_and_saveexec_b64 s[6:7], s[4:5]
	s_cbranch_execz .LBB1_10048
.LBB1_10047:
	v_bfe_u32 v6, v3, 24, 3
	v_ffbh_u32_e32 v14, v6
	v_min_u32_e32 v14, 32, v14
	v_lshrrev_b32_e32 v12, 27, v3
	v_subrev_u32_e32 v15, 28, v14
	v_and_b32_e32 v7, 0x80000000, v3
	v_and_b32_e32 v12, 15, v12
	v_bfe_u32 v13, v3, 27, 4
	v_lshlrev_b32_sdwa v3, v15, v3 dst_sel:DWORD dst_unused:UNUSED_PAD src0_sel:DWORD src1_sel:BYTE_3
	v_sub_u32_e32 v14, 29, v14
	v_and_b32_e32 v3, 7, v3
	v_cmp_eq_u16_e32 vcc, 0, v12
	v_cndmask_b32_e32 v3, v6, v3, vcc
	v_cndmask_b32_e32 v6, v13, v14, vcc
	v_mov_b32_e32 v12, 0x3b800000
	v_lshlrev_b32_e32 v3, 20, v3
	v_lshl_add_u32 v6, v6, 23, v12
	v_or3_b32 v6, v7, v6, v3
.LBB1_10048:
	s_or_b64 exec, exec, s[6:7]
	s_nop 0
	v_mfma_f32_16x16x4f32 a[0:3], v2, v6, a[0:3]
	s_movk_i32 s4, 0x7f
	v_cmp_gt_i16_sdwa s[6:7], v8, s4 src0_sel:BYTE_0 src1_sel:DWORD
	s_mov_b64 s[4:5], 0
                                        ; implicit-def: $sgpr10
	s_and_saveexec_b64 s[8:9], s[6:7]
	s_xor_b64 s[6:7], exec, s[8:9]
	s_cbranch_execz .LBB1_10049
; %bb.45889:
	s_getpc_b64 s[14:15]
.Lpost_getpc8608:
	s_add_u32 s14, s14, (.LBB1_24385-.Lpost_getpc8608)&4294967295
	s_addc_u32 s15, s15, (.LBB1_24385-.Lpost_getpc8608)>>32
	s_setpc_b64 s[14:15]
.LBB1_10049:
	s_or_saveexec_b64 s[6:7], s[6:7]
	v_mov_b32_e32 v2, s10
	s_xor_b64 exec, exec, s[6:7]
	s_cbranch_execz .LBB1_10050
; %bb.45891:
	s_getpc_b64 s[14:15]
.Lpost_getpc8609:
	s_add_u32 s14, s14, (.LBB1_24388-.Lpost_getpc8609)&4294967295
	s_addc_u32 s15, s15, (.LBB1_24388-.Lpost_getpc8609)>>32
	s_setpc_b64 s[14:15]
.LBB1_10050:
	s_or_b64 exec, exec, s[6:7]
	s_and_saveexec_b64 s[6:7], s[4:5]
	s_cbranch_execz .LBB1_10052
.LBB1_10051:
	v_and_b32_e32 v2, 7, v8
	v_ffbh_u32_e32 v6, v2
	v_min_u32_e32 v6, 32, v6
	v_lshrrev_b16_e32 v3, 3, v8
	v_subrev_u32_e32 v7, 28, v6
	v_and_b32_e32 v3, 15, v3
	v_lshlrev_b32_e32 v7, v7, v8
	v_sub_u32_e32 v6, 29, v6
	v_and_b32_e32 v7, 7, v7
	v_cmp_eq_u16_e32 vcc, 0, v3
	v_cndmask_b32_e32 v2, v2, v7, vcc
	v_cndmask_b32_e32 v3, v3, v6, vcc
	v_lshlrev_b32_e32 v6, 24, v8
	v_mov_b32_e32 v7, 0x3b800000
	v_lshlrev_b32_e32 v2, 20, v2
	v_and_b32_e32 v6, 0x80000000, v6
	v_lshl_add_u32 v3, v3, 23, v7
	v_or3_b32 v2, v6, v3, v2
.LBB1_10052:
	s_or_b64 exec, exec, s[6:7]
	s_movk_i32 s4, 0x7f
	v_cmp_gt_i16_sdwa s[6:7], v4, s4 src0_sel:BYTE_0 src1_sel:DWORD
	s_mov_b64 s[4:5], 0
                                        ; implicit-def: $sgpr10
	s_and_saveexec_b64 s[8:9], s[6:7]
	s_xor_b64 s[6:7], exec, s[8:9]
	s_cbranch_execz .LBB1_10053
; %bb.45893:
	s_getpc_b64 s[14:15]
.Lpost_getpc8610:
	s_add_u32 s14, s14, (.LBB1_24389-.Lpost_getpc8610)&4294967295
	s_addc_u32 s15, s15, (.LBB1_24389-.Lpost_getpc8610)>>32
	s_setpc_b64 s[14:15]
.LBB1_10053:
	s_or_saveexec_b64 s[6:7], s[6:7]
	v_mov_b32_e32 v3, s10
	s_xor_b64 exec, exec, s[6:7]
	s_cbranch_execz .LBB1_10054
; %bb.45895:
	s_getpc_b64 s[14:15]
.Lpost_getpc8611:
	s_add_u32 s14, s14, (.LBB1_24392-.Lpost_getpc8611)&4294967295
	s_addc_u32 s15, s15, (.LBB1_24392-.Lpost_getpc8611)>>32
	s_setpc_b64 s[14:15]
.LBB1_10054:
	s_or_b64 exec, exec, s[6:7]
	s_and_saveexec_b64 s[6:7], s[4:5]
	s_cbranch_execz .LBB1_10056
.LBB1_10055:
	v_and_b32_e32 v3, 7, v4
	v_ffbh_u32_e32 v7, v3
	v_min_u32_e32 v7, 32, v7
	v_lshrrev_b16_e32 v6, 3, v4
	v_subrev_u32_e32 v12, 28, v7
	v_and_b32_e32 v6, 15, v6
	v_lshlrev_b32_e32 v12, v12, v4
	v_sub_u32_e32 v7, 29, v7
	v_and_b32_e32 v12, 7, v12
	v_cmp_eq_u16_e32 vcc, 0, v6
	v_cndmask_b32_e32 v3, v3, v12, vcc
	v_cndmask_b32_e32 v6, v6, v7, vcc
	v_lshlrev_b32_e32 v7, 24, v4
	v_mov_b32_e32 v12, 0x3b800000
	v_lshlrev_b32_e32 v3, 20, v3
	v_and_b32_e32 v7, 0x80000000, v7
	v_lshl_add_u32 v6, v6, 23, v12
	v_or3_b32 v3, v7, v6, v3
.LBB1_10056:
	s_or_b64 exec, exec, s[6:7]
	s_nop 0
	v_mfma_f32_16x16x4f32 a[0:3], v2, v3, a[0:3]
	v_lshrrev_b32_e32 v3, 8, v8
	s_movk_i32 s4, 0x7f
	v_cmp_gt_i16_sdwa s[6:7], v3, s4 src0_sel:BYTE_0 src1_sel:DWORD
	s_mov_b64 s[4:5], 0
                                        ; implicit-def: $sgpr10
	s_and_saveexec_b64 s[8:9], s[6:7]
	s_xor_b64 s[6:7], exec, s[8:9]
	s_cbranch_execz .LBB1_10057
; %bb.45897:
	s_getpc_b64 s[14:15]
.Lpost_getpc8612:
	s_add_u32 s14, s14, (.LBB1_24393-.Lpost_getpc8612)&4294967295
	s_addc_u32 s15, s15, (.LBB1_24393-.Lpost_getpc8612)>>32
	s_setpc_b64 s[14:15]
.LBB1_10057:
	s_or_saveexec_b64 s[6:7], s[6:7]
	v_mov_b32_e32 v2, s10
	s_xor_b64 exec, exec, s[6:7]
	s_cbranch_execz .LBB1_10058
; %bb.45899:
	s_getpc_b64 s[14:15]
.Lpost_getpc8613:
	s_add_u32 s14, s14, (.LBB1_24396-.Lpost_getpc8613)&4294967295
	s_addc_u32 s15, s15, (.LBB1_24396-.Lpost_getpc8613)>>32
	s_setpc_b64 s[14:15]
.LBB1_10058:
	s_or_b64 exec, exec, s[6:7]
	s_and_saveexec_b64 s[6:7], s[4:5]
	s_cbranch_execz .LBB1_10060
.LBB1_10059:
	v_bfe_u32 v2, v8, 8, 3
	v_ffbh_u32_e32 v7, v2
	v_min_u32_e32 v7, 32, v7
	v_lshrrev_b16_e32 v6, 3, v3
	v_subrev_u32_e32 v12, 28, v7
	v_and_b32_e32 v6, 15, v6
	v_lshlrev_b32_e32 v3, v12, v3
	v_sub_u32_e32 v7, 29, v7
	v_and_b32_e32 v3, 7, v3
	v_cmp_eq_u16_e32 vcc, 0, v6
	v_cndmask_b32_e32 v2, v2, v3, vcc
	v_cndmask_b32_e32 v3, v6, v7, vcc
	v_lshlrev_b32_e32 v6, 16, v8
	v_mov_b32_e32 v7, 0x3b800000
	v_lshlrev_b32_e32 v2, 20, v2
	v_and_b32_e32 v6, 0x80000000, v6
	v_lshl_add_u32 v3, v3, 23, v7
	v_or3_b32 v2, v6, v3, v2
.LBB1_10060:
	s_or_b64 exec, exec, s[6:7]
	v_lshrrev_b32_e32 v3, 8, v4
	s_movk_i32 s4, 0x7f
	v_cmp_gt_i16_sdwa s[6:7], v3, s4 src0_sel:BYTE_0 src1_sel:DWORD
	s_mov_b64 s[4:5], 0
                                        ; implicit-def: $sgpr10
	s_and_saveexec_b64 s[8:9], s[6:7]
	s_xor_b64 s[6:7], exec, s[8:9]
	s_cbranch_execz .LBB1_10061
; %bb.45901:
	s_getpc_b64 s[14:15]
.Lpost_getpc8614:
	s_add_u32 s14, s14, (.LBB1_24397-.Lpost_getpc8614)&4294967295
	s_addc_u32 s15, s15, (.LBB1_24397-.Lpost_getpc8614)>>32
	s_setpc_b64 s[14:15]
.LBB1_10061:
	s_or_saveexec_b64 s[6:7], s[6:7]
	v_mov_b32_e32 v6, s10
	s_xor_b64 exec, exec, s[6:7]
	s_cbranch_execz .LBB1_10062
; %bb.45903:
	s_getpc_b64 s[14:15]
.Lpost_getpc8615:
	s_add_u32 s14, s14, (.LBB1_24400-.Lpost_getpc8615)&4294967295
	s_addc_u32 s15, s15, (.LBB1_24400-.Lpost_getpc8615)>>32
	s_setpc_b64 s[14:15]
.LBB1_10062:
	s_or_b64 exec, exec, s[6:7]
	s_and_saveexec_b64 s[6:7], s[4:5]
	s_cbranch_execz .LBB1_10064
.LBB1_10063:
	v_bfe_u32 v6, v4, 8, 3
	v_ffbh_u32_e32 v12, v6
	v_min_u32_e32 v12, 32, v12
	v_lshrrev_b16_e32 v7, 3, v3
	v_subrev_u32_e32 v13, 28, v12
	v_and_b32_e32 v7, 15, v7
	v_lshlrev_b32_e32 v3, v13, v3
	v_sub_u32_e32 v12, 29, v12
	v_and_b32_e32 v3, 7, v3
	v_cmp_eq_u16_e32 vcc, 0, v7
	v_cndmask_b32_e32 v3, v6, v3, vcc
	v_cndmask_b32_e32 v6, v7, v12, vcc
	v_lshlrev_b32_e32 v7, 16, v4
	v_mov_b32_e32 v12, 0x3b800000
	v_lshlrev_b32_e32 v3, 20, v3
	v_and_b32_e32 v7, 0x80000000, v7
	v_lshl_add_u32 v6, v6, 23, v12
	v_or3_b32 v6, v7, v6, v3
.LBB1_10064:
	s_or_b64 exec, exec, s[6:7]
	s_nop 0
	v_mfma_f32_16x16x4f32 a[0:3], v2, v6, a[0:3]
	s_movk_i32 s4, 0xff
	v_and_b32_sdwa v3, v8, s4 dst_sel:DWORD dst_unused:UNUSED_PAD src0_sel:WORD_1 src1_sel:DWORD
	s_movk_i32 s4, 0x7f
	v_cmp_lt_i16_e32 vcc, s4, v3
	s_mov_b64 s[4:5], 0
                                        ; implicit-def: $sgpr10
	s_and_saveexec_b64 s[6:7], vcc
	s_xor_b64 s[6:7], exec, s[6:7]
	s_cbranch_execz .LBB1_10065
; %bb.45905:
	s_getpc_b64 s[14:15]
.Lpost_getpc8616:
	s_add_u32 s14, s14, (.LBB1_24401-.Lpost_getpc8616)&4294967295
	s_addc_u32 s15, s15, (.LBB1_24401-.Lpost_getpc8616)>>32
	s_setpc_b64 s[14:15]
.LBB1_10065:
	s_or_saveexec_b64 s[6:7], s[6:7]
	v_mov_b32_e32 v2, s10
	s_xor_b64 exec, exec, s[6:7]
	s_cbranch_execz .LBB1_10066
; %bb.45907:
	s_getpc_b64 s[14:15]
.Lpost_getpc8617:
	s_add_u32 s14, s14, (.LBB1_24404-.Lpost_getpc8617)&4294967295
	s_addc_u32 s15, s15, (.LBB1_24404-.Lpost_getpc8617)>>32
	s_setpc_b64 s[14:15]
.LBB1_10066:
	s_or_b64 exec, exec, s[6:7]
	s_and_saveexec_b64 s[6:7], s[4:5]
	s_cbranch_execz .LBB1_10068
.LBB1_10067:
	v_bfe_u32 v2, v8, 16, 3
	v_ffbh_u32_e32 v7, v2
	v_min_u32_e32 v7, 32, v7
	v_lshrrev_b32_e32 v3, 19, v8
	v_subrev_u32_e32 v12, 28, v7
	v_and_b32_e32 v3, 15, v3
	v_lshlrev_b32_sdwa v12, v12, v8 dst_sel:DWORD dst_unused:UNUSED_PAD src0_sel:DWORD src1_sel:WORD_1
	v_bfe_u32 v6, v8, 19, 4
	v_sub_u32_e32 v7, 29, v7
	v_and_b32_e32 v12, 7, v12
	v_cmp_eq_u16_e32 vcc, 0, v3
	v_cndmask_b32_e32 v2, v2, v12, vcc
	v_cndmask_b32_e32 v3, v6, v7, vcc
	v_lshlrev_b32_e32 v6, 8, v8
	v_mov_b32_e32 v7, 0x3b800000
	v_lshlrev_b32_e32 v2, 20, v2
	v_and_b32_e32 v6, 0x80000000, v6
	v_lshl_add_u32 v3, v3, 23, v7
	v_or3_b32 v2, v6, v3, v2
.LBB1_10068:
	s_or_b64 exec, exec, s[6:7]
	s_movk_i32 s4, 0xff
	v_and_b32_sdwa v3, v4, s4 dst_sel:DWORD dst_unused:UNUSED_PAD src0_sel:WORD_1 src1_sel:DWORD
	s_movk_i32 s4, 0x7f
	v_cmp_lt_i16_e32 vcc, s4, v3
	s_mov_b64 s[4:5], 0
                                        ; implicit-def: $sgpr10
	s_and_saveexec_b64 s[6:7], vcc
	s_xor_b64 s[6:7], exec, s[6:7]
	s_cbranch_execz .LBB1_10069
; %bb.45909:
	s_getpc_b64 s[14:15]
.Lpost_getpc8618:
	s_add_u32 s14, s14, (.LBB1_24405-.Lpost_getpc8618)&4294967295
	s_addc_u32 s15, s15, (.LBB1_24405-.Lpost_getpc8618)>>32
	s_setpc_b64 s[14:15]
.LBB1_10069:
	s_or_saveexec_b64 s[6:7], s[6:7]
	v_mov_b32_e32 v6, s10
	s_xor_b64 exec, exec, s[6:7]
	s_cbranch_execz .LBB1_10070
; %bb.45911:
	s_getpc_b64 s[14:15]
.Lpost_getpc8619:
	s_add_u32 s14, s14, (.LBB1_24408-.Lpost_getpc8619)&4294967295
	s_addc_u32 s15, s15, (.LBB1_24408-.Lpost_getpc8619)>>32
	s_setpc_b64 s[14:15]
.LBB1_10070:
	s_or_b64 exec, exec, s[6:7]
	s_and_saveexec_b64 s[6:7], s[4:5]
	s_cbranch_execz .LBB1_10072
.LBB1_10071:
	v_bfe_u32 v3, v4, 16, 3
	v_ffbh_u32_e32 v12, v3
	v_min_u32_e32 v12, 32, v12
	v_lshrrev_b32_e32 v6, 19, v4
	v_subrev_u32_e32 v13, 28, v12
	v_and_b32_e32 v6, 15, v6
	v_lshlrev_b32_sdwa v13, v13, v4 dst_sel:DWORD dst_unused:UNUSED_PAD src0_sel:DWORD src1_sel:WORD_1
	v_bfe_u32 v7, v4, 19, 4
	v_sub_u32_e32 v12, 29, v12
	v_and_b32_e32 v13, 7, v13
	v_cmp_eq_u16_e32 vcc, 0, v6
	v_cndmask_b32_e32 v3, v3, v13, vcc
	v_cndmask_b32_e32 v6, v7, v12, vcc
	v_lshlrev_b32_e32 v7, 8, v4
	v_mov_b32_e32 v12, 0x3b800000
	v_lshlrev_b32_e32 v3, 20, v3
	v_and_b32_e32 v7, 0x80000000, v7
	v_lshl_add_u32 v6, v6, 23, v12
	v_or3_b32 v6, v7, v6, v3
.LBB1_10072:
	s_or_b64 exec, exec, s[6:7]
	s_nop 0
	v_mfma_f32_16x16x4f32 a[0:3], v2, v6, a[0:3]
	s_movk_i32 s4, 0x7f
	v_cmp_gt_i16_sdwa s[6:7], v8, s4 src0_sel:BYTE_3 src1_sel:DWORD
	s_mov_b64 s[4:5], 0
                                        ; implicit-def: $sgpr10
	s_and_saveexec_b64 s[8:9], s[6:7]
	s_xor_b64 s[6:7], exec, s[8:9]
	s_cbranch_execz .LBB1_10073
; %bb.45913:
	s_getpc_b64 s[14:15]
.Lpost_getpc8620:
	s_add_u32 s14, s14, (.LBB1_24409-.Lpost_getpc8620)&4294967295
	s_addc_u32 s15, s15, (.LBB1_24409-.Lpost_getpc8620)>>32
	s_setpc_b64 s[14:15]
.LBB1_10073:
	s_or_saveexec_b64 s[6:7], s[6:7]
	v_mov_b32_e32 v2, s10
	s_xor_b64 exec, exec, s[6:7]
	s_cbranch_execz .LBB1_10074
; %bb.45915:
	s_getpc_b64 s[14:15]
.Lpost_getpc8621:
	s_add_u32 s14, s14, (.LBB1_24412-.Lpost_getpc8621)&4294967295
	s_addc_u32 s15, s15, (.LBB1_24412-.Lpost_getpc8621)>>32
	s_setpc_b64 s[14:15]
.LBB1_10074:
	s_or_b64 exec, exec, s[6:7]
	s_and_saveexec_b64 s[6:7], s[4:5]
	s_cbranch_execz .LBB1_10076
.LBB1_10075:
	v_bfe_u32 v2, v8, 24, 3
	v_ffbh_u32_e32 v12, v2
	v_min_u32_e32 v12, 32, v12
	v_lshrrev_b32_e32 v6, 27, v8
	v_subrev_u32_e32 v13, 28, v12
	v_and_b32_e32 v3, 0x80000000, v8
	v_and_b32_e32 v6, 15, v6
	v_bfe_u32 v7, v8, 27, 4
	v_lshlrev_b32_sdwa v8, v13, v8 dst_sel:DWORD dst_unused:UNUSED_PAD src0_sel:DWORD src1_sel:BYTE_3
	v_sub_u32_e32 v12, 29, v12
	v_and_b32_e32 v8, 7, v8
	v_cmp_eq_u16_e32 vcc, 0, v6
	v_cndmask_b32_e32 v2, v2, v8, vcc
	v_cndmask_b32_e32 v6, v7, v12, vcc
	v_mov_b32_e32 v7, 0x3b800000
	v_lshlrev_b32_e32 v2, 20, v2
	v_lshl_add_u32 v6, v6, 23, v7
	v_or3_b32 v2, v3, v6, v2
.LBB1_10076:
	s_or_b64 exec, exec, s[6:7]
	s_movk_i32 s4, 0x7f
	v_cmp_gt_i16_sdwa s[6:7], v4, s4 src0_sel:BYTE_3 src1_sel:DWORD
	s_mov_b64 s[4:5], 0
                                        ; implicit-def: $sgpr10
	s_and_saveexec_b64 s[8:9], s[6:7]
	s_xor_b64 s[6:7], exec, s[8:9]
	s_cbranch_execz .LBB1_10077
; %bb.45917:
	s_getpc_b64 s[14:15]
.Lpost_getpc8622:
	s_add_u32 s14, s14, (.LBB1_24413-.Lpost_getpc8622)&4294967295
	s_addc_u32 s15, s15, (.LBB1_24413-.Lpost_getpc8622)>>32
	s_setpc_b64 s[14:15]
.LBB1_10077:
	s_or_saveexec_b64 s[6:7], s[6:7]
	v_mov_b32_e32 v3, s10
	s_xor_b64 exec, exec, s[6:7]
	s_cbranch_execz .LBB1_10078
; %bb.45919:
	s_getpc_b64 s[14:15]
.Lpost_getpc8623:
	s_add_u32 s14, s14, (.LBB1_24416-.Lpost_getpc8623)&4294967295
	s_addc_u32 s15, s15, (.LBB1_24416-.Lpost_getpc8623)>>32
	s_setpc_b64 s[14:15]
.LBB1_10078:
	s_or_b64 exec, exec, s[6:7]
	s_and_saveexec_b64 s[6:7], s[4:5]
	s_cbranch_execz .LBB1_10080
.LBB1_10079:
	v_bfe_u32 v3, v4, 24, 3
	v_ffbh_u32_e32 v12, v3
	v_min_u32_e32 v12, 32, v12
	v_lshrrev_b32_e32 v7, 27, v4
	v_subrev_u32_e32 v13, 28, v12
	v_and_b32_e32 v6, 0x80000000, v4
	v_and_b32_e32 v7, 15, v7
	v_bfe_u32 v8, v4, 27, 4
	v_lshlrev_b32_sdwa v4, v13, v4 dst_sel:DWORD dst_unused:UNUSED_PAD src0_sel:DWORD src1_sel:BYTE_3
	v_sub_u32_e32 v12, 29, v12
	v_and_b32_e32 v4, 7, v4
	v_cmp_eq_u16_e32 vcc, 0, v7
	v_cndmask_b32_e32 v3, v3, v4, vcc
	v_cndmask_b32_e32 v4, v8, v12, vcc
	v_mov_b32_e32 v7, 0x3b800000
	v_lshlrev_b32_e32 v3, 20, v3
	v_lshl_add_u32 v4, v4, 23, v7
	v_or3_b32 v3, v6, v4, v3
.LBB1_10080:
	s_or_b64 exec, exec, s[6:7]
	s_nop 0
	v_mfma_f32_16x16x4f32 a[0:3], v2, v3, a[0:3]
	s_movk_i32 s4, 0x7f
	v_cmp_gt_i16_sdwa s[6:7], v9, s4 src0_sel:BYTE_0 src1_sel:DWORD
	s_mov_b64 s[4:5], 0
                                        ; implicit-def: $sgpr10
	s_and_saveexec_b64 s[8:9], s[6:7]
	s_xor_b64 s[6:7], exec, s[8:9]
	s_cbranch_execz .LBB1_10081
; %bb.45921:
	s_getpc_b64 s[14:15]
.Lpost_getpc8624:
	s_add_u32 s14, s14, (.LBB1_24417-.Lpost_getpc8624)&4294967295
	s_addc_u32 s15, s15, (.LBB1_24417-.Lpost_getpc8624)>>32
	s_setpc_b64 s[14:15]
.LBB1_10081:
	s_or_saveexec_b64 s[6:7], s[6:7]
	v_mov_b32_e32 v2, s10
	s_xor_b64 exec, exec, s[6:7]
	s_cbranch_execz .LBB1_10082
; %bb.45923:
	s_getpc_b64 s[14:15]
.Lpost_getpc8625:
	s_add_u32 s14, s14, (.LBB1_24420-.Lpost_getpc8625)&4294967295
	s_addc_u32 s15, s15, (.LBB1_24420-.Lpost_getpc8625)>>32
	s_setpc_b64 s[14:15]
.LBB1_10082:
	s_or_b64 exec, exec, s[6:7]
	s_and_saveexec_b64 s[6:7], s[4:5]
	s_cbranch_execz .LBB1_10084
.LBB1_10083:
	v_mov_b32_e32 v2, 8
	v_and_b32_e32 v3, 7, v9
	v_lshrrev_b32_sdwa v2, v2, v9 dst_sel:BYTE_1 dst_unused:UNUSED_PAD src0_sel:DWORD src1_sel:DWORD
	v_ffbh_u32_e32 v4, v3
	v_or_b32_sdwa v2, v9, v2 dst_sel:DWORD dst_unused:UNUSED_PAD src0_sel:BYTE_0 src1_sel:DWORD
	v_min_u32_e32 v4, 32, v4
	v_lshrrev_b16_e32 v2, 3, v2
	v_subrev_u32_e32 v6, 28, v4
	v_and_b32_e32 v2, 15, v2
	v_lshlrev_b32_e32 v6, v6, v9
	v_sub_u32_e32 v4, 29, v4
	v_and_b32_e32 v6, 7, v6
	v_cmp_eq_u16_e32 vcc, 0, v2
	v_cndmask_b32_e32 v3, v3, v6, vcc
	v_cndmask_b32_e32 v2, v2, v4, vcc
	v_lshlrev_b32_e32 v4, 24, v9
	v_mov_b32_e32 v6, 0x3b800000
	v_lshlrev_b32_e32 v3, 20, v3
	v_and_b32_e32 v4, 0x80000000, v4
	v_lshl_add_u32 v2, v2, 23, v6
	v_or3_b32 v2, v4, v2, v3
.LBB1_10084:
	s_or_b64 exec, exec, s[6:7]
	s_movk_i32 s4, 0x7f
	v_cmp_gt_i16_sdwa s[6:7], v5, s4 src0_sel:BYTE_0 src1_sel:DWORD
	s_mov_b64 s[4:5], 0
                                        ; implicit-def: $sgpr10
	s_and_saveexec_b64 s[8:9], s[6:7]
	s_xor_b64 s[6:7], exec, s[8:9]
	s_cbranch_execz .LBB1_10085
; %bb.45925:
	s_getpc_b64 s[14:15]
.Lpost_getpc8626:
	s_add_u32 s14, s14, (.LBB1_24421-.Lpost_getpc8626)&4294967295
	s_addc_u32 s15, s15, (.LBB1_24421-.Lpost_getpc8626)>>32
	s_setpc_b64 s[14:15]
.LBB1_10085:
	s_or_saveexec_b64 s[6:7], s[6:7]
	v_mov_b32_e32 v3, s10
	s_xor_b64 exec, exec, s[6:7]
	s_cbranch_execz .LBB1_10086
; %bb.45927:
	s_getpc_b64 s[14:15]
.Lpost_getpc8627:
	s_add_u32 s14, s14, (.LBB1_24424-.Lpost_getpc8627)&4294967295
	s_addc_u32 s15, s15, (.LBB1_24424-.Lpost_getpc8627)>>32
	s_setpc_b64 s[14:15]
.LBB1_10086:
	s_or_b64 exec, exec, s[6:7]
	s_and_saveexec_b64 s[6:7], s[4:5]
	s_cbranch_execz .LBB1_10088
.LBB1_10087:
	v_mov_b32_e32 v3, 8
	v_and_b32_e32 v4, 7, v5
	v_lshrrev_b32_sdwa v3, v3, v5 dst_sel:BYTE_1 dst_unused:UNUSED_PAD src0_sel:DWORD src1_sel:DWORD
	v_ffbh_u32_e32 v6, v4
	v_or_b32_sdwa v3, v5, v3 dst_sel:DWORD dst_unused:UNUSED_PAD src0_sel:BYTE_0 src1_sel:DWORD
	v_min_u32_e32 v6, 32, v6
	v_lshrrev_b16_e32 v3, 3, v3
	v_subrev_u32_e32 v7, 28, v6
	v_and_b32_e32 v3, 15, v3
	v_lshlrev_b32_e32 v7, v7, v5
	v_sub_u32_e32 v6, 29, v6
	v_and_b32_e32 v7, 7, v7
	v_cmp_eq_u16_e32 vcc, 0, v3
	v_cndmask_b32_e32 v4, v4, v7, vcc
	v_cndmask_b32_e32 v3, v3, v6, vcc
	v_lshlrev_b32_e32 v6, 24, v5
	v_mov_b32_e32 v7, 0x3b800000
	v_lshlrev_b32_e32 v4, 20, v4
	v_and_b32_e32 v6, 0x80000000, v6
	v_lshl_add_u32 v3, v3, 23, v7
	v_or3_b32 v3, v6, v3, v4
.LBB1_10088:
	s_or_b64 exec, exec, s[6:7]
	s_nop 0
	v_mfma_f32_16x16x4f32 a[0:3], v2, v3, a[0:3]
	v_lshrrev_b32_e32 v3, 8, v9
	s_movk_i32 s4, 0x7f
	v_cmp_gt_i16_sdwa s[6:7], v3, s4 src0_sel:BYTE_0 src1_sel:DWORD
	s_mov_b64 s[4:5], 0
                                        ; implicit-def: $sgpr10
	s_and_saveexec_b64 s[8:9], s[6:7]
	s_xor_b64 s[6:7], exec, s[8:9]
	s_cbranch_execz .LBB1_10089
; %bb.45929:
	s_getpc_b64 s[14:15]
.Lpost_getpc8628:
	s_add_u32 s14, s14, (.LBB1_24425-.Lpost_getpc8628)&4294967295
	s_addc_u32 s15, s15, (.LBB1_24425-.Lpost_getpc8628)>>32
	s_setpc_b64 s[14:15]
.LBB1_10089:
	s_or_saveexec_b64 s[6:7], s[6:7]
	v_mov_b32_e32 v2, s10
	s_xor_b64 exec, exec, s[6:7]
	s_cbranch_execz .LBB1_10090
; %bb.45931:
	s_getpc_b64 s[14:15]
.Lpost_getpc8629:
	s_add_u32 s14, s14, (.LBB1_24428-.Lpost_getpc8629)&4294967295
	s_addc_u32 s15, s15, (.LBB1_24428-.Lpost_getpc8629)>>32
	s_setpc_b64 s[14:15]
.LBB1_10090:
	s_or_b64 exec, exec, s[6:7]
	s_and_saveexec_b64 s[6:7], s[4:5]
	s_cbranch_execz .LBB1_10092
.LBB1_10091:
	v_bfe_u32 v2, v9, 8, 3
	v_ffbh_u32_e32 v6, v2
	v_min_u32_e32 v6, 32, v6
	v_lshrrev_b16_e32 v4, 3, v3
	v_subrev_u32_e32 v7, 28, v6
	v_and_b32_e32 v4, 15, v4
	v_lshlrev_b32_e32 v3, v7, v3
	v_sub_u32_e32 v6, 29, v6
	v_and_b32_e32 v3, 7, v3
	v_cmp_eq_u16_e32 vcc, 0, v4
	v_cndmask_b32_e32 v2, v2, v3, vcc
	v_cndmask_b32_e32 v3, v4, v6, vcc
	v_lshlrev_b32_e32 v4, 16, v9
	v_mov_b32_e32 v6, 0x3b800000
	v_lshlrev_b32_e32 v2, 20, v2
	v_and_b32_e32 v4, 0x80000000, v4
	v_lshl_add_u32 v3, v3, 23, v6
	v_or3_b32 v2, v4, v3, v2
.LBB1_10092:
	s_or_b64 exec, exec, s[6:7]
	v_lshrrev_b32_e32 v3, 8, v5
	s_movk_i32 s4, 0x7f
	v_cmp_gt_i16_sdwa s[6:7], v3, s4 src0_sel:BYTE_0 src1_sel:DWORD
	s_mov_b64 s[4:5], 0
                                        ; implicit-def: $sgpr10
	s_and_saveexec_b64 s[8:9], s[6:7]
	s_xor_b64 s[6:7], exec, s[8:9]
	s_cbranch_execz .LBB1_10093
; %bb.45933:
	s_getpc_b64 s[14:15]
.Lpost_getpc8630:
	s_add_u32 s14, s14, (.LBB1_24429-.Lpost_getpc8630)&4294967295
	s_addc_u32 s15, s15, (.LBB1_24429-.Lpost_getpc8630)>>32
	s_setpc_b64 s[14:15]
.LBB1_10093:
	s_or_saveexec_b64 s[6:7], s[6:7]
	v_mov_b32_e32 v4, s10
	s_xor_b64 exec, exec, s[6:7]
	s_cbranch_execz .LBB1_10094
; %bb.45935:
	s_getpc_b64 s[14:15]
.Lpost_getpc8631:
	s_add_u32 s14, s14, (.LBB1_24432-.Lpost_getpc8631)&4294967295
	s_addc_u32 s15, s15, (.LBB1_24432-.Lpost_getpc8631)>>32
	s_setpc_b64 s[14:15]
.LBB1_10094:
	s_or_b64 exec, exec, s[6:7]
	s_and_saveexec_b64 s[6:7], s[4:5]
	s_cbranch_execz .LBB1_10096
.LBB1_10095:
	v_bfe_u32 v4, v5, 8, 3
	v_ffbh_u32_e32 v7, v4
	v_min_u32_e32 v7, 32, v7
	v_lshrrev_b16_e32 v6, 3, v3
	v_subrev_u32_e32 v8, 28, v7
	v_and_b32_e32 v6, 15, v6
	v_lshlrev_b32_e32 v3, v8, v3
	v_sub_u32_e32 v7, 29, v7
	v_and_b32_e32 v3, 7, v3
	v_cmp_eq_u16_e32 vcc, 0, v6
	v_cndmask_b32_e32 v3, v4, v3, vcc
	v_cndmask_b32_e32 v4, v6, v7, vcc
	v_lshlrev_b32_e32 v6, 16, v5
	v_mov_b32_e32 v7, 0x3b800000
	v_lshlrev_b32_e32 v3, 20, v3
	v_and_b32_e32 v6, 0x80000000, v6
	v_lshl_add_u32 v4, v4, 23, v7
	v_or3_b32 v4, v6, v4, v3
.LBB1_10096:
	s_or_b64 exec, exec, s[6:7]
	s_nop 0
	v_mfma_f32_16x16x4f32 a[0:3], v2, v4, a[0:3]
	s_movk_i32 s4, 0xff
	v_and_b32_sdwa v3, v9, s4 dst_sel:DWORD dst_unused:UNUSED_PAD src0_sel:WORD_1 src1_sel:DWORD
	s_movk_i32 s4, 0x7f
	v_cmp_lt_i16_e32 vcc, s4, v3
	s_mov_b64 s[4:5], 0
                                        ; implicit-def: $sgpr10
	s_and_saveexec_b64 s[6:7], vcc
	s_xor_b64 s[6:7], exec, s[6:7]
	s_cbranch_execz .LBB1_10097
; %bb.45937:
	s_getpc_b64 s[14:15]
.Lpost_getpc8632:
	s_add_u32 s14, s14, (.LBB1_24433-.Lpost_getpc8632)&4294967295
	s_addc_u32 s15, s15, (.LBB1_24433-.Lpost_getpc8632)>>32
	s_setpc_b64 s[14:15]
.LBB1_10097:
	s_or_saveexec_b64 s[6:7], s[6:7]
	v_mov_b32_e32 v2, s10
	s_xor_b64 exec, exec, s[6:7]
	s_cbranch_execz .LBB1_10098
; %bb.45939:
	s_getpc_b64 s[14:15]
.Lpost_getpc8633:
	s_add_u32 s14, s14, (.LBB1_24436-.Lpost_getpc8633)&4294967295
	s_addc_u32 s15, s15, (.LBB1_24436-.Lpost_getpc8633)>>32
	s_setpc_b64 s[14:15]
.LBB1_10098:
	s_or_b64 exec, exec, s[6:7]
	s_and_saveexec_b64 s[6:7], s[4:5]
	s_cbranch_execz .LBB1_10100
.LBB1_10099:
	v_bfe_u32 v2, v9, 16, 3
	v_ffbh_u32_e32 v6, v2
	v_min_u32_e32 v6, 32, v6
	v_lshrrev_b32_e32 v3, 19, v9
	v_subrev_u32_e32 v7, 28, v6
	v_and_b32_e32 v3, 15, v3
	v_lshlrev_b32_sdwa v7, v7, v9 dst_sel:DWORD dst_unused:UNUSED_PAD src0_sel:DWORD src1_sel:WORD_1
	v_bfe_u32 v4, v9, 19, 4
	v_sub_u32_e32 v6, 29, v6
	v_and_b32_e32 v7, 7, v7
	v_cmp_eq_u16_e32 vcc, 0, v3
	v_cndmask_b32_e32 v2, v2, v7, vcc
	v_cndmask_b32_e32 v3, v4, v6, vcc
	v_lshlrev_b32_e32 v4, 8, v9
	v_mov_b32_e32 v6, 0x3b800000
	v_lshlrev_b32_e32 v2, 20, v2
	v_and_b32_e32 v4, 0x80000000, v4
	v_lshl_add_u32 v3, v3, 23, v6
	v_or3_b32 v2, v4, v3, v2
.LBB1_10100:
	s_or_b64 exec, exec, s[6:7]
	s_movk_i32 s4, 0xff
	v_and_b32_sdwa v3, v5, s4 dst_sel:DWORD dst_unused:UNUSED_PAD src0_sel:WORD_1 src1_sel:DWORD
	s_movk_i32 s4, 0x7f
	v_cmp_lt_i16_e32 vcc, s4, v3
	s_mov_b64 s[4:5], 0
                                        ; implicit-def: $sgpr10
	s_and_saveexec_b64 s[6:7], vcc
	s_xor_b64 s[6:7], exec, s[6:7]
	s_cbranch_execz .LBB1_10101
; %bb.45941:
	s_getpc_b64 s[14:15]
.Lpost_getpc8634:
	s_add_u32 s14, s14, (.LBB1_24437-.Lpost_getpc8634)&4294967295
	s_addc_u32 s15, s15, (.LBB1_24437-.Lpost_getpc8634)>>32
	s_setpc_b64 s[14:15]
.LBB1_10101:
	s_or_saveexec_b64 s[6:7], s[6:7]
	v_mov_b32_e32 v4, s10
	s_xor_b64 exec, exec, s[6:7]
	s_cbranch_execz .LBB1_10102
; %bb.45943:
	s_getpc_b64 s[14:15]
.Lpost_getpc8635:
	s_add_u32 s14, s14, (.LBB1_24440-.Lpost_getpc8635)&4294967295
	s_addc_u32 s15, s15, (.LBB1_24440-.Lpost_getpc8635)>>32
	s_setpc_b64 s[14:15]
.LBB1_10102:
	s_or_b64 exec, exec, s[6:7]
	s_and_saveexec_b64 s[6:7], s[4:5]
	s_cbranch_execz .LBB1_10104
.LBB1_10103:
	v_bfe_u32 v3, v5, 16, 3
	v_ffbh_u32_e32 v7, v3
	v_min_u32_e32 v7, 32, v7
	v_lshrrev_b32_e32 v4, 19, v5
	v_subrev_u32_e32 v8, 28, v7
	v_and_b32_e32 v4, 15, v4
	v_lshlrev_b32_sdwa v8, v8, v5 dst_sel:DWORD dst_unused:UNUSED_PAD src0_sel:DWORD src1_sel:WORD_1
	v_bfe_u32 v6, v5, 19, 4
	v_sub_u32_e32 v7, 29, v7
	v_and_b32_e32 v8, 7, v8
	v_cmp_eq_u16_e32 vcc, 0, v4
	v_cndmask_b32_e32 v3, v3, v8, vcc
	v_cndmask_b32_e32 v4, v6, v7, vcc
	v_lshlrev_b32_e32 v6, 8, v5
	v_mov_b32_e32 v7, 0x3b800000
	v_lshlrev_b32_e32 v3, 20, v3
	v_and_b32_e32 v6, 0x80000000, v6
	v_lshl_add_u32 v4, v4, 23, v7
	v_or3_b32 v4, v6, v4, v3
.LBB1_10104:
	s_or_b64 exec, exec, s[6:7]
	s_nop 0
	v_mfma_f32_16x16x4f32 a[0:3], v2, v4, a[0:3]
	s_movk_i32 s4, 0x7f
	v_cmp_gt_i16_sdwa s[6:7], v9, s4 src0_sel:BYTE_3 src1_sel:DWORD
	s_mov_b64 s[4:5], 0
                                        ; implicit-def: $sgpr10
	s_and_saveexec_b64 s[8:9], s[6:7]
	s_xor_b64 s[6:7], exec, s[8:9]
	s_cbranch_execz .LBB1_10105
; %bb.45945:
	s_getpc_b64 s[14:15]
.Lpost_getpc8636:
	s_add_u32 s14, s14, (.LBB1_24441-.Lpost_getpc8636)&4294967295
	s_addc_u32 s15, s15, (.LBB1_24441-.Lpost_getpc8636)>>32
	s_setpc_b64 s[14:15]
.LBB1_10105:
	s_or_saveexec_b64 s[6:7], s[6:7]
	v_mov_b32_e32 v2, s10
	s_xor_b64 exec, exec, s[6:7]
	s_cbranch_execz .LBB1_10106
; %bb.45947:
	s_getpc_b64 s[14:15]
.Lpost_getpc8637:
	s_add_u32 s14, s14, (.LBB1_24444-.Lpost_getpc8637)&4294967295
	s_addc_u32 s15, s15, (.LBB1_24444-.Lpost_getpc8637)>>32
	s_setpc_b64 s[14:15]
.LBB1_10106:
	s_or_b64 exec, exec, s[6:7]
	s_and_saveexec_b64 s[6:7], s[4:5]
	s_cbranch_execz .LBB1_10108
.LBB1_10107:
	v_bfe_u32 v2, v9, 24, 3
	v_ffbh_u32_e32 v7, v2
	v_min_u32_e32 v7, 32, v7
	v_lshrrev_b32_e32 v4, 27, v9
	v_subrev_u32_e32 v8, 28, v7
	v_and_b32_e32 v4, 15, v4
	v_lshlrev_b32_sdwa v8, v8, v9 dst_sel:DWORD dst_unused:UNUSED_PAD src0_sel:DWORD src1_sel:BYTE_3
	v_bfe_u32 v6, v9, 27, 4
	v_sub_u32_e32 v7, 29, v7
	v_and_b32_e32 v8, 7, v8
	v_cmp_eq_u16_e32 vcc, 0, v4
	v_cndmask_b32_e32 v2, v2, v8, vcc
	v_cndmask_b32_e32 v4, v6, v7, vcc
	v_mov_b32_e32 v6, 0x3b800000
	v_and_b32_e32 v3, 0x80000000, v9
	v_lshlrev_b32_e32 v2, 20, v2
	v_lshl_add_u32 v4, v4, 23, v6
	v_or3_b32 v2, v3, v4, v2
.LBB1_10108:
	s_or_b64 exec, exec, s[6:7]
	s_movk_i32 s4, 0x7f
	v_cmp_gt_i16_sdwa s[6:7], v5, s4 src0_sel:BYTE_3 src1_sel:DWORD
	s_mov_b64 s[4:5], 0
                                        ; implicit-def: $sgpr10
	s_and_saveexec_b64 s[8:9], s[6:7]
	s_xor_b64 s[6:7], exec, s[8:9]
	s_cbranch_execz .LBB1_10109
; %bb.45949:
	s_getpc_b64 s[14:15]
.Lpost_getpc8638:
	s_add_u32 s14, s14, (.LBB1_24445-.Lpost_getpc8638)&4294967295
	s_addc_u32 s15, s15, (.LBB1_24445-.Lpost_getpc8638)>>32
	s_setpc_b64 s[14:15]
.LBB1_10109:
	s_or_saveexec_b64 s[6:7], s[6:7]
	v_mov_b32_e32 v3, s10
	s_xor_b64 exec, exec, s[6:7]
	s_cbranch_execz .LBB1_10110
; %bb.45951:
	s_getpc_b64 s[14:15]
.Lpost_getpc8639:
	s_add_u32 s14, s14, (.LBB1_24448-.Lpost_getpc8639)&4294967295
	s_addc_u32 s15, s15, (.LBB1_24448-.Lpost_getpc8639)>>32
	s_setpc_b64 s[14:15]
.LBB1_10110:
	s_or_b64 exec, exec, s[6:7]
	s_and_saveexec_b64 s[6:7], s[4:5]
	s_cbranch_execz .LBB1_10112
.LBB1_10111:
	v_bfe_u32 v3, v5, 24, 3
	v_ffbh_u32_e32 v8, v3
	v_min_u32_e32 v8, 32, v8
	v_lshrrev_b32_e32 v6, 27, v5
	v_subrev_u32_e32 v9, 28, v8
	v_and_b32_e32 v4, 0x80000000, v5
	v_and_b32_e32 v6, 15, v6
	v_bfe_u32 v7, v5, 27, 4
	v_lshlrev_b32_sdwa v5, v9, v5 dst_sel:DWORD dst_unused:UNUSED_PAD src0_sel:DWORD src1_sel:BYTE_3
	v_sub_u32_e32 v8, 29, v8
	v_and_b32_e32 v5, 7, v5
	v_cmp_eq_u16_e32 vcc, 0, v6
	v_cndmask_b32_e32 v3, v3, v5, vcc
	v_cndmask_b32_e32 v5, v7, v8, vcc
	v_mov_b32_e32 v6, 0x3b800000
	v_lshlrev_b32_e32 v3, 20, v3
	v_lshl_add_u32 v5, v5, 23, v6
	v_or3_b32 v3, v4, v5, v3
.LBB1_10112:
	s_or_b64 exec, exec, s[6:7]
	s_nop 0
	v_mfma_f32_16x16x4f32 a[0:3], v2, v3, a[0:3]
	s_movk_i32 s4, 0x7f
                                        ; implicit-def: $sgpr10
	s_nop 7
	s_nop 1
	flat_store_dwordx4 v[10:11], a[0:3] offset:352
	flat_load_dwordx4 v[12:15], v[0:1]
	s_nop 0
	flat_load_dwordx2 v[10:11], v[0:1] offset:16
	s_waitcnt vmcnt(0) lgkmcnt(0)
	flat_load_dwordx4 v[6:9], v[12:13] offset:144
	flat_load_dwordx4 v[2:5], v[14:15] offset:240
	s_waitcnt vmcnt(0) lgkmcnt(0)
	v_cmp_gt_i16_sdwa s[6:7], v6, s4 src0_sel:BYTE_0 src1_sel:DWORD
	s_mov_b64 s[4:5], 0
	s_and_saveexec_b64 s[8:9], s[6:7]
	s_xor_b64 s[6:7], exec, s[8:9]
	s_cbranch_execz .LBB1_10113
; %bb.45953:
	s_getpc_b64 s[14:15]
.Lpost_getpc8640:
	s_add_u32 s14, s14, (.LBB1_24449-.Lpost_getpc8640)&4294967295
	s_addc_u32 s15, s15, (.LBB1_24449-.Lpost_getpc8640)>>32
	s_setpc_b64 s[14:15]
.LBB1_10113:
	s_or_saveexec_b64 s[6:7], s[6:7]
	v_mov_b32_e32 v12, s10
	s_xor_b64 exec, exec, s[6:7]
	s_cbranch_execz .LBB1_10114
; %bb.45955:
	s_getpc_b64 s[14:15]
.Lpost_getpc8641:
	s_add_u32 s14, s14, (.LBB1_24452-.Lpost_getpc8641)&4294967295
	s_addc_u32 s15, s15, (.LBB1_24452-.Lpost_getpc8641)>>32
	s_setpc_b64 s[14:15]
.LBB1_10114:
	s_or_b64 exec, exec, s[6:7]
	s_and_saveexec_b64 s[6:7], s[4:5]
	s_cbranch_execz .LBB1_10116
.LBB1_10115:
	v_and_b32_e32 v12, 7, v6
	v_ffbh_u32_e32 v14, v12
	v_min_u32_e32 v14, 32, v14
	v_lshrrev_b16_e32 v13, 3, v6
	v_subrev_u32_e32 v15, 28, v14
	v_and_b32_e32 v13, 15, v13
	v_lshlrev_b32_e32 v15, v15, v6
	v_sub_u32_e32 v14, 29, v14
	v_and_b32_e32 v15, 7, v15
	v_cmp_eq_u16_e32 vcc, 0, v13
	v_cndmask_b32_e32 v12, v12, v15, vcc
	v_cndmask_b32_e32 v13, v13, v14, vcc
	v_lshlrev_b32_e32 v14, 24, v6
	v_mov_b32_e32 v15, 0x3b800000
	v_lshlrev_b32_e32 v12, 20, v12
	v_and_b32_e32 v14, 0x80000000, v14
	v_lshl_add_u32 v13, v13, 23, v15
	v_or3_b32 v12, v14, v13, v12
.LBB1_10116:
	s_or_b64 exec, exec, s[6:7]
	s_movk_i32 s4, 0x7f
	v_cmp_gt_i16_sdwa s[6:7], v2, s4 src0_sel:BYTE_0 src1_sel:DWORD
	s_mov_b64 s[4:5], 0
                                        ; implicit-def: $sgpr10
	s_and_saveexec_b64 s[8:9], s[6:7]
	s_xor_b64 s[6:7], exec, s[8:9]
	s_cbranch_execz .LBB1_10117
; %bb.45957:
	s_getpc_b64 s[14:15]
.Lpost_getpc8642:
	s_add_u32 s14, s14, (.LBB1_24453-.Lpost_getpc8642)&4294967295
	s_addc_u32 s15, s15, (.LBB1_24453-.Lpost_getpc8642)>>32
	s_setpc_b64 s[14:15]
.LBB1_10117:
	s_or_saveexec_b64 s[6:7], s[6:7]
	v_mov_b32_e32 v13, s10
	s_xor_b64 exec, exec, s[6:7]
	s_cbranch_execz .LBB1_10118
; %bb.45959:
	s_getpc_b64 s[14:15]
.Lpost_getpc8643:
	s_add_u32 s14, s14, (.LBB1_24456-.Lpost_getpc8643)&4294967295
	s_addc_u32 s15, s15, (.LBB1_24456-.Lpost_getpc8643)>>32
	s_setpc_b64 s[14:15]
.LBB1_10118:
	s_or_b64 exec, exec, s[6:7]
	s_and_saveexec_b64 s[6:7], s[4:5]
	s_cbranch_execz .LBB1_10120
.LBB1_10119:
	v_and_b32_e32 v13, 7, v2
	v_ffbh_u32_e32 v15, v13
	v_min_u32_e32 v15, 32, v15
	v_lshrrev_b16_e32 v14, 3, v2
	v_subrev_u32_e32 v16, 28, v15
	v_and_b32_e32 v14, 15, v14
	v_lshlrev_b32_e32 v16, v16, v2
	v_sub_u32_e32 v15, 29, v15
	v_and_b32_e32 v16, 7, v16
	v_cmp_eq_u16_e32 vcc, 0, v14
	v_cndmask_b32_e32 v13, v13, v16, vcc
	v_cndmask_b32_e32 v14, v14, v15, vcc
	v_lshlrev_b32_e32 v15, 24, v2
	v_mov_b32_e32 v16, 0x3b800000
	v_lshlrev_b32_e32 v13, 20, v13
	v_and_b32_e32 v15, 0x80000000, v15
	v_lshl_add_u32 v14, v14, 23, v16
	v_or3_b32 v13, v15, v14, v13
.LBB1_10120:
	s_or_b64 exec, exec, s[6:7]
	flat_load_dwordx4 a[0:3], v[10:11] offset:368
	s_movk_i32 s4, 0x7f
                                        ; implicit-def: $sgpr10
	s_waitcnt vmcnt(0) lgkmcnt(0)
	v_mfma_f32_16x16x4f32 a[0:3], v12, v13, a[0:3]
	v_lshrrev_b32_e32 v13, 8, v6
	v_cmp_gt_i16_sdwa s[6:7], v13, s4 src0_sel:BYTE_0 src1_sel:DWORD
	s_mov_b64 s[4:5], 0
	s_and_saveexec_b64 s[8:9], s[6:7]
	s_xor_b64 s[6:7], exec, s[8:9]
	s_cbranch_execz .LBB1_10121
; %bb.45961:
	s_getpc_b64 s[14:15]
.Lpost_getpc8644:
	s_add_u32 s14, s14, (.LBB1_24457-.Lpost_getpc8644)&4294967295
	s_addc_u32 s15, s15, (.LBB1_24457-.Lpost_getpc8644)>>32
	s_setpc_b64 s[14:15]
.LBB1_10121:
	s_or_saveexec_b64 s[6:7], s[6:7]
	v_mov_b32_e32 v12, s10
	s_xor_b64 exec, exec, s[6:7]
	s_cbranch_execz .LBB1_10122
; %bb.45963:
	s_getpc_b64 s[14:15]
.Lpost_getpc8645:
	s_add_u32 s14, s14, (.LBB1_24460-.Lpost_getpc8645)&4294967295
	s_addc_u32 s15, s15, (.LBB1_24460-.Lpost_getpc8645)>>32
	s_setpc_b64 s[14:15]
.LBB1_10122:
	s_or_b64 exec, exec, s[6:7]
	s_and_saveexec_b64 s[6:7], s[4:5]
	s_cbranch_execz .LBB1_10124
.LBB1_10123:
	v_bfe_u32 v12, v6, 8, 3
	v_ffbh_u32_e32 v15, v12
	v_min_u32_e32 v15, 32, v15
	v_lshrrev_b16_e32 v14, 3, v13
	v_subrev_u32_e32 v16, 28, v15
	v_and_b32_e32 v14, 15, v14
	v_lshlrev_b32_e32 v13, v16, v13
	v_sub_u32_e32 v15, 29, v15
	v_and_b32_e32 v13, 7, v13
	v_cmp_eq_u16_e32 vcc, 0, v14
	v_cndmask_b32_e32 v12, v12, v13, vcc
	v_cndmask_b32_e32 v13, v14, v15, vcc
	v_lshlrev_b32_e32 v14, 16, v6
	v_mov_b32_e32 v15, 0x3b800000
	v_lshlrev_b32_e32 v12, 20, v12
	v_and_b32_e32 v14, 0x80000000, v14
	v_lshl_add_u32 v13, v13, 23, v15
	v_or3_b32 v12, v14, v13, v12
.LBB1_10124:
	s_or_b64 exec, exec, s[6:7]
	v_lshrrev_b32_e32 v13, 8, v2
	s_movk_i32 s4, 0x7f
	v_cmp_gt_i16_sdwa s[6:7], v13, s4 src0_sel:BYTE_0 src1_sel:DWORD
	s_mov_b64 s[4:5], 0
                                        ; implicit-def: $sgpr10
	s_and_saveexec_b64 s[8:9], s[6:7]
	s_xor_b64 s[6:7], exec, s[8:9]
	s_cbranch_execz .LBB1_10125
; %bb.45965:
	s_getpc_b64 s[14:15]
.Lpost_getpc8646:
	s_add_u32 s14, s14, (.LBB1_24461-.Lpost_getpc8646)&4294967295
	s_addc_u32 s15, s15, (.LBB1_24461-.Lpost_getpc8646)>>32
	s_setpc_b64 s[14:15]
.LBB1_10125:
	s_or_saveexec_b64 s[6:7], s[6:7]
	v_mov_b32_e32 v14, s10
	s_xor_b64 exec, exec, s[6:7]
	s_cbranch_execz .LBB1_10126
; %bb.45967:
	s_getpc_b64 s[14:15]
.Lpost_getpc8647:
	s_add_u32 s14, s14, (.LBB1_24464-.Lpost_getpc8647)&4294967295
	s_addc_u32 s15, s15, (.LBB1_24464-.Lpost_getpc8647)>>32
	s_setpc_b64 s[14:15]
.LBB1_10126:
	s_or_b64 exec, exec, s[6:7]
	s_and_saveexec_b64 s[6:7], s[4:5]
	s_cbranch_execz .LBB1_10128
.LBB1_10127:
	v_bfe_u32 v14, v2, 8, 3
	v_ffbh_u32_e32 v16, v14
	v_min_u32_e32 v16, 32, v16
	v_lshrrev_b16_e32 v15, 3, v13
	v_subrev_u32_e32 v17, 28, v16
	v_and_b32_e32 v15, 15, v15
	v_lshlrev_b32_e32 v13, v17, v13
	v_sub_u32_e32 v16, 29, v16
	v_and_b32_e32 v13, 7, v13
	v_cmp_eq_u16_e32 vcc, 0, v15
	v_cndmask_b32_e32 v13, v14, v13, vcc
	v_cndmask_b32_e32 v14, v15, v16, vcc
	v_lshlrev_b32_e32 v15, 16, v2
	v_mov_b32_e32 v16, 0x3b800000
	v_lshlrev_b32_e32 v13, 20, v13
	v_and_b32_e32 v15, 0x80000000, v15
	v_lshl_add_u32 v14, v14, 23, v16
	v_or3_b32 v14, v15, v14, v13
.LBB1_10128:
	s_or_b64 exec, exec, s[6:7]
	s_nop 0
	v_mfma_f32_16x16x4f32 a[0:3], v12, v14, a[0:3]
	s_movk_i32 s4, 0xff
	v_and_b32_sdwa v13, v6, s4 dst_sel:DWORD dst_unused:UNUSED_PAD src0_sel:WORD_1 src1_sel:DWORD
	s_movk_i32 s4, 0x7f
	v_cmp_lt_i16_e32 vcc, s4, v13
	s_mov_b64 s[4:5], 0
                                        ; implicit-def: $sgpr10
	s_and_saveexec_b64 s[6:7], vcc
	s_xor_b64 s[6:7], exec, s[6:7]
	s_cbranch_execz .LBB1_10129
; %bb.45969:
	s_getpc_b64 s[14:15]
.Lpost_getpc8648:
	s_add_u32 s14, s14, (.LBB1_24465-.Lpost_getpc8648)&4294967295
	s_addc_u32 s15, s15, (.LBB1_24465-.Lpost_getpc8648)>>32
	s_setpc_b64 s[14:15]
.LBB1_10129:
	s_or_saveexec_b64 s[6:7], s[6:7]
	v_mov_b32_e32 v12, s10
	s_xor_b64 exec, exec, s[6:7]
	s_cbranch_execz .LBB1_10130
; %bb.45971:
	s_getpc_b64 s[14:15]
.Lpost_getpc8649:
	s_add_u32 s14, s14, (.LBB1_24468-.Lpost_getpc8649)&4294967295
	s_addc_u32 s15, s15, (.LBB1_24468-.Lpost_getpc8649)>>32
	s_setpc_b64 s[14:15]
.LBB1_10130:
	s_or_b64 exec, exec, s[6:7]
	s_and_saveexec_b64 s[6:7], s[4:5]
	s_cbranch_execz .LBB1_10132
.LBB1_10131:
	v_bfe_u32 v12, v6, 16, 3
	v_ffbh_u32_e32 v15, v12
	v_min_u32_e32 v15, 32, v15
	v_lshrrev_b32_e32 v13, 19, v6
	v_subrev_u32_e32 v16, 28, v15
	v_and_b32_e32 v13, 15, v13
	v_lshlrev_b32_sdwa v16, v16, v6 dst_sel:DWORD dst_unused:UNUSED_PAD src0_sel:DWORD src1_sel:WORD_1
	v_bfe_u32 v14, v6, 19, 4
	v_sub_u32_e32 v15, 29, v15
	v_and_b32_e32 v16, 7, v16
	v_cmp_eq_u16_e32 vcc, 0, v13
	v_cndmask_b32_e32 v12, v12, v16, vcc
	v_cndmask_b32_e32 v13, v14, v15, vcc
	v_lshlrev_b32_e32 v14, 8, v6
	v_mov_b32_e32 v15, 0x3b800000
	v_lshlrev_b32_e32 v12, 20, v12
	v_and_b32_e32 v14, 0x80000000, v14
	v_lshl_add_u32 v13, v13, 23, v15
	v_or3_b32 v12, v14, v13, v12
.LBB1_10132:
	s_or_b64 exec, exec, s[6:7]
	s_movk_i32 s4, 0xff
	v_and_b32_sdwa v13, v2, s4 dst_sel:DWORD dst_unused:UNUSED_PAD src0_sel:WORD_1 src1_sel:DWORD
	s_movk_i32 s4, 0x7f
	v_cmp_lt_i16_e32 vcc, s4, v13
	s_mov_b64 s[4:5], 0
                                        ; implicit-def: $sgpr10
	s_and_saveexec_b64 s[6:7], vcc
	s_xor_b64 s[6:7], exec, s[6:7]
	s_cbranch_execz .LBB1_10133
; %bb.45973:
	s_getpc_b64 s[14:15]
.Lpost_getpc8650:
	s_add_u32 s14, s14, (.LBB1_24469-.Lpost_getpc8650)&4294967295
	s_addc_u32 s15, s15, (.LBB1_24469-.Lpost_getpc8650)>>32
	s_setpc_b64 s[14:15]
.LBB1_10133:
	s_or_saveexec_b64 s[6:7], s[6:7]
	v_mov_b32_e32 v14, s10
	s_xor_b64 exec, exec, s[6:7]
	s_cbranch_execz .LBB1_10134
; %bb.45975:
	s_getpc_b64 s[14:15]
.Lpost_getpc8651:
	s_add_u32 s14, s14, (.LBB1_24472-.Lpost_getpc8651)&4294967295
	s_addc_u32 s15, s15, (.LBB1_24472-.Lpost_getpc8651)>>32
	s_setpc_b64 s[14:15]
.LBB1_10134:
	s_or_b64 exec, exec, s[6:7]
	s_and_saveexec_b64 s[6:7], s[4:5]
	s_cbranch_execz .LBB1_10136
.LBB1_10135:
	v_bfe_u32 v13, v2, 16, 3
	v_ffbh_u32_e32 v16, v13
	v_min_u32_e32 v16, 32, v16
	v_lshrrev_b32_e32 v14, 19, v2
	v_subrev_u32_e32 v17, 28, v16
	v_and_b32_e32 v14, 15, v14
	v_lshlrev_b32_sdwa v17, v17, v2 dst_sel:DWORD dst_unused:UNUSED_PAD src0_sel:DWORD src1_sel:WORD_1
	v_bfe_u32 v15, v2, 19, 4
	v_sub_u32_e32 v16, 29, v16
	v_and_b32_e32 v17, 7, v17
	v_cmp_eq_u16_e32 vcc, 0, v14
	v_cndmask_b32_e32 v13, v13, v17, vcc
	v_cndmask_b32_e32 v14, v15, v16, vcc
	v_lshlrev_b32_e32 v15, 8, v2
	v_mov_b32_e32 v16, 0x3b800000
	v_lshlrev_b32_e32 v13, 20, v13
	v_and_b32_e32 v15, 0x80000000, v15
	v_lshl_add_u32 v14, v14, 23, v16
	v_or3_b32 v14, v15, v14, v13
.LBB1_10136:
	s_or_b64 exec, exec, s[6:7]
	s_nop 0
	v_mfma_f32_16x16x4f32 a[0:3], v12, v14, a[0:3]
	s_movk_i32 s4, 0x7f
	v_cmp_gt_i16_sdwa s[6:7], v6, s4 src0_sel:BYTE_3 src1_sel:DWORD
	s_mov_b64 s[4:5], 0
                                        ; implicit-def: $sgpr10
	s_and_saveexec_b64 s[8:9], s[6:7]
	s_xor_b64 s[6:7], exec, s[8:9]
	s_cbranch_execz .LBB1_10137
; %bb.45977:
	s_getpc_b64 s[14:15]
.Lpost_getpc8652:
	s_add_u32 s14, s14, (.LBB1_24473-.Lpost_getpc8652)&4294967295
	s_addc_u32 s15, s15, (.LBB1_24473-.Lpost_getpc8652)>>32
	s_setpc_b64 s[14:15]
.LBB1_10137:
	s_or_saveexec_b64 s[6:7], s[6:7]
	v_mov_b32_e32 v12, s10
	s_xor_b64 exec, exec, s[6:7]
	s_cbranch_execz .LBB1_10138
; %bb.45979:
	s_getpc_b64 s[14:15]
.Lpost_getpc8653:
	s_add_u32 s14, s14, (.LBB1_24476-.Lpost_getpc8653)&4294967295
	s_addc_u32 s15, s15, (.LBB1_24476-.Lpost_getpc8653)>>32
	s_setpc_b64 s[14:15]
.LBB1_10138:
	s_or_b64 exec, exec, s[6:7]
	s_and_saveexec_b64 s[6:7], s[4:5]
	s_cbranch_execz .LBB1_10140
.LBB1_10139:
	v_bfe_u32 v12, v6, 24, 3
	v_ffbh_u32_e32 v16, v12
	v_min_u32_e32 v16, 32, v16
	v_lshrrev_b32_e32 v14, 27, v6
	v_subrev_u32_e32 v17, 28, v16
	v_and_b32_e32 v13, 0x80000000, v6
	v_and_b32_e32 v14, 15, v14
	v_bfe_u32 v15, v6, 27, 4
	v_lshlrev_b32_sdwa v6, v17, v6 dst_sel:DWORD dst_unused:UNUSED_PAD src0_sel:DWORD src1_sel:BYTE_3
	v_sub_u32_e32 v16, 29, v16
	v_and_b32_e32 v6, 7, v6
	v_cmp_eq_u16_e32 vcc, 0, v14
	v_cndmask_b32_e32 v6, v12, v6, vcc
	v_cndmask_b32_e32 v12, v15, v16, vcc
	v_mov_b32_e32 v14, 0x3b800000
	v_lshlrev_b32_e32 v6, 20, v6
	v_lshl_add_u32 v12, v12, 23, v14
	v_or3_b32 v12, v13, v12, v6
.LBB1_10140:
	s_or_b64 exec, exec, s[6:7]
	s_movk_i32 s4, 0x7f
	v_cmp_gt_i16_sdwa s[6:7], v2, s4 src0_sel:BYTE_3 src1_sel:DWORD
	s_mov_b64 s[4:5], 0
                                        ; implicit-def: $sgpr10
	s_and_saveexec_b64 s[8:9], s[6:7]
	s_xor_b64 s[6:7], exec, s[8:9]
	s_cbranch_execz .LBB1_10141
; %bb.45981:
	s_getpc_b64 s[14:15]
.Lpost_getpc8654:
	s_add_u32 s14, s14, (.LBB1_24477-.Lpost_getpc8654)&4294967295
	s_addc_u32 s15, s15, (.LBB1_24477-.Lpost_getpc8654)>>32
	s_setpc_b64 s[14:15]
.LBB1_10141:
	s_or_saveexec_b64 s[6:7], s[6:7]
	v_mov_b32_e32 v6, s10
	s_xor_b64 exec, exec, s[6:7]
	s_cbranch_execz .LBB1_10142
; %bb.45983:
	s_getpc_b64 s[14:15]
.Lpost_getpc8655:
	s_add_u32 s14, s14, (.LBB1_24480-.Lpost_getpc8655)&4294967295
	s_addc_u32 s15, s15, (.LBB1_24480-.Lpost_getpc8655)>>32
	s_setpc_b64 s[14:15]
.LBB1_10142:
	s_or_b64 exec, exec, s[6:7]
	s_and_saveexec_b64 s[6:7], s[4:5]
	s_cbranch_execz .LBB1_10144
.LBB1_10143:
	v_bfe_u32 v6, v2, 24, 3
	v_ffbh_u32_e32 v16, v6
	v_min_u32_e32 v16, 32, v16
	v_lshrrev_b32_e32 v14, 27, v2
	v_subrev_u32_e32 v17, 28, v16
	v_and_b32_e32 v13, 0x80000000, v2
	v_and_b32_e32 v14, 15, v14
	v_bfe_u32 v15, v2, 27, 4
	v_lshlrev_b32_sdwa v2, v17, v2 dst_sel:DWORD dst_unused:UNUSED_PAD src0_sel:DWORD src1_sel:BYTE_3
	v_sub_u32_e32 v16, 29, v16
	v_and_b32_e32 v2, 7, v2
	v_cmp_eq_u16_e32 vcc, 0, v14
	v_cndmask_b32_e32 v2, v6, v2, vcc
	v_cndmask_b32_e32 v6, v15, v16, vcc
	v_mov_b32_e32 v14, 0x3b800000
	v_lshlrev_b32_e32 v2, 20, v2
	v_lshl_add_u32 v6, v6, 23, v14
	v_or3_b32 v6, v13, v6, v2
.LBB1_10144:
	s_or_b64 exec, exec, s[6:7]
	s_nop 0
	v_mfma_f32_16x16x4f32 a[0:3], v12, v6, a[0:3]
	s_movk_i32 s4, 0x7f
	v_cmp_gt_i16_sdwa s[6:7], v7, s4 src0_sel:BYTE_0 src1_sel:DWORD
	s_mov_b64 s[4:5], 0
                                        ; implicit-def: $sgpr10
	s_and_saveexec_b64 s[8:9], s[6:7]
	s_xor_b64 s[6:7], exec, s[8:9]
	s_cbranch_execz .LBB1_10145
; %bb.45985:
	s_getpc_b64 s[14:15]
.Lpost_getpc8656:
	s_add_u32 s14, s14, (.LBB1_24481-.Lpost_getpc8656)&4294967295
	s_addc_u32 s15, s15, (.LBB1_24481-.Lpost_getpc8656)>>32
	s_setpc_b64 s[14:15]
.LBB1_10145:
	s_or_saveexec_b64 s[6:7], s[6:7]
	v_mov_b32_e32 v2, s10
	s_xor_b64 exec, exec, s[6:7]
	s_cbranch_execz .LBB1_10146
; %bb.45987:
	s_getpc_b64 s[14:15]
.Lpost_getpc8657:
	s_add_u32 s14, s14, (.LBB1_24484-.Lpost_getpc8657)&4294967295
	s_addc_u32 s15, s15, (.LBB1_24484-.Lpost_getpc8657)>>32
	s_setpc_b64 s[14:15]
.LBB1_10146:
	s_or_b64 exec, exec, s[6:7]
	s_and_saveexec_b64 s[6:7], s[4:5]
	s_cbranch_execz .LBB1_10148
.LBB1_10147:
	v_and_b32_e32 v2, 7, v7
	v_ffbh_u32_e32 v12, v2
	v_min_u32_e32 v12, 32, v12
	v_lshrrev_b16_e32 v6, 3, v7
	v_subrev_u32_e32 v13, 28, v12
	v_and_b32_e32 v6, 15, v6
	v_lshlrev_b32_e32 v13, v13, v7
	v_sub_u32_e32 v12, 29, v12
	v_and_b32_e32 v13, 7, v13
	v_cmp_eq_u16_e32 vcc, 0, v6
	v_cndmask_b32_e32 v2, v2, v13, vcc
	v_cndmask_b32_e32 v6, v6, v12, vcc
	v_lshlrev_b32_e32 v12, 24, v7
	v_mov_b32_e32 v13, 0x3b800000
	v_lshlrev_b32_e32 v2, 20, v2
	v_and_b32_e32 v12, 0x80000000, v12
	v_lshl_add_u32 v6, v6, 23, v13
	v_or3_b32 v2, v12, v6, v2
.LBB1_10148:
	s_or_b64 exec, exec, s[6:7]
	s_movk_i32 s4, 0x7f
	v_cmp_gt_i16_sdwa s[6:7], v3, s4 src0_sel:BYTE_0 src1_sel:DWORD
	s_mov_b64 s[4:5], 0
                                        ; implicit-def: $sgpr10
	s_and_saveexec_b64 s[8:9], s[6:7]
	s_xor_b64 s[6:7], exec, s[8:9]
	s_cbranch_execz .LBB1_10149
; %bb.45989:
	s_getpc_b64 s[14:15]
.Lpost_getpc8658:
	s_add_u32 s14, s14, (.LBB1_24485-.Lpost_getpc8658)&4294967295
	s_addc_u32 s15, s15, (.LBB1_24485-.Lpost_getpc8658)>>32
	s_setpc_b64 s[14:15]
.LBB1_10149:
	s_or_saveexec_b64 s[6:7], s[6:7]
	v_mov_b32_e32 v6, s10
	s_xor_b64 exec, exec, s[6:7]
	s_cbranch_execz .LBB1_10150
; %bb.45991:
	s_getpc_b64 s[14:15]
.Lpost_getpc8659:
	s_add_u32 s14, s14, (.LBB1_24488-.Lpost_getpc8659)&4294967295
	s_addc_u32 s15, s15, (.LBB1_24488-.Lpost_getpc8659)>>32
	s_setpc_b64 s[14:15]
.LBB1_10150:
	s_or_b64 exec, exec, s[6:7]
	s_and_saveexec_b64 s[6:7], s[4:5]
	s_cbranch_execz .LBB1_10152
.LBB1_10151:
	v_and_b32_e32 v6, 7, v3
	v_ffbh_u32_e32 v13, v6
	v_min_u32_e32 v13, 32, v13
	v_lshrrev_b16_e32 v12, 3, v3
	v_subrev_u32_e32 v14, 28, v13
	v_and_b32_e32 v12, 15, v12
	v_lshlrev_b32_e32 v14, v14, v3
	v_sub_u32_e32 v13, 29, v13
	v_and_b32_e32 v14, 7, v14
	v_cmp_eq_u16_e32 vcc, 0, v12
	v_cndmask_b32_e32 v6, v6, v14, vcc
	v_cndmask_b32_e32 v12, v12, v13, vcc
	v_lshlrev_b32_e32 v13, 24, v3
	v_mov_b32_e32 v14, 0x3b800000
	v_lshlrev_b32_e32 v6, 20, v6
	v_and_b32_e32 v13, 0x80000000, v13
	v_lshl_add_u32 v12, v12, 23, v14
	v_or3_b32 v6, v13, v12, v6
.LBB1_10152:
	s_or_b64 exec, exec, s[6:7]
	s_nop 0
	v_mfma_f32_16x16x4f32 a[0:3], v2, v6, a[0:3]
	v_lshrrev_b32_e32 v6, 8, v7
	s_movk_i32 s4, 0x7f
	v_cmp_gt_i16_sdwa s[6:7], v6, s4 src0_sel:BYTE_0 src1_sel:DWORD
	s_mov_b64 s[4:5], 0
                                        ; implicit-def: $sgpr10
	s_and_saveexec_b64 s[8:9], s[6:7]
	s_xor_b64 s[6:7], exec, s[8:9]
	s_cbranch_execz .LBB1_10153
; %bb.45993:
	s_getpc_b64 s[14:15]
.Lpost_getpc8660:
	s_add_u32 s14, s14, (.LBB1_24489-.Lpost_getpc8660)&4294967295
	s_addc_u32 s15, s15, (.LBB1_24489-.Lpost_getpc8660)>>32
	s_setpc_b64 s[14:15]
.LBB1_10153:
	s_or_saveexec_b64 s[6:7], s[6:7]
	v_mov_b32_e32 v2, s10
	s_xor_b64 exec, exec, s[6:7]
	s_cbranch_execz .LBB1_10154
; %bb.45995:
	s_getpc_b64 s[14:15]
.Lpost_getpc8661:
	s_add_u32 s14, s14, (.LBB1_24492-.Lpost_getpc8661)&4294967295
	s_addc_u32 s15, s15, (.LBB1_24492-.Lpost_getpc8661)>>32
	s_setpc_b64 s[14:15]
.LBB1_10154:
	s_or_b64 exec, exec, s[6:7]
	s_and_saveexec_b64 s[6:7], s[4:5]
	s_cbranch_execz .LBB1_10156
.LBB1_10155:
	v_bfe_u32 v2, v7, 8, 3
	v_ffbh_u32_e32 v13, v2
	v_min_u32_e32 v13, 32, v13
	v_lshrrev_b16_e32 v12, 3, v6
	v_subrev_u32_e32 v14, 28, v13
	v_and_b32_e32 v12, 15, v12
	v_lshlrev_b32_e32 v6, v14, v6
	v_sub_u32_e32 v13, 29, v13
	v_and_b32_e32 v6, 7, v6
	v_cmp_eq_u16_e32 vcc, 0, v12
	v_cndmask_b32_e32 v2, v2, v6, vcc
	v_cndmask_b32_e32 v6, v12, v13, vcc
	v_lshlrev_b32_e32 v12, 16, v7
	v_mov_b32_e32 v13, 0x3b800000
	v_lshlrev_b32_e32 v2, 20, v2
	v_and_b32_e32 v12, 0x80000000, v12
	v_lshl_add_u32 v6, v6, 23, v13
	v_or3_b32 v2, v12, v6, v2
.LBB1_10156:
	s_or_b64 exec, exec, s[6:7]
	v_lshrrev_b32_e32 v6, 8, v3
	s_movk_i32 s4, 0x7f
	v_cmp_gt_i16_sdwa s[6:7], v6, s4 src0_sel:BYTE_0 src1_sel:DWORD
	s_mov_b64 s[4:5], 0
                                        ; implicit-def: $sgpr10
	s_and_saveexec_b64 s[8:9], s[6:7]
	s_xor_b64 s[6:7], exec, s[8:9]
	s_cbranch_execz .LBB1_10157
; %bb.45997:
	s_getpc_b64 s[14:15]
.Lpost_getpc8662:
	s_add_u32 s14, s14, (.LBB1_24493-.Lpost_getpc8662)&4294967295
	s_addc_u32 s15, s15, (.LBB1_24493-.Lpost_getpc8662)>>32
	s_setpc_b64 s[14:15]
.LBB1_10157:
	s_or_saveexec_b64 s[6:7], s[6:7]
	v_mov_b32_e32 v12, s10
	s_xor_b64 exec, exec, s[6:7]
	s_cbranch_execz .LBB1_10158
; %bb.45999:
	s_getpc_b64 s[14:15]
.Lpost_getpc8663:
	s_add_u32 s14, s14, (.LBB1_24496-.Lpost_getpc8663)&4294967295
	s_addc_u32 s15, s15, (.LBB1_24496-.Lpost_getpc8663)>>32
	s_setpc_b64 s[14:15]
.LBB1_10158:
	s_or_b64 exec, exec, s[6:7]
	s_and_saveexec_b64 s[6:7], s[4:5]
	s_cbranch_execz .LBB1_10160
.LBB1_10159:
	v_bfe_u32 v12, v3, 8, 3
	v_ffbh_u32_e32 v14, v12
	v_min_u32_e32 v14, 32, v14
	v_lshrrev_b16_e32 v13, 3, v6
	v_subrev_u32_e32 v15, 28, v14
	v_and_b32_e32 v13, 15, v13
	v_lshlrev_b32_e32 v6, v15, v6
	v_sub_u32_e32 v14, 29, v14
	v_and_b32_e32 v6, 7, v6
	v_cmp_eq_u16_e32 vcc, 0, v13
	v_cndmask_b32_e32 v6, v12, v6, vcc
	v_cndmask_b32_e32 v12, v13, v14, vcc
	v_lshlrev_b32_e32 v13, 16, v3
	v_mov_b32_e32 v14, 0x3b800000
	v_lshlrev_b32_e32 v6, 20, v6
	v_and_b32_e32 v13, 0x80000000, v13
	v_lshl_add_u32 v12, v12, 23, v14
	v_or3_b32 v12, v13, v12, v6
.LBB1_10160:
	s_or_b64 exec, exec, s[6:7]
	s_nop 0
	v_mfma_f32_16x16x4f32 a[0:3], v2, v12, a[0:3]
	s_movk_i32 s4, 0xff
	v_and_b32_sdwa v6, v7, s4 dst_sel:DWORD dst_unused:UNUSED_PAD src0_sel:WORD_1 src1_sel:DWORD
	s_movk_i32 s4, 0x7f
	v_cmp_lt_i16_e32 vcc, s4, v6
	s_mov_b64 s[4:5], 0
                                        ; implicit-def: $sgpr10
	s_and_saveexec_b64 s[6:7], vcc
	s_xor_b64 s[6:7], exec, s[6:7]
	s_cbranch_execz .LBB1_10161
; %bb.46001:
	s_getpc_b64 s[14:15]
.Lpost_getpc8664:
	s_add_u32 s14, s14, (.LBB1_24497-.Lpost_getpc8664)&4294967295
	s_addc_u32 s15, s15, (.LBB1_24497-.Lpost_getpc8664)>>32
	s_setpc_b64 s[14:15]
.LBB1_10161:
	s_or_saveexec_b64 s[6:7], s[6:7]
	v_mov_b32_e32 v2, s10
	s_xor_b64 exec, exec, s[6:7]
	s_cbranch_execz .LBB1_10162
; %bb.46003:
	s_getpc_b64 s[14:15]
.Lpost_getpc8665:
	s_add_u32 s14, s14, (.LBB1_24500-.Lpost_getpc8665)&4294967295
	s_addc_u32 s15, s15, (.LBB1_24500-.Lpost_getpc8665)>>32
	s_setpc_b64 s[14:15]
.LBB1_10162:
	s_or_b64 exec, exec, s[6:7]
	s_and_saveexec_b64 s[6:7], s[4:5]
	s_cbranch_execz .LBB1_10164
.LBB1_10163:
	v_bfe_u32 v2, v7, 16, 3
	v_ffbh_u32_e32 v13, v2
	v_min_u32_e32 v13, 32, v13
	v_lshrrev_b32_e32 v6, 19, v7
	v_subrev_u32_e32 v14, 28, v13
	v_and_b32_e32 v6, 15, v6
	v_lshlrev_b32_sdwa v14, v14, v7 dst_sel:DWORD dst_unused:UNUSED_PAD src0_sel:DWORD src1_sel:WORD_1
	v_bfe_u32 v12, v7, 19, 4
	v_sub_u32_e32 v13, 29, v13
	v_and_b32_e32 v14, 7, v14
	v_cmp_eq_u16_e32 vcc, 0, v6
	v_cndmask_b32_e32 v2, v2, v14, vcc
	v_cndmask_b32_e32 v6, v12, v13, vcc
	v_lshlrev_b32_e32 v12, 8, v7
	v_mov_b32_e32 v13, 0x3b800000
	v_lshlrev_b32_e32 v2, 20, v2
	v_and_b32_e32 v12, 0x80000000, v12
	v_lshl_add_u32 v6, v6, 23, v13
	v_or3_b32 v2, v12, v6, v2
.LBB1_10164:
	s_or_b64 exec, exec, s[6:7]
	s_movk_i32 s4, 0xff
	v_and_b32_sdwa v6, v3, s4 dst_sel:DWORD dst_unused:UNUSED_PAD src0_sel:WORD_1 src1_sel:DWORD
	s_movk_i32 s4, 0x7f
	v_cmp_lt_i16_e32 vcc, s4, v6
	s_mov_b64 s[4:5], 0
                                        ; implicit-def: $sgpr10
	s_and_saveexec_b64 s[6:7], vcc
	s_xor_b64 s[6:7], exec, s[6:7]
	s_cbranch_execz .LBB1_10165
; %bb.46005:
	s_getpc_b64 s[14:15]
.Lpost_getpc8666:
	s_add_u32 s14, s14, (.LBB1_24501-.Lpost_getpc8666)&4294967295
	s_addc_u32 s15, s15, (.LBB1_24501-.Lpost_getpc8666)>>32
	s_setpc_b64 s[14:15]
.LBB1_10165:
	s_or_saveexec_b64 s[6:7], s[6:7]
	v_mov_b32_e32 v12, s10
	s_xor_b64 exec, exec, s[6:7]
	s_cbranch_execz .LBB1_10166
; %bb.46007:
	s_getpc_b64 s[14:15]
.Lpost_getpc8667:
	s_add_u32 s14, s14, (.LBB1_24504-.Lpost_getpc8667)&4294967295
	s_addc_u32 s15, s15, (.LBB1_24504-.Lpost_getpc8667)>>32
	s_setpc_b64 s[14:15]
.LBB1_10166:
	s_or_b64 exec, exec, s[6:7]
	s_and_saveexec_b64 s[6:7], s[4:5]
	s_cbranch_execz .LBB1_10168
.LBB1_10167:
	v_bfe_u32 v6, v3, 16, 3
	v_ffbh_u32_e32 v14, v6
	v_min_u32_e32 v14, 32, v14
	v_lshrrev_b32_e32 v12, 19, v3
	v_subrev_u32_e32 v15, 28, v14
	v_and_b32_e32 v12, 15, v12
	v_lshlrev_b32_sdwa v15, v15, v3 dst_sel:DWORD dst_unused:UNUSED_PAD src0_sel:DWORD src1_sel:WORD_1
	v_bfe_u32 v13, v3, 19, 4
	v_sub_u32_e32 v14, 29, v14
	v_and_b32_e32 v15, 7, v15
	v_cmp_eq_u16_e32 vcc, 0, v12
	v_cndmask_b32_e32 v6, v6, v15, vcc
	v_cndmask_b32_e32 v12, v13, v14, vcc
	v_lshlrev_b32_e32 v13, 8, v3
	v_mov_b32_e32 v14, 0x3b800000
	v_lshlrev_b32_e32 v6, 20, v6
	v_and_b32_e32 v13, 0x80000000, v13
	v_lshl_add_u32 v12, v12, 23, v14
	v_or3_b32 v12, v13, v12, v6
.LBB1_10168:
	s_or_b64 exec, exec, s[6:7]
	s_nop 0
	v_mfma_f32_16x16x4f32 a[0:3], v2, v12, a[0:3]
	s_movk_i32 s4, 0x7f
	v_cmp_gt_i16_sdwa s[6:7], v7, s4 src0_sel:BYTE_3 src1_sel:DWORD
	s_mov_b64 s[4:5], 0
                                        ; implicit-def: $sgpr10
	s_and_saveexec_b64 s[8:9], s[6:7]
	s_xor_b64 s[6:7], exec, s[8:9]
	s_cbranch_execz .LBB1_10169
; %bb.46009:
	s_getpc_b64 s[14:15]
.Lpost_getpc8668:
	s_add_u32 s14, s14, (.LBB1_24505-.Lpost_getpc8668)&4294967295
	s_addc_u32 s15, s15, (.LBB1_24505-.Lpost_getpc8668)>>32
	s_setpc_b64 s[14:15]
.LBB1_10169:
	s_or_saveexec_b64 s[6:7], s[6:7]
	v_mov_b32_e32 v2, s10
	s_xor_b64 exec, exec, s[6:7]
	s_cbranch_execz .LBB1_10170
; %bb.46011:
	s_getpc_b64 s[14:15]
.Lpost_getpc8669:
	s_add_u32 s14, s14, (.LBB1_24508-.Lpost_getpc8669)&4294967295
	s_addc_u32 s15, s15, (.LBB1_24508-.Lpost_getpc8669)>>32
	s_setpc_b64 s[14:15]
.LBB1_10170:
	s_or_b64 exec, exec, s[6:7]
	s_and_saveexec_b64 s[6:7], s[4:5]
	s_cbranch_execz .LBB1_10172
.LBB1_10171:
	v_bfe_u32 v2, v7, 24, 3
	v_ffbh_u32_e32 v14, v2
	v_min_u32_e32 v14, 32, v14
	v_lshrrev_b32_e32 v12, 27, v7
	v_subrev_u32_e32 v15, 28, v14
	v_and_b32_e32 v6, 0x80000000, v7
	v_and_b32_e32 v12, 15, v12
	v_bfe_u32 v13, v7, 27, 4
	v_lshlrev_b32_sdwa v7, v15, v7 dst_sel:DWORD dst_unused:UNUSED_PAD src0_sel:DWORD src1_sel:BYTE_3
	v_sub_u32_e32 v14, 29, v14
	v_and_b32_e32 v7, 7, v7
	v_cmp_eq_u16_e32 vcc, 0, v12
	v_cndmask_b32_e32 v2, v2, v7, vcc
	v_cndmask_b32_e32 v7, v13, v14, vcc
	v_mov_b32_e32 v12, 0x3b800000
	v_lshlrev_b32_e32 v2, 20, v2
	v_lshl_add_u32 v7, v7, 23, v12
	v_or3_b32 v2, v6, v7, v2
.LBB1_10172:
	s_or_b64 exec, exec, s[6:7]
	s_movk_i32 s4, 0x7f
	v_cmp_gt_i16_sdwa s[6:7], v3, s4 src0_sel:BYTE_3 src1_sel:DWORD
	s_mov_b64 s[4:5], 0
                                        ; implicit-def: $sgpr10
	s_and_saveexec_b64 s[8:9], s[6:7]
	s_xor_b64 s[6:7], exec, s[8:9]
	s_cbranch_execz .LBB1_10173
; %bb.46013:
	s_getpc_b64 s[14:15]
.Lpost_getpc8670:
	s_add_u32 s14, s14, (.LBB1_24509-.Lpost_getpc8670)&4294967295
	s_addc_u32 s15, s15, (.LBB1_24509-.Lpost_getpc8670)>>32
	s_setpc_b64 s[14:15]
.LBB1_10173:
	s_or_saveexec_b64 s[6:7], s[6:7]
	v_mov_b32_e32 v6, s10
	s_xor_b64 exec, exec, s[6:7]
	s_cbranch_execz .LBB1_10174
; %bb.46015:
	s_getpc_b64 s[14:15]
.Lpost_getpc8671:
	s_add_u32 s14, s14, (.LBB1_24512-.Lpost_getpc8671)&4294967295
	s_addc_u32 s15, s15, (.LBB1_24512-.Lpost_getpc8671)>>32
	s_setpc_b64 s[14:15]
.LBB1_10174:
	s_or_b64 exec, exec, s[6:7]
	s_and_saveexec_b64 s[6:7], s[4:5]
	s_cbranch_execz .LBB1_10176
.LBB1_10175:
	v_bfe_u32 v6, v3, 24, 3
	v_ffbh_u32_e32 v14, v6
	v_min_u32_e32 v14, 32, v14
	v_lshrrev_b32_e32 v12, 27, v3
	v_subrev_u32_e32 v15, 28, v14
	v_and_b32_e32 v7, 0x80000000, v3
	v_and_b32_e32 v12, 15, v12
	v_bfe_u32 v13, v3, 27, 4
	v_lshlrev_b32_sdwa v3, v15, v3 dst_sel:DWORD dst_unused:UNUSED_PAD src0_sel:DWORD src1_sel:BYTE_3
	v_sub_u32_e32 v14, 29, v14
	v_and_b32_e32 v3, 7, v3
	v_cmp_eq_u16_e32 vcc, 0, v12
	v_cndmask_b32_e32 v3, v6, v3, vcc
	v_cndmask_b32_e32 v6, v13, v14, vcc
	v_mov_b32_e32 v12, 0x3b800000
	v_lshlrev_b32_e32 v3, 20, v3
	v_lshl_add_u32 v6, v6, 23, v12
	v_or3_b32 v6, v7, v6, v3
.LBB1_10176:
	s_or_b64 exec, exec, s[6:7]
	s_nop 0
	v_mfma_f32_16x16x4f32 a[0:3], v2, v6, a[0:3]
	s_movk_i32 s4, 0x7f
	v_cmp_gt_i16_sdwa s[6:7], v8, s4 src0_sel:BYTE_0 src1_sel:DWORD
	s_mov_b64 s[4:5], 0
                                        ; implicit-def: $sgpr10
	s_and_saveexec_b64 s[8:9], s[6:7]
	s_xor_b64 s[6:7], exec, s[8:9]
	s_cbranch_execz .LBB1_10177
; %bb.46017:
	s_getpc_b64 s[14:15]
.Lpost_getpc8672:
	s_add_u32 s14, s14, (.LBB1_24513-.Lpost_getpc8672)&4294967295
	s_addc_u32 s15, s15, (.LBB1_24513-.Lpost_getpc8672)>>32
	s_setpc_b64 s[14:15]
.LBB1_10177:
	s_or_saveexec_b64 s[6:7], s[6:7]
	v_mov_b32_e32 v2, s10
	s_xor_b64 exec, exec, s[6:7]
	s_cbranch_execz .LBB1_10178
; %bb.46019:
	s_getpc_b64 s[14:15]
.Lpost_getpc8673:
	s_add_u32 s14, s14, (.LBB1_24516-.Lpost_getpc8673)&4294967295
	s_addc_u32 s15, s15, (.LBB1_24516-.Lpost_getpc8673)>>32
	s_setpc_b64 s[14:15]
.LBB1_10178:
	s_or_b64 exec, exec, s[6:7]
	s_and_saveexec_b64 s[6:7], s[4:5]
	s_cbranch_execz .LBB1_10180
.LBB1_10179:
	v_and_b32_e32 v2, 7, v8
	v_ffbh_u32_e32 v6, v2
	v_min_u32_e32 v6, 32, v6
	v_lshrrev_b16_e32 v3, 3, v8
	v_subrev_u32_e32 v7, 28, v6
	v_and_b32_e32 v3, 15, v3
	v_lshlrev_b32_e32 v7, v7, v8
	v_sub_u32_e32 v6, 29, v6
	v_and_b32_e32 v7, 7, v7
	v_cmp_eq_u16_e32 vcc, 0, v3
	v_cndmask_b32_e32 v2, v2, v7, vcc
	v_cndmask_b32_e32 v3, v3, v6, vcc
	v_lshlrev_b32_e32 v6, 24, v8
	v_mov_b32_e32 v7, 0x3b800000
	v_lshlrev_b32_e32 v2, 20, v2
	v_and_b32_e32 v6, 0x80000000, v6
	v_lshl_add_u32 v3, v3, 23, v7
	v_or3_b32 v2, v6, v3, v2
.LBB1_10180:
	s_or_b64 exec, exec, s[6:7]
	s_movk_i32 s4, 0x7f
	v_cmp_gt_i16_sdwa s[6:7], v4, s4 src0_sel:BYTE_0 src1_sel:DWORD
	s_mov_b64 s[4:5], 0
                                        ; implicit-def: $sgpr10
	s_and_saveexec_b64 s[8:9], s[6:7]
	s_xor_b64 s[6:7], exec, s[8:9]
	s_cbranch_execz .LBB1_10181
; %bb.46021:
	s_getpc_b64 s[14:15]
.Lpost_getpc8674:
	s_add_u32 s14, s14, (.LBB1_24517-.Lpost_getpc8674)&4294967295
	s_addc_u32 s15, s15, (.LBB1_24517-.Lpost_getpc8674)>>32
	s_setpc_b64 s[14:15]
.LBB1_10181:
	s_or_saveexec_b64 s[6:7], s[6:7]
	v_mov_b32_e32 v3, s10
	s_xor_b64 exec, exec, s[6:7]
	s_cbranch_execz .LBB1_10182
; %bb.46023:
	s_getpc_b64 s[14:15]
.Lpost_getpc8675:
	s_add_u32 s14, s14, (.LBB1_24520-.Lpost_getpc8675)&4294967295
	s_addc_u32 s15, s15, (.LBB1_24520-.Lpost_getpc8675)>>32
	s_setpc_b64 s[14:15]
.LBB1_10182:
	s_or_b64 exec, exec, s[6:7]
	s_and_saveexec_b64 s[6:7], s[4:5]
	s_cbranch_execz .LBB1_10184
.LBB1_10183:
	v_and_b32_e32 v3, 7, v4
	v_ffbh_u32_e32 v7, v3
	v_min_u32_e32 v7, 32, v7
	v_lshrrev_b16_e32 v6, 3, v4
	v_subrev_u32_e32 v12, 28, v7
	v_and_b32_e32 v6, 15, v6
	v_lshlrev_b32_e32 v12, v12, v4
	v_sub_u32_e32 v7, 29, v7
	v_and_b32_e32 v12, 7, v12
	v_cmp_eq_u16_e32 vcc, 0, v6
	v_cndmask_b32_e32 v3, v3, v12, vcc
	v_cndmask_b32_e32 v6, v6, v7, vcc
	v_lshlrev_b32_e32 v7, 24, v4
	v_mov_b32_e32 v12, 0x3b800000
	v_lshlrev_b32_e32 v3, 20, v3
	v_and_b32_e32 v7, 0x80000000, v7
	v_lshl_add_u32 v6, v6, 23, v12
	v_or3_b32 v3, v7, v6, v3
.LBB1_10184:
	s_or_b64 exec, exec, s[6:7]
	s_nop 0
	v_mfma_f32_16x16x4f32 a[0:3], v2, v3, a[0:3]
	v_lshrrev_b32_e32 v3, 8, v8
	s_movk_i32 s4, 0x7f
	v_cmp_gt_i16_sdwa s[6:7], v3, s4 src0_sel:BYTE_0 src1_sel:DWORD
	s_mov_b64 s[4:5], 0
                                        ; implicit-def: $sgpr10
	s_and_saveexec_b64 s[8:9], s[6:7]
	s_xor_b64 s[6:7], exec, s[8:9]
	s_cbranch_execz .LBB1_10185
; %bb.46025:
	s_getpc_b64 s[14:15]
.Lpost_getpc8676:
	s_add_u32 s14, s14, (.LBB1_24521-.Lpost_getpc8676)&4294967295
	s_addc_u32 s15, s15, (.LBB1_24521-.Lpost_getpc8676)>>32
	s_setpc_b64 s[14:15]
.LBB1_10185:
	s_or_saveexec_b64 s[6:7], s[6:7]
	v_mov_b32_e32 v2, s10
	s_xor_b64 exec, exec, s[6:7]
	s_cbranch_execz .LBB1_10186
; %bb.46027:
	s_getpc_b64 s[14:15]
.Lpost_getpc8677:
	s_add_u32 s14, s14, (.LBB1_24524-.Lpost_getpc8677)&4294967295
	s_addc_u32 s15, s15, (.LBB1_24524-.Lpost_getpc8677)>>32
	s_setpc_b64 s[14:15]
.LBB1_10186:
	s_or_b64 exec, exec, s[6:7]
	s_and_saveexec_b64 s[6:7], s[4:5]
	s_cbranch_execz .LBB1_10188
.LBB1_10187:
	v_bfe_u32 v2, v8, 8, 3
	v_ffbh_u32_e32 v7, v2
	v_min_u32_e32 v7, 32, v7
	v_lshrrev_b16_e32 v6, 3, v3
	v_subrev_u32_e32 v12, 28, v7
	v_and_b32_e32 v6, 15, v6
	v_lshlrev_b32_e32 v3, v12, v3
	v_sub_u32_e32 v7, 29, v7
	v_and_b32_e32 v3, 7, v3
	v_cmp_eq_u16_e32 vcc, 0, v6
	v_cndmask_b32_e32 v2, v2, v3, vcc
	v_cndmask_b32_e32 v3, v6, v7, vcc
	v_lshlrev_b32_e32 v6, 16, v8
	v_mov_b32_e32 v7, 0x3b800000
	v_lshlrev_b32_e32 v2, 20, v2
	v_and_b32_e32 v6, 0x80000000, v6
	v_lshl_add_u32 v3, v3, 23, v7
	v_or3_b32 v2, v6, v3, v2
.LBB1_10188:
	s_or_b64 exec, exec, s[6:7]
	v_lshrrev_b32_e32 v3, 8, v4
	s_movk_i32 s4, 0x7f
	v_cmp_gt_i16_sdwa s[6:7], v3, s4 src0_sel:BYTE_0 src1_sel:DWORD
	s_mov_b64 s[4:5], 0
                                        ; implicit-def: $sgpr10
	s_and_saveexec_b64 s[8:9], s[6:7]
	s_xor_b64 s[6:7], exec, s[8:9]
	s_cbranch_execz .LBB1_10189
; %bb.46029:
	s_getpc_b64 s[14:15]
.Lpost_getpc8678:
	s_add_u32 s14, s14, (.LBB1_24525-.Lpost_getpc8678)&4294967295
	s_addc_u32 s15, s15, (.LBB1_24525-.Lpost_getpc8678)>>32
	s_setpc_b64 s[14:15]
.LBB1_10189:
	s_or_saveexec_b64 s[6:7], s[6:7]
	v_mov_b32_e32 v6, s10
	s_xor_b64 exec, exec, s[6:7]
	s_cbranch_execz .LBB1_10190
; %bb.46031:
	s_getpc_b64 s[14:15]
.Lpost_getpc8679:
	s_add_u32 s14, s14, (.LBB1_24528-.Lpost_getpc8679)&4294967295
	s_addc_u32 s15, s15, (.LBB1_24528-.Lpost_getpc8679)>>32
	s_setpc_b64 s[14:15]
.LBB1_10190:
	s_or_b64 exec, exec, s[6:7]
	s_and_saveexec_b64 s[6:7], s[4:5]
	s_cbranch_execz .LBB1_10192
.LBB1_10191:
	v_bfe_u32 v6, v4, 8, 3
	v_ffbh_u32_e32 v12, v6
	v_min_u32_e32 v12, 32, v12
	v_lshrrev_b16_e32 v7, 3, v3
	v_subrev_u32_e32 v13, 28, v12
	v_and_b32_e32 v7, 15, v7
	v_lshlrev_b32_e32 v3, v13, v3
	v_sub_u32_e32 v12, 29, v12
	v_and_b32_e32 v3, 7, v3
	v_cmp_eq_u16_e32 vcc, 0, v7
	v_cndmask_b32_e32 v3, v6, v3, vcc
	v_cndmask_b32_e32 v6, v7, v12, vcc
	v_lshlrev_b32_e32 v7, 16, v4
	v_mov_b32_e32 v12, 0x3b800000
	v_lshlrev_b32_e32 v3, 20, v3
	v_and_b32_e32 v7, 0x80000000, v7
	v_lshl_add_u32 v6, v6, 23, v12
	v_or3_b32 v6, v7, v6, v3
.LBB1_10192:
	s_or_b64 exec, exec, s[6:7]
	s_nop 0
	v_mfma_f32_16x16x4f32 a[0:3], v2, v6, a[0:3]
	s_movk_i32 s4, 0xff
	v_and_b32_sdwa v3, v8, s4 dst_sel:DWORD dst_unused:UNUSED_PAD src0_sel:WORD_1 src1_sel:DWORD
	s_movk_i32 s4, 0x7f
	v_cmp_lt_i16_e32 vcc, s4, v3
	s_mov_b64 s[4:5], 0
                                        ; implicit-def: $sgpr10
	s_and_saveexec_b64 s[6:7], vcc
	s_xor_b64 s[6:7], exec, s[6:7]
	s_cbranch_execz .LBB1_10193
; %bb.46033:
	s_getpc_b64 s[14:15]
.Lpost_getpc8680:
	s_add_u32 s14, s14, (.LBB1_24529-.Lpost_getpc8680)&4294967295
	s_addc_u32 s15, s15, (.LBB1_24529-.Lpost_getpc8680)>>32
	s_setpc_b64 s[14:15]
.LBB1_10193:
	s_or_saveexec_b64 s[6:7], s[6:7]
	v_mov_b32_e32 v2, s10
	s_xor_b64 exec, exec, s[6:7]
	s_cbranch_execz .LBB1_10194
; %bb.46035:
	s_getpc_b64 s[14:15]
.Lpost_getpc8681:
	s_add_u32 s14, s14, (.LBB1_24532-.Lpost_getpc8681)&4294967295
	s_addc_u32 s15, s15, (.LBB1_24532-.Lpost_getpc8681)>>32
	s_setpc_b64 s[14:15]
.LBB1_10194:
	s_or_b64 exec, exec, s[6:7]
	s_and_saveexec_b64 s[6:7], s[4:5]
	s_cbranch_execz .LBB1_10196
.LBB1_10195:
	v_bfe_u32 v2, v8, 16, 3
	v_ffbh_u32_e32 v7, v2
	v_min_u32_e32 v7, 32, v7
	v_lshrrev_b32_e32 v3, 19, v8
	v_subrev_u32_e32 v12, 28, v7
	v_and_b32_e32 v3, 15, v3
	v_lshlrev_b32_sdwa v12, v12, v8 dst_sel:DWORD dst_unused:UNUSED_PAD src0_sel:DWORD src1_sel:WORD_1
	v_bfe_u32 v6, v8, 19, 4
	v_sub_u32_e32 v7, 29, v7
	v_and_b32_e32 v12, 7, v12
	v_cmp_eq_u16_e32 vcc, 0, v3
	v_cndmask_b32_e32 v2, v2, v12, vcc
	v_cndmask_b32_e32 v3, v6, v7, vcc
	v_lshlrev_b32_e32 v6, 8, v8
	v_mov_b32_e32 v7, 0x3b800000
	v_lshlrev_b32_e32 v2, 20, v2
	v_and_b32_e32 v6, 0x80000000, v6
	v_lshl_add_u32 v3, v3, 23, v7
	v_or3_b32 v2, v6, v3, v2
.LBB1_10196:
	s_or_b64 exec, exec, s[6:7]
	s_movk_i32 s4, 0xff
	v_and_b32_sdwa v3, v4, s4 dst_sel:DWORD dst_unused:UNUSED_PAD src0_sel:WORD_1 src1_sel:DWORD
	s_movk_i32 s4, 0x7f
	v_cmp_lt_i16_e32 vcc, s4, v3
	s_mov_b64 s[4:5], 0
                                        ; implicit-def: $sgpr10
	s_and_saveexec_b64 s[6:7], vcc
	s_xor_b64 s[6:7], exec, s[6:7]
	s_cbranch_execz .LBB1_10197
; %bb.46037:
	s_getpc_b64 s[14:15]
.Lpost_getpc8682:
	s_add_u32 s14, s14, (.LBB1_24533-.Lpost_getpc8682)&4294967295
	s_addc_u32 s15, s15, (.LBB1_24533-.Lpost_getpc8682)>>32
	s_setpc_b64 s[14:15]
.LBB1_10197:
	s_or_saveexec_b64 s[6:7], s[6:7]
	v_mov_b32_e32 v6, s10
	s_xor_b64 exec, exec, s[6:7]
	s_cbranch_execz .LBB1_10198
; %bb.46039:
	s_getpc_b64 s[14:15]
.Lpost_getpc8683:
	s_add_u32 s14, s14, (.LBB1_24536-.Lpost_getpc8683)&4294967295
	s_addc_u32 s15, s15, (.LBB1_24536-.Lpost_getpc8683)>>32
	s_setpc_b64 s[14:15]
.LBB1_10198:
	s_or_b64 exec, exec, s[6:7]
	s_and_saveexec_b64 s[6:7], s[4:5]
	s_cbranch_execz .LBB1_10200
.LBB1_10199:
	v_bfe_u32 v3, v4, 16, 3
	v_ffbh_u32_e32 v12, v3
	v_min_u32_e32 v12, 32, v12
	v_lshrrev_b32_e32 v6, 19, v4
	v_subrev_u32_e32 v13, 28, v12
	v_and_b32_e32 v6, 15, v6
	v_lshlrev_b32_sdwa v13, v13, v4 dst_sel:DWORD dst_unused:UNUSED_PAD src0_sel:DWORD src1_sel:WORD_1
	v_bfe_u32 v7, v4, 19, 4
	v_sub_u32_e32 v12, 29, v12
	v_and_b32_e32 v13, 7, v13
	v_cmp_eq_u16_e32 vcc, 0, v6
	v_cndmask_b32_e32 v3, v3, v13, vcc
	v_cndmask_b32_e32 v6, v7, v12, vcc
	v_lshlrev_b32_e32 v7, 8, v4
	v_mov_b32_e32 v12, 0x3b800000
	v_lshlrev_b32_e32 v3, 20, v3
	v_and_b32_e32 v7, 0x80000000, v7
	v_lshl_add_u32 v6, v6, 23, v12
	v_or3_b32 v6, v7, v6, v3
.LBB1_10200:
	s_or_b64 exec, exec, s[6:7]
	s_nop 0
	v_mfma_f32_16x16x4f32 a[0:3], v2, v6, a[0:3]
	s_movk_i32 s4, 0x7f
	v_cmp_gt_i16_sdwa s[6:7], v8, s4 src0_sel:BYTE_3 src1_sel:DWORD
	s_mov_b64 s[4:5], 0
                                        ; implicit-def: $sgpr10
	s_and_saveexec_b64 s[8:9], s[6:7]
	s_xor_b64 s[6:7], exec, s[8:9]
	s_cbranch_execz .LBB1_10201
; %bb.46041:
	s_getpc_b64 s[14:15]
.Lpost_getpc8684:
	s_add_u32 s14, s14, (.LBB1_24537-.Lpost_getpc8684)&4294967295
	s_addc_u32 s15, s15, (.LBB1_24537-.Lpost_getpc8684)>>32
	s_setpc_b64 s[14:15]
.LBB1_10201:
	s_or_saveexec_b64 s[6:7], s[6:7]
	v_mov_b32_e32 v2, s10
	s_xor_b64 exec, exec, s[6:7]
	s_cbranch_execz .LBB1_10202
; %bb.46043:
	s_getpc_b64 s[14:15]
.Lpost_getpc8685:
	s_add_u32 s14, s14, (.LBB1_24540-.Lpost_getpc8685)&4294967295
	s_addc_u32 s15, s15, (.LBB1_24540-.Lpost_getpc8685)>>32
	s_setpc_b64 s[14:15]
.LBB1_10202:
	s_or_b64 exec, exec, s[6:7]
	s_and_saveexec_b64 s[6:7], s[4:5]
	s_cbranch_execz .LBB1_10204
.LBB1_10203:
	v_bfe_u32 v2, v8, 24, 3
	v_ffbh_u32_e32 v12, v2
	v_min_u32_e32 v12, 32, v12
	v_lshrrev_b32_e32 v6, 27, v8
	v_subrev_u32_e32 v13, 28, v12
	v_and_b32_e32 v3, 0x80000000, v8
	v_and_b32_e32 v6, 15, v6
	v_bfe_u32 v7, v8, 27, 4
	v_lshlrev_b32_sdwa v8, v13, v8 dst_sel:DWORD dst_unused:UNUSED_PAD src0_sel:DWORD src1_sel:BYTE_3
	v_sub_u32_e32 v12, 29, v12
	v_and_b32_e32 v8, 7, v8
	v_cmp_eq_u16_e32 vcc, 0, v6
	v_cndmask_b32_e32 v2, v2, v8, vcc
	v_cndmask_b32_e32 v6, v7, v12, vcc
	v_mov_b32_e32 v7, 0x3b800000
	v_lshlrev_b32_e32 v2, 20, v2
	v_lshl_add_u32 v6, v6, 23, v7
	v_or3_b32 v2, v3, v6, v2
.LBB1_10204:
	s_or_b64 exec, exec, s[6:7]
	s_movk_i32 s4, 0x7f
	v_cmp_gt_i16_sdwa s[6:7], v4, s4 src0_sel:BYTE_3 src1_sel:DWORD
	s_mov_b64 s[4:5], 0
                                        ; implicit-def: $sgpr10
	s_and_saveexec_b64 s[8:9], s[6:7]
	s_xor_b64 s[6:7], exec, s[8:9]
	s_cbranch_execz .LBB1_10205
; %bb.46045:
	s_getpc_b64 s[14:15]
.Lpost_getpc8686:
	s_add_u32 s14, s14, (.LBB1_24541-.Lpost_getpc8686)&4294967295
	s_addc_u32 s15, s15, (.LBB1_24541-.Lpost_getpc8686)>>32
	s_setpc_b64 s[14:15]
.LBB1_10205:
	s_or_saveexec_b64 s[6:7], s[6:7]
	v_mov_b32_e32 v3, s10
	s_xor_b64 exec, exec, s[6:7]
	s_cbranch_execz .LBB1_10206
; %bb.46047:
	s_getpc_b64 s[14:15]
.Lpost_getpc8687:
	s_add_u32 s14, s14, (.LBB1_24544-.Lpost_getpc8687)&4294967295
	s_addc_u32 s15, s15, (.LBB1_24544-.Lpost_getpc8687)>>32
	s_setpc_b64 s[14:15]
.LBB1_10206:
	s_or_b64 exec, exec, s[6:7]
	s_and_saveexec_b64 s[6:7], s[4:5]
	s_cbranch_execz .LBB1_10208
.LBB1_10207:
	v_bfe_u32 v3, v4, 24, 3
	v_ffbh_u32_e32 v12, v3
	v_min_u32_e32 v12, 32, v12
	v_lshrrev_b32_e32 v7, 27, v4
	v_subrev_u32_e32 v13, 28, v12
	v_and_b32_e32 v6, 0x80000000, v4
	v_and_b32_e32 v7, 15, v7
	v_bfe_u32 v8, v4, 27, 4
	v_lshlrev_b32_sdwa v4, v13, v4 dst_sel:DWORD dst_unused:UNUSED_PAD src0_sel:DWORD src1_sel:BYTE_3
	v_sub_u32_e32 v12, 29, v12
	v_and_b32_e32 v4, 7, v4
	v_cmp_eq_u16_e32 vcc, 0, v7
	v_cndmask_b32_e32 v3, v3, v4, vcc
	v_cndmask_b32_e32 v4, v8, v12, vcc
	v_mov_b32_e32 v7, 0x3b800000
	v_lshlrev_b32_e32 v3, 20, v3
	v_lshl_add_u32 v4, v4, 23, v7
	v_or3_b32 v3, v6, v4, v3
.LBB1_10208:
	s_or_b64 exec, exec, s[6:7]
	s_nop 0
	v_mfma_f32_16x16x4f32 a[0:3], v2, v3, a[0:3]
	s_movk_i32 s4, 0x7f
	v_cmp_gt_i16_sdwa s[6:7], v9, s4 src0_sel:BYTE_0 src1_sel:DWORD
	s_mov_b64 s[4:5], 0
                                        ; implicit-def: $sgpr10
	s_and_saveexec_b64 s[8:9], s[6:7]
	s_xor_b64 s[6:7], exec, s[8:9]
	s_cbranch_execz .LBB1_10209
; %bb.46049:
	s_getpc_b64 s[14:15]
.Lpost_getpc8688:
	s_add_u32 s14, s14, (.LBB1_24545-.Lpost_getpc8688)&4294967295
	s_addc_u32 s15, s15, (.LBB1_24545-.Lpost_getpc8688)>>32
	s_setpc_b64 s[14:15]
.LBB1_10209:
	s_or_saveexec_b64 s[6:7], s[6:7]
	v_mov_b32_e32 v2, s10
	s_xor_b64 exec, exec, s[6:7]
	s_cbranch_execz .LBB1_10210
; %bb.46051:
	s_getpc_b64 s[14:15]
.Lpost_getpc8689:
	s_add_u32 s14, s14, (.LBB1_24548-.Lpost_getpc8689)&4294967295
	s_addc_u32 s15, s15, (.LBB1_24548-.Lpost_getpc8689)>>32
	s_setpc_b64 s[14:15]
.LBB1_10210:
	s_or_b64 exec, exec, s[6:7]
	s_and_saveexec_b64 s[6:7], s[4:5]
	s_cbranch_execz .LBB1_10212
.LBB1_10211:
	v_mov_b32_e32 v2, 8
	v_and_b32_e32 v3, 7, v9
	v_lshrrev_b32_sdwa v2, v2, v9 dst_sel:BYTE_1 dst_unused:UNUSED_PAD src0_sel:DWORD src1_sel:DWORD
	v_ffbh_u32_e32 v4, v3
	v_or_b32_sdwa v2, v9, v2 dst_sel:DWORD dst_unused:UNUSED_PAD src0_sel:BYTE_0 src1_sel:DWORD
	v_min_u32_e32 v4, 32, v4
	v_lshrrev_b16_e32 v2, 3, v2
	v_subrev_u32_e32 v6, 28, v4
	v_and_b32_e32 v2, 15, v2
	v_lshlrev_b32_e32 v6, v6, v9
	v_sub_u32_e32 v4, 29, v4
	v_and_b32_e32 v6, 7, v6
	v_cmp_eq_u16_e32 vcc, 0, v2
	v_cndmask_b32_e32 v3, v3, v6, vcc
	v_cndmask_b32_e32 v2, v2, v4, vcc
	v_lshlrev_b32_e32 v4, 24, v9
	v_mov_b32_e32 v6, 0x3b800000
	v_lshlrev_b32_e32 v3, 20, v3
	v_and_b32_e32 v4, 0x80000000, v4
	v_lshl_add_u32 v2, v2, 23, v6
	v_or3_b32 v2, v4, v2, v3
.LBB1_10212:
	s_or_b64 exec, exec, s[6:7]
	s_movk_i32 s4, 0x7f
	v_cmp_gt_i16_sdwa s[6:7], v5, s4 src0_sel:BYTE_0 src1_sel:DWORD
	s_mov_b64 s[4:5], 0
                                        ; implicit-def: $sgpr10
	s_and_saveexec_b64 s[8:9], s[6:7]
	s_xor_b64 s[6:7], exec, s[8:9]
	s_cbranch_execz .LBB1_10213
; %bb.46053:
	s_getpc_b64 s[14:15]
.Lpost_getpc8690:
	s_add_u32 s14, s14, (.LBB1_24549-.Lpost_getpc8690)&4294967295
	s_addc_u32 s15, s15, (.LBB1_24549-.Lpost_getpc8690)>>32
	s_setpc_b64 s[14:15]
.LBB1_10213:
	s_or_saveexec_b64 s[6:7], s[6:7]
	v_mov_b32_e32 v3, s10
	s_xor_b64 exec, exec, s[6:7]
	s_cbranch_execz .LBB1_10214
; %bb.46055:
	s_getpc_b64 s[14:15]
.Lpost_getpc8691:
	s_add_u32 s14, s14, (.LBB1_24552-.Lpost_getpc8691)&4294967295
	s_addc_u32 s15, s15, (.LBB1_24552-.Lpost_getpc8691)>>32
	s_setpc_b64 s[14:15]
.LBB1_10214:
	s_or_b64 exec, exec, s[6:7]
	s_and_saveexec_b64 s[6:7], s[4:5]
	s_cbranch_execz .LBB1_10216
.LBB1_10215:
	v_mov_b32_e32 v3, 8
	v_and_b32_e32 v4, 7, v5
	v_lshrrev_b32_sdwa v3, v3, v5 dst_sel:BYTE_1 dst_unused:UNUSED_PAD src0_sel:DWORD src1_sel:DWORD
	v_ffbh_u32_e32 v6, v4
	v_or_b32_sdwa v3, v5, v3 dst_sel:DWORD dst_unused:UNUSED_PAD src0_sel:BYTE_0 src1_sel:DWORD
	v_min_u32_e32 v6, 32, v6
	v_lshrrev_b16_e32 v3, 3, v3
	v_subrev_u32_e32 v7, 28, v6
	v_and_b32_e32 v3, 15, v3
	v_lshlrev_b32_e32 v7, v7, v5
	v_sub_u32_e32 v6, 29, v6
	v_and_b32_e32 v7, 7, v7
	v_cmp_eq_u16_e32 vcc, 0, v3
	v_cndmask_b32_e32 v4, v4, v7, vcc
	v_cndmask_b32_e32 v3, v3, v6, vcc
	v_lshlrev_b32_e32 v6, 24, v5
	v_mov_b32_e32 v7, 0x3b800000
	v_lshlrev_b32_e32 v4, 20, v4
	v_and_b32_e32 v6, 0x80000000, v6
	v_lshl_add_u32 v3, v3, 23, v7
	v_or3_b32 v3, v6, v3, v4
.LBB1_10216:
	s_or_b64 exec, exec, s[6:7]
	s_nop 0
	v_mfma_f32_16x16x4f32 a[0:3], v2, v3, a[0:3]
	v_lshrrev_b32_e32 v3, 8, v9
	s_movk_i32 s4, 0x7f
	v_cmp_gt_i16_sdwa s[6:7], v3, s4 src0_sel:BYTE_0 src1_sel:DWORD
	s_mov_b64 s[4:5], 0
                                        ; implicit-def: $sgpr10
	s_and_saveexec_b64 s[8:9], s[6:7]
	s_xor_b64 s[6:7], exec, s[8:9]
	s_cbranch_execz .LBB1_10217
; %bb.46057:
	s_getpc_b64 s[14:15]
.Lpost_getpc8692:
	s_add_u32 s14, s14, (.LBB1_24553-.Lpost_getpc8692)&4294967295
	s_addc_u32 s15, s15, (.LBB1_24553-.Lpost_getpc8692)>>32
	s_setpc_b64 s[14:15]
.LBB1_10217:
	s_or_saveexec_b64 s[6:7], s[6:7]
	v_mov_b32_e32 v2, s10
	s_xor_b64 exec, exec, s[6:7]
	s_cbranch_execz .LBB1_10218
; %bb.46059:
	s_getpc_b64 s[14:15]
.Lpost_getpc8693:
	s_add_u32 s14, s14, (.LBB1_24556-.Lpost_getpc8693)&4294967295
	s_addc_u32 s15, s15, (.LBB1_24556-.Lpost_getpc8693)>>32
	s_setpc_b64 s[14:15]
.LBB1_10218:
	s_or_b64 exec, exec, s[6:7]
	s_and_saveexec_b64 s[6:7], s[4:5]
	s_cbranch_execz .LBB1_10220
.LBB1_10219:
	v_bfe_u32 v2, v9, 8, 3
	v_ffbh_u32_e32 v6, v2
	v_min_u32_e32 v6, 32, v6
	v_lshrrev_b16_e32 v4, 3, v3
	v_subrev_u32_e32 v7, 28, v6
	v_and_b32_e32 v4, 15, v4
	v_lshlrev_b32_e32 v3, v7, v3
	v_sub_u32_e32 v6, 29, v6
	v_and_b32_e32 v3, 7, v3
	v_cmp_eq_u16_e32 vcc, 0, v4
	v_cndmask_b32_e32 v2, v2, v3, vcc
	v_cndmask_b32_e32 v3, v4, v6, vcc
	v_lshlrev_b32_e32 v4, 16, v9
	v_mov_b32_e32 v6, 0x3b800000
	v_lshlrev_b32_e32 v2, 20, v2
	v_and_b32_e32 v4, 0x80000000, v4
	v_lshl_add_u32 v3, v3, 23, v6
	v_or3_b32 v2, v4, v3, v2
.LBB1_10220:
	s_or_b64 exec, exec, s[6:7]
	v_lshrrev_b32_e32 v3, 8, v5
	s_movk_i32 s4, 0x7f
	v_cmp_gt_i16_sdwa s[6:7], v3, s4 src0_sel:BYTE_0 src1_sel:DWORD
	s_mov_b64 s[4:5], 0
                                        ; implicit-def: $sgpr10
	s_and_saveexec_b64 s[8:9], s[6:7]
	s_xor_b64 s[6:7], exec, s[8:9]
	s_cbranch_execz .LBB1_10221
; %bb.46061:
	s_getpc_b64 s[14:15]
.Lpost_getpc8694:
	s_add_u32 s14, s14, (.LBB1_24557-.Lpost_getpc8694)&4294967295
	s_addc_u32 s15, s15, (.LBB1_24557-.Lpost_getpc8694)>>32
	s_setpc_b64 s[14:15]
.LBB1_10221:
	s_or_saveexec_b64 s[6:7], s[6:7]
	v_mov_b32_e32 v4, s10
	s_xor_b64 exec, exec, s[6:7]
	s_cbranch_execz .LBB1_10222
; %bb.46063:
	s_getpc_b64 s[14:15]
.Lpost_getpc8695:
	s_add_u32 s14, s14, (.LBB1_24560-.Lpost_getpc8695)&4294967295
	s_addc_u32 s15, s15, (.LBB1_24560-.Lpost_getpc8695)>>32
	s_setpc_b64 s[14:15]
.LBB1_10222:
	s_or_b64 exec, exec, s[6:7]
	s_and_saveexec_b64 s[6:7], s[4:5]
	s_cbranch_execz .LBB1_10224
.LBB1_10223:
	v_bfe_u32 v4, v5, 8, 3
	v_ffbh_u32_e32 v7, v4
	v_min_u32_e32 v7, 32, v7
	v_lshrrev_b16_e32 v6, 3, v3
	v_subrev_u32_e32 v8, 28, v7
	v_and_b32_e32 v6, 15, v6
	v_lshlrev_b32_e32 v3, v8, v3
	v_sub_u32_e32 v7, 29, v7
	v_and_b32_e32 v3, 7, v3
	v_cmp_eq_u16_e32 vcc, 0, v6
	v_cndmask_b32_e32 v3, v4, v3, vcc
	v_cndmask_b32_e32 v4, v6, v7, vcc
	v_lshlrev_b32_e32 v6, 16, v5
	v_mov_b32_e32 v7, 0x3b800000
	v_lshlrev_b32_e32 v3, 20, v3
	v_and_b32_e32 v6, 0x80000000, v6
	v_lshl_add_u32 v4, v4, 23, v7
	v_or3_b32 v4, v6, v4, v3
.LBB1_10224:
	s_or_b64 exec, exec, s[6:7]
	s_nop 0
	v_mfma_f32_16x16x4f32 a[0:3], v2, v4, a[0:3]
	s_movk_i32 s4, 0xff
	v_and_b32_sdwa v3, v9, s4 dst_sel:DWORD dst_unused:UNUSED_PAD src0_sel:WORD_1 src1_sel:DWORD
	s_movk_i32 s4, 0x7f
	v_cmp_lt_i16_e32 vcc, s4, v3
	s_mov_b64 s[4:5], 0
                                        ; implicit-def: $sgpr10
	s_and_saveexec_b64 s[6:7], vcc
	s_xor_b64 s[6:7], exec, s[6:7]
	s_cbranch_execz .LBB1_10225
; %bb.46065:
	s_getpc_b64 s[14:15]
.Lpost_getpc8696:
	s_add_u32 s14, s14, (.LBB1_24561-.Lpost_getpc8696)&4294967295
	s_addc_u32 s15, s15, (.LBB1_24561-.Lpost_getpc8696)>>32
	s_setpc_b64 s[14:15]
.LBB1_10225:
	s_or_saveexec_b64 s[6:7], s[6:7]
	v_mov_b32_e32 v2, s10
	s_xor_b64 exec, exec, s[6:7]
	s_cbranch_execz .LBB1_10226
; %bb.46067:
	s_getpc_b64 s[14:15]
.Lpost_getpc8697:
	s_add_u32 s14, s14, (.LBB1_24564-.Lpost_getpc8697)&4294967295
	s_addc_u32 s15, s15, (.LBB1_24564-.Lpost_getpc8697)>>32
	s_setpc_b64 s[14:15]
.LBB1_10226:
	s_or_b64 exec, exec, s[6:7]
	s_and_saveexec_b64 s[6:7], s[4:5]
	s_cbranch_execz .LBB1_10228
.LBB1_10227:
	v_bfe_u32 v2, v9, 16, 3
	v_ffbh_u32_e32 v6, v2
	v_min_u32_e32 v6, 32, v6
	v_lshrrev_b32_e32 v3, 19, v9
	v_subrev_u32_e32 v7, 28, v6
	v_and_b32_e32 v3, 15, v3
	v_lshlrev_b32_sdwa v7, v7, v9 dst_sel:DWORD dst_unused:UNUSED_PAD src0_sel:DWORD src1_sel:WORD_1
	v_bfe_u32 v4, v9, 19, 4
	v_sub_u32_e32 v6, 29, v6
	v_and_b32_e32 v7, 7, v7
	v_cmp_eq_u16_e32 vcc, 0, v3
	v_cndmask_b32_e32 v2, v2, v7, vcc
	v_cndmask_b32_e32 v3, v4, v6, vcc
	v_lshlrev_b32_e32 v4, 8, v9
	v_mov_b32_e32 v6, 0x3b800000
	v_lshlrev_b32_e32 v2, 20, v2
	v_and_b32_e32 v4, 0x80000000, v4
	v_lshl_add_u32 v3, v3, 23, v6
	v_or3_b32 v2, v4, v3, v2
.LBB1_10228:
	s_or_b64 exec, exec, s[6:7]
	s_movk_i32 s4, 0xff
	v_and_b32_sdwa v3, v5, s4 dst_sel:DWORD dst_unused:UNUSED_PAD src0_sel:WORD_1 src1_sel:DWORD
	s_movk_i32 s4, 0x7f
	v_cmp_lt_i16_e32 vcc, s4, v3
	s_mov_b64 s[4:5], 0
                                        ; implicit-def: $sgpr10
	s_and_saveexec_b64 s[6:7], vcc
	s_xor_b64 s[6:7], exec, s[6:7]
	s_cbranch_execz .LBB1_10229
; %bb.46069:
	s_getpc_b64 s[14:15]
.Lpost_getpc8698:
	s_add_u32 s14, s14, (.LBB1_24565-.Lpost_getpc8698)&4294967295
	s_addc_u32 s15, s15, (.LBB1_24565-.Lpost_getpc8698)>>32
	s_setpc_b64 s[14:15]
.LBB1_10229:
	s_or_saveexec_b64 s[6:7], s[6:7]
	v_mov_b32_e32 v4, s10
	s_xor_b64 exec, exec, s[6:7]
	s_cbranch_execz .LBB1_10230
; %bb.46071:
	s_getpc_b64 s[14:15]
.Lpost_getpc8699:
	s_add_u32 s14, s14, (.LBB1_24568-.Lpost_getpc8699)&4294967295
	s_addc_u32 s15, s15, (.LBB1_24568-.Lpost_getpc8699)>>32
	s_setpc_b64 s[14:15]
.LBB1_10230:
	s_or_b64 exec, exec, s[6:7]
	s_and_saveexec_b64 s[6:7], s[4:5]
	s_cbranch_execz .LBB1_10232
.LBB1_10231:
	v_bfe_u32 v3, v5, 16, 3
	v_ffbh_u32_e32 v7, v3
	v_min_u32_e32 v7, 32, v7
	v_lshrrev_b32_e32 v4, 19, v5
	v_subrev_u32_e32 v8, 28, v7
	v_and_b32_e32 v4, 15, v4
	v_lshlrev_b32_sdwa v8, v8, v5 dst_sel:DWORD dst_unused:UNUSED_PAD src0_sel:DWORD src1_sel:WORD_1
	v_bfe_u32 v6, v5, 19, 4
	v_sub_u32_e32 v7, 29, v7
	v_and_b32_e32 v8, 7, v8
	v_cmp_eq_u16_e32 vcc, 0, v4
	v_cndmask_b32_e32 v3, v3, v8, vcc
	v_cndmask_b32_e32 v4, v6, v7, vcc
	v_lshlrev_b32_e32 v6, 8, v5
	v_mov_b32_e32 v7, 0x3b800000
	v_lshlrev_b32_e32 v3, 20, v3
	v_and_b32_e32 v6, 0x80000000, v6
	v_lshl_add_u32 v4, v4, 23, v7
	v_or3_b32 v4, v6, v4, v3
.LBB1_10232:
	s_or_b64 exec, exec, s[6:7]
	s_nop 0
	v_mfma_f32_16x16x4f32 a[0:3], v2, v4, a[0:3]
	s_movk_i32 s4, 0x7f
	v_cmp_gt_i16_sdwa s[6:7], v9, s4 src0_sel:BYTE_3 src1_sel:DWORD
	s_mov_b64 s[4:5], 0
                                        ; implicit-def: $sgpr10
	s_and_saveexec_b64 s[8:9], s[6:7]
	s_xor_b64 s[6:7], exec, s[8:9]
	s_cbranch_execz .LBB1_10233
; %bb.46073:
	s_getpc_b64 s[14:15]
.Lpost_getpc8700:
	s_add_u32 s14, s14, (.LBB1_24569-.Lpost_getpc8700)&4294967295
	s_addc_u32 s15, s15, (.LBB1_24569-.Lpost_getpc8700)>>32
	s_setpc_b64 s[14:15]
.LBB1_10233:
	s_or_saveexec_b64 s[6:7], s[6:7]
	v_mov_b32_e32 v2, s10
	s_xor_b64 exec, exec, s[6:7]
	s_cbranch_execz .LBB1_10234
; %bb.46075:
	s_getpc_b64 s[14:15]
.Lpost_getpc8701:
	s_add_u32 s14, s14, (.LBB1_24572-.Lpost_getpc8701)&4294967295
	s_addc_u32 s15, s15, (.LBB1_24572-.Lpost_getpc8701)>>32
	s_setpc_b64 s[14:15]
.LBB1_10234:
	s_or_b64 exec, exec, s[6:7]
	s_and_saveexec_b64 s[6:7], s[4:5]
	s_cbranch_execz .LBB1_10236
.LBB1_10235:
	v_bfe_u32 v2, v9, 24, 3
	v_ffbh_u32_e32 v7, v2
	v_min_u32_e32 v7, 32, v7
	v_lshrrev_b32_e32 v4, 27, v9
	v_subrev_u32_e32 v8, 28, v7
	v_and_b32_e32 v4, 15, v4
	v_lshlrev_b32_sdwa v8, v8, v9 dst_sel:DWORD dst_unused:UNUSED_PAD src0_sel:DWORD src1_sel:BYTE_3
	v_bfe_u32 v6, v9, 27, 4
	v_sub_u32_e32 v7, 29, v7
	v_and_b32_e32 v8, 7, v8
	v_cmp_eq_u16_e32 vcc, 0, v4
	v_cndmask_b32_e32 v2, v2, v8, vcc
	v_cndmask_b32_e32 v4, v6, v7, vcc
	v_mov_b32_e32 v6, 0x3b800000
	v_and_b32_e32 v3, 0x80000000, v9
	v_lshlrev_b32_e32 v2, 20, v2
	v_lshl_add_u32 v4, v4, 23, v6
	v_or3_b32 v2, v3, v4, v2
.LBB1_10236:
	s_or_b64 exec, exec, s[6:7]
	s_movk_i32 s4, 0x7f
	v_cmp_gt_i16_sdwa s[6:7], v5, s4 src0_sel:BYTE_3 src1_sel:DWORD
	s_mov_b64 s[4:5], 0
                                        ; implicit-def: $sgpr10
	s_and_saveexec_b64 s[8:9], s[6:7]
	s_xor_b64 s[6:7], exec, s[8:9]
	s_cbranch_execz .LBB1_10237
; %bb.46077:
	s_getpc_b64 s[14:15]
.Lpost_getpc8702:
	s_add_u32 s14, s14, (.LBB1_24573-.Lpost_getpc8702)&4294967295
	s_addc_u32 s15, s15, (.LBB1_24573-.Lpost_getpc8702)>>32
	s_setpc_b64 s[14:15]
.LBB1_10237:
	s_or_saveexec_b64 s[6:7], s[6:7]
	v_mov_b32_e32 v3, s10
	s_xor_b64 exec, exec, s[6:7]
	s_cbranch_execz .LBB1_10238
; %bb.46079:
	s_getpc_b64 s[14:15]
.Lpost_getpc8703:
	s_add_u32 s14, s14, (.LBB1_24576-.Lpost_getpc8703)&4294967295
	s_addc_u32 s15, s15, (.LBB1_24576-.Lpost_getpc8703)>>32
	s_setpc_b64 s[14:15]
.LBB1_10238:
	s_or_b64 exec, exec, s[6:7]
	s_and_saveexec_b64 s[6:7], s[4:5]
	s_cbranch_execz .LBB1_10240
.LBB1_10239:
	v_bfe_u32 v3, v5, 24, 3
	v_ffbh_u32_e32 v8, v3
	v_min_u32_e32 v8, 32, v8
	v_lshrrev_b32_e32 v6, 27, v5
	v_subrev_u32_e32 v9, 28, v8
	v_and_b32_e32 v4, 0x80000000, v5
	v_and_b32_e32 v6, 15, v6
	v_bfe_u32 v7, v5, 27, 4
	v_lshlrev_b32_sdwa v5, v9, v5 dst_sel:DWORD dst_unused:UNUSED_PAD src0_sel:DWORD src1_sel:BYTE_3
	v_sub_u32_e32 v8, 29, v8
	v_and_b32_e32 v5, 7, v5
	v_cmp_eq_u16_e32 vcc, 0, v6
	v_cndmask_b32_e32 v3, v3, v5, vcc
	v_cndmask_b32_e32 v5, v7, v8, vcc
	v_mov_b32_e32 v6, 0x3b800000
	v_lshlrev_b32_e32 v3, 20, v3
	v_lshl_add_u32 v5, v5, 23, v6
	v_or3_b32 v3, v4, v5, v3
.LBB1_10240:
	s_or_b64 exec, exec, s[6:7]
	s_nop 0
	v_mfma_f32_16x16x4f32 a[0:3], v2, v3, a[0:3]
	s_movk_i32 s4, 0x7f
                                        ; implicit-def: $sgpr10
	s_nop 7
	s_nop 1
	flat_store_dwordx4 v[10:11], a[0:3] offset:368
	flat_load_dwordx4 v[12:15], v[0:1]
	s_nop 0
	flat_load_dwordx2 v[10:11], v[0:1] offset:16
	s_waitcnt vmcnt(0) lgkmcnt(0)
	flat_load_dwordx4 v[6:9], v[12:13] offset:160
	flat_load_dwordx4 v[2:5], v[14:15] offset:128
	s_waitcnt vmcnt(0) lgkmcnt(0)
	v_cmp_gt_i16_sdwa s[6:7], v6, s4 src0_sel:BYTE_0 src1_sel:DWORD
	s_mov_b64 s[4:5], 0
	s_and_saveexec_b64 s[8:9], s[6:7]
	s_xor_b64 s[6:7], exec, s[8:9]
	s_cbranch_execz .LBB1_10241
; %bb.46081:
	s_getpc_b64 s[14:15]
.Lpost_getpc8704:
	s_add_u32 s14, s14, (.LBB1_24577-.Lpost_getpc8704)&4294967295
	s_addc_u32 s15, s15, (.LBB1_24577-.Lpost_getpc8704)>>32
	s_setpc_b64 s[14:15]
.LBB1_10241:
	s_or_saveexec_b64 s[6:7], s[6:7]
	v_mov_b32_e32 v12, s10
	s_xor_b64 exec, exec, s[6:7]
	s_cbranch_execz .LBB1_10242
; %bb.46083:
	s_getpc_b64 s[14:15]
.Lpost_getpc8705:
	s_add_u32 s14, s14, (.LBB1_24580-.Lpost_getpc8705)&4294967295
	s_addc_u32 s15, s15, (.LBB1_24580-.Lpost_getpc8705)>>32
	s_setpc_b64 s[14:15]
.LBB1_10242:
	s_or_b64 exec, exec, s[6:7]
	s_and_saveexec_b64 s[6:7], s[4:5]
	s_cbranch_execz .LBB1_10244
.LBB1_10243:
	v_and_b32_e32 v12, 7, v6
	v_ffbh_u32_e32 v14, v12
	v_min_u32_e32 v14, 32, v14
	v_lshrrev_b16_e32 v13, 3, v6
	v_subrev_u32_e32 v15, 28, v14
	v_and_b32_e32 v13, 15, v13
	v_lshlrev_b32_e32 v15, v15, v6
	v_sub_u32_e32 v14, 29, v14
	v_and_b32_e32 v15, 7, v15
	v_cmp_eq_u16_e32 vcc, 0, v13
	v_cndmask_b32_e32 v12, v12, v15, vcc
	v_cndmask_b32_e32 v13, v13, v14, vcc
	v_lshlrev_b32_e32 v14, 24, v6
	v_mov_b32_e32 v15, 0x3b800000
	v_lshlrev_b32_e32 v12, 20, v12
	v_and_b32_e32 v14, 0x80000000, v14
	v_lshl_add_u32 v13, v13, 23, v15
	v_or3_b32 v12, v14, v13, v12
.LBB1_10244:
	s_or_b64 exec, exec, s[6:7]
	s_movk_i32 s4, 0x7f
	v_cmp_gt_i16_sdwa s[6:7], v2, s4 src0_sel:BYTE_0 src1_sel:DWORD
	s_mov_b64 s[4:5], 0
                                        ; implicit-def: $sgpr10
	s_and_saveexec_b64 s[8:9], s[6:7]
	s_xor_b64 s[6:7], exec, s[8:9]
	s_cbranch_execz .LBB1_10245
; %bb.46085:
	s_getpc_b64 s[14:15]
.Lpost_getpc8706:
	s_add_u32 s14, s14, (.LBB1_24581-.Lpost_getpc8706)&4294967295
	s_addc_u32 s15, s15, (.LBB1_24581-.Lpost_getpc8706)>>32
	s_setpc_b64 s[14:15]
.LBB1_10245:
	s_or_saveexec_b64 s[6:7], s[6:7]
	v_mov_b32_e32 v13, s10
	s_xor_b64 exec, exec, s[6:7]
	s_cbranch_execz .LBB1_10246
; %bb.46087:
	s_getpc_b64 s[14:15]
.Lpost_getpc8707:
	s_add_u32 s14, s14, (.LBB1_24584-.Lpost_getpc8707)&4294967295
	s_addc_u32 s15, s15, (.LBB1_24584-.Lpost_getpc8707)>>32
	s_setpc_b64 s[14:15]
.LBB1_10246:
	s_or_b64 exec, exec, s[6:7]
	s_and_saveexec_b64 s[6:7], s[4:5]
	s_cbranch_execz .LBB1_10248
.LBB1_10247:
	v_and_b32_e32 v13, 7, v2
	v_ffbh_u32_e32 v15, v13
	v_min_u32_e32 v15, 32, v15
	v_lshrrev_b16_e32 v14, 3, v2
	v_subrev_u32_e32 v16, 28, v15
	v_and_b32_e32 v14, 15, v14
	v_lshlrev_b32_e32 v16, v16, v2
	v_sub_u32_e32 v15, 29, v15
	v_and_b32_e32 v16, 7, v16
	v_cmp_eq_u16_e32 vcc, 0, v14
	v_cndmask_b32_e32 v13, v13, v16, vcc
	v_cndmask_b32_e32 v14, v14, v15, vcc
	v_lshlrev_b32_e32 v15, 24, v2
	v_mov_b32_e32 v16, 0x3b800000
	v_lshlrev_b32_e32 v13, 20, v13
	v_and_b32_e32 v15, 0x80000000, v15
	v_lshl_add_u32 v14, v14, 23, v16
	v_or3_b32 v13, v15, v14, v13
.LBB1_10248:
	s_or_b64 exec, exec, s[6:7]
	flat_load_dwordx4 a[0:3], v[10:11] offset:384
	s_movk_i32 s4, 0x7f
                                        ; implicit-def: $sgpr10
	s_waitcnt vmcnt(0) lgkmcnt(0)
	v_mfma_f32_16x16x4f32 a[0:3], v12, v13, a[0:3]
	v_lshrrev_b32_e32 v13, 8, v6
	v_cmp_gt_i16_sdwa s[6:7], v13, s4 src0_sel:BYTE_0 src1_sel:DWORD
	s_mov_b64 s[4:5], 0
	s_and_saveexec_b64 s[8:9], s[6:7]
	s_xor_b64 s[6:7], exec, s[8:9]
	s_cbranch_execz .LBB1_10249
; %bb.46089:
	s_getpc_b64 s[14:15]
.Lpost_getpc8708:
	s_add_u32 s14, s14, (.LBB1_24585-.Lpost_getpc8708)&4294967295
	s_addc_u32 s15, s15, (.LBB1_24585-.Lpost_getpc8708)>>32
	s_setpc_b64 s[14:15]
.LBB1_10249:
	s_or_saveexec_b64 s[6:7], s[6:7]
	v_mov_b32_e32 v12, s10
	s_xor_b64 exec, exec, s[6:7]
	s_cbranch_execz .LBB1_10250
; %bb.46091:
	s_getpc_b64 s[14:15]
.Lpost_getpc8709:
	s_add_u32 s14, s14, (.LBB1_24588-.Lpost_getpc8709)&4294967295
	s_addc_u32 s15, s15, (.LBB1_24588-.Lpost_getpc8709)>>32
	s_setpc_b64 s[14:15]
.LBB1_10250:
	s_or_b64 exec, exec, s[6:7]
	s_and_saveexec_b64 s[6:7], s[4:5]
	s_cbranch_execz .LBB1_10252
.LBB1_10251:
	v_bfe_u32 v12, v6, 8, 3
	v_ffbh_u32_e32 v15, v12
	v_min_u32_e32 v15, 32, v15
	v_lshrrev_b16_e32 v14, 3, v13
	v_subrev_u32_e32 v16, 28, v15
	v_and_b32_e32 v14, 15, v14
	v_lshlrev_b32_e32 v13, v16, v13
	v_sub_u32_e32 v15, 29, v15
	v_and_b32_e32 v13, 7, v13
	v_cmp_eq_u16_e32 vcc, 0, v14
	v_cndmask_b32_e32 v12, v12, v13, vcc
	v_cndmask_b32_e32 v13, v14, v15, vcc
	v_lshlrev_b32_e32 v14, 16, v6
	v_mov_b32_e32 v15, 0x3b800000
	v_lshlrev_b32_e32 v12, 20, v12
	v_and_b32_e32 v14, 0x80000000, v14
	v_lshl_add_u32 v13, v13, 23, v15
	v_or3_b32 v12, v14, v13, v12
.LBB1_10252:
	s_or_b64 exec, exec, s[6:7]
	v_lshrrev_b32_e32 v13, 8, v2
	s_movk_i32 s4, 0x7f
	v_cmp_gt_i16_sdwa s[6:7], v13, s4 src0_sel:BYTE_0 src1_sel:DWORD
	s_mov_b64 s[4:5], 0
                                        ; implicit-def: $sgpr10
	s_and_saveexec_b64 s[8:9], s[6:7]
	s_xor_b64 s[6:7], exec, s[8:9]
	s_cbranch_execz .LBB1_10253
; %bb.46093:
	s_getpc_b64 s[14:15]
.Lpost_getpc8710:
	s_add_u32 s14, s14, (.LBB1_24589-.Lpost_getpc8710)&4294967295
	s_addc_u32 s15, s15, (.LBB1_24589-.Lpost_getpc8710)>>32
	s_setpc_b64 s[14:15]
.LBB1_10253:
	s_or_saveexec_b64 s[6:7], s[6:7]
	v_mov_b32_e32 v14, s10
	s_xor_b64 exec, exec, s[6:7]
	s_cbranch_execz .LBB1_10254
; %bb.46095:
	s_getpc_b64 s[14:15]
.Lpost_getpc8711:
	s_add_u32 s14, s14, (.LBB1_24592-.Lpost_getpc8711)&4294967295
	s_addc_u32 s15, s15, (.LBB1_24592-.Lpost_getpc8711)>>32
	s_setpc_b64 s[14:15]
.LBB1_10254:
	s_or_b64 exec, exec, s[6:7]
	s_and_saveexec_b64 s[6:7], s[4:5]
	s_cbranch_execz .LBB1_10256
.LBB1_10255:
	v_bfe_u32 v14, v2, 8, 3
	v_ffbh_u32_e32 v16, v14
	v_min_u32_e32 v16, 32, v16
	v_lshrrev_b16_e32 v15, 3, v13
	v_subrev_u32_e32 v17, 28, v16
	v_and_b32_e32 v15, 15, v15
	v_lshlrev_b32_e32 v13, v17, v13
	v_sub_u32_e32 v16, 29, v16
	v_and_b32_e32 v13, 7, v13
	v_cmp_eq_u16_e32 vcc, 0, v15
	v_cndmask_b32_e32 v13, v14, v13, vcc
	v_cndmask_b32_e32 v14, v15, v16, vcc
	v_lshlrev_b32_e32 v15, 16, v2
	v_mov_b32_e32 v16, 0x3b800000
	v_lshlrev_b32_e32 v13, 20, v13
	v_and_b32_e32 v15, 0x80000000, v15
	v_lshl_add_u32 v14, v14, 23, v16
	v_or3_b32 v14, v15, v14, v13
.LBB1_10256:
	s_or_b64 exec, exec, s[6:7]
	s_nop 0
	v_mfma_f32_16x16x4f32 a[0:3], v12, v14, a[0:3]
	s_movk_i32 s4, 0xff
	v_and_b32_sdwa v13, v6, s4 dst_sel:DWORD dst_unused:UNUSED_PAD src0_sel:WORD_1 src1_sel:DWORD
	s_movk_i32 s4, 0x7f
	v_cmp_lt_i16_e32 vcc, s4, v13
	s_mov_b64 s[4:5], 0
                                        ; implicit-def: $sgpr10
	s_and_saveexec_b64 s[6:7], vcc
	s_xor_b64 s[6:7], exec, s[6:7]
	s_cbranch_execz .LBB1_10257
; %bb.46097:
	s_getpc_b64 s[14:15]
.Lpost_getpc8712:
	s_add_u32 s14, s14, (.LBB1_24593-.Lpost_getpc8712)&4294967295
	s_addc_u32 s15, s15, (.LBB1_24593-.Lpost_getpc8712)>>32
	s_setpc_b64 s[14:15]
.LBB1_10257:
	s_or_saveexec_b64 s[6:7], s[6:7]
	v_mov_b32_e32 v12, s10
	s_xor_b64 exec, exec, s[6:7]
	s_cbranch_execz .LBB1_10258
; %bb.46099:
	s_getpc_b64 s[14:15]
.Lpost_getpc8713:
	s_add_u32 s14, s14, (.LBB1_24596-.Lpost_getpc8713)&4294967295
	s_addc_u32 s15, s15, (.LBB1_24596-.Lpost_getpc8713)>>32
	s_setpc_b64 s[14:15]
.LBB1_10258:
	s_or_b64 exec, exec, s[6:7]
	s_and_saveexec_b64 s[6:7], s[4:5]
	s_cbranch_execz .LBB1_10260
.LBB1_10259:
	v_bfe_u32 v12, v6, 16, 3
	v_ffbh_u32_e32 v15, v12
	v_min_u32_e32 v15, 32, v15
	v_lshrrev_b32_e32 v13, 19, v6
	v_subrev_u32_e32 v16, 28, v15
	v_and_b32_e32 v13, 15, v13
	v_lshlrev_b32_sdwa v16, v16, v6 dst_sel:DWORD dst_unused:UNUSED_PAD src0_sel:DWORD src1_sel:WORD_1
	v_bfe_u32 v14, v6, 19, 4
	v_sub_u32_e32 v15, 29, v15
	v_and_b32_e32 v16, 7, v16
	v_cmp_eq_u16_e32 vcc, 0, v13
	v_cndmask_b32_e32 v12, v12, v16, vcc
	v_cndmask_b32_e32 v13, v14, v15, vcc
	v_lshlrev_b32_e32 v14, 8, v6
	v_mov_b32_e32 v15, 0x3b800000
	v_lshlrev_b32_e32 v12, 20, v12
	v_and_b32_e32 v14, 0x80000000, v14
	v_lshl_add_u32 v13, v13, 23, v15
	v_or3_b32 v12, v14, v13, v12
.LBB1_10260:
	s_or_b64 exec, exec, s[6:7]
	s_movk_i32 s4, 0xff
	v_and_b32_sdwa v13, v2, s4 dst_sel:DWORD dst_unused:UNUSED_PAD src0_sel:WORD_1 src1_sel:DWORD
	s_movk_i32 s4, 0x7f
	v_cmp_lt_i16_e32 vcc, s4, v13
	s_mov_b64 s[4:5], 0
                                        ; implicit-def: $sgpr10
	s_and_saveexec_b64 s[6:7], vcc
	s_xor_b64 s[6:7], exec, s[6:7]
	s_cbranch_execz .LBB1_10261
; %bb.46101:
	s_getpc_b64 s[14:15]
.Lpost_getpc8714:
	s_add_u32 s14, s14, (.LBB1_24597-.Lpost_getpc8714)&4294967295
	s_addc_u32 s15, s15, (.LBB1_24597-.Lpost_getpc8714)>>32
	s_setpc_b64 s[14:15]
.LBB1_10261:
	s_or_saveexec_b64 s[6:7], s[6:7]
	v_mov_b32_e32 v14, s10
	s_xor_b64 exec, exec, s[6:7]
	s_cbranch_execz .LBB1_10262
; %bb.46103:
	s_getpc_b64 s[14:15]
.Lpost_getpc8715:
	s_add_u32 s14, s14, (.LBB1_24600-.Lpost_getpc8715)&4294967295
	s_addc_u32 s15, s15, (.LBB1_24600-.Lpost_getpc8715)>>32
	s_setpc_b64 s[14:15]
.LBB1_10262:
	s_or_b64 exec, exec, s[6:7]
	s_and_saveexec_b64 s[6:7], s[4:5]
	s_cbranch_execz .LBB1_10264
.LBB1_10263:
	v_bfe_u32 v13, v2, 16, 3
	v_ffbh_u32_e32 v16, v13
	v_min_u32_e32 v16, 32, v16
	v_lshrrev_b32_e32 v14, 19, v2
	v_subrev_u32_e32 v17, 28, v16
	v_and_b32_e32 v14, 15, v14
	v_lshlrev_b32_sdwa v17, v17, v2 dst_sel:DWORD dst_unused:UNUSED_PAD src0_sel:DWORD src1_sel:WORD_1
	v_bfe_u32 v15, v2, 19, 4
	v_sub_u32_e32 v16, 29, v16
	v_and_b32_e32 v17, 7, v17
	v_cmp_eq_u16_e32 vcc, 0, v14
	v_cndmask_b32_e32 v13, v13, v17, vcc
	v_cndmask_b32_e32 v14, v15, v16, vcc
	v_lshlrev_b32_e32 v15, 8, v2
	v_mov_b32_e32 v16, 0x3b800000
	v_lshlrev_b32_e32 v13, 20, v13
	v_and_b32_e32 v15, 0x80000000, v15
	v_lshl_add_u32 v14, v14, 23, v16
	v_or3_b32 v14, v15, v14, v13
.LBB1_10264:
	s_or_b64 exec, exec, s[6:7]
	s_nop 0
	v_mfma_f32_16x16x4f32 a[0:3], v12, v14, a[0:3]
	s_movk_i32 s4, 0x7f
	v_cmp_gt_i16_sdwa s[6:7], v6, s4 src0_sel:BYTE_3 src1_sel:DWORD
	s_mov_b64 s[4:5], 0
                                        ; implicit-def: $sgpr10
	s_and_saveexec_b64 s[8:9], s[6:7]
	s_xor_b64 s[6:7], exec, s[8:9]
	s_cbranch_execz .LBB1_10265
; %bb.46105:
	s_getpc_b64 s[14:15]
.Lpost_getpc8716:
	s_add_u32 s14, s14, (.LBB1_24601-.Lpost_getpc8716)&4294967295
	s_addc_u32 s15, s15, (.LBB1_24601-.Lpost_getpc8716)>>32
	s_setpc_b64 s[14:15]
.LBB1_10265:
	s_or_saveexec_b64 s[6:7], s[6:7]
	v_mov_b32_e32 v12, s10
	s_xor_b64 exec, exec, s[6:7]
	s_cbranch_execz .LBB1_10266
; %bb.46107:
	s_getpc_b64 s[14:15]
.Lpost_getpc8717:
	s_add_u32 s14, s14, (.LBB1_24604-.Lpost_getpc8717)&4294967295
	s_addc_u32 s15, s15, (.LBB1_24604-.Lpost_getpc8717)>>32
	s_setpc_b64 s[14:15]
.LBB1_10266:
	s_or_b64 exec, exec, s[6:7]
	s_and_saveexec_b64 s[6:7], s[4:5]
	s_cbranch_execz .LBB1_10268
.LBB1_10267:
	v_bfe_u32 v12, v6, 24, 3
	v_ffbh_u32_e32 v16, v12
	v_min_u32_e32 v16, 32, v16
	v_lshrrev_b32_e32 v14, 27, v6
	v_subrev_u32_e32 v17, 28, v16
	v_and_b32_e32 v13, 0x80000000, v6
	v_and_b32_e32 v14, 15, v14
	v_bfe_u32 v15, v6, 27, 4
	v_lshlrev_b32_sdwa v6, v17, v6 dst_sel:DWORD dst_unused:UNUSED_PAD src0_sel:DWORD src1_sel:BYTE_3
	v_sub_u32_e32 v16, 29, v16
	v_and_b32_e32 v6, 7, v6
	v_cmp_eq_u16_e32 vcc, 0, v14
	v_cndmask_b32_e32 v6, v12, v6, vcc
	v_cndmask_b32_e32 v12, v15, v16, vcc
	v_mov_b32_e32 v14, 0x3b800000
	v_lshlrev_b32_e32 v6, 20, v6
	v_lshl_add_u32 v12, v12, 23, v14
	v_or3_b32 v12, v13, v12, v6
.LBB1_10268:
	s_or_b64 exec, exec, s[6:7]
	s_movk_i32 s4, 0x7f
	v_cmp_gt_i16_sdwa s[6:7], v2, s4 src0_sel:BYTE_3 src1_sel:DWORD
	s_mov_b64 s[4:5], 0
                                        ; implicit-def: $sgpr10
	s_and_saveexec_b64 s[8:9], s[6:7]
	s_xor_b64 s[6:7], exec, s[8:9]
	s_cbranch_execz .LBB1_10269
; %bb.46109:
	s_getpc_b64 s[14:15]
.Lpost_getpc8718:
	s_add_u32 s14, s14, (.LBB1_24605-.Lpost_getpc8718)&4294967295
	s_addc_u32 s15, s15, (.LBB1_24605-.Lpost_getpc8718)>>32
	s_setpc_b64 s[14:15]
.LBB1_10269:
	s_or_saveexec_b64 s[6:7], s[6:7]
	v_mov_b32_e32 v6, s10
	s_xor_b64 exec, exec, s[6:7]
	s_cbranch_execz .LBB1_10270
; %bb.46111:
	s_getpc_b64 s[14:15]
.Lpost_getpc8719:
	s_add_u32 s14, s14, (.LBB1_24608-.Lpost_getpc8719)&4294967295
	s_addc_u32 s15, s15, (.LBB1_24608-.Lpost_getpc8719)>>32
	s_setpc_b64 s[14:15]
.LBB1_10270:
	s_or_b64 exec, exec, s[6:7]
	s_and_saveexec_b64 s[6:7], s[4:5]
	s_cbranch_execz .LBB1_10272
.LBB1_10271:
	v_bfe_u32 v6, v2, 24, 3
	v_ffbh_u32_e32 v16, v6
	v_min_u32_e32 v16, 32, v16
	v_lshrrev_b32_e32 v14, 27, v2
	v_subrev_u32_e32 v17, 28, v16
	v_and_b32_e32 v13, 0x80000000, v2
	v_and_b32_e32 v14, 15, v14
	v_bfe_u32 v15, v2, 27, 4
	v_lshlrev_b32_sdwa v2, v17, v2 dst_sel:DWORD dst_unused:UNUSED_PAD src0_sel:DWORD src1_sel:BYTE_3
	v_sub_u32_e32 v16, 29, v16
	v_and_b32_e32 v2, 7, v2
	v_cmp_eq_u16_e32 vcc, 0, v14
	v_cndmask_b32_e32 v2, v6, v2, vcc
	v_cndmask_b32_e32 v6, v15, v16, vcc
	v_mov_b32_e32 v14, 0x3b800000
	v_lshlrev_b32_e32 v2, 20, v2
	v_lshl_add_u32 v6, v6, 23, v14
	v_or3_b32 v6, v13, v6, v2
.LBB1_10272:
	s_or_b64 exec, exec, s[6:7]
	s_nop 0
	v_mfma_f32_16x16x4f32 a[0:3], v12, v6, a[0:3]
	s_movk_i32 s4, 0x7f
	v_cmp_gt_i16_sdwa s[6:7], v7, s4 src0_sel:BYTE_0 src1_sel:DWORD
	s_mov_b64 s[4:5], 0
                                        ; implicit-def: $sgpr10
	s_and_saveexec_b64 s[8:9], s[6:7]
	s_xor_b64 s[6:7], exec, s[8:9]
	s_cbranch_execz .LBB1_10273
; %bb.46113:
	s_getpc_b64 s[14:15]
.Lpost_getpc8720:
	s_add_u32 s14, s14, (.LBB1_24609-.Lpost_getpc8720)&4294967295
	s_addc_u32 s15, s15, (.LBB1_24609-.Lpost_getpc8720)>>32
	s_setpc_b64 s[14:15]
.LBB1_10273:
	s_or_saveexec_b64 s[6:7], s[6:7]
	v_mov_b32_e32 v2, s10
	s_xor_b64 exec, exec, s[6:7]
	s_cbranch_execz .LBB1_10274
; %bb.46115:
	s_getpc_b64 s[14:15]
.Lpost_getpc8721:
	s_add_u32 s14, s14, (.LBB1_24612-.Lpost_getpc8721)&4294967295
	s_addc_u32 s15, s15, (.LBB1_24612-.Lpost_getpc8721)>>32
	s_setpc_b64 s[14:15]
.LBB1_10274:
	s_or_b64 exec, exec, s[6:7]
	s_and_saveexec_b64 s[6:7], s[4:5]
	s_cbranch_execz .LBB1_10276
.LBB1_10275:
	v_and_b32_e32 v2, 7, v7
	v_ffbh_u32_e32 v12, v2
	v_min_u32_e32 v12, 32, v12
	v_lshrrev_b16_e32 v6, 3, v7
	v_subrev_u32_e32 v13, 28, v12
	v_and_b32_e32 v6, 15, v6
	v_lshlrev_b32_e32 v13, v13, v7
	v_sub_u32_e32 v12, 29, v12
	v_and_b32_e32 v13, 7, v13
	v_cmp_eq_u16_e32 vcc, 0, v6
	v_cndmask_b32_e32 v2, v2, v13, vcc
	v_cndmask_b32_e32 v6, v6, v12, vcc
	v_lshlrev_b32_e32 v12, 24, v7
	v_mov_b32_e32 v13, 0x3b800000
	v_lshlrev_b32_e32 v2, 20, v2
	v_and_b32_e32 v12, 0x80000000, v12
	v_lshl_add_u32 v6, v6, 23, v13
	v_or3_b32 v2, v12, v6, v2
.LBB1_10276:
	s_or_b64 exec, exec, s[6:7]
	s_movk_i32 s4, 0x7f
	v_cmp_gt_i16_sdwa s[6:7], v3, s4 src0_sel:BYTE_0 src1_sel:DWORD
	s_mov_b64 s[4:5], 0
                                        ; implicit-def: $sgpr10
	s_and_saveexec_b64 s[8:9], s[6:7]
	s_xor_b64 s[6:7], exec, s[8:9]
	s_cbranch_execz .LBB1_10277
; %bb.46117:
	s_getpc_b64 s[14:15]
.Lpost_getpc8722:
	s_add_u32 s14, s14, (.LBB1_24613-.Lpost_getpc8722)&4294967295
	s_addc_u32 s15, s15, (.LBB1_24613-.Lpost_getpc8722)>>32
	s_setpc_b64 s[14:15]
.LBB1_10277:
	s_or_saveexec_b64 s[6:7], s[6:7]
	v_mov_b32_e32 v6, s10
	s_xor_b64 exec, exec, s[6:7]
	s_cbranch_execz .LBB1_10278
; %bb.46119:
	s_getpc_b64 s[14:15]
.Lpost_getpc8723:
	s_add_u32 s14, s14, (.LBB1_24616-.Lpost_getpc8723)&4294967295
	s_addc_u32 s15, s15, (.LBB1_24616-.Lpost_getpc8723)>>32
	s_setpc_b64 s[14:15]
.LBB1_10278:
	s_or_b64 exec, exec, s[6:7]
	s_and_saveexec_b64 s[6:7], s[4:5]
	s_cbranch_execz .LBB1_10280
.LBB1_10279:
	v_and_b32_e32 v6, 7, v3
	v_ffbh_u32_e32 v13, v6
	v_min_u32_e32 v13, 32, v13
	v_lshrrev_b16_e32 v12, 3, v3
	v_subrev_u32_e32 v14, 28, v13
	v_and_b32_e32 v12, 15, v12
	v_lshlrev_b32_e32 v14, v14, v3
	v_sub_u32_e32 v13, 29, v13
	v_and_b32_e32 v14, 7, v14
	v_cmp_eq_u16_e32 vcc, 0, v12
	v_cndmask_b32_e32 v6, v6, v14, vcc
	v_cndmask_b32_e32 v12, v12, v13, vcc
	v_lshlrev_b32_e32 v13, 24, v3
	v_mov_b32_e32 v14, 0x3b800000
	v_lshlrev_b32_e32 v6, 20, v6
	v_and_b32_e32 v13, 0x80000000, v13
	v_lshl_add_u32 v12, v12, 23, v14
	v_or3_b32 v6, v13, v12, v6
.LBB1_10280:
	s_or_b64 exec, exec, s[6:7]
	s_nop 0
	v_mfma_f32_16x16x4f32 a[0:3], v2, v6, a[0:3]
	v_lshrrev_b32_e32 v6, 8, v7
	s_movk_i32 s4, 0x7f
	v_cmp_gt_i16_sdwa s[6:7], v6, s4 src0_sel:BYTE_0 src1_sel:DWORD
	s_mov_b64 s[4:5], 0
                                        ; implicit-def: $sgpr10
	s_and_saveexec_b64 s[8:9], s[6:7]
	s_xor_b64 s[6:7], exec, s[8:9]
	s_cbranch_execz .LBB1_10281
; %bb.46121:
	s_getpc_b64 s[14:15]
.Lpost_getpc8724:
	s_add_u32 s14, s14, (.LBB1_24617-.Lpost_getpc8724)&4294967295
	s_addc_u32 s15, s15, (.LBB1_24617-.Lpost_getpc8724)>>32
	s_setpc_b64 s[14:15]
.LBB1_10281:
	s_or_saveexec_b64 s[6:7], s[6:7]
	v_mov_b32_e32 v2, s10
	s_xor_b64 exec, exec, s[6:7]
	s_cbranch_execz .LBB1_10282
; %bb.46123:
	s_getpc_b64 s[14:15]
.Lpost_getpc8725:
	s_add_u32 s14, s14, (.LBB1_24620-.Lpost_getpc8725)&4294967295
	s_addc_u32 s15, s15, (.LBB1_24620-.Lpost_getpc8725)>>32
	s_setpc_b64 s[14:15]
.LBB1_10282:
	s_or_b64 exec, exec, s[6:7]
	s_and_saveexec_b64 s[6:7], s[4:5]
	s_cbranch_execz .LBB1_10284
.LBB1_10283:
	v_bfe_u32 v2, v7, 8, 3
	v_ffbh_u32_e32 v13, v2
	v_min_u32_e32 v13, 32, v13
	v_lshrrev_b16_e32 v12, 3, v6
	v_subrev_u32_e32 v14, 28, v13
	v_and_b32_e32 v12, 15, v12
	v_lshlrev_b32_e32 v6, v14, v6
	v_sub_u32_e32 v13, 29, v13
	v_and_b32_e32 v6, 7, v6
	v_cmp_eq_u16_e32 vcc, 0, v12
	v_cndmask_b32_e32 v2, v2, v6, vcc
	v_cndmask_b32_e32 v6, v12, v13, vcc
	v_lshlrev_b32_e32 v12, 16, v7
	v_mov_b32_e32 v13, 0x3b800000
	v_lshlrev_b32_e32 v2, 20, v2
	v_and_b32_e32 v12, 0x80000000, v12
	v_lshl_add_u32 v6, v6, 23, v13
	v_or3_b32 v2, v12, v6, v2
.LBB1_10284:
	s_or_b64 exec, exec, s[6:7]
	v_lshrrev_b32_e32 v6, 8, v3
	s_movk_i32 s4, 0x7f
	v_cmp_gt_i16_sdwa s[6:7], v6, s4 src0_sel:BYTE_0 src1_sel:DWORD
	s_mov_b64 s[4:5], 0
                                        ; implicit-def: $sgpr10
	s_and_saveexec_b64 s[8:9], s[6:7]
	s_xor_b64 s[6:7], exec, s[8:9]
	s_cbranch_execz .LBB1_10285
; %bb.46125:
	s_getpc_b64 s[14:15]
.Lpost_getpc8726:
	s_add_u32 s14, s14, (.LBB1_24621-.Lpost_getpc8726)&4294967295
	s_addc_u32 s15, s15, (.LBB1_24621-.Lpost_getpc8726)>>32
	s_setpc_b64 s[14:15]
.LBB1_10285:
	s_or_saveexec_b64 s[6:7], s[6:7]
	v_mov_b32_e32 v12, s10
	s_xor_b64 exec, exec, s[6:7]
	s_cbranch_execz .LBB1_10286
; %bb.46127:
	s_getpc_b64 s[14:15]
.Lpost_getpc8727:
	s_add_u32 s14, s14, (.LBB1_24624-.Lpost_getpc8727)&4294967295
	s_addc_u32 s15, s15, (.LBB1_24624-.Lpost_getpc8727)>>32
	s_setpc_b64 s[14:15]
.LBB1_10286:
	s_or_b64 exec, exec, s[6:7]
	s_and_saveexec_b64 s[6:7], s[4:5]
	s_cbranch_execz .LBB1_10288
.LBB1_10287:
	v_bfe_u32 v12, v3, 8, 3
	v_ffbh_u32_e32 v14, v12
	v_min_u32_e32 v14, 32, v14
	v_lshrrev_b16_e32 v13, 3, v6
	v_subrev_u32_e32 v15, 28, v14
	v_and_b32_e32 v13, 15, v13
	v_lshlrev_b32_e32 v6, v15, v6
	v_sub_u32_e32 v14, 29, v14
	v_and_b32_e32 v6, 7, v6
	v_cmp_eq_u16_e32 vcc, 0, v13
	v_cndmask_b32_e32 v6, v12, v6, vcc
	v_cndmask_b32_e32 v12, v13, v14, vcc
	v_lshlrev_b32_e32 v13, 16, v3
	v_mov_b32_e32 v14, 0x3b800000
	v_lshlrev_b32_e32 v6, 20, v6
	v_and_b32_e32 v13, 0x80000000, v13
	v_lshl_add_u32 v12, v12, 23, v14
	v_or3_b32 v12, v13, v12, v6
.LBB1_10288:
	s_or_b64 exec, exec, s[6:7]
	s_nop 0
	v_mfma_f32_16x16x4f32 a[0:3], v2, v12, a[0:3]
	s_movk_i32 s4, 0xff
	v_and_b32_sdwa v6, v7, s4 dst_sel:DWORD dst_unused:UNUSED_PAD src0_sel:WORD_1 src1_sel:DWORD
	s_movk_i32 s4, 0x7f
	v_cmp_lt_i16_e32 vcc, s4, v6
	s_mov_b64 s[4:5], 0
                                        ; implicit-def: $sgpr10
	s_and_saveexec_b64 s[6:7], vcc
	s_xor_b64 s[6:7], exec, s[6:7]
	s_cbranch_execz .LBB1_10289
; %bb.46129:
	s_getpc_b64 s[14:15]
.Lpost_getpc8728:
	s_add_u32 s14, s14, (.LBB1_24625-.Lpost_getpc8728)&4294967295
	s_addc_u32 s15, s15, (.LBB1_24625-.Lpost_getpc8728)>>32
	s_setpc_b64 s[14:15]
.LBB1_10289:
	s_or_saveexec_b64 s[6:7], s[6:7]
	v_mov_b32_e32 v2, s10
	s_xor_b64 exec, exec, s[6:7]
	s_cbranch_execz .LBB1_10290
; %bb.46131:
	s_getpc_b64 s[14:15]
.Lpost_getpc8729:
	s_add_u32 s14, s14, (.LBB1_24628-.Lpost_getpc8729)&4294967295
	s_addc_u32 s15, s15, (.LBB1_24628-.Lpost_getpc8729)>>32
	s_setpc_b64 s[14:15]
.LBB1_10290:
	s_or_b64 exec, exec, s[6:7]
	s_and_saveexec_b64 s[6:7], s[4:5]
	s_cbranch_execz .LBB1_10292
.LBB1_10291:
	v_bfe_u32 v2, v7, 16, 3
	v_ffbh_u32_e32 v13, v2
	v_min_u32_e32 v13, 32, v13
	v_lshrrev_b32_e32 v6, 19, v7
	v_subrev_u32_e32 v14, 28, v13
	v_and_b32_e32 v6, 15, v6
	v_lshlrev_b32_sdwa v14, v14, v7 dst_sel:DWORD dst_unused:UNUSED_PAD src0_sel:DWORD src1_sel:WORD_1
	v_bfe_u32 v12, v7, 19, 4
	v_sub_u32_e32 v13, 29, v13
	v_and_b32_e32 v14, 7, v14
	v_cmp_eq_u16_e32 vcc, 0, v6
	v_cndmask_b32_e32 v2, v2, v14, vcc
	v_cndmask_b32_e32 v6, v12, v13, vcc
	v_lshlrev_b32_e32 v12, 8, v7
	v_mov_b32_e32 v13, 0x3b800000
	v_lshlrev_b32_e32 v2, 20, v2
	v_and_b32_e32 v12, 0x80000000, v12
	v_lshl_add_u32 v6, v6, 23, v13
	v_or3_b32 v2, v12, v6, v2
.LBB1_10292:
	s_or_b64 exec, exec, s[6:7]
	s_movk_i32 s4, 0xff
	v_and_b32_sdwa v6, v3, s4 dst_sel:DWORD dst_unused:UNUSED_PAD src0_sel:WORD_1 src1_sel:DWORD
	s_movk_i32 s4, 0x7f
	v_cmp_lt_i16_e32 vcc, s4, v6
	s_mov_b64 s[4:5], 0
                                        ; implicit-def: $sgpr10
	s_and_saveexec_b64 s[6:7], vcc
	s_xor_b64 s[6:7], exec, s[6:7]
	s_cbranch_execz .LBB1_10293
; %bb.46133:
	s_getpc_b64 s[14:15]
.Lpost_getpc8730:
	s_add_u32 s14, s14, (.LBB1_24629-.Lpost_getpc8730)&4294967295
	s_addc_u32 s15, s15, (.LBB1_24629-.Lpost_getpc8730)>>32
	s_setpc_b64 s[14:15]
.LBB1_10293:
	s_or_saveexec_b64 s[6:7], s[6:7]
	v_mov_b32_e32 v12, s10
	s_xor_b64 exec, exec, s[6:7]
	s_cbranch_execz .LBB1_10294
; %bb.46135:
	s_getpc_b64 s[14:15]
.Lpost_getpc8731:
	s_add_u32 s14, s14, (.LBB1_24632-.Lpost_getpc8731)&4294967295
	s_addc_u32 s15, s15, (.LBB1_24632-.Lpost_getpc8731)>>32
	s_setpc_b64 s[14:15]
.LBB1_10294:
	s_or_b64 exec, exec, s[6:7]
	s_and_saveexec_b64 s[6:7], s[4:5]
	s_cbranch_execz .LBB1_10296
.LBB1_10295:
	v_bfe_u32 v6, v3, 16, 3
	v_ffbh_u32_e32 v14, v6
	v_min_u32_e32 v14, 32, v14
	v_lshrrev_b32_e32 v12, 19, v3
	v_subrev_u32_e32 v15, 28, v14
	v_and_b32_e32 v12, 15, v12
	v_lshlrev_b32_sdwa v15, v15, v3 dst_sel:DWORD dst_unused:UNUSED_PAD src0_sel:DWORD src1_sel:WORD_1
	v_bfe_u32 v13, v3, 19, 4
	v_sub_u32_e32 v14, 29, v14
	v_and_b32_e32 v15, 7, v15
	v_cmp_eq_u16_e32 vcc, 0, v12
	v_cndmask_b32_e32 v6, v6, v15, vcc
	v_cndmask_b32_e32 v12, v13, v14, vcc
	v_lshlrev_b32_e32 v13, 8, v3
	v_mov_b32_e32 v14, 0x3b800000
	v_lshlrev_b32_e32 v6, 20, v6
	v_and_b32_e32 v13, 0x80000000, v13
	v_lshl_add_u32 v12, v12, 23, v14
	v_or3_b32 v12, v13, v12, v6
.LBB1_10296:
	s_or_b64 exec, exec, s[6:7]
	s_nop 0
	v_mfma_f32_16x16x4f32 a[0:3], v2, v12, a[0:3]
	s_movk_i32 s4, 0x7f
	v_cmp_gt_i16_sdwa s[6:7], v7, s4 src0_sel:BYTE_3 src1_sel:DWORD
	s_mov_b64 s[4:5], 0
                                        ; implicit-def: $sgpr10
	s_and_saveexec_b64 s[8:9], s[6:7]
	s_xor_b64 s[6:7], exec, s[8:9]
	s_cbranch_execz .LBB1_10297
; %bb.46137:
	s_getpc_b64 s[14:15]
.Lpost_getpc8732:
	s_add_u32 s14, s14, (.LBB1_24633-.Lpost_getpc8732)&4294967295
	s_addc_u32 s15, s15, (.LBB1_24633-.Lpost_getpc8732)>>32
	s_setpc_b64 s[14:15]
.LBB1_10297:
	s_or_saveexec_b64 s[6:7], s[6:7]
	v_mov_b32_e32 v2, s10
	s_xor_b64 exec, exec, s[6:7]
	s_cbranch_execz .LBB1_10298
; %bb.46139:
	s_getpc_b64 s[14:15]
.Lpost_getpc8733:
	s_add_u32 s14, s14, (.LBB1_24636-.Lpost_getpc8733)&4294967295
	s_addc_u32 s15, s15, (.LBB1_24636-.Lpost_getpc8733)>>32
	s_setpc_b64 s[14:15]
.LBB1_10298:
	s_or_b64 exec, exec, s[6:7]
	s_and_saveexec_b64 s[6:7], s[4:5]
	s_cbranch_execz .LBB1_10300
.LBB1_10299:
	v_bfe_u32 v2, v7, 24, 3
	v_ffbh_u32_e32 v14, v2
	v_min_u32_e32 v14, 32, v14
	v_lshrrev_b32_e32 v12, 27, v7
	v_subrev_u32_e32 v15, 28, v14
	v_and_b32_e32 v6, 0x80000000, v7
	v_and_b32_e32 v12, 15, v12
	v_bfe_u32 v13, v7, 27, 4
	v_lshlrev_b32_sdwa v7, v15, v7 dst_sel:DWORD dst_unused:UNUSED_PAD src0_sel:DWORD src1_sel:BYTE_3
	v_sub_u32_e32 v14, 29, v14
	v_and_b32_e32 v7, 7, v7
	v_cmp_eq_u16_e32 vcc, 0, v12
	v_cndmask_b32_e32 v2, v2, v7, vcc
	v_cndmask_b32_e32 v7, v13, v14, vcc
	v_mov_b32_e32 v12, 0x3b800000
	v_lshlrev_b32_e32 v2, 20, v2
	v_lshl_add_u32 v7, v7, 23, v12
	v_or3_b32 v2, v6, v7, v2
.LBB1_10300:
	s_or_b64 exec, exec, s[6:7]
	s_movk_i32 s4, 0x7f
	v_cmp_gt_i16_sdwa s[6:7], v3, s4 src0_sel:BYTE_3 src1_sel:DWORD
	s_mov_b64 s[4:5], 0
                                        ; implicit-def: $sgpr10
	s_and_saveexec_b64 s[8:9], s[6:7]
	s_xor_b64 s[6:7], exec, s[8:9]
	s_cbranch_execz .LBB1_10301
; %bb.46141:
	s_getpc_b64 s[14:15]
.Lpost_getpc8734:
	s_add_u32 s14, s14, (.LBB1_24637-.Lpost_getpc8734)&4294967295
	s_addc_u32 s15, s15, (.LBB1_24637-.Lpost_getpc8734)>>32
	s_setpc_b64 s[14:15]
.LBB1_10301:
	s_or_saveexec_b64 s[6:7], s[6:7]
	v_mov_b32_e32 v6, s10
	s_xor_b64 exec, exec, s[6:7]
	s_cbranch_execz .LBB1_10302
; %bb.46143:
	s_getpc_b64 s[14:15]
.Lpost_getpc8735:
	s_add_u32 s14, s14, (.LBB1_24640-.Lpost_getpc8735)&4294967295
	s_addc_u32 s15, s15, (.LBB1_24640-.Lpost_getpc8735)>>32
	s_setpc_b64 s[14:15]
.LBB1_10302:
	s_or_b64 exec, exec, s[6:7]
	s_and_saveexec_b64 s[6:7], s[4:5]
	s_cbranch_execz .LBB1_10304
.LBB1_10303:
	v_bfe_u32 v6, v3, 24, 3
	v_ffbh_u32_e32 v14, v6
	v_min_u32_e32 v14, 32, v14
	v_lshrrev_b32_e32 v12, 27, v3
	v_subrev_u32_e32 v15, 28, v14
	v_and_b32_e32 v7, 0x80000000, v3
	v_and_b32_e32 v12, 15, v12
	v_bfe_u32 v13, v3, 27, 4
	v_lshlrev_b32_sdwa v3, v15, v3 dst_sel:DWORD dst_unused:UNUSED_PAD src0_sel:DWORD src1_sel:BYTE_3
	v_sub_u32_e32 v14, 29, v14
	v_and_b32_e32 v3, 7, v3
	v_cmp_eq_u16_e32 vcc, 0, v12
	v_cndmask_b32_e32 v3, v6, v3, vcc
	v_cndmask_b32_e32 v6, v13, v14, vcc
	v_mov_b32_e32 v12, 0x3b800000
	v_lshlrev_b32_e32 v3, 20, v3
	v_lshl_add_u32 v6, v6, 23, v12
	v_or3_b32 v6, v7, v6, v3
.LBB1_10304:
	s_or_b64 exec, exec, s[6:7]
	s_nop 0
	v_mfma_f32_16x16x4f32 a[0:3], v2, v6, a[0:3]
	s_movk_i32 s4, 0x7f
	v_cmp_gt_i16_sdwa s[6:7], v8, s4 src0_sel:BYTE_0 src1_sel:DWORD
	s_mov_b64 s[4:5], 0
                                        ; implicit-def: $sgpr10
	s_and_saveexec_b64 s[8:9], s[6:7]
	s_xor_b64 s[6:7], exec, s[8:9]
	s_cbranch_execz .LBB1_10305
; %bb.46145:
	s_getpc_b64 s[14:15]
.Lpost_getpc8736:
	s_add_u32 s14, s14, (.LBB1_24641-.Lpost_getpc8736)&4294967295
	s_addc_u32 s15, s15, (.LBB1_24641-.Lpost_getpc8736)>>32
	s_setpc_b64 s[14:15]
.LBB1_10305:
	s_or_saveexec_b64 s[6:7], s[6:7]
	v_mov_b32_e32 v2, s10
	s_xor_b64 exec, exec, s[6:7]
	s_cbranch_execz .LBB1_10306
; %bb.46147:
	s_getpc_b64 s[14:15]
.Lpost_getpc8737:
	s_add_u32 s14, s14, (.LBB1_24644-.Lpost_getpc8737)&4294967295
	s_addc_u32 s15, s15, (.LBB1_24644-.Lpost_getpc8737)>>32
	s_setpc_b64 s[14:15]
.LBB1_10306:
	s_or_b64 exec, exec, s[6:7]
	s_and_saveexec_b64 s[6:7], s[4:5]
	s_cbranch_execz .LBB1_10308
.LBB1_10307:
	v_and_b32_e32 v2, 7, v8
	v_ffbh_u32_e32 v6, v2
	v_min_u32_e32 v6, 32, v6
	v_lshrrev_b16_e32 v3, 3, v8
	v_subrev_u32_e32 v7, 28, v6
	v_and_b32_e32 v3, 15, v3
	v_lshlrev_b32_e32 v7, v7, v8
	v_sub_u32_e32 v6, 29, v6
	v_and_b32_e32 v7, 7, v7
	v_cmp_eq_u16_e32 vcc, 0, v3
	v_cndmask_b32_e32 v2, v2, v7, vcc
	v_cndmask_b32_e32 v3, v3, v6, vcc
	v_lshlrev_b32_e32 v6, 24, v8
	v_mov_b32_e32 v7, 0x3b800000
	v_lshlrev_b32_e32 v2, 20, v2
	v_and_b32_e32 v6, 0x80000000, v6
	v_lshl_add_u32 v3, v3, 23, v7
	v_or3_b32 v2, v6, v3, v2
.LBB1_10308:
	s_or_b64 exec, exec, s[6:7]
	s_movk_i32 s4, 0x7f
	v_cmp_gt_i16_sdwa s[6:7], v4, s4 src0_sel:BYTE_0 src1_sel:DWORD
	s_mov_b64 s[4:5], 0
                                        ; implicit-def: $sgpr10
	s_and_saveexec_b64 s[8:9], s[6:7]
	s_xor_b64 s[6:7], exec, s[8:9]
	s_cbranch_execz .LBB1_10309
; %bb.46149:
	s_getpc_b64 s[14:15]
.Lpost_getpc8738:
	s_add_u32 s14, s14, (.LBB1_24645-.Lpost_getpc8738)&4294967295
	s_addc_u32 s15, s15, (.LBB1_24645-.Lpost_getpc8738)>>32
	s_setpc_b64 s[14:15]
.LBB1_10309:
	s_or_saveexec_b64 s[6:7], s[6:7]
	v_mov_b32_e32 v3, s10
	s_xor_b64 exec, exec, s[6:7]
	s_cbranch_execz .LBB1_10310
; %bb.46151:
	s_getpc_b64 s[14:15]
.Lpost_getpc8739:
	s_add_u32 s14, s14, (.LBB1_24648-.Lpost_getpc8739)&4294967295
	s_addc_u32 s15, s15, (.LBB1_24648-.Lpost_getpc8739)>>32
	s_setpc_b64 s[14:15]
.LBB1_10310:
	s_or_b64 exec, exec, s[6:7]
	s_and_saveexec_b64 s[6:7], s[4:5]
	s_cbranch_execz .LBB1_10312
.LBB1_10311:
	v_and_b32_e32 v3, 7, v4
	v_ffbh_u32_e32 v7, v3
	v_min_u32_e32 v7, 32, v7
	v_lshrrev_b16_e32 v6, 3, v4
	v_subrev_u32_e32 v12, 28, v7
	v_and_b32_e32 v6, 15, v6
	v_lshlrev_b32_e32 v12, v12, v4
	v_sub_u32_e32 v7, 29, v7
	v_and_b32_e32 v12, 7, v12
	v_cmp_eq_u16_e32 vcc, 0, v6
	v_cndmask_b32_e32 v3, v3, v12, vcc
	v_cndmask_b32_e32 v6, v6, v7, vcc
	v_lshlrev_b32_e32 v7, 24, v4
	v_mov_b32_e32 v12, 0x3b800000
	v_lshlrev_b32_e32 v3, 20, v3
	v_and_b32_e32 v7, 0x80000000, v7
	v_lshl_add_u32 v6, v6, 23, v12
	v_or3_b32 v3, v7, v6, v3
.LBB1_10312:
	s_or_b64 exec, exec, s[6:7]
	s_nop 0
	v_mfma_f32_16x16x4f32 a[0:3], v2, v3, a[0:3]
	v_lshrrev_b32_e32 v3, 8, v8
	s_movk_i32 s4, 0x7f
	v_cmp_gt_i16_sdwa s[6:7], v3, s4 src0_sel:BYTE_0 src1_sel:DWORD
	s_mov_b64 s[4:5], 0
                                        ; implicit-def: $sgpr10
	s_and_saveexec_b64 s[8:9], s[6:7]
	s_xor_b64 s[6:7], exec, s[8:9]
	s_cbranch_execz .LBB1_10313
; %bb.46153:
	s_getpc_b64 s[14:15]
.Lpost_getpc8740:
	s_add_u32 s14, s14, (.LBB1_24649-.Lpost_getpc8740)&4294967295
	s_addc_u32 s15, s15, (.LBB1_24649-.Lpost_getpc8740)>>32
	s_setpc_b64 s[14:15]
.LBB1_10313:
	s_or_saveexec_b64 s[6:7], s[6:7]
	v_mov_b32_e32 v2, s10
	s_xor_b64 exec, exec, s[6:7]
	s_cbranch_execz .LBB1_10314
; %bb.46155:
	s_getpc_b64 s[14:15]
.Lpost_getpc8741:
	s_add_u32 s14, s14, (.LBB1_24652-.Lpost_getpc8741)&4294967295
	s_addc_u32 s15, s15, (.LBB1_24652-.Lpost_getpc8741)>>32
	s_setpc_b64 s[14:15]
.LBB1_10314:
	s_or_b64 exec, exec, s[6:7]
	s_and_saveexec_b64 s[6:7], s[4:5]
	s_cbranch_execz .LBB1_10316
.LBB1_10315:
	v_bfe_u32 v2, v8, 8, 3
	v_ffbh_u32_e32 v7, v2
	v_min_u32_e32 v7, 32, v7
	v_lshrrev_b16_e32 v6, 3, v3
	v_subrev_u32_e32 v12, 28, v7
	v_and_b32_e32 v6, 15, v6
	v_lshlrev_b32_e32 v3, v12, v3
	v_sub_u32_e32 v7, 29, v7
	v_and_b32_e32 v3, 7, v3
	v_cmp_eq_u16_e32 vcc, 0, v6
	v_cndmask_b32_e32 v2, v2, v3, vcc
	v_cndmask_b32_e32 v3, v6, v7, vcc
	v_lshlrev_b32_e32 v6, 16, v8
	v_mov_b32_e32 v7, 0x3b800000
	v_lshlrev_b32_e32 v2, 20, v2
	v_and_b32_e32 v6, 0x80000000, v6
	v_lshl_add_u32 v3, v3, 23, v7
	v_or3_b32 v2, v6, v3, v2
.LBB1_10316:
	s_or_b64 exec, exec, s[6:7]
	v_lshrrev_b32_e32 v3, 8, v4
	s_movk_i32 s4, 0x7f
	v_cmp_gt_i16_sdwa s[6:7], v3, s4 src0_sel:BYTE_0 src1_sel:DWORD
	s_mov_b64 s[4:5], 0
                                        ; implicit-def: $sgpr10
	s_and_saveexec_b64 s[8:9], s[6:7]
	s_xor_b64 s[6:7], exec, s[8:9]
	s_cbranch_execz .LBB1_10317
; %bb.46157:
	s_getpc_b64 s[14:15]
.Lpost_getpc8742:
	s_add_u32 s14, s14, (.LBB1_24653-.Lpost_getpc8742)&4294967295
	s_addc_u32 s15, s15, (.LBB1_24653-.Lpost_getpc8742)>>32
	s_setpc_b64 s[14:15]
.LBB1_10317:
	s_or_saveexec_b64 s[6:7], s[6:7]
	v_mov_b32_e32 v6, s10
	s_xor_b64 exec, exec, s[6:7]
	s_cbranch_execz .LBB1_10318
; %bb.46159:
	s_getpc_b64 s[14:15]
.Lpost_getpc8743:
	s_add_u32 s14, s14, (.LBB1_24656-.Lpost_getpc8743)&4294967295
	s_addc_u32 s15, s15, (.LBB1_24656-.Lpost_getpc8743)>>32
	s_setpc_b64 s[14:15]
.LBB1_10318:
	s_or_b64 exec, exec, s[6:7]
	s_and_saveexec_b64 s[6:7], s[4:5]
	s_cbranch_execz .LBB1_10320
.LBB1_10319:
	v_bfe_u32 v6, v4, 8, 3
	v_ffbh_u32_e32 v12, v6
	v_min_u32_e32 v12, 32, v12
	v_lshrrev_b16_e32 v7, 3, v3
	v_subrev_u32_e32 v13, 28, v12
	v_and_b32_e32 v7, 15, v7
	v_lshlrev_b32_e32 v3, v13, v3
	v_sub_u32_e32 v12, 29, v12
	v_and_b32_e32 v3, 7, v3
	v_cmp_eq_u16_e32 vcc, 0, v7
	v_cndmask_b32_e32 v3, v6, v3, vcc
	v_cndmask_b32_e32 v6, v7, v12, vcc
	v_lshlrev_b32_e32 v7, 16, v4
	v_mov_b32_e32 v12, 0x3b800000
	v_lshlrev_b32_e32 v3, 20, v3
	v_and_b32_e32 v7, 0x80000000, v7
	v_lshl_add_u32 v6, v6, 23, v12
	v_or3_b32 v6, v7, v6, v3
.LBB1_10320:
	s_or_b64 exec, exec, s[6:7]
	s_nop 0
	v_mfma_f32_16x16x4f32 a[0:3], v2, v6, a[0:3]
	s_movk_i32 s4, 0xff
	v_and_b32_sdwa v3, v8, s4 dst_sel:DWORD dst_unused:UNUSED_PAD src0_sel:WORD_1 src1_sel:DWORD
	s_movk_i32 s4, 0x7f
	v_cmp_lt_i16_e32 vcc, s4, v3
	s_mov_b64 s[4:5], 0
                                        ; implicit-def: $sgpr10
	s_and_saveexec_b64 s[6:7], vcc
	s_xor_b64 s[6:7], exec, s[6:7]
	s_cbranch_execz .LBB1_10321
; %bb.46161:
	s_getpc_b64 s[14:15]
.Lpost_getpc8744:
	s_add_u32 s14, s14, (.LBB1_24657-.Lpost_getpc8744)&4294967295
	s_addc_u32 s15, s15, (.LBB1_24657-.Lpost_getpc8744)>>32
	s_setpc_b64 s[14:15]
.LBB1_10321:
	s_or_saveexec_b64 s[6:7], s[6:7]
	v_mov_b32_e32 v2, s10
	s_xor_b64 exec, exec, s[6:7]
	s_cbranch_execz .LBB1_10322
; %bb.46163:
	s_getpc_b64 s[14:15]
.Lpost_getpc8745:
	s_add_u32 s14, s14, (.LBB1_24660-.Lpost_getpc8745)&4294967295
	s_addc_u32 s15, s15, (.LBB1_24660-.Lpost_getpc8745)>>32
	s_setpc_b64 s[14:15]
.LBB1_10322:
	s_or_b64 exec, exec, s[6:7]
	s_and_saveexec_b64 s[6:7], s[4:5]
	s_cbranch_execz .LBB1_10324
.LBB1_10323:
	v_bfe_u32 v2, v8, 16, 3
	v_ffbh_u32_e32 v7, v2
	v_min_u32_e32 v7, 32, v7
	v_lshrrev_b32_e32 v3, 19, v8
	v_subrev_u32_e32 v12, 28, v7
	v_and_b32_e32 v3, 15, v3
	v_lshlrev_b32_sdwa v12, v12, v8 dst_sel:DWORD dst_unused:UNUSED_PAD src0_sel:DWORD src1_sel:WORD_1
	v_bfe_u32 v6, v8, 19, 4
	v_sub_u32_e32 v7, 29, v7
	v_and_b32_e32 v12, 7, v12
	v_cmp_eq_u16_e32 vcc, 0, v3
	v_cndmask_b32_e32 v2, v2, v12, vcc
	v_cndmask_b32_e32 v3, v6, v7, vcc
	v_lshlrev_b32_e32 v6, 8, v8
	v_mov_b32_e32 v7, 0x3b800000
	v_lshlrev_b32_e32 v2, 20, v2
	v_and_b32_e32 v6, 0x80000000, v6
	v_lshl_add_u32 v3, v3, 23, v7
	v_or3_b32 v2, v6, v3, v2
.LBB1_10324:
	s_or_b64 exec, exec, s[6:7]
	s_movk_i32 s4, 0xff
	v_and_b32_sdwa v3, v4, s4 dst_sel:DWORD dst_unused:UNUSED_PAD src0_sel:WORD_1 src1_sel:DWORD
	s_movk_i32 s4, 0x7f
	v_cmp_lt_i16_e32 vcc, s4, v3
	s_mov_b64 s[4:5], 0
                                        ; implicit-def: $sgpr10
	s_and_saveexec_b64 s[6:7], vcc
	s_xor_b64 s[6:7], exec, s[6:7]
	s_cbranch_execz .LBB1_10325
; %bb.46165:
	s_getpc_b64 s[14:15]
.Lpost_getpc8746:
	s_add_u32 s14, s14, (.LBB1_24661-.Lpost_getpc8746)&4294967295
	s_addc_u32 s15, s15, (.LBB1_24661-.Lpost_getpc8746)>>32
	s_setpc_b64 s[14:15]
.LBB1_10325:
	s_or_saveexec_b64 s[6:7], s[6:7]
	v_mov_b32_e32 v6, s10
	s_xor_b64 exec, exec, s[6:7]
	s_cbranch_execz .LBB1_10326
; %bb.46167:
	s_getpc_b64 s[14:15]
.Lpost_getpc8747:
	s_add_u32 s14, s14, (.LBB1_24664-.Lpost_getpc8747)&4294967295
	s_addc_u32 s15, s15, (.LBB1_24664-.Lpost_getpc8747)>>32
	s_setpc_b64 s[14:15]
.LBB1_10326:
	s_or_b64 exec, exec, s[6:7]
	s_and_saveexec_b64 s[6:7], s[4:5]
	s_cbranch_execz .LBB1_10328
.LBB1_10327:
	v_bfe_u32 v3, v4, 16, 3
	v_ffbh_u32_e32 v12, v3
	v_min_u32_e32 v12, 32, v12
	v_lshrrev_b32_e32 v6, 19, v4
	v_subrev_u32_e32 v13, 28, v12
	v_and_b32_e32 v6, 15, v6
	v_lshlrev_b32_sdwa v13, v13, v4 dst_sel:DWORD dst_unused:UNUSED_PAD src0_sel:DWORD src1_sel:WORD_1
	v_bfe_u32 v7, v4, 19, 4
	v_sub_u32_e32 v12, 29, v12
	v_and_b32_e32 v13, 7, v13
	v_cmp_eq_u16_e32 vcc, 0, v6
	v_cndmask_b32_e32 v3, v3, v13, vcc
	v_cndmask_b32_e32 v6, v7, v12, vcc
	v_lshlrev_b32_e32 v7, 8, v4
	v_mov_b32_e32 v12, 0x3b800000
	v_lshlrev_b32_e32 v3, 20, v3
	v_and_b32_e32 v7, 0x80000000, v7
	v_lshl_add_u32 v6, v6, 23, v12
	v_or3_b32 v6, v7, v6, v3
.LBB1_10328:
	s_or_b64 exec, exec, s[6:7]
	s_nop 0
	v_mfma_f32_16x16x4f32 a[0:3], v2, v6, a[0:3]
	s_movk_i32 s4, 0x7f
	v_cmp_gt_i16_sdwa s[6:7], v8, s4 src0_sel:BYTE_3 src1_sel:DWORD
	s_mov_b64 s[4:5], 0
                                        ; implicit-def: $sgpr10
	s_and_saveexec_b64 s[8:9], s[6:7]
	s_xor_b64 s[6:7], exec, s[8:9]
	s_cbranch_execz .LBB1_10329
; %bb.46169:
	s_getpc_b64 s[14:15]
.Lpost_getpc8748:
	s_add_u32 s14, s14, (.LBB1_24665-.Lpost_getpc8748)&4294967295
	s_addc_u32 s15, s15, (.LBB1_24665-.Lpost_getpc8748)>>32
	s_setpc_b64 s[14:15]
.LBB1_10329:
	s_or_saveexec_b64 s[6:7], s[6:7]
	v_mov_b32_e32 v2, s10
	s_xor_b64 exec, exec, s[6:7]
	s_cbranch_execz .LBB1_10330
; %bb.46171:
	s_getpc_b64 s[14:15]
.Lpost_getpc8749:
	s_add_u32 s14, s14, (.LBB1_24668-.Lpost_getpc8749)&4294967295
	s_addc_u32 s15, s15, (.LBB1_24668-.Lpost_getpc8749)>>32
	s_setpc_b64 s[14:15]
.LBB1_10330:
	s_or_b64 exec, exec, s[6:7]
	s_and_saveexec_b64 s[6:7], s[4:5]
	s_cbranch_execz .LBB1_10332
.LBB1_10331:
	v_bfe_u32 v2, v8, 24, 3
	v_ffbh_u32_e32 v12, v2
	v_min_u32_e32 v12, 32, v12
	v_lshrrev_b32_e32 v6, 27, v8
	v_subrev_u32_e32 v13, 28, v12
	v_and_b32_e32 v3, 0x80000000, v8
	v_and_b32_e32 v6, 15, v6
	v_bfe_u32 v7, v8, 27, 4
	v_lshlrev_b32_sdwa v8, v13, v8 dst_sel:DWORD dst_unused:UNUSED_PAD src0_sel:DWORD src1_sel:BYTE_3
	v_sub_u32_e32 v12, 29, v12
	v_and_b32_e32 v8, 7, v8
	v_cmp_eq_u16_e32 vcc, 0, v6
	v_cndmask_b32_e32 v2, v2, v8, vcc
	v_cndmask_b32_e32 v6, v7, v12, vcc
	v_mov_b32_e32 v7, 0x3b800000
	v_lshlrev_b32_e32 v2, 20, v2
	v_lshl_add_u32 v6, v6, 23, v7
	v_or3_b32 v2, v3, v6, v2
.LBB1_10332:
	s_or_b64 exec, exec, s[6:7]
	s_movk_i32 s4, 0x7f
	v_cmp_gt_i16_sdwa s[6:7], v4, s4 src0_sel:BYTE_3 src1_sel:DWORD
	s_mov_b64 s[4:5], 0
                                        ; implicit-def: $sgpr10
	s_and_saveexec_b64 s[8:9], s[6:7]
	s_xor_b64 s[6:7], exec, s[8:9]
	s_cbranch_execz .LBB1_10333
; %bb.46173:
	s_getpc_b64 s[14:15]
.Lpost_getpc8750:
	s_add_u32 s14, s14, (.LBB1_24669-.Lpost_getpc8750)&4294967295
	s_addc_u32 s15, s15, (.LBB1_24669-.Lpost_getpc8750)>>32
	s_setpc_b64 s[14:15]
.LBB1_10333:
	s_or_saveexec_b64 s[6:7], s[6:7]
	v_mov_b32_e32 v3, s10
	s_xor_b64 exec, exec, s[6:7]
	s_cbranch_execz .LBB1_10334
; %bb.46175:
	s_getpc_b64 s[14:15]
.Lpost_getpc8751:
	s_add_u32 s14, s14, (.LBB1_24672-.Lpost_getpc8751)&4294967295
	s_addc_u32 s15, s15, (.LBB1_24672-.Lpost_getpc8751)>>32
	s_setpc_b64 s[14:15]
.LBB1_10334:
	s_or_b64 exec, exec, s[6:7]
	s_and_saveexec_b64 s[6:7], s[4:5]
	s_cbranch_execz .LBB1_10336
.LBB1_10335:
	v_bfe_u32 v3, v4, 24, 3
	v_ffbh_u32_e32 v12, v3
	v_min_u32_e32 v12, 32, v12
	v_lshrrev_b32_e32 v7, 27, v4
	v_subrev_u32_e32 v13, 28, v12
	v_and_b32_e32 v6, 0x80000000, v4
	v_and_b32_e32 v7, 15, v7
	v_bfe_u32 v8, v4, 27, 4
	v_lshlrev_b32_sdwa v4, v13, v4 dst_sel:DWORD dst_unused:UNUSED_PAD src0_sel:DWORD src1_sel:BYTE_3
	v_sub_u32_e32 v12, 29, v12
	v_and_b32_e32 v4, 7, v4
	v_cmp_eq_u16_e32 vcc, 0, v7
	v_cndmask_b32_e32 v3, v3, v4, vcc
	v_cndmask_b32_e32 v4, v8, v12, vcc
	v_mov_b32_e32 v7, 0x3b800000
	v_lshlrev_b32_e32 v3, 20, v3
	v_lshl_add_u32 v4, v4, 23, v7
	v_or3_b32 v3, v6, v4, v3
.LBB1_10336:
	s_or_b64 exec, exec, s[6:7]
	s_nop 0
	v_mfma_f32_16x16x4f32 a[0:3], v2, v3, a[0:3]
	s_movk_i32 s4, 0x7f
	v_cmp_gt_i16_sdwa s[6:7], v9, s4 src0_sel:BYTE_0 src1_sel:DWORD
	s_mov_b64 s[4:5], 0
                                        ; implicit-def: $sgpr10
	s_and_saveexec_b64 s[8:9], s[6:7]
	s_xor_b64 s[6:7], exec, s[8:9]
	s_cbranch_execz .LBB1_10337
; %bb.46177:
	s_getpc_b64 s[14:15]
.Lpost_getpc8752:
	s_add_u32 s14, s14, (.LBB1_24673-.Lpost_getpc8752)&4294967295
	s_addc_u32 s15, s15, (.LBB1_24673-.Lpost_getpc8752)>>32
	s_setpc_b64 s[14:15]
.LBB1_10337:
	s_or_saveexec_b64 s[6:7], s[6:7]
	v_mov_b32_e32 v2, s10
	s_xor_b64 exec, exec, s[6:7]
	s_cbranch_execz .LBB1_10338
; %bb.46179:
	s_getpc_b64 s[14:15]
.Lpost_getpc8753:
	s_add_u32 s14, s14, (.LBB1_24676-.Lpost_getpc8753)&4294967295
	s_addc_u32 s15, s15, (.LBB1_24676-.Lpost_getpc8753)>>32
	s_setpc_b64 s[14:15]
.LBB1_10338:
	s_or_b64 exec, exec, s[6:7]
	s_and_saveexec_b64 s[6:7], s[4:5]
	s_cbranch_execz .LBB1_10340
.LBB1_10339:
	v_mov_b32_e32 v2, 8
	v_and_b32_e32 v3, 7, v9
	v_lshrrev_b32_sdwa v2, v2, v9 dst_sel:BYTE_1 dst_unused:UNUSED_PAD src0_sel:DWORD src1_sel:DWORD
	v_ffbh_u32_e32 v4, v3
	v_or_b32_sdwa v2, v9, v2 dst_sel:DWORD dst_unused:UNUSED_PAD src0_sel:BYTE_0 src1_sel:DWORD
	v_min_u32_e32 v4, 32, v4
	v_lshrrev_b16_e32 v2, 3, v2
	v_subrev_u32_e32 v6, 28, v4
	v_and_b32_e32 v2, 15, v2
	v_lshlrev_b32_e32 v6, v6, v9
	v_sub_u32_e32 v4, 29, v4
	v_and_b32_e32 v6, 7, v6
	v_cmp_eq_u16_e32 vcc, 0, v2
	v_cndmask_b32_e32 v3, v3, v6, vcc
	v_cndmask_b32_e32 v2, v2, v4, vcc
	v_lshlrev_b32_e32 v4, 24, v9
	v_mov_b32_e32 v6, 0x3b800000
	v_lshlrev_b32_e32 v3, 20, v3
	v_and_b32_e32 v4, 0x80000000, v4
	v_lshl_add_u32 v2, v2, 23, v6
	v_or3_b32 v2, v4, v2, v3
.LBB1_10340:
	s_or_b64 exec, exec, s[6:7]
	s_movk_i32 s4, 0x7f
	v_cmp_gt_i16_sdwa s[6:7], v5, s4 src0_sel:BYTE_0 src1_sel:DWORD
	s_mov_b64 s[4:5], 0
                                        ; implicit-def: $sgpr10
	s_and_saveexec_b64 s[8:9], s[6:7]
	s_xor_b64 s[6:7], exec, s[8:9]
	s_cbranch_execz .LBB1_10341
; %bb.46181:
	s_getpc_b64 s[14:15]
.Lpost_getpc8754:
	s_add_u32 s14, s14, (.LBB1_24677-.Lpost_getpc8754)&4294967295
	s_addc_u32 s15, s15, (.LBB1_24677-.Lpost_getpc8754)>>32
	s_setpc_b64 s[14:15]
.LBB1_10341:
	s_or_saveexec_b64 s[6:7], s[6:7]
	v_mov_b32_e32 v3, s10
	s_xor_b64 exec, exec, s[6:7]
	s_cbranch_execz .LBB1_10342
; %bb.46183:
	s_getpc_b64 s[14:15]
.Lpost_getpc8755:
	s_add_u32 s14, s14, (.LBB1_24680-.Lpost_getpc8755)&4294967295
	s_addc_u32 s15, s15, (.LBB1_24680-.Lpost_getpc8755)>>32
	s_setpc_b64 s[14:15]
.LBB1_10342:
	s_or_b64 exec, exec, s[6:7]
	s_and_saveexec_b64 s[6:7], s[4:5]
	s_cbranch_execz .LBB1_10344
.LBB1_10343:
	v_mov_b32_e32 v3, 8
	v_and_b32_e32 v4, 7, v5
	v_lshrrev_b32_sdwa v3, v3, v5 dst_sel:BYTE_1 dst_unused:UNUSED_PAD src0_sel:DWORD src1_sel:DWORD
	v_ffbh_u32_e32 v6, v4
	v_or_b32_sdwa v3, v5, v3 dst_sel:DWORD dst_unused:UNUSED_PAD src0_sel:BYTE_0 src1_sel:DWORD
	v_min_u32_e32 v6, 32, v6
	v_lshrrev_b16_e32 v3, 3, v3
	v_subrev_u32_e32 v7, 28, v6
	v_and_b32_e32 v3, 15, v3
	v_lshlrev_b32_e32 v7, v7, v5
	v_sub_u32_e32 v6, 29, v6
	v_and_b32_e32 v7, 7, v7
	v_cmp_eq_u16_e32 vcc, 0, v3
	v_cndmask_b32_e32 v4, v4, v7, vcc
	v_cndmask_b32_e32 v3, v3, v6, vcc
	v_lshlrev_b32_e32 v6, 24, v5
	v_mov_b32_e32 v7, 0x3b800000
	v_lshlrev_b32_e32 v4, 20, v4
	v_and_b32_e32 v6, 0x80000000, v6
	v_lshl_add_u32 v3, v3, 23, v7
	v_or3_b32 v3, v6, v3, v4
.LBB1_10344:
	s_or_b64 exec, exec, s[6:7]
	s_nop 0
	v_mfma_f32_16x16x4f32 a[0:3], v2, v3, a[0:3]
	v_lshrrev_b32_e32 v3, 8, v9
	s_movk_i32 s4, 0x7f
	v_cmp_gt_i16_sdwa s[6:7], v3, s4 src0_sel:BYTE_0 src1_sel:DWORD
	s_mov_b64 s[4:5], 0
                                        ; implicit-def: $sgpr10
	s_and_saveexec_b64 s[8:9], s[6:7]
	s_xor_b64 s[6:7], exec, s[8:9]
	s_cbranch_execz .LBB1_10345
; %bb.46185:
	s_getpc_b64 s[14:15]
.Lpost_getpc8756:
	s_add_u32 s14, s14, (.LBB1_24681-.Lpost_getpc8756)&4294967295
	s_addc_u32 s15, s15, (.LBB1_24681-.Lpost_getpc8756)>>32
	s_setpc_b64 s[14:15]
.LBB1_10345:
	s_or_saveexec_b64 s[6:7], s[6:7]
	v_mov_b32_e32 v2, s10
	s_xor_b64 exec, exec, s[6:7]
	s_cbranch_execz .LBB1_10346
; %bb.46187:
	s_getpc_b64 s[14:15]
.Lpost_getpc8757:
	s_add_u32 s14, s14, (.LBB1_24684-.Lpost_getpc8757)&4294967295
	s_addc_u32 s15, s15, (.LBB1_24684-.Lpost_getpc8757)>>32
	s_setpc_b64 s[14:15]
.LBB1_10346:
	s_or_b64 exec, exec, s[6:7]
	s_and_saveexec_b64 s[6:7], s[4:5]
	s_cbranch_execz .LBB1_10348
.LBB1_10347:
	v_bfe_u32 v2, v9, 8, 3
	v_ffbh_u32_e32 v6, v2
	v_min_u32_e32 v6, 32, v6
	v_lshrrev_b16_e32 v4, 3, v3
	v_subrev_u32_e32 v7, 28, v6
	v_and_b32_e32 v4, 15, v4
	v_lshlrev_b32_e32 v3, v7, v3
	v_sub_u32_e32 v6, 29, v6
	v_and_b32_e32 v3, 7, v3
	v_cmp_eq_u16_e32 vcc, 0, v4
	v_cndmask_b32_e32 v2, v2, v3, vcc
	v_cndmask_b32_e32 v3, v4, v6, vcc
	v_lshlrev_b32_e32 v4, 16, v9
	v_mov_b32_e32 v6, 0x3b800000
	v_lshlrev_b32_e32 v2, 20, v2
	v_and_b32_e32 v4, 0x80000000, v4
	v_lshl_add_u32 v3, v3, 23, v6
	v_or3_b32 v2, v4, v3, v2
.LBB1_10348:
	s_or_b64 exec, exec, s[6:7]
	v_lshrrev_b32_e32 v3, 8, v5
	s_movk_i32 s4, 0x7f
	v_cmp_gt_i16_sdwa s[6:7], v3, s4 src0_sel:BYTE_0 src1_sel:DWORD
	s_mov_b64 s[4:5], 0
                                        ; implicit-def: $sgpr10
	s_and_saveexec_b64 s[8:9], s[6:7]
	s_xor_b64 s[6:7], exec, s[8:9]
	s_cbranch_execz .LBB1_10349
; %bb.46189:
	s_getpc_b64 s[14:15]
.Lpost_getpc8758:
	s_add_u32 s14, s14, (.LBB1_24685-.Lpost_getpc8758)&4294967295
	s_addc_u32 s15, s15, (.LBB1_24685-.Lpost_getpc8758)>>32
	s_setpc_b64 s[14:15]
.LBB1_10349:
	s_or_saveexec_b64 s[6:7], s[6:7]
	v_mov_b32_e32 v4, s10
	s_xor_b64 exec, exec, s[6:7]
	s_cbranch_execz .LBB1_10350
; %bb.46191:
	s_getpc_b64 s[14:15]
.Lpost_getpc8759:
	s_add_u32 s14, s14, (.LBB1_24688-.Lpost_getpc8759)&4294967295
	s_addc_u32 s15, s15, (.LBB1_24688-.Lpost_getpc8759)>>32
	s_setpc_b64 s[14:15]
.LBB1_10350:
	s_or_b64 exec, exec, s[6:7]
	s_and_saveexec_b64 s[6:7], s[4:5]
	s_cbranch_execz .LBB1_10352
.LBB1_10351:
	v_bfe_u32 v4, v5, 8, 3
	v_ffbh_u32_e32 v7, v4
	v_min_u32_e32 v7, 32, v7
	v_lshrrev_b16_e32 v6, 3, v3
	v_subrev_u32_e32 v8, 28, v7
	v_and_b32_e32 v6, 15, v6
	v_lshlrev_b32_e32 v3, v8, v3
	v_sub_u32_e32 v7, 29, v7
	v_and_b32_e32 v3, 7, v3
	v_cmp_eq_u16_e32 vcc, 0, v6
	v_cndmask_b32_e32 v3, v4, v3, vcc
	v_cndmask_b32_e32 v4, v6, v7, vcc
	v_lshlrev_b32_e32 v6, 16, v5
	v_mov_b32_e32 v7, 0x3b800000
	v_lshlrev_b32_e32 v3, 20, v3
	v_and_b32_e32 v6, 0x80000000, v6
	v_lshl_add_u32 v4, v4, 23, v7
	v_or3_b32 v4, v6, v4, v3
.LBB1_10352:
	s_or_b64 exec, exec, s[6:7]
	s_nop 0
	v_mfma_f32_16x16x4f32 a[0:3], v2, v4, a[0:3]
	s_movk_i32 s4, 0xff
	v_and_b32_sdwa v3, v9, s4 dst_sel:DWORD dst_unused:UNUSED_PAD src0_sel:WORD_1 src1_sel:DWORD
	s_movk_i32 s4, 0x7f
	v_cmp_lt_i16_e32 vcc, s4, v3
	s_mov_b64 s[4:5], 0
                                        ; implicit-def: $sgpr10
	s_and_saveexec_b64 s[6:7], vcc
	s_xor_b64 s[6:7], exec, s[6:7]
	s_cbranch_execz .LBB1_10353
; %bb.46193:
	s_getpc_b64 s[14:15]
.Lpost_getpc8760:
	s_add_u32 s14, s14, (.LBB1_24689-.Lpost_getpc8760)&4294967295
	s_addc_u32 s15, s15, (.LBB1_24689-.Lpost_getpc8760)>>32
	s_setpc_b64 s[14:15]
.LBB1_10353:
	s_or_saveexec_b64 s[6:7], s[6:7]
	v_mov_b32_e32 v2, s10
	s_xor_b64 exec, exec, s[6:7]
	s_cbranch_execz .LBB1_10354
; %bb.46195:
	s_getpc_b64 s[14:15]
.Lpost_getpc8761:
	s_add_u32 s14, s14, (.LBB1_24692-.Lpost_getpc8761)&4294967295
	s_addc_u32 s15, s15, (.LBB1_24692-.Lpost_getpc8761)>>32
	s_setpc_b64 s[14:15]
.LBB1_10354:
	s_or_b64 exec, exec, s[6:7]
	s_and_saveexec_b64 s[6:7], s[4:5]
	s_cbranch_execz .LBB1_10356
.LBB1_10355:
	v_bfe_u32 v2, v9, 16, 3
	v_ffbh_u32_e32 v6, v2
	v_min_u32_e32 v6, 32, v6
	v_lshrrev_b32_e32 v3, 19, v9
	v_subrev_u32_e32 v7, 28, v6
	v_and_b32_e32 v3, 15, v3
	v_lshlrev_b32_sdwa v7, v7, v9 dst_sel:DWORD dst_unused:UNUSED_PAD src0_sel:DWORD src1_sel:WORD_1
	v_bfe_u32 v4, v9, 19, 4
	v_sub_u32_e32 v6, 29, v6
	v_and_b32_e32 v7, 7, v7
	v_cmp_eq_u16_e32 vcc, 0, v3
	v_cndmask_b32_e32 v2, v2, v7, vcc
	v_cndmask_b32_e32 v3, v4, v6, vcc
	v_lshlrev_b32_e32 v4, 8, v9
	v_mov_b32_e32 v6, 0x3b800000
	v_lshlrev_b32_e32 v2, 20, v2
	v_and_b32_e32 v4, 0x80000000, v4
	v_lshl_add_u32 v3, v3, 23, v6
	v_or3_b32 v2, v4, v3, v2
.LBB1_10356:
	s_or_b64 exec, exec, s[6:7]
	s_movk_i32 s4, 0xff
	v_and_b32_sdwa v3, v5, s4 dst_sel:DWORD dst_unused:UNUSED_PAD src0_sel:WORD_1 src1_sel:DWORD
	s_movk_i32 s4, 0x7f
	v_cmp_lt_i16_e32 vcc, s4, v3
	s_mov_b64 s[4:5], 0
                                        ; implicit-def: $sgpr10
	s_and_saveexec_b64 s[6:7], vcc
	s_xor_b64 s[6:7], exec, s[6:7]
	s_cbranch_execz .LBB1_10357
; %bb.46197:
	s_getpc_b64 s[14:15]
.Lpost_getpc8762:
	s_add_u32 s14, s14, (.LBB1_24693-.Lpost_getpc8762)&4294967295
	s_addc_u32 s15, s15, (.LBB1_24693-.Lpost_getpc8762)>>32
	s_setpc_b64 s[14:15]
.LBB1_10357:
	s_or_saveexec_b64 s[6:7], s[6:7]
	v_mov_b32_e32 v4, s10
	s_xor_b64 exec, exec, s[6:7]
	s_cbranch_execz .LBB1_10358
; %bb.46199:
	s_getpc_b64 s[14:15]
.Lpost_getpc8763:
	s_add_u32 s14, s14, (.LBB1_24696-.Lpost_getpc8763)&4294967295
	s_addc_u32 s15, s15, (.LBB1_24696-.Lpost_getpc8763)>>32
	s_setpc_b64 s[14:15]
.LBB1_10358:
	s_or_b64 exec, exec, s[6:7]
	s_and_saveexec_b64 s[6:7], s[4:5]
	s_cbranch_execz .LBB1_10360
.LBB1_10359:
	v_bfe_u32 v3, v5, 16, 3
	v_ffbh_u32_e32 v7, v3
	v_min_u32_e32 v7, 32, v7
	v_lshrrev_b32_e32 v4, 19, v5
	v_subrev_u32_e32 v8, 28, v7
	v_and_b32_e32 v4, 15, v4
	v_lshlrev_b32_sdwa v8, v8, v5 dst_sel:DWORD dst_unused:UNUSED_PAD src0_sel:DWORD src1_sel:WORD_1
	v_bfe_u32 v6, v5, 19, 4
	v_sub_u32_e32 v7, 29, v7
	v_and_b32_e32 v8, 7, v8
	v_cmp_eq_u16_e32 vcc, 0, v4
	v_cndmask_b32_e32 v3, v3, v8, vcc
	v_cndmask_b32_e32 v4, v6, v7, vcc
	v_lshlrev_b32_e32 v6, 8, v5
	v_mov_b32_e32 v7, 0x3b800000
	v_lshlrev_b32_e32 v3, 20, v3
	v_and_b32_e32 v6, 0x80000000, v6
	v_lshl_add_u32 v4, v4, 23, v7
	v_or3_b32 v4, v6, v4, v3
.LBB1_10360:
	s_or_b64 exec, exec, s[6:7]
	s_nop 0
	v_mfma_f32_16x16x4f32 a[0:3], v2, v4, a[0:3]
	s_movk_i32 s4, 0x7f
	v_cmp_gt_i16_sdwa s[6:7], v9, s4 src0_sel:BYTE_3 src1_sel:DWORD
	s_mov_b64 s[4:5], 0
                                        ; implicit-def: $sgpr10
	s_and_saveexec_b64 s[8:9], s[6:7]
	s_xor_b64 s[6:7], exec, s[8:9]
	s_cbranch_execz .LBB1_10361
; %bb.46201:
	s_getpc_b64 s[14:15]
.Lpost_getpc8764:
	s_add_u32 s14, s14, (.LBB1_24697-.Lpost_getpc8764)&4294967295
	s_addc_u32 s15, s15, (.LBB1_24697-.Lpost_getpc8764)>>32
	s_setpc_b64 s[14:15]
.LBB1_10361:
	s_or_saveexec_b64 s[6:7], s[6:7]
	v_mov_b32_e32 v2, s10
	s_xor_b64 exec, exec, s[6:7]
	s_cbranch_execz .LBB1_10362
; %bb.46203:
	s_getpc_b64 s[14:15]
.Lpost_getpc8765:
	s_add_u32 s14, s14, (.LBB1_24700-.Lpost_getpc8765)&4294967295
	s_addc_u32 s15, s15, (.LBB1_24700-.Lpost_getpc8765)>>32
	s_setpc_b64 s[14:15]
.LBB1_10362:
	s_or_b64 exec, exec, s[6:7]
	s_and_saveexec_b64 s[6:7], s[4:5]
	s_cbranch_execz .LBB1_10364
.LBB1_10363:
	v_bfe_u32 v2, v9, 24, 3
	v_ffbh_u32_e32 v7, v2
	v_min_u32_e32 v7, 32, v7
	v_lshrrev_b32_e32 v4, 27, v9
	v_subrev_u32_e32 v8, 28, v7
	v_and_b32_e32 v4, 15, v4
	v_lshlrev_b32_sdwa v8, v8, v9 dst_sel:DWORD dst_unused:UNUSED_PAD src0_sel:DWORD src1_sel:BYTE_3
	v_bfe_u32 v6, v9, 27, 4
	v_sub_u32_e32 v7, 29, v7
	v_and_b32_e32 v8, 7, v8
	v_cmp_eq_u16_e32 vcc, 0, v4
	v_cndmask_b32_e32 v2, v2, v8, vcc
	v_cndmask_b32_e32 v4, v6, v7, vcc
	v_mov_b32_e32 v6, 0x3b800000
	v_and_b32_e32 v3, 0x80000000, v9
	v_lshlrev_b32_e32 v2, 20, v2
	v_lshl_add_u32 v4, v4, 23, v6
	v_or3_b32 v2, v3, v4, v2
.LBB1_10364:
	s_or_b64 exec, exec, s[6:7]
	s_movk_i32 s4, 0x7f
	v_cmp_gt_i16_sdwa s[6:7], v5, s4 src0_sel:BYTE_3 src1_sel:DWORD
	s_mov_b64 s[4:5], 0
                                        ; implicit-def: $sgpr10
	s_and_saveexec_b64 s[8:9], s[6:7]
	s_xor_b64 s[6:7], exec, s[8:9]
	s_cbranch_execz .LBB1_10365
; %bb.46205:
	s_getpc_b64 s[14:15]
.Lpost_getpc8766:
	s_add_u32 s14, s14, (.LBB1_24701-.Lpost_getpc8766)&4294967295
	s_addc_u32 s15, s15, (.LBB1_24701-.Lpost_getpc8766)>>32
	s_setpc_b64 s[14:15]
.LBB1_10365:
	s_or_saveexec_b64 s[6:7], s[6:7]
	v_mov_b32_e32 v3, s10
	s_xor_b64 exec, exec, s[6:7]
	s_cbranch_execz .LBB1_10366
; %bb.46207:
	s_getpc_b64 s[14:15]
.Lpost_getpc8767:
	s_add_u32 s14, s14, (.LBB1_24704-.Lpost_getpc8767)&4294967295
	s_addc_u32 s15, s15, (.LBB1_24704-.Lpost_getpc8767)>>32
	s_setpc_b64 s[14:15]
.LBB1_10366:
	s_or_b64 exec, exec, s[6:7]
	s_and_saveexec_b64 s[6:7], s[4:5]
	s_cbranch_execz .LBB1_10368
.LBB1_10367:
	v_bfe_u32 v3, v5, 24, 3
	v_ffbh_u32_e32 v8, v3
	v_min_u32_e32 v8, 32, v8
	v_lshrrev_b32_e32 v6, 27, v5
	v_subrev_u32_e32 v9, 28, v8
	v_and_b32_e32 v4, 0x80000000, v5
	v_and_b32_e32 v6, 15, v6
	v_bfe_u32 v7, v5, 27, 4
	v_lshlrev_b32_sdwa v5, v9, v5 dst_sel:DWORD dst_unused:UNUSED_PAD src0_sel:DWORD src1_sel:BYTE_3
	v_sub_u32_e32 v8, 29, v8
	v_and_b32_e32 v5, 7, v5
	v_cmp_eq_u16_e32 vcc, 0, v6
	v_cndmask_b32_e32 v3, v3, v5, vcc
	v_cndmask_b32_e32 v5, v7, v8, vcc
	v_mov_b32_e32 v6, 0x3b800000
	v_lshlrev_b32_e32 v3, 20, v3
	v_lshl_add_u32 v5, v5, 23, v6
	v_or3_b32 v3, v4, v5, v3
.LBB1_10368:
	s_or_b64 exec, exec, s[6:7]
	s_nop 0
	v_mfma_f32_16x16x4f32 a[0:3], v2, v3, a[0:3]
	s_movk_i32 s4, 0x7f
                                        ; implicit-def: $sgpr10
	s_nop 7
	s_nop 1
	flat_store_dwordx4 v[10:11], a[0:3] offset:384
	flat_load_dwordx4 v[12:15], v[0:1]
	s_nop 0
	flat_load_dwordx2 v[10:11], v[0:1] offset:16
	s_waitcnt vmcnt(0) lgkmcnt(0)
	flat_load_dwordx4 v[6:9], v[12:13] offset:160
	flat_load_dwordx4 v[2:5], v[14:15] offset:144
	s_waitcnt vmcnt(0) lgkmcnt(0)
	v_cmp_gt_i16_sdwa s[6:7], v6, s4 src0_sel:BYTE_0 src1_sel:DWORD
	s_mov_b64 s[4:5], 0
	s_and_saveexec_b64 s[8:9], s[6:7]
	s_xor_b64 s[6:7], exec, s[8:9]
	s_cbranch_execz .LBB1_10369
; %bb.46209:
	s_getpc_b64 s[14:15]
.Lpost_getpc8768:
	s_add_u32 s14, s14, (.LBB1_24705-.Lpost_getpc8768)&4294967295
	s_addc_u32 s15, s15, (.LBB1_24705-.Lpost_getpc8768)>>32
	s_setpc_b64 s[14:15]
.LBB1_10369:
	s_or_saveexec_b64 s[6:7], s[6:7]
	v_mov_b32_e32 v12, s10
	s_xor_b64 exec, exec, s[6:7]
	s_cbranch_execz .LBB1_10370
; %bb.46211:
	s_getpc_b64 s[14:15]
.Lpost_getpc8769:
	s_add_u32 s14, s14, (.LBB1_24708-.Lpost_getpc8769)&4294967295
	s_addc_u32 s15, s15, (.LBB1_24708-.Lpost_getpc8769)>>32
	s_setpc_b64 s[14:15]
.LBB1_10370:
	s_or_b64 exec, exec, s[6:7]
	s_and_saveexec_b64 s[6:7], s[4:5]
	s_cbranch_execz .LBB1_10372
.LBB1_10371:
	v_and_b32_e32 v12, 7, v6
	v_ffbh_u32_e32 v14, v12
	v_min_u32_e32 v14, 32, v14
	v_lshrrev_b16_e32 v13, 3, v6
	v_subrev_u32_e32 v15, 28, v14
	v_and_b32_e32 v13, 15, v13
	v_lshlrev_b32_e32 v15, v15, v6
	v_sub_u32_e32 v14, 29, v14
	v_and_b32_e32 v15, 7, v15
	v_cmp_eq_u16_e32 vcc, 0, v13
	v_cndmask_b32_e32 v12, v12, v15, vcc
	v_cndmask_b32_e32 v13, v13, v14, vcc
	v_lshlrev_b32_e32 v14, 24, v6
	v_mov_b32_e32 v15, 0x3b800000
	v_lshlrev_b32_e32 v12, 20, v12
	v_and_b32_e32 v14, 0x80000000, v14
	v_lshl_add_u32 v13, v13, 23, v15
	v_or3_b32 v12, v14, v13, v12
.LBB1_10372:
	s_or_b64 exec, exec, s[6:7]
	s_movk_i32 s4, 0x7f
	v_cmp_gt_i16_sdwa s[6:7], v2, s4 src0_sel:BYTE_0 src1_sel:DWORD
	s_mov_b64 s[4:5], 0
                                        ; implicit-def: $sgpr10
	s_and_saveexec_b64 s[8:9], s[6:7]
	s_xor_b64 s[6:7], exec, s[8:9]
	s_cbranch_execz .LBB1_10373
; %bb.46213:
	s_getpc_b64 s[14:15]
.Lpost_getpc8770:
	s_add_u32 s14, s14, (.LBB1_24709-.Lpost_getpc8770)&4294967295
	s_addc_u32 s15, s15, (.LBB1_24709-.Lpost_getpc8770)>>32
	s_setpc_b64 s[14:15]
.LBB1_10373:
	s_or_saveexec_b64 s[6:7], s[6:7]
	v_mov_b32_e32 v13, s10
	s_xor_b64 exec, exec, s[6:7]
	s_cbranch_execz .LBB1_10374
; %bb.46215:
	s_getpc_b64 s[14:15]
.Lpost_getpc8771:
	s_add_u32 s14, s14, (.LBB1_24712-.Lpost_getpc8771)&4294967295
	s_addc_u32 s15, s15, (.LBB1_24712-.Lpost_getpc8771)>>32
	s_setpc_b64 s[14:15]
.LBB1_10374:
	s_or_b64 exec, exec, s[6:7]
	s_and_saveexec_b64 s[6:7], s[4:5]
	s_cbranch_execz .LBB1_10376
.LBB1_10375:
	v_and_b32_e32 v13, 7, v2
	v_ffbh_u32_e32 v15, v13
	v_min_u32_e32 v15, 32, v15
	v_lshrrev_b16_e32 v14, 3, v2
	v_subrev_u32_e32 v16, 28, v15
	v_and_b32_e32 v14, 15, v14
	v_lshlrev_b32_e32 v16, v16, v2
	v_sub_u32_e32 v15, 29, v15
	v_and_b32_e32 v16, 7, v16
	v_cmp_eq_u16_e32 vcc, 0, v14
	v_cndmask_b32_e32 v13, v13, v16, vcc
	v_cndmask_b32_e32 v14, v14, v15, vcc
	v_lshlrev_b32_e32 v15, 24, v2
	v_mov_b32_e32 v16, 0x3b800000
	v_lshlrev_b32_e32 v13, 20, v13
	v_and_b32_e32 v15, 0x80000000, v15
	v_lshl_add_u32 v14, v14, 23, v16
	v_or3_b32 v13, v15, v14, v13
.LBB1_10376:
	s_or_b64 exec, exec, s[6:7]
	flat_load_dwordx4 a[0:3], v[10:11] offset:400
	s_movk_i32 s4, 0x7f
                                        ; implicit-def: $sgpr10
	s_waitcnt vmcnt(0) lgkmcnt(0)
	v_mfma_f32_16x16x4f32 a[0:3], v12, v13, a[0:3]
	v_lshrrev_b32_e32 v13, 8, v6
	v_cmp_gt_i16_sdwa s[6:7], v13, s4 src0_sel:BYTE_0 src1_sel:DWORD
	s_mov_b64 s[4:5], 0
	s_and_saveexec_b64 s[8:9], s[6:7]
	s_xor_b64 s[6:7], exec, s[8:9]
	s_cbranch_execz .LBB1_10377
; %bb.46217:
	s_getpc_b64 s[14:15]
.Lpost_getpc8772:
	s_add_u32 s14, s14, (.LBB1_24713-.Lpost_getpc8772)&4294967295
	s_addc_u32 s15, s15, (.LBB1_24713-.Lpost_getpc8772)>>32
	s_setpc_b64 s[14:15]
.LBB1_10377:
	s_or_saveexec_b64 s[6:7], s[6:7]
	v_mov_b32_e32 v12, s10
	s_xor_b64 exec, exec, s[6:7]
	s_cbranch_execz .LBB1_10378
; %bb.46219:
	s_getpc_b64 s[14:15]
.Lpost_getpc8773:
	s_add_u32 s14, s14, (.LBB1_24716-.Lpost_getpc8773)&4294967295
	s_addc_u32 s15, s15, (.LBB1_24716-.Lpost_getpc8773)>>32
	s_setpc_b64 s[14:15]
.LBB1_10378:
	s_or_b64 exec, exec, s[6:7]
	s_and_saveexec_b64 s[6:7], s[4:5]
	s_cbranch_execz .LBB1_10380
.LBB1_10379:
	v_bfe_u32 v12, v6, 8, 3
	v_ffbh_u32_e32 v15, v12
	v_min_u32_e32 v15, 32, v15
	v_lshrrev_b16_e32 v14, 3, v13
	v_subrev_u32_e32 v16, 28, v15
	v_and_b32_e32 v14, 15, v14
	v_lshlrev_b32_e32 v13, v16, v13
	v_sub_u32_e32 v15, 29, v15
	v_and_b32_e32 v13, 7, v13
	v_cmp_eq_u16_e32 vcc, 0, v14
	v_cndmask_b32_e32 v12, v12, v13, vcc
	v_cndmask_b32_e32 v13, v14, v15, vcc
	v_lshlrev_b32_e32 v14, 16, v6
	v_mov_b32_e32 v15, 0x3b800000
	v_lshlrev_b32_e32 v12, 20, v12
	v_and_b32_e32 v14, 0x80000000, v14
	v_lshl_add_u32 v13, v13, 23, v15
	v_or3_b32 v12, v14, v13, v12
.LBB1_10380:
	s_or_b64 exec, exec, s[6:7]
	v_lshrrev_b32_e32 v13, 8, v2
	s_movk_i32 s4, 0x7f
	v_cmp_gt_i16_sdwa s[6:7], v13, s4 src0_sel:BYTE_0 src1_sel:DWORD
	s_mov_b64 s[4:5], 0
                                        ; implicit-def: $sgpr10
	s_and_saveexec_b64 s[8:9], s[6:7]
	s_xor_b64 s[6:7], exec, s[8:9]
	s_cbranch_execz .LBB1_10381
; %bb.46221:
	s_getpc_b64 s[14:15]
.Lpost_getpc8774:
	s_add_u32 s14, s14, (.LBB1_24717-.Lpost_getpc8774)&4294967295
	s_addc_u32 s15, s15, (.LBB1_24717-.Lpost_getpc8774)>>32
	s_setpc_b64 s[14:15]
.LBB1_10381:
	s_or_saveexec_b64 s[6:7], s[6:7]
	v_mov_b32_e32 v14, s10
	s_xor_b64 exec, exec, s[6:7]
	s_cbranch_execz .LBB1_10382
; %bb.46223:
	s_getpc_b64 s[14:15]
.Lpost_getpc8775:
	s_add_u32 s14, s14, (.LBB1_24720-.Lpost_getpc8775)&4294967295
	s_addc_u32 s15, s15, (.LBB1_24720-.Lpost_getpc8775)>>32
	s_setpc_b64 s[14:15]
.LBB1_10382:
	s_or_b64 exec, exec, s[6:7]
	s_and_saveexec_b64 s[6:7], s[4:5]
	s_cbranch_execz .LBB1_10384
.LBB1_10383:
	v_bfe_u32 v14, v2, 8, 3
	v_ffbh_u32_e32 v16, v14
	v_min_u32_e32 v16, 32, v16
	v_lshrrev_b16_e32 v15, 3, v13
	v_subrev_u32_e32 v17, 28, v16
	v_and_b32_e32 v15, 15, v15
	v_lshlrev_b32_e32 v13, v17, v13
	v_sub_u32_e32 v16, 29, v16
	v_and_b32_e32 v13, 7, v13
	v_cmp_eq_u16_e32 vcc, 0, v15
	v_cndmask_b32_e32 v13, v14, v13, vcc
	v_cndmask_b32_e32 v14, v15, v16, vcc
	v_lshlrev_b32_e32 v15, 16, v2
	v_mov_b32_e32 v16, 0x3b800000
	v_lshlrev_b32_e32 v13, 20, v13
	v_and_b32_e32 v15, 0x80000000, v15
	v_lshl_add_u32 v14, v14, 23, v16
	v_or3_b32 v14, v15, v14, v13
.LBB1_10384:
	s_or_b64 exec, exec, s[6:7]
	s_nop 0
	v_mfma_f32_16x16x4f32 a[0:3], v12, v14, a[0:3]
	s_movk_i32 s4, 0xff
	v_and_b32_sdwa v13, v6, s4 dst_sel:DWORD dst_unused:UNUSED_PAD src0_sel:WORD_1 src1_sel:DWORD
	s_movk_i32 s4, 0x7f
	v_cmp_lt_i16_e32 vcc, s4, v13
	s_mov_b64 s[4:5], 0
                                        ; implicit-def: $sgpr10
	s_and_saveexec_b64 s[6:7], vcc
	s_xor_b64 s[6:7], exec, s[6:7]
	s_cbranch_execz .LBB1_10385
; %bb.46225:
	s_getpc_b64 s[14:15]
.Lpost_getpc8776:
	s_add_u32 s14, s14, (.LBB1_24721-.Lpost_getpc8776)&4294967295
	s_addc_u32 s15, s15, (.LBB1_24721-.Lpost_getpc8776)>>32
	s_setpc_b64 s[14:15]
.LBB1_10385:
	s_or_saveexec_b64 s[6:7], s[6:7]
	v_mov_b32_e32 v12, s10
	s_xor_b64 exec, exec, s[6:7]
	s_cbranch_execz .LBB1_10386
; %bb.46227:
	s_getpc_b64 s[14:15]
.Lpost_getpc8777:
	s_add_u32 s14, s14, (.LBB1_24724-.Lpost_getpc8777)&4294967295
	s_addc_u32 s15, s15, (.LBB1_24724-.Lpost_getpc8777)>>32
	s_setpc_b64 s[14:15]
.LBB1_10386:
	s_or_b64 exec, exec, s[6:7]
	s_and_saveexec_b64 s[6:7], s[4:5]
	s_cbranch_execz .LBB1_10388
.LBB1_10387:
	v_bfe_u32 v12, v6, 16, 3
	v_ffbh_u32_e32 v15, v12
	v_min_u32_e32 v15, 32, v15
	v_lshrrev_b32_e32 v13, 19, v6
	v_subrev_u32_e32 v16, 28, v15
	v_and_b32_e32 v13, 15, v13
	v_lshlrev_b32_sdwa v16, v16, v6 dst_sel:DWORD dst_unused:UNUSED_PAD src0_sel:DWORD src1_sel:WORD_1
	v_bfe_u32 v14, v6, 19, 4
	v_sub_u32_e32 v15, 29, v15
	v_and_b32_e32 v16, 7, v16
	v_cmp_eq_u16_e32 vcc, 0, v13
	v_cndmask_b32_e32 v12, v12, v16, vcc
	v_cndmask_b32_e32 v13, v14, v15, vcc
	v_lshlrev_b32_e32 v14, 8, v6
	v_mov_b32_e32 v15, 0x3b800000
	v_lshlrev_b32_e32 v12, 20, v12
	v_and_b32_e32 v14, 0x80000000, v14
	v_lshl_add_u32 v13, v13, 23, v15
	v_or3_b32 v12, v14, v13, v12
.LBB1_10388:
	s_or_b64 exec, exec, s[6:7]
	s_movk_i32 s4, 0xff
	v_and_b32_sdwa v13, v2, s4 dst_sel:DWORD dst_unused:UNUSED_PAD src0_sel:WORD_1 src1_sel:DWORD
	s_movk_i32 s4, 0x7f
	v_cmp_lt_i16_e32 vcc, s4, v13
	s_mov_b64 s[4:5], 0
                                        ; implicit-def: $sgpr10
	s_and_saveexec_b64 s[6:7], vcc
	s_xor_b64 s[6:7], exec, s[6:7]
	s_cbranch_execz .LBB1_10389
; %bb.46229:
	s_getpc_b64 s[14:15]
.Lpost_getpc8778:
	s_add_u32 s14, s14, (.LBB1_24725-.Lpost_getpc8778)&4294967295
	s_addc_u32 s15, s15, (.LBB1_24725-.Lpost_getpc8778)>>32
	s_setpc_b64 s[14:15]
.LBB1_10389:
	s_or_saveexec_b64 s[6:7], s[6:7]
	v_mov_b32_e32 v14, s10
	s_xor_b64 exec, exec, s[6:7]
	s_cbranch_execz .LBB1_10390
; %bb.46231:
	s_getpc_b64 s[14:15]
.Lpost_getpc8779:
	s_add_u32 s14, s14, (.LBB1_24728-.Lpost_getpc8779)&4294967295
	s_addc_u32 s15, s15, (.LBB1_24728-.Lpost_getpc8779)>>32
	s_setpc_b64 s[14:15]
.LBB1_10390:
	s_or_b64 exec, exec, s[6:7]
	s_and_saveexec_b64 s[6:7], s[4:5]
	s_cbranch_execz .LBB1_10392
.LBB1_10391:
	v_bfe_u32 v13, v2, 16, 3
	v_ffbh_u32_e32 v16, v13
	v_min_u32_e32 v16, 32, v16
	v_lshrrev_b32_e32 v14, 19, v2
	v_subrev_u32_e32 v17, 28, v16
	v_and_b32_e32 v14, 15, v14
	v_lshlrev_b32_sdwa v17, v17, v2 dst_sel:DWORD dst_unused:UNUSED_PAD src0_sel:DWORD src1_sel:WORD_1
	v_bfe_u32 v15, v2, 19, 4
	v_sub_u32_e32 v16, 29, v16
	v_and_b32_e32 v17, 7, v17
	v_cmp_eq_u16_e32 vcc, 0, v14
	v_cndmask_b32_e32 v13, v13, v17, vcc
	v_cndmask_b32_e32 v14, v15, v16, vcc
	v_lshlrev_b32_e32 v15, 8, v2
	v_mov_b32_e32 v16, 0x3b800000
	v_lshlrev_b32_e32 v13, 20, v13
	v_and_b32_e32 v15, 0x80000000, v15
	v_lshl_add_u32 v14, v14, 23, v16
	v_or3_b32 v14, v15, v14, v13
.LBB1_10392:
	s_or_b64 exec, exec, s[6:7]
	s_nop 0
	v_mfma_f32_16x16x4f32 a[0:3], v12, v14, a[0:3]
	s_movk_i32 s4, 0x7f
	v_cmp_gt_i16_sdwa s[6:7], v6, s4 src0_sel:BYTE_3 src1_sel:DWORD
	s_mov_b64 s[4:5], 0
                                        ; implicit-def: $sgpr10
	s_and_saveexec_b64 s[8:9], s[6:7]
	s_xor_b64 s[6:7], exec, s[8:9]
	s_cbranch_execz .LBB1_10393
; %bb.46233:
	s_getpc_b64 s[14:15]
.Lpost_getpc8780:
	s_add_u32 s14, s14, (.LBB1_24729-.Lpost_getpc8780)&4294967295
	s_addc_u32 s15, s15, (.LBB1_24729-.Lpost_getpc8780)>>32
	s_setpc_b64 s[14:15]
.LBB1_10393:
	s_or_saveexec_b64 s[6:7], s[6:7]
	v_mov_b32_e32 v12, s10
	s_xor_b64 exec, exec, s[6:7]
	s_cbranch_execz .LBB1_10394
; %bb.46235:
	s_getpc_b64 s[14:15]
.Lpost_getpc8781:
	s_add_u32 s14, s14, (.LBB1_24732-.Lpost_getpc8781)&4294967295
	s_addc_u32 s15, s15, (.LBB1_24732-.Lpost_getpc8781)>>32
	s_setpc_b64 s[14:15]
.LBB1_10394:
	s_or_b64 exec, exec, s[6:7]
	s_and_saveexec_b64 s[6:7], s[4:5]
	s_cbranch_execz .LBB1_10396
.LBB1_10395:
	v_bfe_u32 v12, v6, 24, 3
	v_ffbh_u32_e32 v16, v12
	v_min_u32_e32 v16, 32, v16
	v_lshrrev_b32_e32 v14, 27, v6
	v_subrev_u32_e32 v17, 28, v16
	v_and_b32_e32 v13, 0x80000000, v6
	v_and_b32_e32 v14, 15, v14
	v_bfe_u32 v15, v6, 27, 4
	v_lshlrev_b32_sdwa v6, v17, v6 dst_sel:DWORD dst_unused:UNUSED_PAD src0_sel:DWORD src1_sel:BYTE_3
	v_sub_u32_e32 v16, 29, v16
	v_and_b32_e32 v6, 7, v6
	v_cmp_eq_u16_e32 vcc, 0, v14
	v_cndmask_b32_e32 v6, v12, v6, vcc
	v_cndmask_b32_e32 v12, v15, v16, vcc
	v_mov_b32_e32 v14, 0x3b800000
	v_lshlrev_b32_e32 v6, 20, v6
	v_lshl_add_u32 v12, v12, 23, v14
	v_or3_b32 v12, v13, v12, v6
.LBB1_10396:
	s_or_b64 exec, exec, s[6:7]
	s_movk_i32 s4, 0x7f
	v_cmp_gt_i16_sdwa s[6:7], v2, s4 src0_sel:BYTE_3 src1_sel:DWORD
	s_mov_b64 s[4:5], 0
                                        ; implicit-def: $sgpr10
	s_and_saveexec_b64 s[8:9], s[6:7]
	s_xor_b64 s[6:7], exec, s[8:9]
	s_cbranch_execz .LBB1_10397
; %bb.46237:
	s_getpc_b64 s[14:15]
.Lpost_getpc8782:
	s_add_u32 s14, s14, (.LBB1_24733-.Lpost_getpc8782)&4294967295
	s_addc_u32 s15, s15, (.LBB1_24733-.Lpost_getpc8782)>>32
	s_setpc_b64 s[14:15]
.LBB1_10397:
	s_or_saveexec_b64 s[6:7], s[6:7]
	v_mov_b32_e32 v6, s10
	s_xor_b64 exec, exec, s[6:7]
	s_cbranch_execz .LBB1_10398
; %bb.46239:
	s_getpc_b64 s[14:15]
.Lpost_getpc8783:
	s_add_u32 s14, s14, (.LBB1_24736-.Lpost_getpc8783)&4294967295
	s_addc_u32 s15, s15, (.LBB1_24736-.Lpost_getpc8783)>>32
	s_setpc_b64 s[14:15]
.LBB1_10398:
	s_or_b64 exec, exec, s[6:7]
	s_and_saveexec_b64 s[6:7], s[4:5]
	s_cbranch_execz .LBB1_10400
.LBB1_10399:
	v_bfe_u32 v6, v2, 24, 3
	v_ffbh_u32_e32 v16, v6
	v_min_u32_e32 v16, 32, v16
	v_lshrrev_b32_e32 v14, 27, v2
	v_subrev_u32_e32 v17, 28, v16
	v_and_b32_e32 v13, 0x80000000, v2
	v_and_b32_e32 v14, 15, v14
	v_bfe_u32 v15, v2, 27, 4
	v_lshlrev_b32_sdwa v2, v17, v2 dst_sel:DWORD dst_unused:UNUSED_PAD src0_sel:DWORD src1_sel:BYTE_3
	v_sub_u32_e32 v16, 29, v16
	v_and_b32_e32 v2, 7, v2
	v_cmp_eq_u16_e32 vcc, 0, v14
	v_cndmask_b32_e32 v2, v6, v2, vcc
	v_cndmask_b32_e32 v6, v15, v16, vcc
	v_mov_b32_e32 v14, 0x3b800000
	v_lshlrev_b32_e32 v2, 20, v2
	v_lshl_add_u32 v6, v6, 23, v14
	v_or3_b32 v6, v13, v6, v2
.LBB1_10400:
	s_or_b64 exec, exec, s[6:7]
	s_nop 0
	v_mfma_f32_16x16x4f32 a[0:3], v12, v6, a[0:3]
	s_movk_i32 s4, 0x7f
	v_cmp_gt_i16_sdwa s[6:7], v7, s4 src0_sel:BYTE_0 src1_sel:DWORD
	s_mov_b64 s[4:5], 0
                                        ; implicit-def: $sgpr10
	s_and_saveexec_b64 s[8:9], s[6:7]
	s_xor_b64 s[6:7], exec, s[8:9]
	s_cbranch_execz .LBB1_10401
; %bb.46241:
	s_getpc_b64 s[14:15]
.Lpost_getpc8784:
	s_add_u32 s14, s14, (.LBB1_24737-.Lpost_getpc8784)&4294967295
	s_addc_u32 s15, s15, (.LBB1_24737-.Lpost_getpc8784)>>32
	s_setpc_b64 s[14:15]
.LBB1_10401:
	s_or_saveexec_b64 s[6:7], s[6:7]
	v_mov_b32_e32 v2, s10
	s_xor_b64 exec, exec, s[6:7]
	s_cbranch_execz .LBB1_10402
; %bb.46243:
	s_getpc_b64 s[14:15]
.Lpost_getpc8785:
	s_add_u32 s14, s14, (.LBB1_24740-.Lpost_getpc8785)&4294967295
	s_addc_u32 s15, s15, (.LBB1_24740-.Lpost_getpc8785)>>32
	s_setpc_b64 s[14:15]
.LBB1_10402:
	s_or_b64 exec, exec, s[6:7]
	s_and_saveexec_b64 s[6:7], s[4:5]
	s_cbranch_execz .LBB1_10404
.LBB1_10403:
	v_and_b32_e32 v2, 7, v7
	v_ffbh_u32_e32 v12, v2
	v_min_u32_e32 v12, 32, v12
	v_lshrrev_b16_e32 v6, 3, v7
	v_subrev_u32_e32 v13, 28, v12
	v_and_b32_e32 v6, 15, v6
	v_lshlrev_b32_e32 v13, v13, v7
	v_sub_u32_e32 v12, 29, v12
	v_and_b32_e32 v13, 7, v13
	v_cmp_eq_u16_e32 vcc, 0, v6
	v_cndmask_b32_e32 v2, v2, v13, vcc
	v_cndmask_b32_e32 v6, v6, v12, vcc
	v_lshlrev_b32_e32 v12, 24, v7
	v_mov_b32_e32 v13, 0x3b800000
	v_lshlrev_b32_e32 v2, 20, v2
	v_and_b32_e32 v12, 0x80000000, v12
	v_lshl_add_u32 v6, v6, 23, v13
	v_or3_b32 v2, v12, v6, v2
.LBB1_10404:
	s_or_b64 exec, exec, s[6:7]
	s_movk_i32 s4, 0x7f
	v_cmp_gt_i16_sdwa s[6:7], v3, s4 src0_sel:BYTE_0 src1_sel:DWORD
	s_mov_b64 s[4:5], 0
                                        ; implicit-def: $sgpr10
	s_and_saveexec_b64 s[8:9], s[6:7]
	s_xor_b64 s[6:7], exec, s[8:9]
	s_cbranch_execz .LBB1_10405
; %bb.46245:
	s_getpc_b64 s[14:15]
.Lpost_getpc8786:
	s_add_u32 s14, s14, (.LBB1_24741-.Lpost_getpc8786)&4294967295
	s_addc_u32 s15, s15, (.LBB1_24741-.Lpost_getpc8786)>>32
	s_setpc_b64 s[14:15]
.LBB1_10405:
	s_or_saveexec_b64 s[6:7], s[6:7]
	v_mov_b32_e32 v6, s10
	s_xor_b64 exec, exec, s[6:7]
	s_cbranch_execz .LBB1_10406
; %bb.46247:
	s_getpc_b64 s[14:15]
.Lpost_getpc8787:
	s_add_u32 s14, s14, (.LBB1_24744-.Lpost_getpc8787)&4294967295
	s_addc_u32 s15, s15, (.LBB1_24744-.Lpost_getpc8787)>>32
	s_setpc_b64 s[14:15]
.LBB1_10406:
	s_or_b64 exec, exec, s[6:7]
	s_and_saveexec_b64 s[6:7], s[4:5]
	s_cbranch_execz .LBB1_10408
.LBB1_10407:
	v_and_b32_e32 v6, 7, v3
	v_ffbh_u32_e32 v13, v6
	v_min_u32_e32 v13, 32, v13
	v_lshrrev_b16_e32 v12, 3, v3
	v_subrev_u32_e32 v14, 28, v13
	v_and_b32_e32 v12, 15, v12
	v_lshlrev_b32_e32 v14, v14, v3
	v_sub_u32_e32 v13, 29, v13
	v_and_b32_e32 v14, 7, v14
	v_cmp_eq_u16_e32 vcc, 0, v12
	v_cndmask_b32_e32 v6, v6, v14, vcc
	v_cndmask_b32_e32 v12, v12, v13, vcc
	v_lshlrev_b32_e32 v13, 24, v3
	v_mov_b32_e32 v14, 0x3b800000
	v_lshlrev_b32_e32 v6, 20, v6
	v_and_b32_e32 v13, 0x80000000, v13
	v_lshl_add_u32 v12, v12, 23, v14
	v_or3_b32 v6, v13, v12, v6
.LBB1_10408:
	s_or_b64 exec, exec, s[6:7]
	s_nop 0
	v_mfma_f32_16x16x4f32 a[0:3], v2, v6, a[0:3]
	v_lshrrev_b32_e32 v6, 8, v7
	s_movk_i32 s4, 0x7f
	v_cmp_gt_i16_sdwa s[6:7], v6, s4 src0_sel:BYTE_0 src1_sel:DWORD
	s_mov_b64 s[4:5], 0
                                        ; implicit-def: $sgpr10
	s_and_saveexec_b64 s[8:9], s[6:7]
	s_xor_b64 s[6:7], exec, s[8:9]
	s_cbranch_execz .LBB1_10409
; %bb.46249:
	s_getpc_b64 s[14:15]
.Lpost_getpc8788:
	s_add_u32 s14, s14, (.LBB1_24745-.Lpost_getpc8788)&4294967295
	s_addc_u32 s15, s15, (.LBB1_24745-.Lpost_getpc8788)>>32
	s_setpc_b64 s[14:15]
.LBB1_10409:
	s_or_saveexec_b64 s[6:7], s[6:7]
	v_mov_b32_e32 v2, s10
	s_xor_b64 exec, exec, s[6:7]
	s_cbranch_execz .LBB1_10410
; %bb.46251:
	s_getpc_b64 s[14:15]
.Lpost_getpc8789:
	s_add_u32 s14, s14, (.LBB1_24748-.Lpost_getpc8789)&4294967295
	s_addc_u32 s15, s15, (.LBB1_24748-.Lpost_getpc8789)>>32
	s_setpc_b64 s[14:15]
.LBB1_10410:
	s_or_b64 exec, exec, s[6:7]
	s_and_saveexec_b64 s[6:7], s[4:5]
	s_cbranch_execz .LBB1_10412
.LBB1_10411:
	v_bfe_u32 v2, v7, 8, 3
	v_ffbh_u32_e32 v13, v2
	v_min_u32_e32 v13, 32, v13
	v_lshrrev_b16_e32 v12, 3, v6
	v_subrev_u32_e32 v14, 28, v13
	v_and_b32_e32 v12, 15, v12
	v_lshlrev_b32_e32 v6, v14, v6
	v_sub_u32_e32 v13, 29, v13
	v_and_b32_e32 v6, 7, v6
	v_cmp_eq_u16_e32 vcc, 0, v12
	v_cndmask_b32_e32 v2, v2, v6, vcc
	v_cndmask_b32_e32 v6, v12, v13, vcc
	v_lshlrev_b32_e32 v12, 16, v7
	v_mov_b32_e32 v13, 0x3b800000
	v_lshlrev_b32_e32 v2, 20, v2
	v_and_b32_e32 v12, 0x80000000, v12
	v_lshl_add_u32 v6, v6, 23, v13
	v_or3_b32 v2, v12, v6, v2
.LBB1_10412:
	s_or_b64 exec, exec, s[6:7]
	v_lshrrev_b32_e32 v6, 8, v3
	s_movk_i32 s4, 0x7f
	v_cmp_gt_i16_sdwa s[6:7], v6, s4 src0_sel:BYTE_0 src1_sel:DWORD
	s_mov_b64 s[4:5], 0
                                        ; implicit-def: $sgpr10
	s_and_saveexec_b64 s[8:9], s[6:7]
	s_xor_b64 s[6:7], exec, s[8:9]
	s_cbranch_execz .LBB1_10413
; %bb.46253:
	s_getpc_b64 s[14:15]
.Lpost_getpc8790:
	s_add_u32 s14, s14, (.LBB1_24749-.Lpost_getpc8790)&4294967295
	s_addc_u32 s15, s15, (.LBB1_24749-.Lpost_getpc8790)>>32
	s_setpc_b64 s[14:15]
.LBB1_10413:
	s_or_saveexec_b64 s[6:7], s[6:7]
	v_mov_b32_e32 v12, s10
	s_xor_b64 exec, exec, s[6:7]
	s_cbranch_execz .LBB1_10414
; %bb.46255:
	s_getpc_b64 s[14:15]
.Lpost_getpc8791:
	s_add_u32 s14, s14, (.LBB1_24752-.Lpost_getpc8791)&4294967295
	s_addc_u32 s15, s15, (.LBB1_24752-.Lpost_getpc8791)>>32
	s_setpc_b64 s[14:15]
.LBB1_10414:
	s_or_b64 exec, exec, s[6:7]
	s_and_saveexec_b64 s[6:7], s[4:5]
	s_cbranch_execz .LBB1_10416
.LBB1_10415:
	v_bfe_u32 v12, v3, 8, 3
	v_ffbh_u32_e32 v14, v12
	v_min_u32_e32 v14, 32, v14
	v_lshrrev_b16_e32 v13, 3, v6
	v_subrev_u32_e32 v15, 28, v14
	v_and_b32_e32 v13, 15, v13
	v_lshlrev_b32_e32 v6, v15, v6
	v_sub_u32_e32 v14, 29, v14
	v_and_b32_e32 v6, 7, v6
	v_cmp_eq_u16_e32 vcc, 0, v13
	v_cndmask_b32_e32 v6, v12, v6, vcc
	v_cndmask_b32_e32 v12, v13, v14, vcc
	v_lshlrev_b32_e32 v13, 16, v3
	v_mov_b32_e32 v14, 0x3b800000
	v_lshlrev_b32_e32 v6, 20, v6
	v_and_b32_e32 v13, 0x80000000, v13
	v_lshl_add_u32 v12, v12, 23, v14
	v_or3_b32 v12, v13, v12, v6
.LBB1_10416:
	s_or_b64 exec, exec, s[6:7]
	s_nop 0
	v_mfma_f32_16x16x4f32 a[0:3], v2, v12, a[0:3]
	s_movk_i32 s4, 0xff
	v_and_b32_sdwa v6, v7, s4 dst_sel:DWORD dst_unused:UNUSED_PAD src0_sel:WORD_1 src1_sel:DWORD
	s_movk_i32 s4, 0x7f
	v_cmp_lt_i16_e32 vcc, s4, v6
	s_mov_b64 s[4:5], 0
                                        ; implicit-def: $sgpr10
	s_and_saveexec_b64 s[6:7], vcc
	s_xor_b64 s[6:7], exec, s[6:7]
	s_cbranch_execz .LBB1_10417
; %bb.46257:
	s_getpc_b64 s[14:15]
.Lpost_getpc8792:
	s_add_u32 s14, s14, (.LBB1_24753-.Lpost_getpc8792)&4294967295
	s_addc_u32 s15, s15, (.LBB1_24753-.Lpost_getpc8792)>>32
	s_setpc_b64 s[14:15]
.LBB1_10417:
	s_or_saveexec_b64 s[6:7], s[6:7]
	v_mov_b32_e32 v2, s10
	s_xor_b64 exec, exec, s[6:7]
	s_cbranch_execz .LBB1_10418
; %bb.46259:
	s_getpc_b64 s[14:15]
.Lpost_getpc8793:
	s_add_u32 s14, s14, (.LBB1_24756-.Lpost_getpc8793)&4294967295
	s_addc_u32 s15, s15, (.LBB1_24756-.Lpost_getpc8793)>>32
	s_setpc_b64 s[14:15]
.LBB1_10418:
	s_or_b64 exec, exec, s[6:7]
	s_and_saveexec_b64 s[6:7], s[4:5]
	s_cbranch_execz .LBB1_10420
.LBB1_10419:
	v_bfe_u32 v2, v7, 16, 3
	v_ffbh_u32_e32 v13, v2
	v_min_u32_e32 v13, 32, v13
	v_lshrrev_b32_e32 v6, 19, v7
	v_subrev_u32_e32 v14, 28, v13
	v_and_b32_e32 v6, 15, v6
	v_lshlrev_b32_sdwa v14, v14, v7 dst_sel:DWORD dst_unused:UNUSED_PAD src0_sel:DWORD src1_sel:WORD_1
	v_bfe_u32 v12, v7, 19, 4
	v_sub_u32_e32 v13, 29, v13
	v_and_b32_e32 v14, 7, v14
	v_cmp_eq_u16_e32 vcc, 0, v6
	v_cndmask_b32_e32 v2, v2, v14, vcc
	v_cndmask_b32_e32 v6, v12, v13, vcc
	v_lshlrev_b32_e32 v12, 8, v7
	v_mov_b32_e32 v13, 0x3b800000
	v_lshlrev_b32_e32 v2, 20, v2
	v_and_b32_e32 v12, 0x80000000, v12
	v_lshl_add_u32 v6, v6, 23, v13
	v_or3_b32 v2, v12, v6, v2
.LBB1_10420:
	s_or_b64 exec, exec, s[6:7]
	s_movk_i32 s4, 0xff
	v_and_b32_sdwa v6, v3, s4 dst_sel:DWORD dst_unused:UNUSED_PAD src0_sel:WORD_1 src1_sel:DWORD
	s_movk_i32 s4, 0x7f
	v_cmp_lt_i16_e32 vcc, s4, v6
	s_mov_b64 s[4:5], 0
                                        ; implicit-def: $sgpr10
	s_and_saveexec_b64 s[6:7], vcc
	s_xor_b64 s[6:7], exec, s[6:7]
	s_cbranch_execz .LBB1_10421
; %bb.46261:
	s_getpc_b64 s[14:15]
.Lpost_getpc8794:
	s_add_u32 s14, s14, (.LBB1_24757-.Lpost_getpc8794)&4294967295
	s_addc_u32 s15, s15, (.LBB1_24757-.Lpost_getpc8794)>>32
	s_setpc_b64 s[14:15]
.LBB1_10421:
	s_or_saveexec_b64 s[6:7], s[6:7]
	v_mov_b32_e32 v12, s10
	s_xor_b64 exec, exec, s[6:7]
	s_cbranch_execz .LBB1_10422
; %bb.46263:
	s_getpc_b64 s[14:15]
.Lpost_getpc8795:
	s_add_u32 s14, s14, (.LBB1_24760-.Lpost_getpc8795)&4294967295
	s_addc_u32 s15, s15, (.LBB1_24760-.Lpost_getpc8795)>>32
	s_setpc_b64 s[14:15]
.LBB1_10422:
	s_or_b64 exec, exec, s[6:7]
	s_and_saveexec_b64 s[6:7], s[4:5]
	s_cbranch_execz .LBB1_10424
.LBB1_10423:
	v_bfe_u32 v6, v3, 16, 3
	v_ffbh_u32_e32 v14, v6
	v_min_u32_e32 v14, 32, v14
	v_lshrrev_b32_e32 v12, 19, v3
	v_subrev_u32_e32 v15, 28, v14
	v_and_b32_e32 v12, 15, v12
	v_lshlrev_b32_sdwa v15, v15, v3 dst_sel:DWORD dst_unused:UNUSED_PAD src0_sel:DWORD src1_sel:WORD_1
	v_bfe_u32 v13, v3, 19, 4
	v_sub_u32_e32 v14, 29, v14
	v_and_b32_e32 v15, 7, v15
	v_cmp_eq_u16_e32 vcc, 0, v12
	v_cndmask_b32_e32 v6, v6, v15, vcc
	v_cndmask_b32_e32 v12, v13, v14, vcc
	v_lshlrev_b32_e32 v13, 8, v3
	v_mov_b32_e32 v14, 0x3b800000
	v_lshlrev_b32_e32 v6, 20, v6
	v_and_b32_e32 v13, 0x80000000, v13
	v_lshl_add_u32 v12, v12, 23, v14
	v_or3_b32 v12, v13, v12, v6
.LBB1_10424:
	s_or_b64 exec, exec, s[6:7]
	s_nop 0
	v_mfma_f32_16x16x4f32 a[0:3], v2, v12, a[0:3]
	s_movk_i32 s4, 0x7f
	v_cmp_gt_i16_sdwa s[6:7], v7, s4 src0_sel:BYTE_3 src1_sel:DWORD
	s_mov_b64 s[4:5], 0
                                        ; implicit-def: $sgpr10
	s_and_saveexec_b64 s[8:9], s[6:7]
	s_xor_b64 s[6:7], exec, s[8:9]
	s_cbranch_execz .LBB1_10425
; %bb.46265:
	s_getpc_b64 s[14:15]
.Lpost_getpc8796:
	s_add_u32 s14, s14, (.LBB1_24761-.Lpost_getpc8796)&4294967295
	s_addc_u32 s15, s15, (.LBB1_24761-.Lpost_getpc8796)>>32
	s_setpc_b64 s[14:15]
.LBB1_10425:
	s_or_saveexec_b64 s[6:7], s[6:7]
	v_mov_b32_e32 v2, s10
	s_xor_b64 exec, exec, s[6:7]
	s_cbranch_execz .LBB1_10426
; %bb.46267:
	s_getpc_b64 s[14:15]
.Lpost_getpc8797:
	s_add_u32 s14, s14, (.LBB1_24764-.Lpost_getpc8797)&4294967295
	s_addc_u32 s15, s15, (.LBB1_24764-.Lpost_getpc8797)>>32
	s_setpc_b64 s[14:15]
.LBB1_10426:
	s_or_b64 exec, exec, s[6:7]
	s_and_saveexec_b64 s[6:7], s[4:5]
	s_cbranch_execz .LBB1_10428
.LBB1_10427:
	v_bfe_u32 v2, v7, 24, 3
	v_ffbh_u32_e32 v14, v2
	v_min_u32_e32 v14, 32, v14
	v_lshrrev_b32_e32 v12, 27, v7
	v_subrev_u32_e32 v15, 28, v14
	v_and_b32_e32 v6, 0x80000000, v7
	v_and_b32_e32 v12, 15, v12
	v_bfe_u32 v13, v7, 27, 4
	v_lshlrev_b32_sdwa v7, v15, v7 dst_sel:DWORD dst_unused:UNUSED_PAD src0_sel:DWORD src1_sel:BYTE_3
	v_sub_u32_e32 v14, 29, v14
	v_and_b32_e32 v7, 7, v7
	v_cmp_eq_u16_e32 vcc, 0, v12
	v_cndmask_b32_e32 v2, v2, v7, vcc
	v_cndmask_b32_e32 v7, v13, v14, vcc
	v_mov_b32_e32 v12, 0x3b800000
	v_lshlrev_b32_e32 v2, 20, v2
	v_lshl_add_u32 v7, v7, 23, v12
	v_or3_b32 v2, v6, v7, v2
.LBB1_10428:
	s_or_b64 exec, exec, s[6:7]
	s_movk_i32 s4, 0x7f
	v_cmp_gt_i16_sdwa s[6:7], v3, s4 src0_sel:BYTE_3 src1_sel:DWORD
	s_mov_b64 s[4:5], 0
                                        ; implicit-def: $sgpr10
	s_and_saveexec_b64 s[8:9], s[6:7]
	s_xor_b64 s[6:7], exec, s[8:9]
	s_cbranch_execz .LBB1_10429
; %bb.46269:
	s_getpc_b64 s[14:15]
.Lpost_getpc8798:
	s_add_u32 s14, s14, (.LBB1_24765-.Lpost_getpc8798)&4294967295
	s_addc_u32 s15, s15, (.LBB1_24765-.Lpost_getpc8798)>>32
	s_setpc_b64 s[14:15]
.LBB1_10429:
	s_or_saveexec_b64 s[6:7], s[6:7]
	v_mov_b32_e32 v6, s10
	s_xor_b64 exec, exec, s[6:7]
	s_cbranch_execz .LBB1_10430
; %bb.46271:
	s_getpc_b64 s[14:15]
.Lpost_getpc8799:
	s_add_u32 s14, s14, (.LBB1_24768-.Lpost_getpc8799)&4294967295
	s_addc_u32 s15, s15, (.LBB1_24768-.Lpost_getpc8799)>>32
	s_setpc_b64 s[14:15]
.LBB1_10430:
	s_or_b64 exec, exec, s[6:7]
	s_and_saveexec_b64 s[6:7], s[4:5]
	s_cbranch_execz .LBB1_10432
.LBB1_10431:
	v_bfe_u32 v6, v3, 24, 3
	v_ffbh_u32_e32 v14, v6
	v_min_u32_e32 v14, 32, v14
	v_lshrrev_b32_e32 v12, 27, v3
	v_subrev_u32_e32 v15, 28, v14
	v_and_b32_e32 v7, 0x80000000, v3
	v_and_b32_e32 v12, 15, v12
	v_bfe_u32 v13, v3, 27, 4
	v_lshlrev_b32_sdwa v3, v15, v3 dst_sel:DWORD dst_unused:UNUSED_PAD src0_sel:DWORD src1_sel:BYTE_3
	v_sub_u32_e32 v14, 29, v14
	v_and_b32_e32 v3, 7, v3
	v_cmp_eq_u16_e32 vcc, 0, v12
	v_cndmask_b32_e32 v3, v6, v3, vcc
	v_cndmask_b32_e32 v6, v13, v14, vcc
	v_mov_b32_e32 v12, 0x3b800000
	v_lshlrev_b32_e32 v3, 20, v3
	v_lshl_add_u32 v6, v6, 23, v12
	v_or3_b32 v6, v7, v6, v3
.LBB1_10432:
	s_or_b64 exec, exec, s[6:7]
	s_nop 0
	v_mfma_f32_16x16x4f32 a[0:3], v2, v6, a[0:3]
	s_movk_i32 s4, 0x7f
	v_cmp_gt_i16_sdwa s[6:7], v8, s4 src0_sel:BYTE_0 src1_sel:DWORD
	s_mov_b64 s[4:5], 0
                                        ; implicit-def: $sgpr10
	s_and_saveexec_b64 s[8:9], s[6:7]
	s_xor_b64 s[6:7], exec, s[8:9]
	s_cbranch_execz .LBB1_10433
; %bb.46273:
	s_getpc_b64 s[14:15]
.Lpost_getpc8800:
	s_add_u32 s14, s14, (.LBB1_24769-.Lpost_getpc8800)&4294967295
	s_addc_u32 s15, s15, (.LBB1_24769-.Lpost_getpc8800)>>32
	s_setpc_b64 s[14:15]
.LBB1_10433:
	s_or_saveexec_b64 s[6:7], s[6:7]
	v_mov_b32_e32 v2, s10
	s_xor_b64 exec, exec, s[6:7]
	s_cbranch_execz .LBB1_10434
; %bb.46275:
	s_getpc_b64 s[14:15]
.Lpost_getpc8801:
	s_add_u32 s14, s14, (.LBB1_24772-.Lpost_getpc8801)&4294967295
	s_addc_u32 s15, s15, (.LBB1_24772-.Lpost_getpc8801)>>32
	s_setpc_b64 s[14:15]
.LBB1_10434:
	s_or_b64 exec, exec, s[6:7]
	s_and_saveexec_b64 s[6:7], s[4:5]
	s_cbranch_execz .LBB1_10436
.LBB1_10435:
	v_and_b32_e32 v2, 7, v8
	v_ffbh_u32_e32 v6, v2
	v_min_u32_e32 v6, 32, v6
	v_lshrrev_b16_e32 v3, 3, v8
	v_subrev_u32_e32 v7, 28, v6
	v_and_b32_e32 v3, 15, v3
	v_lshlrev_b32_e32 v7, v7, v8
	v_sub_u32_e32 v6, 29, v6
	v_and_b32_e32 v7, 7, v7
	v_cmp_eq_u16_e32 vcc, 0, v3
	v_cndmask_b32_e32 v2, v2, v7, vcc
	v_cndmask_b32_e32 v3, v3, v6, vcc
	v_lshlrev_b32_e32 v6, 24, v8
	v_mov_b32_e32 v7, 0x3b800000
	v_lshlrev_b32_e32 v2, 20, v2
	v_and_b32_e32 v6, 0x80000000, v6
	v_lshl_add_u32 v3, v3, 23, v7
	v_or3_b32 v2, v6, v3, v2
.LBB1_10436:
	s_or_b64 exec, exec, s[6:7]
	s_movk_i32 s4, 0x7f
	v_cmp_gt_i16_sdwa s[6:7], v4, s4 src0_sel:BYTE_0 src1_sel:DWORD
	s_mov_b64 s[4:5], 0
                                        ; implicit-def: $sgpr10
	s_and_saveexec_b64 s[8:9], s[6:7]
	s_xor_b64 s[6:7], exec, s[8:9]
	s_cbranch_execz .LBB1_10437
; %bb.46277:
	s_getpc_b64 s[14:15]
.Lpost_getpc8802:
	s_add_u32 s14, s14, (.LBB1_24773-.Lpost_getpc8802)&4294967295
	s_addc_u32 s15, s15, (.LBB1_24773-.Lpost_getpc8802)>>32
	s_setpc_b64 s[14:15]
.LBB1_10437:
	s_or_saveexec_b64 s[6:7], s[6:7]
	v_mov_b32_e32 v3, s10
	s_xor_b64 exec, exec, s[6:7]
	s_cbranch_execz .LBB1_10438
; %bb.46279:
	s_getpc_b64 s[14:15]
.Lpost_getpc8803:
	s_add_u32 s14, s14, (.LBB1_24776-.Lpost_getpc8803)&4294967295
	s_addc_u32 s15, s15, (.LBB1_24776-.Lpost_getpc8803)>>32
	s_setpc_b64 s[14:15]
.LBB1_10438:
	s_or_b64 exec, exec, s[6:7]
	s_and_saveexec_b64 s[6:7], s[4:5]
	s_cbranch_execz .LBB1_10440
.LBB1_10439:
	v_and_b32_e32 v3, 7, v4
	v_ffbh_u32_e32 v7, v3
	v_min_u32_e32 v7, 32, v7
	v_lshrrev_b16_e32 v6, 3, v4
	v_subrev_u32_e32 v12, 28, v7
	v_and_b32_e32 v6, 15, v6
	v_lshlrev_b32_e32 v12, v12, v4
	v_sub_u32_e32 v7, 29, v7
	v_and_b32_e32 v12, 7, v12
	v_cmp_eq_u16_e32 vcc, 0, v6
	v_cndmask_b32_e32 v3, v3, v12, vcc
	v_cndmask_b32_e32 v6, v6, v7, vcc
	v_lshlrev_b32_e32 v7, 24, v4
	v_mov_b32_e32 v12, 0x3b800000
	v_lshlrev_b32_e32 v3, 20, v3
	v_and_b32_e32 v7, 0x80000000, v7
	v_lshl_add_u32 v6, v6, 23, v12
	v_or3_b32 v3, v7, v6, v3
.LBB1_10440:
	s_or_b64 exec, exec, s[6:7]
	s_nop 0
	v_mfma_f32_16x16x4f32 a[0:3], v2, v3, a[0:3]
	v_lshrrev_b32_e32 v3, 8, v8
	s_movk_i32 s4, 0x7f
	v_cmp_gt_i16_sdwa s[6:7], v3, s4 src0_sel:BYTE_0 src1_sel:DWORD
	s_mov_b64 s[4:5], 0
                                        ; implicit-def: $sgpr10
	s_and_saveexec_b64 s[8:9], s[6:7]
	s_xor_b64 s[6:7], exec, s[8:9]
	s_cbranch_execz .LBB1_10441
; %bb.46281:
	s_getpc_b64 s[14:15]
.Lpost_getpc8804:
	s_add_u32 s14, s14, (.LBB1_24777-.Lpost_getpc8804)&4294967295
	s_addc_u32 s15, s15, (.LBB1_24777-.Lpost_getpc8804)>>32
	s_setpc_b64 s[14:15]
.LBB1_10441:
	s_or_saveexec_b64 s[6:7], s[6:7]
	v_mov_b32_e32 v2, s10
	s_xor_b64 exec, exec, s[6:7]
	s_cbranch_execz .LBB1_10442
; %bb.46283:
	s_getpc_b64 s[14:15]
.Lpost_getpc8805:
	s_add_u32 s14, s14, (.LBB1_24780-.Lpost_getpc8805)&4294967295
	s_addc_u32 s15, s15, (.LBB1_24780-.Lpost_getpc8805)>>32
	s_setpc_b64 s[14:15]
.LBB1_10442:
	s_or_b64 exec, exec, s[6:7]
	s_and_saveexec_b64 s[6:7], s[4:5]
	s_cbranch_execz .LBB1_10444
.LBB1_10443:
	v_bfe_u32 v2, v8, 8, 3
	v_ffbh_u32_e32 v7, v2
	v_min_u32_e32 v7, 32, v7
	v_lshrrev_b16_e32 v6, 3, v3
	v_subrev_u32_e32 v12, 28, v7
	v_and_b32_e32 v6, 15, v6
	v_lshlrev_b32_e32 v3, v12, v3
	v_sub_u32_e32 v7, 29, v7
	v_and_b32_e32 v3, 7, v3
	v_cmp_eq_u16_e32 vcc, 0, v6
	v_cndmask_b32_e32 v2, v2, v3, vcc
	v_cndmask_b32_e32 v3, v6, v7, vcc
	v_lshlrev_b32_e32 v6, 16, v8
	v_mov_b32_e32 v7, 0x3b800000
	v_lshlrev_b32_e32 v2, 20, v2
	v_and_b32_e32 v6, 0x80000000, v6
	v_lshl_add_u32 v3, v3, 23, v7
	v_or3_b32 v2, v6, v3, v2
.LBB1_10444:
	s_or_b64 exec, exec, s[6:7]
	v_lshrrev_b32_e32 v3, 8, v4
	s_movk_i32 s4, 0x7f
	v_cmp_gt_i16_sdwa s[6:7], v3, s4 src0_sel:BYTE_0 src1_sel:DWORD
	s_mov_b64 s[4:5], 0
                                        ; implicit-def: $sgpr10
	s_and_saveexec_b64 s[8:9], s[6:7]
	s_xor_b64 s[6:7], exec, s[8:9]
	s_cbranch_execz .LBB1_10445
; %bb.46285:
	s_getpc_b64 s[14:15]
.Lpost_getpc8806:
	s_add_u32 s14, s14, (.LBB1_24781-.Lpost_getpc8806)&4294967295
	s_addc_u32 s15, s15, (.LBB1_24781-.Lpost_getpc8806)>>32
	s_setpc_b64 s[14:15]
.LBB1_10445:
	s_or_saveexec_b64 s[6:7], s[6:7]
	v_mov_b32_e32 v6, s10
	s_xor_b64 exec, exec, s[6:7]
	s_cbranch_execz .LBB1_10446
; %bb.46287:
	s_getpc_b64 s[14:15]
.Lpost_getpc8807:
	s_add_u32 s14, s14, (.LBB1_24784-.Lpost_getpc8807)&4294967295
	s_addc_u32 s15, s15, (.LBB1_24784-.Lpost_getpc8807)>>32
	s_setpc_b64 s[14:15]
.LBB1_10446:
	s_or_b64 exec, exec, s[6:7]
	s_and_saveexec_b64 s[6:7], s[4:5]
	s_cbranch_execz .LBB1_10448
.LBB1_10447:
	v_bfe_u32 v6, v4, 8, 3
	v_ffbh_u32_e32 v12, v6
	v_min_u32_e32 v12, 32, v12
	v_lshrrev_b16_e32 v7, 3, v3
	v_subrev_u32_e32 v13, 28, v12
	v_and_b32_e32 v7, 15, v7
	v_lshlrev_b32_e32 v3, v13, v3
	v_sub_u32_e32 v12, 29, v12
	v_and_b32_e32 v3, 7, v3
	v_cmp_eq_u16_e32 vcc, 0, v7
	v_cndmask_b32_e32 v3, v6, v3, vcc
	v_cndmask_b32_e32 v6, v7, v12, vcc
	v_lshlrev_b32_e32 v7, 16, v4
	v_mov_b32_e32 v12, 0x3b800000
	v_lshlrev_b32_e32 v3, 20, v3
	v_and_b32_e32 v7, 0x80000000, v7
	v_lshl_add_u32 v6, v6, 23, v12
	v_or3_b32 v6, v7, v6, v3
.LBB1_10448:
	s_or_b64 exec, exec, s[6:7]
	s_nop 0
	v_mfma_f32_16x16x4f32 a[0:3], v2, v6, a[0:3]
	s_movk_i32 s4, 0xff
	v_and_b32_sdwa v3, v8, s4 dst_sel:DWORD dst_unused:UNUSED_PAD src0_sel:WORD_1 src1_sel:DWORD
	s_movk_i32 s4, 0x7f
	v_cmp_lt_i16_e32 vcc, s4, v3
	s_mov_b64 s[4:5], 0
                                        ; implicit-def: $sgpr10
	s_and_saveexec_b64 s[6:7], vcc
	s_xor_b64 s[6:7], exec, s[6:7]
	s_cbranch_execz .LBB1_10449
; %bb.46289:
	s_getpc_b64 s[14:15]
.Lpost_getpc8808:
	s_add_u32 s14, s14, (.LBB1_24785-.Lpost_getpc8808)&4294967295
	s_addc_u32 s15, s15, (.LBB1_24785-.Lpost_getpc8808)>>32
	s_setpc_b64 s[14:15]
.LBB1_10449:
	s_or_saveexec_b64 s[6:7], s[6:7]
	v_mov_b32_e32 v2, s10
	s_xor_b64 exec, exec, s[6:7]
	s_cbranch_execz .LBB1_10450
; %bb.46291:
	s_getpc_b64 s[14:15]
.Lpost_getpc8809:
	s_add_u32 s14, s14, (.LBB1_24788-.Lpost_getpc8809)&4294967295
	s_addc_u32 s15, s15, (.LBB1_24788-.Lpost_getpc8809)>>32
	s_setpc_b64 s[14:15]
.LBB1_10450:
	s_or_b64 exec, exec, s[6:7]
	s_and_saveexec_b64 s[6:7], s[4:5]
	s_cbranch_execz .LBB1_10452
.LBB1_10451:
	v_bfe_u32 v2, v8, 16, 3
	v_ffbh_u32_e32 v7, v2
	v_min_u32_e32 v7, 32, v7
	v_lshrrev_b32_e32 v3, 19, v8
	v_subrev_u32_e32 v12, 28, v7
	v_and_b32_e32 v3, 15, v3
	v_lshlrev_b32_sdwa v12, v12, v8 dst_sel:DWORD dst_unused:UNUSED_PAD src0_sel:DWORD src1_sel:WORD_1
	v_bfe_u32 v6, v8, 19, 4
	v_sub_u32_e32 v7, 29, v7
	v_and_b32_e32 v12, 7, v12
	v_cmp_eq_u16_e32 vcc, 0, v3
	v_cndmask_b32_e32 v2, v2, v12, vcc
	v_cndmask_b32_e32 v3, v6, v7, vcc
	v_lshlrev_b32_e32 v6, 8, v8
	v_mov_b32_e32 v7, 0x3b800000
	v_lshlrev_b32_e32 v2, 20, v2
	v_and_b32_e32 v6, 0x80000000, v6
	v_lshl_add_u32 v3, v3, 23, v7
	v_or3_b32 v2, v6, v3, v2
.LBB1_10452:
	s_or_b64 exec, exec, s[6:7]
	s_movk_i32 s4, 0xff
	v_and_b32_sdwa v3, v4, s4 dst_sel:DWORD dst_unused:UNUSED_PAD src0_sel:WORD_1 src1_sel:DWORD
	s_movk_i32 s4, 0x7f
	v_cmp_lt_i16_e32 vcc, s4, v3
	s_mov_b64 s[4:5], 0
                                        ; implicit-def: $sgpr10
	s_and_saveexec_b64 s[6:7], vcc
	s_xor_b64 s[6:7], exec, s[6:7]
	s_cbranch_execz .LBB1_10453
; %bb.46293:
	s_getpc_b64 s[14:15]
.Lpost_getpc8810:
	s_add_u32 s14, s14, (.LBB1_24789-.Lpost_getpc8810)&4294967295
	s_addc_u32 s15, s15, (.LBB1_24789-.Lpost_getpc8810)>>32
	s_setpc_b64 s[14:15]
.LBB1_10453:
	s_or_saveexec_b64 s[6:7], s[6:7]
	v_mov_b32_e32 v6, s10
	s_xor_b64 exec, exec, s[6:7]
	s_cbranch_execz .LBB1_10454
; %bb.46295:
	s_getpc_b64 s[14:15]
.Lpost_getpc8811:
	s_add_u32 s14, s14, (.LBB1_24792-.Lpost_getpc8811)&4294967295
	s_addc_u32 s15, s15, (.LBB1_24792-.Lpost_getpc8811)>>32
	s_setpc_b64 s[14:15]
.LBB1_10454:
	s_or_b64 exec, exec, s[6:7]
	s_and_saveexec_b64 s[6:7], s[4:5]
	s_cbranch_execz .LBB1_10456
.LBB1_10455:
	v_bfe_u32 v3, v4, 16, 3
	v_ffbh_u32_e32 v12, v3
	v_min_u32_e32 v12, 32, v12
	v_lshrrev_b32_e32 v6, 19, v4
	v_subrev_u32_e32 v13, 28, v12
	v_and_b32_e32 v6, 15, v6
	v_lshlrev_b32_sdwa v13, v13, v4 dst_sel:DWORD dst_unused:UNUSED_PAD src0_sel:DWORD src1_sel:WORD_1
	v_bfe_u32 v7, v4, 19, 4
	v_sub_u32_e32 v12, 29, v12
	v_and_b32_e32 v13, 7, v13
	v_cmp_eq_u16_e32 vcc, 0, v6
	v_cndmask_b32_e32 v3, v3, v13, vcc
	v_cndmask_b32_e32 v6, v7, v12, vcc
	v_lshlrev_b32_e32 v7, 8, v4
	v_mov_b32_e32 v12, 0x3b800000
	v_lshlrev_b32_e32 v3, 20, v3
	v_and_b32_e32 v7, 0x80000000, v7
	v_lshl_add_u32 v6, v6, 23, v12
	v_or3_b32 v6, v7, v6, v3
.LBB1_10456:
	s_or_b64 exec, exec, s[6:7]
	s_nop 0
	v_mfma_f32_16x16x4f32 a[0:3], v2, v6, a[0:3]
	s_movk_i32 s4, 0x7f
	v_cmp_gt_i16_sdwa s[6:7], v8, s4 src0_sel:BYTE_3 src1_sel:DWORD
	s_mov_b64 s[4:5], 0
                                        ; implicit-def: $sgpr10
	s_and_saveexec_b64 s[8:9], s[6:7]
	s_xor_b64 s[6:7], exec, s[8:9]
	s_cbranch_execz .LBB1_10457
; %bb.46297:
	s_getpc_b64 s[14:15]
.Lpost_getpc8812:
	s_add_u32 s14, s14, (.LBB1_24793-.Lpost_getpc8812)&4294967295
	s_addc_u32 s15, s15, (.LBB1_24793-.Lpost_getpc8812)>>32
	s_setpc_b64 s[14:15]
.LBB1_10457:
	s_or_saveexec_b64 s[6:7], s[6:7]
	v_mov_b32_e32 v2, s10
	s_xor_b64 exec, exec, s[6:7]
	s_cbranch_execz .LBB1_10458
; %bb.46299:
	s_getpc_b64 s[14:15]
.Lpost_getpc8813:
	s_add_u32 s14, s14, (.LBB1_24796-.Lpost_getpc8813)&4294967295
	s_addc_u32 s15, s15, (.LBB1_24796-.Lpost_getpc8813)>>32
	s_setpc_b64 s[14:15]
.LBB1_10458:
	s_or_b64 exec, exec, s[6:7]
	s_and_saveexec_b64 s[6:7], s[4:5]
	s_cbranch_execz .LBB1_10460
.LBB1_10459:
	v_bfe_u32 v2, v8, 24, 3
	v_ffbh_u32_e32 v12, v2
	v_min_u32_e32 v12, 32, v12
	v_lshrrev_b32_e32 v6, 27, v8
	v_subrev_u32_e32 v13, 28, v12
	v_and_b32_e32 v3, 0x80000000, v8
	v_and_b32_e32 v6, 15, v6
	v_bfe_u32 v7, v8, 27, 4
	v_lshlrev_b32_sdwa v8, v13, v8 dst_sel:DWORD dst_unused:UNUSED_PAD src0_sel:DWORD src1_sel:BYTE_3
	v_sub_u32_e32 v12, 29, v12
	v_and_b32_e32 v8, 7, v8
	v_cmp_eq_u16_e32 vcc, 0, v6
	v_cndmask_b32_e32 v2, v2, v8, vcc
	v_cndmask_b32_e32 v6, v7, v12, vcc
	v_mov_b32_e32 v7, 0x3b800000
	v_lshlrev_b32_e32 v2, 20, v2
	v_lshl_add_u32 v6, v6, 23, v7
	v_or3_b32 v2, v3, v6, v2
.LBB1_10460:
	s_or_b64 exec, exec, s[6:7]
	s_movk_i32 s4, 0x7f
	v_cmp_gt_i16_sdwa s[6:7], v4, s4 src0_sel:BYTE_3 src1_sel:DWORD
	s_mov_b64 s[4:5], 0
                                        ; implicit-def: $sgpr10
	s_and_saveexec_b64 s[8:9], s[6:7]
	s_xor_b64 s[6:7], exec, s[8:9]
	s_cbranch_execz .LBB1_10461
; %bb.46301:
	s_getpc_b64 s[14:15]
.Lpost_getpc8814:
	s_add_u32 s14, s14, (.LBB1_24797-.Lpost_getpc8814)&4294967295
	s_addc_u32 s15, s15, (.LBB1_24797-.Lpost_getpc8814)>>32
	s_setpc_b64 s[14:15]
.LBB1_10461:
	s_or_saveexec_b64 s[6:7], s[6:7]
	v_mov_b32_e32 v3, s10
	s_xor_b64 exec, exec, s[6:7]
	s_cbranch_execz .LBB1_10462
; %bb.46303:
	s_getpc_b64 s[14:15]
.Lpost_getpc8815:
	s_add_u32 s14, s14, (.LBB1_24800-.Lpost_getpc8815)&4294967295
	s_addc_u32 s15, s15, (.LBB1_24800-.Lpost_getpc8815)>>32
	s_setpc_b64 s[14:15]
.LBB1_10462:
	s_or_b64 exec, exec, s[6:7]
	s_and_saveexec_b64 s[6:7], s[4:5]
	s_cbranch_execz .LBB1_10464
.LBB1_10463:
	v_bfe_u32 v3, v4, 24, 3
	v_ffbh_u32_e32 v12, v3
	v_min_u32_e32 v12, 32, v12
	v_lshrrev_b32_e32 v7, 27, v4
	v_subrev_u32_e32 v13, 28, v12
	v_and_b32_e32 v6, 0x80000000, v4
	v_and_b32_e32 v7, 15, v7
	v_bfe_u32 v8, v4, 27, 4
	v_lshlrev_b32_sdwa v4, v13, v4 dst_sel:DWORD dst_unused:UNUSED_PAD src0_sel:DWORD src1_sel:BYTE_3
	v_sub_u32_e32 v12, 29, v12
	v_and_b32_e32 v4, 7, v4
	v_cmp_eq_u16_e32 vcc, 0, v7
	v_cndmask_b32_e32 v3, v3, v4, vcc
	v_cndmask_b32_e32 v4, v8, v12, vcc
	v_mov_b32_e32 v7, 0x3b800000
	v_lshlrev_b32_e32 v3, 20, v3
	v_lshl_add_u32 v4, v4, 23, v7
	v_or3_b32 v3, v6, v4, v3
.LBB1_10464:
	s_or_b64 exec, exec, s[6:7]
	s_nop 0
	v_mfma_f32_16x16x4f32 a[0:3], v2, v3, a[0:3]
	s_movk_i32 s4, 0x7f
	v_cmp_gt_i16_sdwa s[6:7], v9, s4 src0_sel:BYTE_0 src1_sel:DWORD
	s_mov_b64 s[4:5], 0
                                        ; implicit-def: $sgpr10
	s_and_saveexec_b64 s[8:9], s[6:7]
	s_xor_b64 s[6:7], exec, s[8:9]
	s_cbranch_execz .LBB1_10465
; %bb.46305:
	s_getpc_b64 s[14:15]
.Lpost_getpc8816:
	s_add_u32 s14, s14, (.LBB1_24801-.Lpost_getpc8816)&4294967295
	s_addc_u32 s15, s15, (.LBB1_24801-.Lpost_getpc8816)>>32
	s_setpc_b64 s[14:15]
.LBB1_10465:
	s_or_saveexec_b64 s[6:7], s[6:7]
	v_mov_b32_e32 v2, s10
	s_xor_b64 exec, exec, s[6:7]
	s_cbranch_execz .LBB1_10466
; %bb.46307:
	s_getpc_b64 s[14:15]
.Lpost_getpc8817:
	s_add_u32 s14, s14, (.LBB1_24804-.Lpost_getpc8817)&4294967295
	s_addc_u32 s15, s15, (.LBB1_24804-.Lpost_getpc8817)>>32
	s_setpc_b64 s[14:15]
.LBB1_10466:
	s_or_b64 exec, exec, s[6:7]
	s_and_saveexec_b64 s[6:7], s[4:5]
	s_cbranch_execz .LBB1_10468
.LBB1_10467:
	v_mov_b32_e32 v2, 8
	v_and_b32_e32 v3, 7, v9
	v_lshrrev_b32_sdwa v2, v2, v9 dst_sel:BYTE_1 dst_unused:UNUSED_PAD src0_sel:DWORD src1_sel:DWORD
	v_ffbh_u32_e32 v4, v3
	v_or_b32_sdwa v2, v9, v2 dst_sel:DWORD dst_unused:UNUSED_PAD src0_sel:BYTE_0 src1_sel:DWORD
	v_min_u32_e32 v4, 32, v4
	v_lshrrev_b16_e32 v2, 3, v2
	v_subrev_u32_e32 v6, 28, v4
	v_and_b32_e32 v2, 15, v2
	v_lshlrev_b32_e32 v6, v6, v9
	v_sub_u32_e32 v4, 29, v4
	v_and_b32_e32 v6, 7, v6
	v_cmp_eq_u16_e32 vcc, 0, v2
	v_cndmask_b32_e32 v3, v3, v6, vcc
	v_cndmask_b32_e32 v2, v2, v4, vcc
	v_lshlrev_b32_e32 v4, 24, v9
	v_mov_b32_e32 v6, 0x3b800000
	v_lshlrev_b32_e32 v3, 20, v3
	v_and_b32_e32 v4, 0x80000000, v4
	v_lshl_add_u32 v2, v2, 23, v6
	v_or3_b32 v2, v4, v2, v3
.LBB1_10468:
	s_or_b64 exec, exec, s[6:7]
	s_movk_i32 s4, 0x7f
	v_cmp_gt_i16_sdwa s[6:7], v5, s4 src0_sel:BYTE_0 src1_sel:DWORD
	s_mov_b64 s[4:5], 0
                                        ; implicit-def: $sgpr10
	s_and_saveexec_b64 s[8:9], s[6:7]
	s_xor_b64 s[6:7], exec, s[8:9]
	s_cbranch_execz .LBB1_10469
; %bb.46309:
	s_getpc_b64 s[14:15]
.Lpost_getpc8818:
	s_add_u32 s14, s14, (.LBB1_24805-.Lpost_getpc8818)&4294967295
	s_addc_u32 s15, s15, (.LBB1_24805-.Lpost_getpc8818)>>32
	s_setpc_b64 s[14:15]
.LBB1_10469:
	s_or_saveexec_b64 s[6:7], s[6:7]
	v_mov_b32_e32 v3, s10
	s_xor_b64 exec, exec, s[6:7]
	s_cbranch_execz .LBB1_10470
; %bb.46311:
	s_getpc_b64 s[14:15]
.Lpost_getpc8819:
	s_add_u32 s14, s14, (.LBB1_24808-.Lpost_getpc8819)&4294967295
	s_addc_u32 s15, s15, (.LBB1_24808-.Lpost_getpc8819)>>32
	s_setpc_b64 s[14:15]
.LBB1_10470:
	s_or_b64 exec, exec, s[6:7]
	s_and_saveexec_b64 s[6:7], s[4:5]
	s_cbranch_execz .LBB1_10472
.LBB1_10471:
	v_mov_b32_e32 v3, 8
	v_and_b32_e32 v4, 7, v5
	v_lshrrev_b32_sdwa v3, v3, v5 dst_sel:BYTE_1 dst_unused:UNUSED_PAD src0_sel:DWORD src1_sel:DWORD
	v_ffbh_u32_e32 v6, v4
	v_or_b32_sdwa v3, v5, v3 dst_sel:DWORD dst_unused:UNUSED_PAD src0_sel:BYTE_0 src1_sel:DWORD
	v_min_u32_e32 v6, 32, v6
	v_lshrrev_b16_e32 v3, 3, v3
	v_subrev_u32_e32 v7, 28, v6
	v_and_b32_e32 v3, 15, v3
	v_lshlrev_b32_e32 v7, v7, v5
	v_sub_u32_e32 v6, 29, v6
	v_and_b32_e32 v7, 7, v7
	v_cmp_eq_u16_e32 vcc, 0, v3
	v_cndmask_b32_e32 v4, v4, v7, vcc
	v_cndmask_b32_e32 v3, v3, v6, vcc
	v_lshlrev_b32_e32 v6, 24, v5
	v_mov_b32_e32 v7, 0x3b800000
	v_lshlrev_b32_e32 v4, 20, v4
	v_and_b32_e32 v6, 0x80000000, v6
	v_lshl_add_u32 v3, v3, 23, v7
	v_or3_b32 v3, v6, v3, v4
.LBB1_10472:
	s_or_b64 exec, exec, s[6:7]
	s_nop 0
	v_mfma_f32_16x16x4f32 a[0:3], v2, v3, a[0:3]
	v_lshrrev_b32_e32 v3, 8, v9
	s_movk_i32 s4, 0x7f
	v_cmp_gt_i16_sdwa s[6:7], v3, s4 src0_sel:BYTE_0 src1_sel:DWORD
	s_mov_b64 s[4:5], 0
                                        ; implicit-def: $sgpr10
	s_and_saveexec_b64 s[8:9], s[6:7]
	s_xor_b64 s[6:7], exec, s[8:9]
	s_cbranch_execz .LBB1_10473
; %bb.46313:
	s_getpc_b64 s[14:15]
.Lpost_getpc8820:
	s_add_u32 s14, s14, (.LBB1_24809-.Lpost_getpc8820)&4294967295
	s_addc_u32 s15, s15, (.LBB1_24809-.Lpost_getpc8820)>>32
	s_setpc_b64 s[14:15]
.LBB1_10473:
	s_or_saveexec_b64 s[6:7], s[6:7]
	v_mov_b32_e32 v2, s10
	s_xor_b64 exec, exec, s[6:7]
	s_cbranch_execz .LBB1_10474
; %bb.46315:
	s_getpc_b64 s[14:15]
.Lpost_getpc8821:
	s_add_u32 s14, s14, (.LBB1_24812-.Lpost_getpc8821)&4294967295
	s_addc_u32 s15, s15, (.LBB1_24812-.Lpost_getpc8821)>>32
	s_setpc_b64 s[14:15]
.LBB1_10474:
	s_or_b64 exec, exec, s[6:7]
	s_and_saveexec_b64 s[6:7], s[4:5]
	s_cbranch_execz .LBB1_10476
.LBB1_10475:
	v_bfe_u32 v2, v9, 8, 3
	v_ffbh_u32_e32 v6, v2
	v_min_u32_e32 v6, 32, v6
	v_lshrrev_b16_e32 v4, 3, v3
	v_subrev_u32_e32 v7, 28, v6
	v_and_b32_e32 v4, 15, v4
	v_lshlrev_b32_e32 v3, v7, v3
	v_sub_u32_e32 v6, 29, v6
	v_and_b32_e32 v3, 7, v3
	v_cmp_eq_u16_e32 vcc, 0, v4
	v_cndmask_b32_e32 v2, v2, v3, vcc
	v_cndmask_b32_e32 v3, v4, v6, vcc
	v_lshlrev_b32_e32 v4, 16, v9
	v_mov_b32_e32 v6, 0x3b800000
	v_lshlrev_b32_e32 v2, 20, v2
	v_and_b32_e32 v4, 0x80000000, v4
	v_lshl_add_u32 v3, v3, 23, v6
	v_or3_b32 v2, v4, v3, v2
.LBB1_10476:
	s_or_b64 exec, exec, s[6:7]
	v_lshrrev_b32_e32 v3, 8, v5
	s_movk_i32 s4, 0x7f
	v_cmp_gt_i16_sdwa s[6:7], v3, s4 src0_sel:BYTE_0 src1_sel:DWORD
	s_mov_b64 s[4:5], 0
                                        ; implicit-def: $sgpr10
	s_and_saveexec_b64 s[8:9], s[6:7]
	s_xor_b64 s[6:7], exec, s[8:9]
	s_cbranch_execz .LBB1_10477
; %bb.46317:
	s_getpc_b64 s[14:15]
.Lpost_getpc8822:
	s_add_u32 s14, s14, (.LBB1_24813-.Lpost_getpc8822)&4294967295
	s_addc_u32 s15, s15, (.LBB1_24813-.Lpost_getpc8822)>>32
	s_setpc_b64 s[14:15]
.LBB1_10477:
	s_or_saveexec_b64 s[6:7], s[6:7]
	v_mov_b32_e32 v4, s10
	s_xor_b64 exec, exec, s[6:7]
	s_cbranch_execz .LBB1_10478
; %bb.46319:
	s_getpc_b64 s[14:15]
.Lpost_getpc8823:
	s_add_u32 s14, s14, (.LBB1_24816-.Lpost_getpc8823)&4294967295
	s_addc_u32 s15, s15, (.LBB1_24816-.Lpost_getpc8823)>>32
	s_setpc_b64 s[14:15]
.LBB1_10478:
	s_or_b64 exec, exec, s[6:7]
	s_and_saveexec_b64 s[6:7], s[4:5]
	s_cbranch_execz .LBB1_10480
.LBB1_10479:
	v_bfe_u32 v4, v5, 8, 3
	v_ffbh_u32_e32 v7, v4
	v_min_u32_e32 v7, 32, v7
	v_lshrrev_b16_e32 v6, 3, v3
	v_subrev_u32_e32 v8, 28, v7
	v_and_b32_e32 v6, 15, v6
	v_lshlrev_b32_e32 v3, v8, v3
	v_sub_u32_e32 v7, 29, v7
	v_and_b32_e32 v3, 7, v3
	v_cmp_eq_u16_e32 vcc, 0, v6
	v_cndmask_b32_e32 v3, v4, v3, vcc
	v_cndmask_b32_e32 v4, v6, v7, vcc
	v_lshlrev_b32_e32 v6, 16, v5
	v_mov_b32_e32 v7, 0x3b800000
	v_lshlrev_b32_e32 v3, 20, v3
	v_and_b32_e32 v6, 0x80000000, v6
	v_lshl_add_u32 v4, v4, 23, v7
	v_or3_b32 v4, v6, v4, v3
.LBB1_10480:
	s_or_b64 exec, exec, s[6:7]
	s_nop 0
	v_mfma_f32_16x16x4f32 a[0:3], v2, v4, a[0:3]
	s_movk_i32 s4, 0xff
	v_and_b32_sdwa v3, v9, s4 dst_sel:DWORD dst_unused:UNUSED_PAD src0_sel:WORD_1 src1_sel:DWORD
	s_movk_i32 s4, 0x7f
	v_cmp_lt_i16_e32 vcc, s4, v3
	s_mov_b64 s[4:5], 0
                                        ; implicit-def: $sgpr10
	s_and_saveexec_b64 s[6:7], vcc
	s_xor_b64 s[6:7], exec, s[6:7]
	s_cbranch_execz .LBB1_10481
; %bb.46321:
	s_getpc_b64 s[14:15]
.Lpost_getpc8824:
	s_add_u32 s14, s14, (.LBB1_24817-.Lpost_getpc8824)&4294967295
	s_addc_u32 s15, s15, (.LBB1_24817-.Lpost_getpc8824)>>32
	s_setpc_b64 s[14:15]
.LBB1_10481:
	s_or_saveexec_b64 s[6:7], s[6:7]
	v_mov_b32_e32 v2, s10
	s_xor_b64 exec, exec, s[6:7]
	s_cbranch_execz .LBB1_10482
; %bb.46323:
	s_getpc_b64 s[14:15]
.Lpost_getpc8825:
	s_add_u32 s14, s14, (.LBB1_24820-.Lpost_getpc8825)&4294967295
	s_addc_u32 s15, s15, (.LBB1_24820-.Lpost_getpc8825)>>32
	s_setpc_b64 s[14:15]
.LBB1_10482:
	s_or_b64 exec, exec, s[6:7]
	s_and_saveexec_b64 s[6:7], s[4:5]
	s_cbranch_execz .LBB1_10484
.LBB1_10483:
	v_bfe_u32 v2, v9, 16, 3
	v_ffbh_u32_e32 v6, v2
	v_min_u32_e32 v6, 32, v6
	v_lshrrev_b32_e32 v3, 19, v9
	v_subrev_u32_e32 v7, 28, v6
	v_and_b32_e32 v3, 15, v3
	v_lshlrev_b32_sdwa v7, v7, v9 dst_sel:DWORD dst_unused:UNUSED_PAD src0_sel:DWORD src1_sel:WORD_1
	v_bfe_u32 v4, v9, 19, 4
	v_sub_u32_e32 v6, 29, v6
	v_and_b32_e32 v7, 7, v7
	v_cmp_eq_u16_e32 vcc, 0, v3
	v_cndmask_b32_e32 v2, v2, v7, vcc
	v_cndmask_b32_e32 v3, v4, v6, vcc
	v_lshlrev_b32_e32 v4, 8, v9
	v_mov_b32_e32 v6, 0x3b800000
	v_lshlrev_b32_e32 v2, 20, v2
	v_and_b32_e32 v4, 0x80000000, v4
	v_lshl_add_u32 v3, v3, 23, v6
	v_or3_b32 v2, v4, v3, v2
.LBB1_10484:
	s_or_b64 exec, exec, s[6:7]
	s_movk_i32 s4, 0xff
	v_and_b32_sdwa v3, v5, s4 dst_sel:DWORD dst_unused:UNUSED_PAD src0_sel:WORD_1 src1_sel:DWORD
	s_movk_i32 s4, 0x7f
	v_cmp_lt_i16_e32 vcc, s4, v3
	s_mov_b64 s[4:5], 0
                                        ; implicit-def: $sgpr10
	s_and_saveexec_b64 s[6:7], vcc
	s_xor_b64 s[6:7], exec, s[6:7]
	s_cbranch_execz .LBB1_10485
; %bb.46325:
	s_getpc_b64 s[14:15]
.Lpost_getpc8826:
	s_add_u32 s14, s14, (.LBB1_24821-.Lpost_getpc8826)&4294967295
	s_addc_u32 s15, s15, (.LBB1_24821-.Lpost_getpc8826)>>32
	s_setpc_b64 s[14:15]
.LBB1_10485:
	s_or_saveexec_b64 s[6:7], s[6:7]
	v_mov_b32_e32 v4, s10
	s_xor_b64 exec, exec, s[6:7]
	s_cbranch_execz .LBB1_10486
; %bb.46327:
	s_getpc_b64 s[14:15]
.Lpost_getpc8827:
	s_add_u32 s14, s14, (.LBB1_24824-.Lpost_getpc8827)&4294967295
	s_addc_u32 s15, s15, (.LBB1_24824-.Lpost_getpc8827)>>32
	s_setpc_b64 s[14:15]
.LBB1_10486:
	s_or_b64 exec, exec, s[6:7]
	s_and_saveexec_b64 s[6:7], s[4:5]
	s_cbranch_execz .LBB1_10488
.LBB1_10487:
	v_bfe_u32 v3, v5, 16, 3
	v_ffbh_u32_e32 v7, v3
	v_min_u32_e32 v7, 32, v7
	v_lshrrev_b32_e32 v4, 19, v5
	v_subrev_u32_e32 v8, 28, v7
	v_and_b32_e32 v4, 15, v4
	v_lshlrev_b32_sdwa v8, v8, v5 dst_sel:DWORD dst_unused:UNUSED_PAD src0_sel:DWORD src1_sel:WORD_1
	v_bfe_u32 v6, v5, 19, 4
	v_sub_u32_e32 v7, 29, v7
	v_and_b32_e32 v8, 7, v8
	v_cmp_eq_u16_e32 vcc, 0, v4
	v_cndmask_b32_e32 v3, v3, v8, vcc
	v_cndmask_b32_e32 v4, v6, v7, vcc
	v_lshlrev_b32_e32 v6, 8, v5
	v_mov_b32_e32 v7, 0x3b800000
	v_lshlrev_b32_e32 v3, 20, v3
	v_and_b32_e32 v6, 0x80000000, v6
	v_lshl_add_u32 v4, v4, 23, v7
	v_or3_b32 v4, v6, v4, v3
.LBB1_10488:
	s_or_b64 exec, exec, s[6:7]
	s_nop 0
	v_mfma_f32_16x16x4f32 a[0:3], v2, v4, a[0:3]
	s_movk_i32 s4, 0x7f
	v_cmp_gt_i16_sdwa s[6:7], v9, s4 src0_sel:BYTE_3 src1_sel:DWORD
	s_mov_b64 s[4:5], 0
                                        ; implicit-def: $sgpr10
	s_and_saveexec_b64 s[8:9], s[6:7]
	s_xor_b64 s[6:7], exec, s[8:9]
	s_cbranch_execz .LBB1_10489
; %bb.46329:
	s_getpc_b64 s[14:15]
.Lpost_getpc8828:
	s_add_u32 s14, s14, (.LBB1_24825-.Lpost_getpc8828)&4294967295
	s_addc_u32 s15, s15, (.LBB1_24825-.Lpost_getpc8828)>>32
	s_setpc_b64 s[14:15]
.LBB1_10489:
	s_or_saveexec_b64 s[6:7], s[6:7]
	v_mov_b32_e32 v2, s10
	s_xor_b64 exec, exec, s[6:7]
	s_cbranch_execz .LBB1_10490
; %bb.46331:
	s_getpc_b64 s[14:15]
.Lpost_getpc8829:
	s_add_u32 s14, s14, (.LBB1_24828-.Lpost_getpc8829)&4294967295
	s_addc_u32 s15, s15, (.LBB1_24828-.Lpost_getpc8829)>>32
	s_setpc_b64 s[14:15]
.LBB1_10490:
	s_or_b64 exec, exec, s[6:7]
	s_and_saveexec_b64 s[6:7], s[4:5]
	s_cbranch_execz .LBB1_10492
.LBB1_10491:
	v_bfe_u32 v2, v9, 24, 3
	v_ffbh_u32_e32 v7, v2
	v_min_u32_e32 v7, 32, v7
	v_lshrrev_b32_e32 v4, 27, v9
	v_subrev_u32_e32 v8, 28, v7
	v_and_b32_e32 v4, 15, v4
	v_lshlrev_b32_sdwa v8, v8, v9 dst_sel:DWORD dst_unused:UNUSED_PAD src0_sel:DWORD src1_sel:BYTE_3
	v_bfe_u32 v6, v9, 27, 4
	v_sub_u32_e32 v7, 29, v7
	v_and_b32_e32 v8, 7, v8
	v_cmp_eq_u16_e32 vcc, 0, v4
	v_cndmask_b32_e32 v2, v2, v8, vcc
	v_cndmask_b32_e32 v4, v6, v7, vcc
	v_mov_b32_e32 v6, 0x3b800000
	v_and_b32_e32 v3, 0x80000000, v9
	v_lshlrev_b32_e32 v2, 20, v2
	v_lshl_add_u32 v4, v4, 23, v6
	v_or3_b32 v2, v3, v4, v2
.LBB1_10492:
	s_or_b64 exec, exec, s[6:7]
	s_movk_i32 s4, 0x7f
	v_cmp_gt_i16_sdwa s[6:7], v5, s4 src0_sel:BYTE_3 src1_sel:DWORD
	s_mov_b64 s[4:5], 0
                                        ; implicit-def: $sgpr10
	s_and_saveexec_b64 s[8:9], s[6:7]
	s_xor_b64 s[6:7], exec, s[8:9]
	s_cbranch_execz .LBB1_10493
; %bb.46333:
	s_getpc_b64 s[14:15]
.Lpost_getpc8830:
	s_add_u32 s14, s14, (.LBB1_24829-.Lpost_getpc8830)&4294967295
	s_addc_u32 s15, s15, (.LBB1_24829-.Lpost_getpc8830)>>32
	s_setpc_b64 s[14:15]
.LBB1_10493:
	s_or_saveexec_b64 s[6:7], s[6:7]
	v_mov_b32_e32 v3, s10
	s_xor_b64 exec, exec, s[6:7]
	s_cbranch_execz .LBB1_10494
; %bb.46335:
	s_getpc_b64 s[14:15]
.Lpost_getpc8831:
	s_add_u32 s14, s14, (.LBB1_24832-.Lpost_getpc8831)&4294967295
	s_addc_u32 s15, s15, (.LBB1_24832-.Lpost_getpc8831)>>32
	s_setpc_b64 s[14:15]
.LBB1_10494:
	s_or_b64 exec, exec, s[6:7]
	s_and_saveexec_b64 s[6:7], s[4:5]
	s_cbranch_execz .LBB1_10496
.LBB1_10495:
	v_bfe_u32 v3, v5, 24, 3
	v_ffbh_u32_e32 v8, v3
	v_min_u32_e32 v8, 32, v8
	v_lshrrev_b32_e32 v6, 27, v5
	v_subrev_u32_e32 v9, 28, v8
	v_and_b32_e32 v4, 0x80000000, v5
	v_and_b32_e32 v6, 15, v6
	v_bfe_u32 v7, v5, 27, 4
	v_lshlrev_b32_sdwa v5, v9, v5 dst_sel:DWORD dst_unused:UNUSED_PAD src0_sel:DWORD src1_sel:BYTE_3
	v_sub_u32_e32 v8, 29, v8
	v_and_b32_e32 v5, 7, v5
	v_cmp_eq_u16_e32 vcc, 0, v6
	v_cndmask_b32_e32 v3, v3, v5, vcc
	v_cndmask_b32_e32 v5, v7, v8, vcc
	v_mov_b32_e32 v6, 0x3b800000
	v_lshlrev_b32_e32 v3, 20, v3
	v_lshl_add_u32 v5, v5, 23, v6
	v_or3_b32 v3, v4, v5, v3
.LBB1_10496:
	s_or_b64 exec, exec, s[6:7]
	s_nop 0
	v_mfma_f32_16x16x4f32 a[0:3], v2, v3, a[0:3]
	s_movk_i32 s4, 0x7f
                                        ; implicit-def: $sgpr10
	s_nop 7
	s_nop 1
	flat_store_dwordx4 v[10:11], a[0:3] offset:400
	flat_load_dwordx4 v[12:15], v[0:1]
	s_nop 0
	flat_load_dwordx2 v[10:11], v[0:1] offset:16
	s_waitcnt vmcnt(0) lgkmcnt(0)
	flat_load_dwordx4 v[6:9], v[12:13] offset:160
	flat_load_dwordx4 v[2:5], v[14:15] offset:160
	s_waitcnt vmcnt(0) lgkmcnt(0)
	v_cmp_gt_i16_sdwa s[6:7], v6, s4 src0_sel:BYTE_0 src1_sel:DWORD
	s_mov_b64 s[4:5], 0
	s_and_saveexec_b64 s[8:9], s[6:7]
	s_xor_b64 s[6:7], exec, s[8:9]
	s_cbranch_execz .LBB1_10497
; %bb.46337:
	s_getpc_b64 s[14:15]
.Lpost_getpc8832:
	s_add_u32 s14, s14, (.LBB1_24833-.Lpost_getpc8832)&4294967295
	s_addc_u32 s15, s15, (.LBB1_24833-.Lpost_getpc8832)>>32
	s_setpc_b64 s[14:15]
.LBB1_10497:
	s_or_saveexec_b64 s[6:7], s[6:7]
	v_mov_b32_e32 v12, s10
	s_xor_b64 exec, exec, s[6:7]
	s_cbranch_execz .LBB1_10498
; %bb.46339:
	s_getpc_b64 s[14:15]
.Lpost_getpc8833:
	s_add_u32 s14, s14, (.LBB1_24836-.Lpost_getpc8833)&4294967295
	s_addc_u32 s15, s15, (.LBB1_24836-.Lpost_getpc8833)>>32
	s_setpc_b64 s[14:15]
.LBB1_10498:
	s_or_b64 exec, exec, s[6:7]
	s_and_saveexec_b64 s[6:7], s[4:5]
	s_cbranch_execz .LBB1_10500
.LBB1_10499:
	v_and_b32_e32 v12, 7, v6
	v_ffbh_u32_e32 v14, v12
	v_min_u32_e32 v14, 32, v14
	v_lshrrev_b16_e32 v13, 3, v6
	v_subrev_u32_e32 v15, 28, v14
	v_and_b32_e32 v13, 15, v13
	v_lshlrev_b32_e32 v15, v15, v6
	v_sub_u32_e32 v14, 29, v14
	v_and_b32_e32 v15, 7, v15
	v_cmp_eq_u16_e32 vcc, 0, v13
	v_cndmask_b32_e32 v12, v12, v15, vcc
	v_cndmask_b32_e32 v13, v13, v14, vcc
	v_lshlrev_b32_e32 v14, 24, v6
	v_mov_b32_e32 v15, 0x3b800000
	v_lshlrev_b32_e32 v12, 20, v12
	v_and_b32_e32 v14, 0x80000000, v14
	v_lshl_add_u32 v13, v13, 23, v15
	v_or3_b32 v12, v14, v13, v12
.LBB1_10500:
	s_or_b64 exec, exec, s[6:7]
	s_movk_i32 s4, 0x7f
	v_cmp_gt_i16_sdwa s[6:7], v2, s4 src0_sel:BYTE_0 src1_sel:DWORD
	s_mov_b64 s[4:5], 0
                                        ; implicit-def: $sgpr10
	s_and_saveexec_b64 s[8:9], s[6:7]
	s_xor_b64 s[6:7], exec, s[8:9]
	s_cbranch_execz .LBB1_10501
; %bb.46341:
	s_getpc_b64 s[14:15]
.Lpost_getpc8834:
	s_add_u32 s14, s14, (.LBB1_24837-.Lpost_getpc8834)&4294967295
	s_addc_u32 s15, s15, (.LBB1_24837-.Lpost_getpc8834)>>32
	s_setpc_b64 s[14:15]
.LBB1_10501:
	s_or_saveexec_b64 s[6:7], s[6:7]
	v_mov_b32_e32 v13, s10
	s_xor_b64 exec, exec, s[6:7]
	s_cbranch_execz .LBB1_10502
; %bb.46343:
	s_getpc_b64 s[14:15]
.Lpost_getpc8835:
	s_add_u32 s14, s14, (.LBB1_24840-.Lpost_getpc8835)&4294967295
	s_addc_u32 s15, s15, (.LBB1_24840-.Lpost_getpc8835)>>32
	s_setpc_b64 s[14:15]
.LBB1_10502:
	s_or_b64 exec, exec, s[6:7]
	s_and_saveexec_b64 s[6:7], s[4:5]
	s_cbranch_execz .LBB1_10504
.LBB1_10503:
	v_and_b32_e32 v13, 7, v2
	v_ffbh_u32_e32 v15, v13
	v_min_u32_e32 v15, 32, v15
	v_lshrrev_b16_e32 v14, 3, v2
	v_subrev_u32_e32 v16, 28, v15
	v_and_b32_e32 v14, 15, v14
	v_lshlrev_b32_e32 v16, v16, v2
	v_sub_u32_e32 v15, 29, v15
	v_and_b32_e32 v16, 7, v16
	v_cmp_eq_u16_e32 vcc, 0, v14
	v_cndmask_b32_e32 v13, v13, v16, vcc
	v_cndmask_b32_e32 v14, v14, v15, vcc
	v_lshlrev_b32_e32 v15, 24, v2
	v_mov_b32_e32 v16, 0x3b800000
	v_lshlrev_b32_e32 v13, 20, v13
	v_and_b32_e32 v15, 0x80000000, v15
	v_lshl_add_u32 v14, v14, 23, v16
	v_or3_b32 v13, v15, v14, v13
.LBB1_10504:
	s_or_b64 exec, exec, s[6:7]
	flat_load_dwordx4 a[0:3], v[10:11] offset:416
	s_movk_i32 s4, 0x7f
                                        ; implicit-def: $sgpr10
	s_waitcnt vmcnt(0) lgkmcnt(0)
	v_mfma_f32_16x16x4f32 a[0:3], v12, v13, a[0:3]
	v_lshrrev_b32_e32 v13, 8, v6
	v_cmp_gt_i16_sdwa s[6:7], v13, s4 src0_sel:BYTE_0 src1_sel:DWORD
	s_mov_b64 s[4:5], 0
	s_and_saveexec_b64 s[8:9], s[6:7]
	s_xor_b64 s[6:7], exec, s[8:9]
	s_cbranch_execz .LBB1_10505
; %bb.46345:
	s_getpc_b64 s[14:15]
.Lpost_getpc8836:
	s_add_u32 s14, s14, (.LBB1_24841-.Lpost_getpc8836)&4294967295
	s_addc_u32 s15, s15, (.LBB1_24841-.Lpost_getpc8836)>>32
	s_setpc_b64 s[14:15]
.LBB1_10505:
	s_or_saveexec_b64 s[6:7], s[6:7]
	v_mov_b32_e32 v12, s10
	s_xor_b64 exec, exec, s[6:7]
	s_cbranch_execz .LBB1_10506
; %bb.46347:
	s_getpc_b64 s[14:15]
.Lpost_getpc8837:
	s_add_u32 s14, s14, (.LBB1_24844-.Lpost_getpc8837)&4294967295
	s_addc_u32 s15, s15, (.LBB1_24844-.Lpost_getpc8837)>>32
	s_setpc_b64 s[14:15]
.LBB1_10506:
	s_or_b64 exec, exec, s[6:7]
	s_and_saveexec_b64 s[6:7], s[4:5]
	s_cbranch_execz .LBB1_10508
.LBB1_10507:
	v_bfe_u32 v12, v6, 8, 3
	v_ffbh_u32_e32 v15, v12
	v_min_u32_e32 v15, 32, v15
	v_lshrrev_b16_e32 v14, 3, v13
	v_subrev_u32_e32 v16, 28, v15
	v_and_b32_e32 v14, 15, v14
	v_lshlrev_b32_e32 v13, v16, v13
	v_sub_u32_e32 v15, 29, v15
	v_and_b32_e32 v13, 7, v13
	v_cmp_eq_u16_e32 vcc, 0, v14
	v_cndmask_b32_e32 v12, v12, v13, vcc
	v_cndmask_b32_e32 v13, v14, v15, vcc
	v_lshlrev_b32_e32 v14, 16, v6
	v_mov_b32_e32 v15, 0x3b800000
	v_lshlrev_b32_e32 v12, 20, v12
	v_and_b32_e32 v14, 0x80000000, v14
	v_lshl_add_u32 v13, v13, 23, v15
	v_or3_b32 v12, v14, v13, v12
.LBB1_10508:
	s_or_b64 exec, exec, s[6:7]
	v_lshrrev_b32_e32 v13, 8, v2
	s_movk_i32 s4, 0x7f
	v_cmp_gt_i16_sdwa s[6:7], v13, s4 src0_sel:BYTE_0 src1_sel:DWORD
	s_mov_b64 s[4:5], 0
                                        ; implicit-def: $sgpr10
	s_and_saveexec_b64 s[8:9], s[6:7]
	s_xor_b64 s[6:7], exec, s[8:9]
	s_cbranch_execz .LBB1_10509
; %bb.46349:
	s_getpc_b64 s[14:15]
.Lpost_getpc8838:
	s_add_u32 s14, s14, (.LBB1_24845-.Lpost_getpc8838)&4294967295
	s_addc_u32 s15, s15, (.LBB1_24845-.Lpost_getpc8838)>>32
	s_setpc_b64 s[14:15]
.LBB1_10509:
	s_or_saveexec_b64 s[6:7], s[6:7]
	v_mov_b32_e32 v14, s10
	s_xor_b64 exec, exec, s[6:7]
	s_cbranch_execz .LBB1_10510
; %bb.46351:
	s_getpc_b64 s[14:15]
.Lpost_getpc8839:
	s_add_u32 s14, s14, (.LBB1_24848-.Lpost_getpc8839)&4294967295
	s_addc_u32 s15, s15, (.LBB1_24848-.Lpost_getpc8839)>>32
	s_setpc_b64 s[14:15]
.LBB1_10510:
	s_or_b64 exec, exec, s[6:7]
	s_and_saveexec_b64 s[6:7], s[4:5]
	s_cbranch_execz .LBB1_10512
.LBB1_10511:
	v_bfe_u32 v14, v2, 8, 3
	v_ffbh_u32_e32 v16, v14
	v_min_u32_e32 v16, 32, v16
	v_lshrrev_b16_e32 v15, 3, v13
	v_subrev_u32_e32 v17, 28, v16
	v_and_b32_e32 v15, 15, v15
	v_lshlrev_b32_e32 v13, v17, v13
	v_sub_u32_e32 v16, 29, v16
	v_and_b32_e32 v13, 7, v13
	v_cmp_eq_u16_e32 vcc, 0, v15
	v_cndmask_b32_e32 v13, v14, v13, vcc
	v_cndmask_b32_e32 v14, v15, v16, vcc
	v_lshlrev_b32_e32 v15, 16, v2
	v_mov_b32_e32 v16, 0x3b800000
	v_lshlrev_b32_e32 v13, 20, v13
	v_and_b32_e32 v15, 0x80000000, v15
	v_lshl_add_u32 v14, v14, 23, v16
	v_or3_b32 v14, v15, v14, v13
.LBB1_10512:
	s_or_b64 exec, exec, s[6:7]
	s_nop 0
	v_mfma_f32_16x16x4f32 a[0:3], v12, v14, a[0:3]
	s_movk_i32 s4, 0xff
	v_and_b32_sdwa v13, v6, s4 dst_sel:DWORD dst_unused:UNUSED_PAD src0_sel:WORD_1 src1_sel:DWORD
	s_movk_i32 s4, 0x7f
	v_cmp_lt_i16_e32 vcc, s4, v13
	s_mov_b64 s[4:5], 0
                                        ; implicit-def: $sgpr10
	s_and_saveexec_b64 s[6:7], vcc
	s_xor_b64 s[6:7], exec, s[6:7]
	s_cbranch_execz .LBB1_10513
; %bb.46353:
	s_getpc_b64 s[14:15]
.Lpost_getpc8840:
	s_add_u32 s14, s14, (.LBB1_24849-.Lpost_getpc8840)&4294967295
	s_addc_u32 s15, s15, (.LBB1_24849-.Lpost_getpc8840)>>32
	s_setpc_b64 s[14:15]
.LBB1_10513:
	s_or_saveexec_b64 s[6:7], s[6:7]
	v_mov_b32_e32 v12, s10
	s_xor_b64 exec, exec, s[6:7]
	s_cbranch_execz .LBB1_10514
; %bb.46355:
	s_getpc_b64 s[14:15]
.Lpost_getpc8841:
	s_add_u32 s14, s14, (.LBB1_24852-.Lpost_getpc8841)&4294967295
	s_addc_u32 s15, s15, (.LBB1_24852-.Lpost_getpc8841)>>32
	s_setpc_b64 s[14:15]
.LBB1_10514:
	s_or_b64 exec, exec, s[6:7]
	s_and_saveexec_b64 s[6:7], s[4:5]
	s_cbranch_execz .LBB1_10516
.LBB1_10515:
	v_bfe_u32 v12, v6, 16, 3
	v_ffbh_u32_e32 v15, v12
	v_min_u32_e32 v15, 32, v15
	v_lshrrev_b32_e32 v13, 19, v6
	v_subrev_u32_e32 v16, 28, v15
	v_and_b32_e32 v13, 15, v13
	v_lshlrev_b32_sdwa v16, v16, v6 dst_sel:DWORD dst_unused:UNUSED_PAD src0_sel:DWORD src1_sel:WORD_1
	v_bfe_u32 v14, v6, 19, 4
	v_sub_u32_e32 v15, 29, v15
	v_and_b32_e32 v16, 7, v16
	v_cmp_eq_u16_e32 vcc, 0, v13
	v_cndmask_b32_e32 v12, v12, v16, vcc
	v_cndmask_b32_e32 v13, v14, v15, vcc
	v_lshlrev_b32_e32 v14, 8, v6
	v_mov_b32_e32 v15, 0x3b800000
	v_lshlrev_b32_e32 v12, 20, v12
	v_and_b32_e32 v14, 0x80000000, v14
	v_lshl_add_u32 v13, v13, 23, v15
	v_or3_b32 v12, v14, v13, v12
.LBB1_10516:
	s_or_b64 exec, exec, s[6:7]
	s_movk_i32 s4, 0xff
	v_and_b32_sdwa v13, v2, s4 dst_sel:DWORD dst_unused:UNUSED_PAD src0_sel:WORD_1 src1_sel:DWORD
	s_movk_i32 s4, 0x7f
	v_cmp_lt_i16_e32 vcc, s4, v13
	s_mov_b64 s[4:5], 0
                                        ; implicit-def: $sgpr10
	s_and_saveexec_b64 s[6:7], vcc
	s_xor_b64 s[6:7], exec, s[6:7]
	s_cbranch_execz .LBB1_10517
; %bb.46357:
	s_getpc_b64 s[14:15]
.Lpost_getpc8842:
	s_add_u32 s14, s14, (.LBB1_24853-.Lpost_getpc8842)&4294967295
	s_addc_u32 s15, s15, (.LBB1_24853-.Lpost_getpc8842)>>32
	s_setpc_b64 s[14:15]
.LBB1_10517:
	s_or_saveexec_b64 s[6:7], s[6:7]
	v_mov_b32_e32 v14, s10
	s_xor_b64 exec, exec, s[6:7]
	s_cbranch_execz .LBB1_10518
; %bb.46359:
	s_getpc_b64 s[14:15]
.Lpost_getpc8843:
	s_add_u32 s14, s14, (.LBB1_24856-.Lpost_getpc8843)&4294967295
	s_addc_u32 s15, s15, (.LBB1_24856-.Lpost_getpc8843)>>32
	s_setpc_b64 s[14:15]
.LBB1_10518:
	s_or_b64 exec, exec, s[6:7]
	s_and_saveexec_b64 s[6:7], s[4:5]
	s_cbranch_execz .LBB1_10520
.LBB1_10519:
	v_bfe_u32 v13, v2, 16, 3
	v_ffbh_u32_e32 v16, v13
	v_min_u32_e32 v16, 32, v16
	v_lshrrev_b32_e32 v14, 19, v2
	v_subrev_u32_e32 v17, 28, v16
	v_and_b32_e32 v14, 15, v14
	v_lshlrev_b32_sdwa v17, v17, v2 dst_sel:DWORD dst_unused:UNUSED_PAD src0_sel:DWORD src1_sel:WORD_1
	v_bfe_u32 v15, v2, 19, 4
	v_sub_u32_e32 v16, 29, v16
	v_and_b32_e32 v17, 7, v17
	v_cmp_eq_u16_e32 vcc, 0, v14
	v_cndmask_b32_e32 v13, v13, v17, vcc
	v_cndmask_b32_e32 v14, v15, v16, vcc
	v_lshlrev_b32_e32 v15, 8, v2
	v_mov_b32_e32 v16, 0x3b800000
	v_lshlrev_b32_e32 v13, 20, v13
	v_and_b32_e32 v15, 0x80000000, v15
	v_lshl_add_u32 v14, v14, 23, v16
	v_or3_b32 v14, v15, v14, v13
.LBB1_10520:
	s_or_b64 exec, exec, s[6:7]
	s_nop 0
	v_mfma_f32_16x16x4f32 a[0:3], v12, v14, a[0:3]
	s_movk_i32 s4, 0x7f
	v_cmp_gt_i16_sdwa s[6:7], v6, s4 src0_sel:BYTE_3 src1_sel:DWORD
	s_mov_b64 s[4:5], 0
                                        ; implicit-def: $sgpr10
	s_and_saveexec_b64 s[8:9], s[6:7]
	s_xor_b64 s[6:7], exec, s[8:9]
	s_cbranch_execz .LBB1_10521
; %bb.46361:
	s_getpc_b64 s[14:15]
.Lpost_getpc8844:
	s_add_u32 s14, s14, (.LBB1_24857-.Lpost_getpc8844)&4294967295
	s_addc_u32 s15, s15, (.LBB1_24857-.Lpost_getpc8844)>>32
	s_setpc_b64 s[14:15]
.LBB1_10521:
	s_or_saveexec_b64 s[6:7], s[6:7]
	v_mov_b32_e32 v12, s10
	s_xor_b64 exec, exec, s[6:7]
	s_cbranch_execz .LBB1_10522
; %bb.46363:
	s_getpc_b64 s[14:15]
.Lpost_getpc8845:
	s_add_u32 s14, s14, (.LBB1_24860-.Lpost_getpc8845)&4294967295
	s_addc_u32 s15, s15, (.LBB1_24860-.Lpost_getpc8845)>>32
	s_setpc_b64 s[14:15]
.LBB1_10522:
	s_or_b64 exec, exec, s[6:7]
	s_and_saveexec_b64 s[6:7], s[4:5]
	s_cbranch_execz .LBB1_10524
.LBB1_10523:
	v_bfe_u32 v12, v6, 24, 3
	v_ffbh_u32_e32 v16, v12
	v_min_u32_e32 v16, 32, v16
	v_lshrrev_b32_e32 v14, 27, v6
	v_subrev_u32_e32 v17, 28, v16
	v_and_b32_e32 v13, 0x80000000, v6
	v_and_b32_e32 v14, 15, v14
	v_bfe_u32 v15, v6, 27, 4
	v_lshlrev_b32_sdwa v6, v17, v6 dst_sel:DWORD dst_unused:UNUSED_PAD src0_sel:DWORD src1_sel:BYTE_3
	v_sub_u32_e32 v16, 29, v16
	v_and_b32_e32 v6, 7, v6
	v_cmp_eq_u16_e32 vcc, 0, v14
	v_cndmask_b32_e32 v6, v12, v6, vcc
	v_cndmask_b32_e32 v12, v15, v16, vcc
	v_mov_b32_e32 v14, 0x3b800000
	v_lshlrev_b32_e32 v6, 20, v6
	v_lshl_add_u32 v12, v12, 23, v14
	v_or3_b32 v12, v13, v12, v6
.LBB1_10524:
	s_or_b64 exec, exec, s[6:7]
	s_movk_i32 s4, 0x7f
	v_cmp_gt_i16_sdwa s[6:7], v2, s4 src0_sel:BYTE_3 src1_sel:DWORD
	s_mov_b64 s[4:5], 0
                                        ; implicit-def: $sgpr10
	s_and_saveexec_b64 s[8:9], s[6:7]
	s_xor_b64 s[6:7], exec, s[8:9]
	s_cbranch_execz .LBB1_10525
; %bb.46365:
	s_getpc_b64 s[14:15]
.Lpost_getpc8846:
	s_add_u32 s14, s14, (.LBB1_24861-.Lpost_getpc8846)&4294967295
	s_addc_u32 s15, s15, (.LBB1_24861-.Lpost_getpc8846)>>32
	s_setpc_b64 s[14:15]
.LBB1_10525:
	s_or_saveexec_b64 s[6:7], s[6:7]
	v_mov_b32_e32 v6, s10
	s_xor_b64 exec, exec, s[6:7]
	s_cbranch_execz .LBB1_10526
; %bb.46367:
	s_getpc_b64 s[14:15]
.Lpost_getpc8847:
	s_add_u32 s14, s14, (.LBB1_24864-.Lpost_getpc8847)&4294967295
	s_addc_u32 s15, s15, (.LBB1_24864-.Lpost_getpc8847)>>32
	s_setpc_b64 s[14:15]
.LBB1_10526:
	s_or_b64 exec, exec, s[6:7]
	s_and_saveexec_b64 s[6:7], s[4:5]
	s_cbranch_execz .LBB1_10528
.LBB1_10527:
	v_bfe_u32 v6, v2, 24, 3
	v_ffbh_u32_e32 v16, v6
	v_min_u32_e32 v16, 32, v16
	v_lshrrev_b32_e32 v14, 27, v2
	v_subrev_u32_e32 v17, 28, v16
	v_and_b32_e32 v13, 0x80000000, v2
	v_and_b32_e32 v14, 15, v14
	v_bfe_u32 v15, v2, 27, 4
	v_lshlrev_b32_sdwa v2, v17, v2 dst_sel:DWORD dst_unused:UNUSED_PAD src0_sel:DWORD src1_sel:BYTE_3
	v_sub_u32_e32 v16, 29, v16
	v_and_b32_e32 v2, 7, v2
	v_cmp_eq_u16_e32 vcc, 0, v14
	v_cndmask_b32_e32 v2, v6, v2, vcc
	v_cndmask_b32_e32 v6, v15, v16, vcc
	v_mov_b32_e32 v14, 0x3b800000
	v_lshlrev_b32_e32 v2, 20, v2
	v_lshl_add_u32 v6, v6, 23, v14
	v_or3_b32 v6, v13, v6, v2
.LBB1_10528:
	s_or_b64 exec, exec, s[6:7]
	s_nop 0
	v_mfma_f32_16x16x4f32 a[0:3], v12, v6, a[0:3]
	s_movk_i32 s4, 0x7f
	v_cmp_gt_i16_sdwa s[6:7], v7, s4 src0_sel:BYTE_0 src1_sel:DWORD
	s_mov_b64 s[4:5], 0
                                        ; implicit-def: $sgpr10
	s_and_saveexec_b64 s[8:9], s[6:7]
	s_xor_b64 s[6:7], exec, s[8:9]
	s_cbranch_execz .LBB1_10529
; %bb.46369:
	s_getpc_b64 s[14:15]
.Lpost_getpc8848:
	s_add_u32 s14, s14, (.LBB1_24865-.Lpost_getpc8848)&4294967295
	s_addc_u32 s15, s15, (.LBB1_24865-.Lpost_getpc8848)>>32
	s_setpc_b64 s[14:15]
.LBB1_10529:
	s_or_saveexec_b64 s[6:7], s[6:7]
	v_mov_b32_e32 v2, s10
	s_xor_b64 exec, exec, s[6:7]
	s_cbranch_execz .LBB1_10530
; %bb.46371:
	s_getpc_b64 s[14:15]
.Lpost_getpc8849:
	s_add_u32 s14, s14, (.LBB1_24868-.Lpost_getpc8849)&4294967295
	s_addc_u32 s15, s15, (.LBB1_24868-.Lpost_getpc8849)>>32
	s_setpc_b64 s[14:15]
.LBB1_10530:
	s_or_b64 exec, exec, s[6:7]
	s_and_saveexec_b64 s[6:7], s[4:5]
	s_cbranch_execz .LBB1_10532
.LBB1_10531:
	v_and_b32_e32 v2, 7, v7
	v_ffbh_u32_e32 v12, v2
	v_min_u32_e32 v12, 32, v12
	v_lshrrev_b16_e32 v6, 3, v7
	v_subrev_u32_e32 v13, 28, v12
	v_and_b32_e32 v6, 15, v6
	v_lshlrev_b32_e32 v13, v13, v7
	v_sub_u32_e32 v12, 29, v12
	v_and_b32_e32 v13, 7, v13
	v_cmp_eq_u16_e32 vcc, 0, v6
	v_cndmask_b32_e32 v2, v2, v13, vcc
	v_cndmask_b32_e32 v6, v6, v12, vcc
	v_lshlrev_b32_e32 v12, 24, v7
	v_mov_b32_e32 v13, 0x3b800000
	v_lshlrev_b32_e32 v2, 20, v2
	v_and_b32_e32 v12, 0x80000000, v12
	v_lshl_add_u32 v6, v6, 23, v13
	v_or3_b32 v2, v12, v6, v2
.LBB1_10532:
	s_or_b64 exec, exec, s[6:7]
	s_movk_i32 s4, 0x7f
	v_cmp_gt_i16_sdwa s[6:7], v3, s4 src0_sel:BYTE_0 src1_sel:DWORD
	s_mov_b64 s[4:5], 0
                                        ; implicit-def: $sgpr10
	s_and_saveexec_b64 s[8:9], s[6:7]
	s_xor_b64 s[6:7], exec, s[8:9]
	s_cbranch_execz .LBB1_10533
; %bb.46373:
	s_getpc_b64 s[14:15]
.Lpost_getpc8850:
	s_add_u32 s14, s14, (.LBB1_24869-.Lpost_getpc8850)&4294967295
	s_addc_u32 s15, s15, (.LBB1_24869-.Lpost_getpc8850)>>32
	s_setpc_b64 s[14:15]
.LBB1_10533:
	s_or_saveexec_b64 s[6:7], s[6:7]
	v_mov_b32_e32 v6, s10
	s_xor_b64 exec, exec, s[6:7]
	s_cbranch_execz .LBB1_10534
; %bb.46375:
	s_getpc_b64 s[14:15]
.Lpost_getpc8851:
	s_add_u32 s14, s14, (.LBB1_24872-.Lpost_getpc8851)&4294967295
	s_addc_u32 s15, s15, (.LBB1_24872-.Lpost_getpc8851)>>32
	s_setpc_b64 s[14:15]
.LBB1_10534:
	s_or_b64 exec, exec, s[6:7]
	s_and_saveexec_b64 s[6:7], s[4:5]
	s_cbranch_execz .LBB1_10536
.LBB1_10535:
	v_and_b32_e32 v6, 7, v3
	v_ffbh_u32_e32 v13, v6
	v_min_u32_e32 v13, 32, v13
	v_lshrrev_b16_e32 v12, 3, v3
	v_subrev_u32_e32 v14, 28, v13
	v_and_b32_e32 v12, 15, v12
	v_lshlrev_b32_e32 v14, v14, v3
	v_sub_u32_e32 v13, 29, v13
	v_and_b32_e32 v14, 7, v14
	v_cmp_eq_u16_e32 vcc, 0, v12
	v_cndmask_b32_e32 v6, v6, v14, vcc
	v_cndmask_b32_e32 v12, v12, v13, vcc
	v_lshlrev_b32_e32 v13, 24, v3
	v_mov_b32_e32 v14, 0x3b800000
	v_lshlrev_b32_e32 v6, 20, v6
	v_and_b32_e32 v13, 0x80000000, v13
	v_lshl_add_u32 v12, v12, 23, v14
	v_or3_b32 v6, v13, v12, v6
.LBB1_10536:
	s_or_b64 exec, exec, s[6:7]
	s_nop 0
	v_mfma_f32_16x16x4f32 a[0:3], v2, v6, a[0:3]
	v_lshrrev_b32_e32 v6, 8, v7
	s_movk_i32 s4, 0x7f
	v_cmp_gt_i16_sdwa s[6:7], v6, s4 src0_sel:BYTE_0 src1_sel:DWORD
	s_mov_b64 s[4:5], 0
                                        ; implicit-def: $sgpr10
	s_and_saveexec_b64 s[8:9], s[6:7]
	s_xor_b64 s[6:7], exec, s[8:9]
	s_cbranch_execz .LBB1_10537
; %bb.46377:
	s_getpc_b64 s[14:15]
.Lpost_getpc8852:
	s_add_u32 s14, s14, (.LBB1_24873-.Lpost_getpc8852)&4294967295
	s_addc_u32 s15, s15, (.LBB1_24873-.Lpost_getpc8852)>>32
	s_setpc_b64 s[14:15]
.LBB1_10537:
	s_or_saveexec_b64 s[6:7], s[6:7]
	v_mov_b32_e32 v2, s10
	s_xor_b64 exec, exec, s[6:7]
	s_cbranch_execz .LBB1_10538
; %bb.46379:
	s_getpc_b64 s[14:15]
.Lpost_getpc8853:
	s_add_u32 s14, s14, (.LBB1_24876-.Lpost_getpc8853)&4294967295
	s_addc_u32 s15, s15, (.LBB1_24876-.Lpost_getpc8853)>>32
	s_setpc_b64 s[14:15]
.LBB1_10538:
	s_or_b64 exec, exec, s[6:7]
	s_and_saveexec_b64 s[6:7], s[4:5]
	s_cbranch_execz .LBB1_10540
.LBB1_10539:
	v_bfe_u32 v2, v7, 8, 3
	v_ffbh_u32_e32 v13, v2
	v_min_u32_e32 v13, 32, v13
	v_lshrrev_b16_e32 v12, 3, v6
	v_subrev_u32_e32 v14, 28, v13
	v_and_b32_e32 v12, 15, v12
	v_lshlrev_b32_e32 v6, v14, v6
	v_sub_u32_e32 v13, 29, v13
	v_and_b32_e32 v6, 7, v6
	v_cmp_eq_u16_e32 vcc, 0, v12
	v_cndmask_b32_e32 v2, v2, v6, vcc
	v_cndmask_b32_e32 v6, v12, v13, vcc
	v_lshlrev_b32_e32 v12, 16, v7
	v_mov_b32_e32 v13, 0x3b800000
	v_lshlrev_b32_e32 v2, 20, v2
	v_and_b32_e32 v12, 0x80000000, v12
	v_lshl_add_u32 v6, v6, 23, v13
	v_or3_b32 v2, v12, v6, v2
.LBB1_10540:
	s_or_b64 exec, exec, s[6:7]
	v_lshrrev_b32_e32 v6, 8, v3
	s_movk_i32 s4, 0x7f
	v_cmp_gt_i16_sdwa s[6:7], v6, s4 src0_sel:BYTE_0 src1_sel:DWORD
	s_mov_b64 s[4:5], 0
                                        ; implicit-def: $sgpr10
	s_and_saveexec_b64 s[8:9], s[6:7]
	s_xor_b64 s[6:7], exec, s[8:9]
	s_cbranch_execz .LBB1_10541
; %bb.46381:
	s_getpc_b64 s[14:15]
.Lpost_getpc8854:
	s_add_u32 s14, s14, (.LBB1_24877-.Lpost_getpc8854)&4294967295
	s_addc_u32 s15, s15, (.LBB1_24877-.Lpost_getpc8854)>>32
	s_setpc_b64 s[14:15]
.LBB1_10541:
	s_or_saveexec_b64 s[6:7], s[6:7]
	v_mov_b32_e32 v12, s10
	s_xor_b64 exec, exec, s[6:7]
	s_cbranch_execz .LBB1_10542
; %bb.46383:
	s_getpc_b64 s[14:15]
.Lpost_getpc8855:
	s_add_u32 s14, s14, (.LBB1_24880-.Lpost_getpc8855)&4294967295
	s_addc_u32 s15, s15, (.LBB1_24880-.Lpost_getpc8855)>>32
	s_setpc_b64 s[14:15]
.LBB1_10542:
	s_or_b64 exec, exec, s[6:7]
	s_and_saveexec_b64 s[6:7], s[4:5]
	s_cbranch_execz .LBB1_10544
.LBB1_10543:
	v_bfe_u32 v12, v3, 8, 3
	v_ffbh_u32_e32 v14, v12
	v_min_u32_e32 v14, 32, v14
	v_lshrrev_b16_e32 v13, 3, v6
	v_subrev_u32_e32 v15, 28, v14
	v_and_b32_e32 v13, 15, v13
	v_lshlrev_b32_e32 v6, v15, v6
	v_sub_u32_e32 v14, 29, v14
	v_and_b32_e32 v6, 7, v6
	v_cmp_eq_u16_e32 vcc, 0, v13
	v_cndmask_b32_e32 v6, v12, v6, vcc
	v_cndmask_b32_e32 v12, v13, v14, vcc
	v_lshlrev_b32_e32 v13, 16, v3
	v_mov_b32_e32 v14, 0x3b800000
	v_lshlrev_b32_e32 v6, 20, v6
	v_and_b32_e32 v13, 0x80000000, v13
	v_lshl_add_u32 v12, v12, 23, v14
	v_or3_b32 v12, v13, v12, v6
.LBB1_10544:
	s_or_b64 exec, exec, s[6:7]
	s_nop 0
	v_mfma_f32_16x16x4f32 a[0:3], v2, v12, a[0:3]
	s_movk_i32 s4, 0xff
	v_and_b32_sdwa v6, v7, s4 dst_sel:DWORD dst_unused:UNUSED_PAD src0_sel:WORD_1 src1_sel:DWORD
	s_movk_i32 s4, 0x7f
	v_cmp_lt_i16_e32 vcc, s4, v6
	s_mov_b64 s[4:5], 0
                                        ; implicit-def: $sgpr10
	s_and_saveexec_b64 s[6:7], vcc
	s_xor_b64 s[6:7], exec, s[6:7]
	s_cbranch_execz .LBB1_10545
; %bb.46385:
	s_getpc_b64 s[14:15]
.Lpost_getpc8856:
	s_add_u32 s14, s14, (.LBB1_24881-.Lpost_getpc8856)&4294967295
	s_addc_u32 s15, s15, (.LBB1_24881-.Lpost_getpc8856)>>32
	s_setpc_b64 s[14:15]
.LBB1_10545:
	s_or_saveexec_b64 s[6:7], s[6:7]
	v_mov_b32_e32 v2, s10
	s_xor_b64 exec, exec, s[6:7]
	s_cbranch_execz .LBB1_10546
; %bb.46387:
	s_getpc_b64 s[14:15]
.Lpost_getpc8857:
	s_add_u32 s14, s14, (.LBB1_24884-.Lpost_getpc8857)&4294967295
	s_addc_u32 s15, s15, (.LBB1_24884-.Lpost_getpc8857)>>32
	s_setpc_b64 s[14:15]
.LBB1_10546:
	s_or_b64 exec, exec, s[6:7]
	s_and_saveexec_b64 s[6:7], s[4:5]
	s_cbranch_execz .LBB1_10548
.LBB1_10547:
	v_bfe_u32 v2, v7, 16, 3
	v_ffbh_u32_e32 v13, v2
	v_min_u32_e32 v13, 32, v13
	v_lshrrev_b32_e32 v6, 19, v7
	v_subrev_u32_e32 v14, 28, v13
	v_and_b32_e32 v6, 15, v6
	v_lshlrev_b32_sdwa v14, v14, v7 dst_sel:DWORD dst_unused:UNUSED_PAD src0_sel:DWORD src1_sel:WORD_1
	v_bfe_u32 v12, v7, 19, 4
	v_sub_u32_e32 v13, 29, v13
	v_and_b32_e32 v14, 7, v14
	v_cmp_eq_u16_e32 vcc, 0, v6
	v_cndmask_b32_e32 v2, v2, v14, vcc
	v_cndmask_b32_e32 v6, v12, v13, vcc
	v_lshlrev_b32_e32 v12, 8, v7
	v_mov_b32_e32 v13, 0x3b800000
	v_lshlrev_b32_e32 v2, 20, v2
	v_and_b32_e32 v12, 0x80000000, v12
	v_lshl_add_u32 v6, v6, 23, v13
	v_or3_b32 v2, v12, v6, v2
.LBB1_10548:
	s_or_b64 exec, exec, s[6:7]
	s_movk_i32 s4, 0xff
	v_and_b32_sdwa v6, v3, s4 dst_sel:DWORD dst_unused:UNUSED_PAD src0_sel:WORD_1 src1_sel:DWORD
	s_movk_i32 s4, 0x7f
	v_cmp_lt_i16_e32 vcc, s4, v6
	s_mov_b64 s[4:5], 0
                                        ; implicit-def: $sgpr10
	s_and_saveexec_b64 s[6:7], vcc
	s_xor_b64 s[6:7], exec, s[6:7]
	s_cbranch_execz .LBB1_10549
; %bb.46389:
	s_getpc_b64 s[14:15]
.Lpost_getpc8858:
	s_add_u32 s14, s14, (.LBB1_24885-.Lpost_getpc8858)&4294967295
	s_addc_u32 s15, s15, (.LBB1_24885-.Lpost_getpc8858)>>32
	s_setpc_b64 s[14:15]
.LBB1_10549:
	s_or_saveexec_b64 s[6:7], s[6:7]
	v_mov_b32_e32 v12, s10
	s_xor_b64 exec, exec, s[6:7]
	s_cbranch_execz .LBB1_10550
; %bb.46391:
	s_getpc_b64 s[14:15]
.Lpost_getpc8859:
	s_add_u32 s14, s14, (.LBB1_24888-.Lpost_getpc8859)&4294967295
	s_addc_u32 s15, s15, (.LBB1_24888-.Lpost_getpc8859)>>32
	s_setpc_b64 s[14:15]
.LBB1_10550:
	s_or_b64 exec, exec, s[6:7]
	s_and_saveexec_b64 s[6:7], s[4:5]
	s_cbranch_execz .LBB1_10552
.LBB1_10551:
	v_bfe_u32 v6, v3, 16, 3
	v_ffbh_u32_e32 v14, v6
	v_min_u32_e32 v14, 32, v14
	v_lshrrev_b32_e32 v12, 19, v3
	v_subrev_u32_e32 v15, 28, v14
	v_and_b32_e32 v12, 15, v12
	v_lshlrev_b32_sdwa v15, v15, v3 dst_sel:DWORD dst_unused:UNUSED_PAD src0_sel:DWORD src1_sel:WORD_1
	v_bfe_u32 v13, v3, 19, 4
	v_sub_u32_e32 v14, 29, v14
	v_and_b32_e32 v15, 7, v15
	v_cmp_eq_u16_e32 vcc, 0, v12
	v_cndmask_b32_e32 v6, v6, v15, vcc
	v_cndmask_b32_e32 v12, v13, v14, vcc
	v_lshlrev_b32_e32 v13, 8, v3
	v_mov_b32_e32 v14, 0x3b800000
	v_lshlrev_b32_e32 v6, 20, v6
	v_and_b32_e32 v13, 0x80000000, v13
	v_lshl_add_u32 v12, v12, 23, v14
	v_or3_b32 v12, v13, v12, v6
.LBB1_10552:
	s_or_b64 exec, exec, s[6:7]
	s_nop 0
	v_mfma_f32_16x16x4f32 a[0:3], v2, v12, a[0:3]
	s_movk_i32 s4, 0x7f
	v_cmp_gt_i16_sdwa s[6:7], v7, s4 src0_sel:BYTE_3 src1_sel:DWORD
	s_mov_b64 s[4:5], 0
                                        ; implicit-def: $sgpr10
	s_and_saveexec_b64 s[8:9], s[6:7]
	s_xor_b64 s[6:7], exec, s[8:9]
	s_cbranch_execz .LBB1_10553
; %bb.46393:
	s_getpc_b64 s[14:15]
.Lpost_getpc8860:
	s_add_u32 s14, s14, (.LBB1_24889-.Lpost_getpc8860)&4294967295
	s_addc_u32 s15, s15, (.LBB1_24889-.Lpost_getpc8860)>>32
	s_setpc_b64 s[14:15]
.LBB1_10553:
	s_or_saveexec_b64 s[6:7], s[6:7]
	v_mov_b32_e32 v2, s10
	s_xor_b64 exec, exec, s[6:7]
	s_cbranch_execz .LBB1_10554
; %bb.46395:
	s_getpc_b64 s[14:15]
.Lpost_getpc8861:
	s_add_u32 s14, s14, (.LBB1_24892-.Lpost_getpc8861)&4294967295
	s_addc_u32 s15, s15, (.LBB1_24892-.Lpost_getpc8861)>>32
	s_setpc_b64 s[14:15]
.LBB1_10554:
	s_or_b64 exec, exec, s[6:7]
	s_and_saveexec_b64 s[6:7], s[4:5]
	s_cbranch_execz .LBB1_10556
.LBB1_10555:
	v_bfe_u32 v2, v7, 24, 3
	v_ffbh_u32_e32 v14, v2
	v_min_u32_e32 v14, 32, v14
	v_lshrrev_b32_e32 v12, 27, v7
	v_subrev_u32_e32 v15, 28, v14
	v_and_b32_e32 v6, 0x80000000, v7
	v_and_b32_e32 v12, 15, v12
	v_bfe_u32 v13, v7, 27, 4
	v_lshlrev_b32_sdwa v7, v15, v7 dst_sel:DWORD dst_unused:UNUSED_PAD src0_sel:DWORD src1_sel:BYTE_3
	v_sub_u32_e32 v14, 29, v14
	v_and_b32_e32 v7, 7, v7
	v_cmp_eq_u16_e32 vcc, 0, v12
	v_cndmask_b32_e32 v2, v2, v7, vcc
	v_cndmask_b32_e32 v7, v13, v14, vcc
	v_mov_b32_e32 v12, 0x3b800000
	v_lshlrev_b32_e32 v2, 20, v2
	v_lshl_add_u32 v7, v7, 23, v12
	v_or3_b32 v2, v6, v7, v2
.LBB1_10556:
	s_or_b64 exec, exec, s[6:7]
	s_movk_i32 s4, 0x7f
	v_cmp_gt_i16_sdwa s[6:7], v3, s4 src0_sel:BYTE_3 src1_sel:DWORD
	s_mov_b64 s[4:5], 0
                                        ; implicit-def: $sgpr10
	s_and_saveexec_b64 s[8:9], s[6:7]
	s_xor_b64 s[6:7], exec, s[8:9]
	s_cbranch_execz .LBB1_10557
; %bb.46397:
	s_getpc_b64 s[14:15]
.Lpost_getpc8862:
	s_add_u32 s14, s14, (.LBB1_24893-.Lpost_getpc8862)&4294967295
	s_addc_u32 s15, s15, (.LBB1_24893-.Lpost_getpc8862)>>32
	s_setpc_b64 s[14:15]
.LBB1_10557:
	s_or_saveexec_b64 s[6:7], s[6:7]
	v_mov_b32_e32 v6, s10
	s_xor_b64 exec, exec, s[6:7]
	s_cbranch_execz .LBB1_10558
; %bb.46399:
	s_getpc_b64 s[14:15]
.Lpost_getpc8863:
	s_add_u32 s14, s14, (.LBB1_24896-.Lpost_getpc8863)&4294967295
	s_addc_u32 s15, s15, (.LBB1_24896-.Lpost_getpc8863)>>32
	s_setpc_b64 s[14:15]
.LBB1_10558:
	s_or_b64 exec, exec, s[6:7]
	s_and_saveexec_b64 s[6:7], s[4:5]
	s_cbranch_execz .LBB1_10560
.LBB1_10559:
	v_bfe_u32 v6, v3, 24, 3
	v_ffbh_u32_e32 v14, v6
	v_min_u32_e32 v14, 32, v14
	v_lshrrev_b32_e32 v12, 27, v3
	v_subrev_u32_e32 v15, 28, v14
	v_and_b32_e32 v7, 0x80000000, v3
	v_and_b32_e32 v12, 15, v12
	v_bfe_u32 v13, v3, 27, 4
	v_lshlrev_b32_sdwa v3, v15, v3 dst_sel:DWORD dst_unused:UNUSED_PAD src0_sel:DWORD src1_sel:BYTE_3
	v_sub_u32_e32 v14, 29, v14
	v_and_b32_e32 v3, 7, v3
	v_cmp_eq_u16_e32 vcc, 0, v12
	v_cndmask_b32_e32 v3, v6, v3, vcc
	v_cndmask_b32_e32 v6, v13, v14, vcc
	v_mov_b32_e32 v12, 0x3b800000
	v_lshlrev_b32_e32 v3, 20, v3
	v_lshl_add_u32 v6, v6, 23, v12
	v_or3_b32 v6, v7, v6, v3
.LBB1_10560:
	s_or_b64 exec, exec, s[6:7]
	s_nop 0
	v_mfma_f32_16x16x4f32 a[0:3], v2, v6, a[0:3]
	s_movk_i32 s4, 0x7f
	v_cmp_gt_i16_sdwa s[6:7], v8, s4 src0_sel:BYTE_0 src1_sel:DWORD
	s_mov_b64 s[4:5], 0
                                        ; implicit-def: $sgpr10
	s_and_saveexec_b64 s[8:9], s[6:7]
	s_xor_b64 s[6:7], exec, s[8:9]
	s_cbranch_execz .LBB1_10561
; %bb.46401:
	s_getpc_b64 s[14:15]
.Lpost_getpc8864:
	s_add_u32 s14, s14, (.LBB1_24897-.Lpost_getpc8864)&4294967295
	s_addc_u32 s15, s15, (.LBB1_24897-.Lpost_getpc8864)>>32
	s_setpc_b64 s[14:15]
.LBB1_10561:
	s_or_saveexec_b64 s[6:7], s[6:7]
	v_mov_b32_e32 v2, s10
	s_xor_b64 exec, exec, s[6:7]
	s_cbranch_execz .LBB1_10562
; %bb.46403:
	s_getpc_b64 s[14:15]
.Lpost_getpc8865:
	s_add_u32 s14, s14, (.LBB1_24900-.Lpost_getpc8865)&4294967295
	s_addc_u32 s15, s15, (.LBB1_24900-.Lpost_getpc8865)>>32
	s_setpc_b64 s[14:15]
.LBB1_10562:
	s_or_b64 exec, exec, s[6:7]
	s_and_saveexec_b64 s[6:7], s[4:5]
	s_cbranch_execz .LBB1_10564
.LBB1_10563:
	v_and_b32_e32 v2, 7, v8
	v_ffbh_u32_e32 v6, v2
	v_min_u32_e32 v6, 32, v6
	v_lshrrev_b16_e32 v3, 3, v8
	v_subrev_u32_e32 v7, 28, v6
	v_and_b32_e32 v3, 15, v3
	v_lshlrev_b32_e32 v7, v7, v8
	v_sub_u32_e32 v6, 29, v6
	v_and_b32_e32 v7, 7, v7
	v_cmp_eq_u16_e32 vcc, 0, v3
	v_cndmask_b32_e32 v2, v2, v7, vcc
	v_cndmask_b32_e32 v3, v3, v6, vcc
	v_lshlrev_b32_e32 v6, 24, v8
	v_mov_b32_e32 v7, 0x3b800000
	v_lshlrev_b32_e32 v2, 20, v2
	v_and_b32_e32 v6, 0x80000000, v6
	v_lshl_add_u32 v3, v3, 23, v7
	v_or3_b32 v2, v6, v3, v2
.LBB1_10564:
	s_or_b64 exec, exec, s[6:7]
	s_movk_i32 s4, 0x7f
	v_cmp_gt_i16_sdwa s[6:7], v4, s4 src0_sel:BYTE_0 src1_sel:DWORD
	s_mov_b64 s[4:5], 0
                                        ; implicit-def: $sgpr10
	s_and_saveexec_b64 s[8:9], s[6:7]
	s_xor_b64 s[6:7], exec, s[8:9]
	s_cbranch_execz .LBB1_10565
; %bb.46405:
	s_getpc_b64 s[14:15]
.Lpost_getpc8866:
	s_add_u32 s14, s14, (.LBB1_24901-.Lpost_getpc8866)&4294967295
	s_addc_u32 s15, s15, (.LBB1_24901-.Lpost_getpc8866)>>32
	s_setpc_b64 s[14:15]
.LBB1_10565:
	s_or_saveexec_b64 s[6:7], s[6:7]
	v_mov_b32_e32 v3, s10
	s_xor_b64 exec, exec, s[6:7]
	s_cbranch_execz .LBB1_10566
; %bb.46407:
	s_getpc_b64 s[14:15]
.Lpost_getpc8867:
	s_add_u32 s14, s14, (.LBB1_24904-.Lpost_getpc8867)&4294967295
	s_addc_u32 s15, s15, (.LBB1_24904-.Lpost_getpc8867)>>32
	s_setpc_b64 s[14:15]
.LBB1_10566:
	s_or_b64 exec, exec, s[6:7]
	s_and_saveexec_b64 s[6:7], s[4:5]
	s_cbranch_execz .LBB1_10568
.LBB1_10567:
	v_and_b32_e32 v3, 7, v4
	v_ffbh_u32_e32 v7, v3
	v_min_u32_e32 v7, 32, v7
	v_lshrrev_b16_e32 v6, 3, v4
	v_subrev_u32_e32 v12, 28, v7
	v_and_b32_e32 v6, 15, v6
	v_lshlrev_b32_e32 v12, v12, v4
	v_sub_u32_e32 v7, 29, v7
	v_and_b32_e32 v12, 7, v12
	v_cmp_eq_u16_e32 vcc, 0, v6
	v_cndmask_b32_e32 v3, v3, v12, vcc
	v_cndmask_b32_e32 v6, v6, v7, vcc
	v_lshlrev_b32_e32 v7, 24, v4
	v_mov_b32_e32 v12, 0x3b800000
	v_lshlrev_b32_e32 v3, 20, v3
	v_and_b32_e32 v7, 0x80000000, v7
	v_lshl_add_u32 v6, v6, 23, v12
	v_or3_b32 v3, v7, v6, v3
.LBB1_10568:
	s_or_b64 exec, exec, s[6:7]
	s_nop 0
	v_mfma_f32_16x16x4f32 a[0:3], v2, v3, a[0:3]
	v_lshrrev_b32_e32 v3, 8, v8
	s_movk_i32 s4, 0x7f
	v_cmp_gt_i16_sdwa s[6:7], v3, s4 src0_sel:BYTE_0 src1_sel:DWORD
	s_mov_b64 s[4:5], 0
                                        ; implicit-def: $sgpr10
	s_and_saveexec_b64 s[8:9], s[6:7]
	s_xor_b64 s[6:7], exec, s[8:9]
	s_cbranch_execz .LBB1_10569
; %bb.46409:
	s_getpc_b64 s[14:15]
.Lpost_getpc8868:
	s_add_u32 s14, s14, (.LBB1_24905-.Lpost_getpc8868)&4294967295
	s_addc_u32 s15, s15, (.LBB1_24905-.Lpost_getpc8868)>>32
	s_setpc_b64 s[14:15]
.LBB1_10569:
	s_or_saveexec_b64 s[6:7], s[6:7]
	v_mov_b32_e32 v2, s10
	s_xor_b64 exec, exec, s[6:7]
	s_cbranch_execz .LBB1_10570
; %bb.46411:
	s_getpc_b64 s[14:15]
.Lpost_getpc8869:
	s_add_u32 s14, s14, (.LBB1_24908-.Lpost_getpc8869)&4294967295
	s_addc_u32 s15, s15, (.LBB1_24908-.Lpost_getpc8869)>>32
	s_setpc_b64 s[14:15]
.LBB1_10570:
	s_or_b64 exec, exec, s[6:7]
	s_and_saveexec_b64 s[6:7], s[4:5]
	s_cbranch_execz .LBB1_10572
.LBB1_10571:
	v_bfe_u32 v2, v8, 8, 3
	v_ffbh_u32_e32 v7, v2
	v_min_u32_e32 v7, 32, v7
	v_lshrrev_b16_e32 v6, 3, v3
	v_subrev_u32_e32 v12, 28, v7
	v_and_b32_e32 v6, 15, v6
	v_lshlrev_b32_e32 v3, v12, v3
	v_sub_u32_e32 v7, 29, v7
	v_and_b32_e32 v3, 7, v3
	v_cmp_eq_u16_e32 vcc, 0, v6
	v_cndmask_b32_e32 v2, v2, v3, vcc
	v_cndmask_b32_e32 v3, v6, v7, vcc
	v_lshlrev_b32_e32 v6, 16, v8
	v_mov_b32_e32 v7, 0x3b800000
	v_lshlrev_b32_e32 v2, 20, v2
	v_and_b32_e32 v6, 0x80000000, v6
	v_lshl_add_u32 v3, v3, 23, v7
	v_or3_b32 v2, v6, v3, v2
.LBB1_10572:
	s_or_b64 exec, exec, s[6:7]
	v_lshrrev_b32_e32 v3, 8, v4
	s_movk_i32 s4, 0x7f
	v_cmp_gt_i16_sdwa s[6:7], v3, s4 src0_sel:BYTE_0 src1_sel:DWORD
	s_mov_b64 s[4:5], 0
                                        ; implicit-def: $sgpr10
	s_and_saveexec_b64 s[8:9], s[6:7]
	s_xor_b64 s[6:7], exec, s[8:9]
	s_cbranch_execz .LBB1_10573
; %bb.46413:
	s_getpc_b64 s[14:15]
.Lpost_getpc8870:
	s_add_u32 s14, s14, (.LBB1_24909-.Lpost_getpc8870)&4294967295
	s_addc_u32 s15, s15, (.LBB1_24909-.Lpost_getpc8870)>>32
	s_setpc_b64 s[14:15]
.LBB1_10573:
	s_or_saveexec_b64 s[6:7], s[6:7]
	v_mov_b32_e32 v6, s10
	s_xor_b64 exec, exec, s[6:7]
	s_cbranch_execz .LBB1_10574
; %bb.46415:
	s_getpc_b64 s[14:15]
.Lpost_getpc8871:
	s_add_u32 s14, s14, (.LBB1_24912-.Lpost_getpc8871)&4294967295
	s_addc_u32 s15, s15, (.LBB1_24912-.Lpost_getpc8871)>>32
	s_setpc_b64 s[14:15]
.LBB1_10574:
	s_or_b64 exec, exec, s[6:7]
	s_and_saveexec_b64 s[6:7], s[4:5]
	s_cbranch_execz .LBB1_10576
.LBB1_10575:
	v_bfe_u32 v6, v4, 8, 3
	v_ffbh_u32_e32 v12, v6
	v_min_u32_e32 v12, 32, v12
	v_lshrrev_b16_e32 v7, 3, v3
	v_subrev_u32_e32 v13, 28, v12
	v_and_b32_e32 v7, 15, v7
	v_lshlrev_b32_e32 v3, v13, v3
	v_sub_u32_e32 v12, 29, v12
	v_and_b32_e32 v3, 7, v3
	v_cmp_eq_u16_e32 vcc, 0, v7
	v_cndmask_b32_e32 v3, v6, v3, vcc
	v_cndmask_b32_e32 v6, v7, v12, vcc
	v_lshlrev_b32_e32 v7, 16, v4
	v_mov_b32_e32 v12, 0x3b800000
	v_lshlrev_b32_e32 v3, 20, v3
	v_and_b32_e32 v7, 0x80000000, v7
	v_lshl_add_u32 v6, v6, 23, v12
	v_or3_b32 v6, v7, v6, v3
.LBB1_10576:
	s_or_b64 exec, exec, s[6:7]
	s_nop 0
	v_mfma_f32_16x16x4f32 a[0:3], v2, v6, a[0:3]
	s_movk_i32 s4, 0xff
	v_and_b32_sdwa v3, v8, s4 dst_sel:DWORD dst_unused:UNUSED_PAD src0_sel:WORD_1 src1_sel:DWORD
	s_movk_i32 s4, 0x7f
	v_cmp_lt_i16_e32 vcc, s4, v3
	s_mov_b64 s[4:5], 0
                                        ; implicit-def: $sgpr10
	s_and_saveexec_b64 s[6:7], vcc
	s_xor_b64 s[6:7], exec, s[6:7]
	s_cbranch_execz .LBB1_10577
; %bb.46417:
	s_getpc_b64 s[14:15]
.Lpost_getpc8872:
	s_add_u32 s14, s14, (.LBB1_24913-.Lpost_getpc8872)&4294967295
	s_addc_u32 s15, s15, (.LBB1_24913-.Lpost_getpc8872)>>32
	s_setpc_b64 s[14:15]
.LBB1_10577:
	s_or_saveexec_b64 s[6:7], s[6:7]
	v_mov_b32_e32 v2, s10
	s_xor_b64 exec, exec, s[6:7]
	s_cbranch_execz .LBB1_10578
; %bb.46419:
	s_getpc_b64 s[14:15]
.Lpost_getpc8873:
	s_add_u32 s14, s14, (.LBB1_24916-.Lpost_getpc8873)&4294967295
	s_addc_u32 s15, s15, (.LBB1_24916-.Lpost_getpc8873)>>32
	s_setpc_b64 s[14:15]
.LBB1_10578:
	s_or_b64 exec, exec, s[6:7]
	s_and_saveexec_b64 s[6:7], s[4:5]
	s_cbranch_execz .LBB1_10580
.LBB1_10579:
	v_bfe_u32 v2, v8, 16, 3
	v_ffbh_u32_e32 v7, v2
	v_min_u32_e32 v7, 32, v7
	v_lshrrev_b32_e32 v3, 19, v8
	v_subrev_u32_e32 v12, 28, v7
	v_and_b32_e32 v3, 15, v3
	v_lshlrev_b32_sdwa v12, v12, v8 dst_sel:DWORD dst_unused:UNUSED_PAD src0_sel:DWORD src1_sel:WORD_1
	v_bfe_u32 v6, v8, 19, 4
	v_sub_u32_e32 v7, 29, v7
	v_and_b32_e32 v12, 7, v12
	v_cmp_eq_u16_e32 vcc, 0, v3
	v_cndmask_b32_e32 v2, v2, v12, vcc
	v_cndmask_b32_e32 v3, v6, v7, vcc
	v_lshlrev_b32_e32 v6, 8, v8
	v_mov_b32_e32 v7, 0x3b800000
	v_lshlrev_b32_e32 v2, 20, v2
	v_and_b32_e32 v6, 0x80000000, v6
	v_lshl_add_u32 v3, v3, 23, v7
	v_or3_b32 v2, v6, v3, v2
.LBB1_10580:
	s_or_b64 exec, exec, s[6:7]
	s_movk_i32 s4, 0xff
	v_and_b32_sdwa v3, v4, s4 dst_sel:DWORD dst_unused:UNUSED_PAD src0_sel:WORD_1 src1_sel:DWORD
	s_movk_i32 s4, 0x7f
	v_cmp_lt_i16_e32 vcc, s4, v3
	s_mov_b64 s[4:5], 0
                                        ; implicit-def: $sgpr10
	s_and_saveexec_b64 s[6:7], vcc
	s_xor_b64 s[6:7], exec, s[6:7]
	s_cbranch_execz .LBB1_10581
; %bb.46421:
	s_getpc_b64 s[14:15]
.Lpost_getpc8874:
	s_add_u32 s14, s14, (.LBB1_24917-.Lpost_getpc8874)&4294967295
	s_addc_u32 s15, s15, (.LBB1_24917-.Lpost_getpc8874)>>32
	s_setpc_b64 s[14:15]
.LBB1_10581:
	s_or_saveexec_b64 s[6:7], s[6:7]
	v_mov_b32_e32 v6, s10
	s_xor_b64 exec, exec, s[6:7]
	s_cbranch_execz .LBB1_10582
; %bb.46423:
	s_getpc_b64 s[14:15]
.Lpost_getpc8875:
	s_add_u32 s14, s14, (.LBB1_24920-.Lpost_getpc8875)&4294967295
	s_addc_u32 s15, s15, (.LBB1_24920-.Lpost_getpc8875)>>32
	s_setpc_b64 s[14:15]
.LBB1_10582:
	s_or_b64 exec, exec, s[6:7]
	s_and_saveexec_b64 s[6:7], s[4:5]
	s_cbranch_execz .LBB1_10584
.LBB1_10583:
	v_bfe_u32 v3, v4, 16, 3
	v_ffbh_u32_e32 v12, v3
	v_min_u32_e32 v12, 32, v12
	v_lshrrev_b32_e32 v6, 19, v4
	v_subrev_u32_e32 v13, 28, v12
	v_and_b32_e32 v6, 15, v6
	v_lshlrev_b32_sdwa v13, v13, v4 dst_sel:DWORD dst_unused:UNUSED_PAD src0_sel:DWORD src1_sel:WORD_1
	v_bfe_u32 v7, v4, 19, 4
	v_sub_u32_e32 v12, 29, v12
	v_and_b32_e32 v13, 7, v13
	v_cmp_eq_u16_e32 vcc, 0, v6
	v_cndmask_b32_e32 v3, v3, v13, vcc
	v_cndmask_b32_e32 v6, v7, v12, vcc
	v_lshlrev_b32_e32 v7, 8, v4
	v_mov_b32_e32 v12, 0x3b800000
	v_lshlrev_b32_e32 v3, 20, v3
	v_and_b32_e32 v7, 0x80000000, v7
	v_lshl_add_u32 v6, v6, 23, v12
	v_or3_b32 v6, v7, v6, v3
.LBB1_10584:
	s_or_b64 exec, exec, s[6:7]
	s_nop 0
	v_mfma_f32_16x16x4f32 a[0:3], v2, v6, a[0:3]
	s_movk_i32 s4, 0x7f
	v_cmp_gt_i16_sdwa s[6:7], v8, s4 src0_sel:BYTE_3 src1_sel:DWORD
	s_mov_b64 s[4:5], 0
                                        ; implicit-def: $sgpr10
	s_and_saveexec_b64 s[8:9], s[6:7]
	s_xor_b64 s[6:7], exec, s[8:9]
	s_cbranch_execz .LBB1_10585
; %bb.46425:
	s_getpc_b64 s[14:15]
.Lpost_getpc8876:
	s_add_u32 s14, s14, (.LBB1_24921-.Lpost_getpc8876)&4294967295
	s_addc_u32 s15, s15, (.LBB1_24921-.Lpost_getpc8876)>>32
	s_setpc_b64 s[14:15]
.LBB1_10585:
	s_or_saveexec_b64 s[6:7], s[6:7]
	v_mov_b32_e32 v2, s10
	s_xor_b64 exec, exec, s[6:7]
	s_cbranch_execz .LBB1_10586
; %bb.46427:
	s_getpc_b64 s[14:15]
.Lpost_getpc8877:
	s_add_u32 s14, s14, (.LBB1_24924-.Lpost_getpc8877)&4294967295
	s_addc_u32 s15, s15, (.LBB1_24924-.Lpost_getpc8877)>>32
	s_setpc_b64 s[14:15]
.LBB1_10586:
	s_or_b64 exec, exec, s[6:7]
	s_and_saveexec_b64 s[6:7], s[4:5]
	s_cbranch_execz .LBB1_10588
.LBB1_10587:
	v_bfe_u32 v2, v8, 24, 3
	v_ffbh_u32_e32 v12, v2
	v_min_u32_e32 v12, 32, v12
	v_lshrrev_b32_e32 v6, 27, v8
	v_subrev_u32_e32 v13, 28, v12
	v_and_b32_e32 v3, 0x80000000, v8
	v_and_b32_e32 v6, 15, v6
	v_bfe_u32 v7, v8, 27, 4
	v_lshlrev_b32_sdwa v8, v13, v8 dst_sel:DWORD dst_unused:UNUSED_PAD src0_sel:DWORD src1_sel:BYTE_3
	v_sub_u32_e32 v12, 29, v12
	v_and_b32_e32 v8, 7, v8
	v_cmp_eq_u16_e32 vcc, 0, v6
	v_cndmask_b32_e32 v2, v2, v8, vcc
	v_cndmask_b32_e32 v6, v7, v12, vcc
	v_mov_b32_e32 v7, 0x3b800000
	v_lshlrev_b32_e32 v2, 20, v2
	v_lshl_add_u32 v6, v6, 23, v7
	v_or3_b32 v2, v3, v6, v2
.LBB1_10588:
	s_or_b64 exec, exec, s[6:7]
	s_movk_i32 s4, 0x7f
	v_cmp_gt_i16_sdwa s[6:7], v4, s4 src0_sel:BYTE_3 src1_sel:DWORD
	s_mov_b64 s[4:5], 0
                                        ; implicit-def: $sgpr10
	s_and_saveexec_b64 s[8:9], s[6:7]
	s_xor_b64 s[6:7], exec, s[8:9]
	s_cbranch_execz .LBB1_10589
; %bb.46429:
	s_getpc_b64 s[14:15]
.Lpost_getpc8878:
	s_add_u32 s14, s14, (.LBB1_24925-.Lpost_getpc8878)&4294967295
	s_addc_u32 s15, s15, (.LBB1_24925-.Lpost_getpc8878)>>32
	s_setpc_b64 s[14:15]
.LBB1_10589:
	s_or_saveexec_b64 s[6:7], s[6:7]
	v_mov_b32_e32 v3, s10
	s_xor_b64 exec, exec, s[6:7]
	s_cbranch_execz .LBB1_10590
; %bb.46431:
	s_getpc_b64 s[14:15]
.Lpost_getpc8879:
	s_add_u32 s14, s14, (.LBB1_24928-.Lpost_getpc8879)&4294967295
	s_addc_u32 s15, s15, (.LBB1_24928-.Lpost_getpc8879)>>32
	s_setpc_b64 s[14:15]
.LBB1_10590:
	s_or_b64 exec, exec, s[6:7]
	s_and_saveexec_b64 s[6:7], s[4:5]
	s_cbranch_execz .LBB1_10592
.LBB1_10591:
	v_bfe_u32 v3, v4, 24, 3
	v_ffbh_u32_e32 v12, v3
	v_min_u32_e32 v12, 32, v12
	v_lshrrev_b32_e32 v7, 27, v4
	v_subrev_u32_e32 v13, 28, v12
	v_and_b32_e32 v6, 0x80000000, v4
	v_and_b32_e32 v7, 15, v7
	v_bfe_u32 v8, v4, 27, 4
	v_lshlrev_b32_sdwa v4, v13, v4 dst_sel:DWORD dst_unused:UNUSED_PAD src0_sel:DWORD src1_sel:BYTE_3
	v_sub_u32_e32 v12, 29, v12
	v_and_b32_e32 v4, 7, v4
	v_cmp_eq_u16_e32 vcc, 0, v7
	v_cndmask_b32_e32 v3, v3, v4, vcc
	v_cndmask_b32_e32 v4, v8, v12, vcc
	v_mov_b32_e32 v7, 0x3b800000
	v_lshlrev_b32_e32 v3, 20, v3
	v_lshl_add_u32 v4, v4, 23, v7
	v_or3_b32 v3, v6, v4, v3
.LBB1_10592:
	s_or_b64 exec, exec, s[6:7]
	s_nop 0
	v_mfma_f32_16x16x4f32 a[0:3], v2, v3, a[0:3]
	s_movk_i32 s4, 0x7f
	v_cmp_gt_i16_sdwa s[6:7], v9, s4 src0_sel:BYTE_0 src1_sel:DWORD
	s_mov_b64 s[4:5], 0
                                        ; implicit-def: $sgpr10
	s_and_saveexec_b64 s[8:9], s[6:7]
	s_xor_b64 s[6:7], exec, s[8:9]
	s_cbranch_execz .LBB1_10593
; %bb.46433:
	s_getpc_b64 s[14:15]
.Lpost_getpc8880:
	s_add_u32 s14, s14, (.LBB1_24929-.Lpost_getpc8880)&4294967295
	s_addc_u32 s15, s15, (.LBB1_24929-.Lpost_getpc8880)>>32
	s_setpc_b64 s[14:15]
.LBB1_10593:
	s_or_saveexec_b64 s[6:7], s[6:7]
	v_mov_b32_e32 v2, s10
	s_xor_b64 exec, exec, s[6:7]
	s_cbranch_execz .LBB1_10594
; %bb.46435:
	s_getpc_b64 s[14:15]
.Lpost_getpc8881:
	s_add_u32 s14, s14, (.LBB1_24932-.Lpost_getpc8881)&4294967295
	s_addc_u32 s15, s15, (.LBB1_24932-.Lpost_getpc8881)>>32
	s_setpc_b64 s[14:15]
.LBB1_10594:
	s_or_b64 exec, exec, s[6:7]
	s_and_saveexec_b64 s[6:7], s[4:5]
	s_cbranch_execz .LBB1_10596
.LBB1_10595:
	v_mov_b32_e32 v2, 8
	v_and_b32_e32 v3, 7, v9
	v_lshrrev_b32_sdwa v2, v2, v9 dst_sel:BYTE_1 dst_unused:UNUSED_PAD src0_sel:DWORD src1_sel:DWORD
	v_ffbh_u32_e32 v4, v3
	v_or_b32_sdwa v2, v9, v2 dst_sel:DWORD dst_unused:UNUSED_PAD src0_sel:BYTE_0 src1_sel:DWORD
	v_min_u32_e32 v4, 32, v4
	v_lshrrev_b16_e32 v2, 3, v2
	v_subrev_u32_e32 v6, 28, v4
	v_and_b32_e32 v2, 15, v2
	v_lshlrev_b32_e32 v6, v6, v9
	v_sub_u32_e32 v4, 29, v4
	v_and_b32_e32 v6, 7, v6
	v_cmp_eq_u16_e32 vcc, 0, v2
	v_cndmask_b32_e32 v3, v3, v6, vcc
	v_cndmask_b32_e32 v2, v2, v4, vcc
	v_lshlrev_b32_e32 v4, 24, v9
	v_mov_b32_e32 v6, 0x3b800000
	v_lshlrev_b32_e32 v3, 20, v3
	v_and_b32_e32 v4, 0x80000000, v4
	v_lshl_add_u32 v2, v2, 23, v6
	v_or3_b32 v2, v4, v2, v3
.LBB1_10596:
	s_or_b64 exec, exec, s[6:7]
	s_movk_i32 s4, 0x7f
	v_cmp_gt_i16_sdwa s[6:7], v5, s4 src0_sel:BYTE_0 src1_sel:DWORD
	s_mov_b64 s[4:5], 0
                                        ; implicit-def: $sgpr10
	s_and_saveexec_b64 s[8:9], s[6:7]
	s_xor_b64 s[6:7], exec, s[8:9]
	s_cbranch_execz .LBB1_10597
; %bb.46437:
	s_getpc_b64 s[14:15]
.Lpost_getpc8882:
	s_add_u32 s14, s14, (.LBB1_24933-.Lpost_getpc8882)&4294967295
	s_addc_u32 s15, s15, (.LBB1_24933-.Lpost_getpc8882)>>32
	s_setpc_b64 s[14:15]
.LBB1_10597:
	s_or_saveexec_b64 s[6:7], s[6:7]
	v_mov_b32_e32 v3, s10
	s_xor_b64 exec, exec, s[6:7]
	s_cbranch_execz .LBB1_10598
; %bb.46439:
	s_getpc_b64 s[14:15]
.Lpost_getpc8883:
	s_add_u32 s14, s14, (.LBB1_24936-.Lpost_getpc8883)&4294967295
	s_addc_u32 s15, s15, (.LBB1_24936-.Lpost_getpc8883)>>32
	s_setpc_b64 s[14:15]
.LBB1_10598:
	s_or_b64 exec, exec, s[6:7]
	s_and_saveexec_b64 s[6:7], s[4:5]
	s_cbranch_execz .LBB1_10600
.LBB1_10599:
	v_mov_b32_e32 v3, 8
	v_and_b32_e32 v4, 7, v5
	v_lshrrev_b32_sdwa v3, v3, v5 dst_sel:BYTE_1 dst_unused:UNUSED_PAD src0_sel:DWORD src1_sel:DWORD
	v_ffbh_u32_e32 v6, v4
	v_or_b32_sdwa v3, v5, v3 dst_sel:DWORD dst_unused:UNUSED_PAD src0_sel:BYTE_0 src1_sel:DWORD
	v_min_u32_e32 v6, 32, v6
	v_lshrrev_b16_e32 v3, 3, v3
	v_subrev_u32_e32 v7, 28, v6
	v_and_b32_e32 v3, 15, v3
	v_lshlrev_b32_e32 v7, v7, v5
	v_sub_u32_e32 v6, 29, v6
	v_and_b32_e32 v7, 7, v7
	v_cmp_eq_u16_e32 vcc, 0, v3
	v_cndmask_b32_e32 v4, v4, v7, vcc
	v_cndmask_b32_e32 v3, v3, v6, vcc
	v_lshlrev_b32_e32 v6, 24, v5
	v_mov_b32_e32 v7, 0x3b800000
	v_lshlrev_b32_e32 v4, 20, v4
	v_and_b32_e32 v6, 0x80000000, v6
	v_lshl_add_u32 v3, v3, 23, v7
	v_or3_b32 v3, v6, v3, v4
.LBB1_10600:
	s_or_b64 exec, exec, s[6:7]
	s_nop 0
	v_mfma_f32_16x16x4f32 a[0:3], v2, v3, a[0:3]
	v_lshrrev_b32_e32 v3, 8, v9
	s_movk_i32 s4, 0x7f
	v_cmp_gt_i16_sdwa s[6:7], v3, s4 src0_sel:BYTE_0 src1_sel:DWORD
	s_mov_b64 s[4:5], 0
                                        ; implicit-def: $sgpr10
	s_and_saveexec_b64 s[8:9], s[6:7]
	s_xor_b64 s[6:7], exec, s[8:9]
	s_cbranch_execz .LBB1_10601
; %bb.46441:
	s_getpc_b64 s[14:15]
.Lpost_getpc8884:
	s_add_u32 s14, s14, (.LBB1_24937-.Lpost_getpc8884)&4294967295
	s_addc_u32 s15, s15, (.LBB1_24937-.Lpost_getpc8884)>>32
	s_setpc_b64 s[14:15]
.LBB1_10601:
	s_or_saveexec_b64 s[6:7], s[6:7]
	v_mov_b32_e32 v2, s10
	s_xor_b64 exec, exec, s[6:7]
	s_cbranch_execz .LBB1_10602
; %bb.46443:
	s_getpc_b64 s[14:15]
.Lpost_getpc8885:
	s_add_u32 s14, s14, (.LBB1_24940-.Lpost_getpc8885)&4294967295
	s_addc_u32 s15, s15, (.LBB1_24940-.Lpost_getpc8885)>>32
	s_setpc_b64 s[14:15]
.LBB1_10602:
	s_or_b64 exec, exec, s[6:7]
	s_and_saveexec_b64 s[6:7], s[4:5]
	s_cbranch_execz .LBB1_10604
.LBB1_10603:
	v_bfe_u32 v2, v9, 8, 3
	v_ffbh_u32_e32 v6, v2
	v_min_u32_e32 v6, 32, v6
	v_lshrrev_b16_e32 v4, 3, v3
	v_subrev_u32_e32 v7, 28, v6
	v_and_b32_e32 v4, 15, v4
	v_lshlrev_b32_e32 v3, v7, v3
	v_sub_u32_e32 v6, 29, v6
	v_and_b32_e32 v3, 7, v3
	v_cmp_eq_u16_e32 vcc, 0, v4
	v_cndmask_b32_e32 v2, v2, v3, vcc
	v_cndmask_b32_e32 v3, v4, v6, vcc
	v_lshlrev_b32_e32 v4, 16, v9
	v_mov_b32_e32 v6, 0x3b800000
	v_lshlrev_b32_e32 v2, 20, v2
	v_and_b32_e32 v4, 0x80000000, v4
	v_lshl_add_u32 v3, v3, 23, v6
	v_or3_b32 v2, v4, v3, v2
.LBB1_10604:
	s_or_b64 exec, exec, s[6:7]
	v_lshrrev_b32_e32 v3, 8, v5
	s_movk_i32 s4, 0x7f
	v_cmp_gt_i16_sdwa s[6:7], v3, s4 src0_sel:BYTE_0 src1_sel:DWORD
	s_mov_b64 s[4:5], 0
                                        ; implicit-def: $sgpr10
	s_and_saveexec_b64 s[8:9], s[6:7]
	s_xor_b64 s[6:7], exec, s[8:9]
	s_cbranch_execz .LBB1_10605
; %bb.46445:
	s_getpc_b64 s[14:15]
.Lpost_getpc8886:
	s_add_u32 s14, s14, (.LBB1_24941-.Lpost_getpc8886)&4294967295
	s_addc_u32 s15, s15, (.LBB1_24941-.Lpost_getpc8886)>>32
	s_setpc_b64 s[14:15]
.LBB1_10605:
	s_or_saveexec_b64 s[6:7], s[6:7]
	v_mov_b32_e32 v4, s10
	s_xor_b64 exec, exec, s[6:7]
	s_cbranch_execz .LBB1_10606
; %bb.46447:
	s_getpc_b64 s[14:15]
.Lpost_getpc8887:
	s_add_u32 s14, s14, (.LBB1_24944-.Lpost_getpc8887)&4294967295
	s_addc_u32 s15, s15, (.LBB1_24944-.Lpost_getpc8887)>>32
	s_setpc_b64 s[14:15]
.LBB1_10606:
	s_or_b64 exec, exec, s[6:7]
	s_and_saveexec_b64 s[6:7], s[4:5]
	s_cbranch_execz .LBB1_10608
.LBB1_10607:
	v_bfe_u32 v4, v5, 8, 3
	v_ffbh_u32_e32 v7, v4
	v_min_u32_e32 v7, 32, v7
	v_lshrrev_b16_e32 v6, 3, v3
	v_subrev_u32_e32 v8, 28, v7
	v_and_b32_e32 v6, 15, v6
	v_lshlrev_b32_e32 v3, v8, v3
	v_sub_u32_e32 v7, 29, v7
	v_and_b32_e32 v3, 7, v3
	v_cmp_eq_u16_e32 vcc, 0, v6
	v_cndmask_b32_e32 v3, v4, v3, vcc
	v_cndmask_b32_e32 v4, v6, v7, vcc
	v_lshlrev_b32_e32 v6, 16, v5
	v_mov_b32_e32 v7, 0x3b800000
	v_lshlrev_b32_e32 v3, 20, v3
	v_and_b32_e32 v6, 0x80000000, v6
	v_lshl_add_u32 v4, v4, 23, v7
	v_or3_b32 v4, v6, v4, v3
.LBB1_10608:
	s_or_b64 exec, exec, s[6:7]
	s_nop 0
	v_mfma_f32_16x16x4f32 a[0:3], v2, v4, a[0:3]
	s_movk_i32 s4, 0xff
	v_and_b32_sdwa v3, v9, s4 dst_sel:DWORD dst_unused:UNUSED_PAD src0_sel:WORD_1 src1_sel:DWORD
	s_movk_i32 s4, 0x7f
	v_cmp_lt_i16_e32 vcc, s4, v3
	s_mov_b64 s[4:5], 0
                                        ; implicit-def: $sgpr10
	s_and_saveexec_b64 s[6:7], vcc
	s_xor_b64 s[6:7], exec, s[6:7]
	s_cbranch_execz .LBB1_10609
; %bb.46449:
	s_getpc_b64 s[14:15]
.Lpost_getpc8888:
	s_add_u32 s14, s14, (.LBB1_24945-.Lpost_getpc8888)&4294967295
	s_addc_u32 s15, s15, (.LBB1_24945-.Lpost_getpc8888)>>32
	s_setpc_b64 s[14:15]
.LBB1_10609:
	s_or_saveexec_b64 s[6:7], s[6:7]
	v_mov_b32_e32 v2, s10
	s_xor_b64 exec, exec, s[6:7]
	s_cbranch_execz .LBB1_10610
; %bb.46451:
	s_getpc_b64 s[14:15]
.Lpost_getpc8889:
	s_add_u32 s14, s14, (.LBB1_24948-.Lpost_getpc8889)&4294967295
	s_addc_u32 s15, s15, (.LBB1_24948-.Lpost_getpc8889)>>32
	s_setpc_b64 s[14:15]
.LBB1_10610:
	s_or_b64 exec, exec, s[6:7]
	s_and_saveexec_b64 s[6:7], s[4:5]
	s_cbranch_execz .LBB1_10612
.LBB1_10611:
	v_bfe_u32 v2, v9, 16, 3
	v_ffbh_u32_e32 v6, v2
	v_min_u32_e32 v6, 32, v6
	v_lshrrev_b32_e32 v3, 19, v9
	v_subrev_u32_e32 v7, 28, v6
	v_and_b32_e32 v3, 15, v3
	v_lshlrev_b32_sdwa v7, v7, v9 dst_sel:DWORD dst_unused:UNUSED_PAD src0_sel:DWORD src1_sel:WORD_1
	v_bfe_u32 v4, v9, 19, 4
	v_sub_u32_e32 v6, 29, v6
	v_and_b32_e32 v7, 7, v7
	v_cmp_eq_u16_e32 vcc, 0, v3
	v_cndmask_b32_e32 v2, v2, v7, vcc
	v_cndmask_b32_e32 v3, v4, v6, vcc
	v_lshlrev_b32_e32 v4, 8, v9
	v_mov_b32_e32 v6, 0x3b800000
	v_lshlrev_b32_e32 v2, 20, v2
	v_and_b32_e32 v4, 0x80000000, v4
	v_lshl_add_u32 v3, v3, 23, v6
	v_or3_b32 v2, v4, v3, v2
.LBB1_10612:
	s_or_b64 exec, exec, s[6:7]
	s_movk_i32 s4, 0xff
	v_and_b32_sdwa v3, v5, s4 dst_sel:DWORD dst_unused:UNUSED_PAD src0_sel:WORD_1 src1_sel:DWORD
	s_movk_i32 s4, 0x7f
	v_cmp_lt_i16_e32 vcc, s4, v3
	s_mov_b64 s[4:5], 0
                                        ; implicit-def: $sgpr10
	s_and_saveexec_b64 s[6:7], vcc
	s_xor_b64 s[6:7], exec, s[6:7]
	s_cbranch_execz .LBB1_10613
; %bb.46453:
	s_getpc_b64 s[14:15]
.Lpost_getpc8890:
	s_add_u32 s14, s14, (.LBB1_24949-.Lpost_getpc8890)&4294967295
	s_addc_u32 s15, s15, (.LBB1_24949-.Lpost_getpc8890)>>32
	s_setpc_b64 s[14:15]
.LBB1_10613:
	s_or_saveexec_b64 s[6:7], s[6:7]
	v_mov_b32_e32 v4, s10
	s_xor_b64 exec, exec, s[6:7]
	s_cbranch_execz .LBB1_10614
; %bb.46455:
	s_getpc_b64 s[14:15]
.Lpost_getpc8891:
	s_add_u32 s14, s14, (.LBB1_24952-.Lpost_getpc8891)&4294967295
	s_addc_u32 s15, s15, (.LBB1_24952-.Lpost_getpc8891)>>32
	s_setpc_b64 s[14:15]
.LBB1_10614:
	s_or_b64 exec, exec, s[6:7]
	s_and_saveexec_b64 s[6:7], s[4:5]
	s_cbranch_execz .LBB1_10616
.LBB1_10615:
	v_bfe_u32 v3, v5, 16, 3
	v_ffbh_u32_e32 v7, v3
	v_min_u32_e32 v7, 32, v7
	v_lshrrev_b32_e32 v4, 19, v5
	v_subrev_u32_e32 v8, 28, v7
	v_and_b32_e32 v4, 15, v4
	v_lshlrev_b32_sdwa v8, v8, v5 dst_sel:DWORD dst_unused:UNUSED_PAD src0_sel:DWORD src1_sel:WORD_1
	v_bfe_u32 v6, v5, 19, 4
	v_sub_u32_e32 v7, 29, v7
	v_and_b32_e32 v8, 7, v8
	v_cmp_eq_u16_e32 vcc, 0, v4
	v_cndmask_b32_e32 v3, v3, v8, vcc
	v_cndmask_b32_e32 v4, v6, v7, vcc
	v_lshlrev_b32_e32 v6, 8, v5
	v_mov_b32_e32 v7, 0x3b800000
	v_lshlrev_b32_e32 v3, 20, v3
	v_and_b32_e32 v6, 0x80000000, v6
	v_lshl_add_u32 v4, v4, 23, v7
	v_or3_b32 v4, v6, v4, v3
.LBB1_10616:
	s_or_b64 exec, exec, s[6:7]
	s_nop 0
	v_mfma_f32_16x16x4f32 a[0:3], v2, v4, a[0:3]
	s_movk_i32 s4, 0x7f
	v_cmp_gt_i16_sdwa s[6:7], v9, s4 src0_sel:BYTE_3 src1_sel:DWORD
	s_mov_b64 s[4:5], 0
                                        ; implicit-def: $sgpr10
	s_and_saveexec_b64 s[8:9], s[6:7]
	s_xor_b64 s[6:7], exec, s[8:9]
	s_cbranch_execz .LBB1_10617
; %bb.46457:
	s_getpc_b64 s[14:15]
.Lpost_getpc8892:
	s_add_u32 s14, s14, (.LBB1_24953-.Lpost_getpc8892)&4294967295
	s_addc_u32 s15, s15, (.LBB1_24953-.Lpost_getpc8892)>>32
	s_setpc_b64 s[14:15]
.LBB1_10617:
	s_or_saveexec_b64 s[6:7], s[6:7]
	v_mov_b32_e32 v2, s10
	s_xor_b64 exec, exec, s[6:7]
	s_cbranch_execz .LBB1_10618
; %bb.46459:
	s_getpc_b64 s[14:15]
.Lpost_getpc8893:
	s_add_u32 s14, s14, (.LBB1_24956-.Lpost_getpc8893)&4294967295
	s_addc_u32 s15, s15, (.LBB1_24956-.Lpost_getpc8893)>>32
	s_setpc_b64 s[14:15]
.LBB1_10618:
	s_or_b64 exec, exec, s[6:7]
	s_and_saveexec_b64 s[6:7], s[4:5]
	s_cbranch_execz .LBB1_10620
.LBB1_10619:
	v_bfe_u32 v2, v9, 24, 3
	v_ffbh_u32_e32 v7, v2
	v_min_u32_e32 v7, 32, v7
	v_lshrrev_b32_e32 v4, 27, v9
	v_subrev_u32_e32 v8, 28, v7
	v_and_b32_e32 v4, 15, v4
	v_lshlrev_b32_sdwa v8, v8, v9 dst_sel:DWORD dst_unused:UNUSED_PAD src0_sel:DWORD src1_sel:BYTE_3
	v_bfe_u32 v6, v9, 27, 4
	v_sub_u32_e32 v7, 29, v7
	v_and_b32_e32 v8, 7, v8
	v_cmp_eq_u16_e32 vcc, 0, v4
	v_cndmask_b32_e32 v2, v2, v8, vcc
	v_cndmask_b32_e32 v4, v6, v7, vcc
	v_mov_b32_e32 v6, 0x3b800000
	v_and_b32_e32 v3, 0x80000000, v9
	v_lshlrev_b32_e32 v2, 20, v2
	v_lshl_add_u32 v4, v4, 23, v6
	v_or3_b32 v2, v3, v4, v2
.LBB1_10620:
	s_or_b64 exec, exec, s[6:7]
	s_movk_i32 s4, 0x7f
	v_cmp_gt_i16_sdwa s[6:7], v5, s4 src0_sel:BYTE_3 src1_sel:DWORD
	s_mov_b64 s[4:5], 0
                                        ; implicit-def: $sgpr10
	s_and_saveexec_b64 s[8:9], s[6:7]
	s_xor_b64 s[6:7], exec, s[8:9]
	s_cbranch_execz .LBB1_10621
; %bb.46461:
	s_getpc_b64 s[14:15]
.Lpost_getpc8894:
	s_add_u32 s14, s14, (.LBB1_24957-.Lpost_getpc8894)&4294967295
	s_addc_u32 s15, s15, (.LBB1_24957-.Lpost_getpc8894)>>32
	s_setpc_b64 s[14:15]
.LBB1_10621:
	s_or_saveexec_b64 s[6:7], s[6:7]
	v_mov_b32_e32 v3, s10
	s_xor_b64 exec, exec, s[6:7]
	s_cbranch_execz .LBB1_10622
; %bb.46463:
	s_getpc_b64 s[14:15]
.Lpost_getpc8895:
	s_add_u32 s14, s14, (.LBB1_24960-.Lpost_getpc8895)&4294967295
	s_addc_u32 s15, s15, (.LBB1_24960-.Lpost_getpc8895)>>32
	s_setpc_b64 s[14:15]
.LBB1_10622:
	s_or_b64 exec, exec, s[6:7]
	s_and_saveexec_b64 s[6:7], s[4:5]
	s_cbranch_execz .LBB1_10624
.LBB1_10623:
	v_bfe_u32 v3, v5, 24, 3
	v_ffbh_u32_e32 v8, v3
	v_min_u32_e32 v8, 32, v8
	v_lshrrev_b32_e32 v6, 27, v5
	v_subrev_u32_e32 v9, 28, v8
	v_and_b32_e32 v4, 0x80000000, v5
	v_and_b32_e32 v6, 15, v6
	v_bfe_u32 v7, v5, 27, 4
	v_lshlrev_b32_sdwa v5, v9, v5 dst_sel:DWORD dst_unused:UNUSED_PAD src0_sel:DWORD src1_sel:BYTE_3
	v_sub_u32_e32 v8, 29, v8
	v_and_b32_e32 v5, 7, v5
	v_cmp_eq_u16_e32 vcc, 0, v6
	v_cndmask_b32_e32 v3, v3, v5, vcc
	v_cndmask_b32_e32 v5, v7, v8, vcc
	v_mov_b32_e32 v6, 0x3b800000
	v_lshlrev_b32_e32 v3, 20, v3
	v_lshl_add_u32 v5, v5, 23, v6
	v_or3_b32 v3, v4, v5, v3
.LBB1_10624:
	s_or_b64 exec, exec, s[6:7]
	s_nop 0
	v_mfma_f32_16x16x4f32 a[0:3], v2, v3, a[0:3]
	s_movk_i32 s4, 0x7f
                                        ; implicit-def: $sgpr10
	s_nop 7
	s_nop 1
	flat_store_dwordx4 v[10:11], a[0:3] offset:416
	flat_load_dwordx4 v[12:15], v[0:1]
	s_nop 0
	flat_load_dwordx2 v[10:11], v[0:1] offset:16
	s_waitcnt vmcnt(0) lgkmcnt(0)
	flat_load_dwordx4 v[6:9], v[12:13] offset:160
	flat_load_dwordx4 v[2:5], v[14:15] offset:176
	s_waitcnt vmcnt(0) lgkmcnt(0)
	v_cmp_gt_i16_sdwa s[6:7], v6, s4 src0_sel:BYTE_0 src1_sel:DWORD
	s_mov_b64 s[4:5], 0
	s_and_saveexec_b64 s[8:9], s[6:7]
	s_xor_b64 s[6:7], exec, s[8:9]
	s_cbranch_execz .LBB1_10625
; %bb.46465:
	s_getpc_b64 s[14:15]
.Lpost_getpc8896:
	s_add_u32 s14, s14, (.LBB1_24961-.Lpost_getpc8896)&4294967295
	s_addc_u32 s15, s15, (.LBB1_24961-.Lpost_getpc8896)>>32
	s_setpc_b64 s[14:15]
.LBB1_10625:
	s_or_saveexec_b64 s[6:7], s[6:7]
	v_mov_b32_e32 v12, s10
	s_xor_b64 exec, exec, s[6:7]
	s_cbranch_execz .LBB1_10626
; %bb.46467:
	s_getpc_b64 s[14:15]
.Lpost_getpc8897:
	s_add_u32 s14, s14, (.LBB1_24964-.Lpost_getpc8897)&4294967295
	s_addc_u32 s15, s15, (.LBB1_24964-.Lpost_getpc8897)>>32
	s_setpc_b64 s[14:15]
.LBB1_10626:
	s_or_b64 exec, exec, s[6:7]
	s_and_saveexec_b64 s[6:7], s[4:5]
	s_cbranch_execz .LBB1_10628
.LBB1_10627:
	v_and_b32_e32 v12, 7, v6
	v_ffbh_u32_e32 v14, v12
	v_min_u32_e32 v14, 32, v14
	v_lshrrev_b16_e32 v13, 3, v6
	v_subrev_u32_e32 v15, 28, v14
	v_and_b32_e32 v13, 15, v13
	v_lshlrev_b32_e32 v15, v15, v6
	v_sub_u32_e32 v14, 29, v14
	v_and_b32_e32 v15, 7, v15
	v_cmp_eq_u16_e32 vcc, 0, v13
	v_cndmask_b32_e32 v12, v12, v15, vcc
	v_cndmask_b32_e32 v13, v13, v14, vcc
	v_lshlrev_b32_e32 v14, 24, v6
	v_mov_b32_e32 v15, 0x3b800000
	v_lshlrev_b32_e32 v12, 20, v12
	v_and_b32_e32 v14, 0x80000000, v14
	v_lshl_add_u32 v13, v13, 23, v15
	v_or3_b32 v12, v14, v13, v12
.LBB1_10628:
	s_or_b64 exec, exec, s[6:7]
	s_movk_i32 s4, 0x7f
	v_cmp_gt_i16_sdwa s[6:7], v2, s4 src0_sel:BYTE_0 src1_sel:DWORD
	s_mov_b64 s[4:5], 0
                                        ; implicit-def: $sgpr10
	s_and_saveexec_b64 s[8:9], s[6:7]
	s_xor_b64 s[6:7], exec, s[8:9]
	s_cbranch_execz .LBB1_10629
; %bb.46469:
	s_getpc_b64 s[14:15]
.Lpost_getpc8898:
	s_add_u32 s14, s14, (.LBB1_24965-.Lpost_getpc8898)&4294967295
	s_addc_u32 s15, s15, (.LBB1_24965-.Lpost_getpc8898)>>32
	s_setpc_b64 s[14:15]
.LBB1_10629:
	s_or_saveexec_b64 s[6:7], s[6:7]
	v_mov_b32_e32 v13, s10
	s_xor_b64 exec, exec, s[6:7]
	s_cbranch_execz .LBB1_10630
; %bb.46471:
	s_getpc_b64 s[14:15]
.Lpost_getpc8899:
	s_add_u32 s14, s14, (.LBB1_24968-.Lpost_getpc8899)&4294967295
	s_addc_u32 s15, s15, (.LBB1_24968-.Lpost_getpc8899)>>32
	s_setpc_b64 s[14:15]
.LBB1_10630:
	s_or_b64 exec, exec, s[6:7]
	s_and_saveexec_b64 s[6:7], s[4:5]
	s_cbranch_execz .LBB1_10632
.LBB1_10631:
	v_and_b32_e32 v13, 7, v2
	v_ffbh_u32_e32 v15, v13
	v_min_u32_e32 v15, 32, v15
	v_lshrrev_b16_e32 v14, 3, v2
	v_subrev_u32_e32 v16, 28, v15
	v_and_b32_e32 v14, 15, v14
	v_lshlrev_b32_e32 v16, v16, v2
	v_sub_u32_e32 v15, 29, v15
	v_and_b32_e32 v16, 7, v16
	v_cmp_eq_u16_e32 vcc, 0, v14
	v_cndmask_b32_e32 v13, v13, v16, vcc
	v_cndmask_b32_e32 v14, v14, v15, vcc
	v_lshlrev_b32_e32 v15, 24, v2
	v_mov_b32_e32 v16, 0x3b800000
	v_lshlrev_b32_e32 v13, 20, v13
	v_and_b32_e32 v15, 0x80000000, v15
	v_lshl_add_u32 v14, v14, 23, v16
	v_or3_b32 v13, v15, v14, v13
.LBB1_10632:
	s_or_b64 exec, exec, s[6:7]
	flat_load_dwordx4 a[0:3], v[10:11] offset:432
	s_movk_i32 s4, 0x7f
                                        ; implicit-def: $sgpr10
	s_waitcnt vmcnt(0) lgkmcnt(0)
	v_mfma_f32_16x16x4f32 a[0:3], v12, v13, a[0:3]
	v_lshrrev_b32_e32 v13, 8, v6
	v_cmp_gt_i16_sdwa s[6:7], v13, s4 src0_sel:BYTE_0 src1_sel:DWORD
	s_mov_b64 s[4:5], 0
	s_and_saveexec_b64 s[8:9], s[6:7]
	s_xor_b64 s[6:7], exec, s[8:9]
	s_cbranch_execz .LBB1_10633
; %bb.46473:
	s_getpc_b64 s[14:15]
.Lpost_getpc8900:
	s_add_u32 s14, s14, (.LBB1_24969-.Lpost_getpc8900)&4294967295
	s_addc_u32 s15, s15, (.LBB1_24969-.Lpost_getpc8900)>>32
	s_setpc_b64 s[14:15]
.LBB1_10633:
	s_or_saveexec_b64 s[6:7], s[6:7]
	v_mov_b32_e32 v12, s10
	s_xor_b64 exec, exec, s[6:7]
	s_cbranch_execz .LBB1_10634
; %bb.46475:
	s_getpc_b64 s[14:15]
.Lpost_getpc8901:
	s_add_u32 s14, s14, (.LBB1_24972-.Lpost_getpc8901)&4294967295
	s_addc_u32 s15, s15, (.LBB1_24972-.Lpost_getpc8901)>>32
	s_setpc_b64 s[14:15]
.LBB1_10634:
	s_or_b64 exec, exec, s[6:7]
	s_and_saveexec_b64 s[6:7], s[4:5]
	s_cbranch_execz .LBB1_10636
.LBB1_10635:
	v_bfe_u32 v12, v6, 8, 3
	v_ffbh_u32_e32 v15, v12
	v_min_u32_e32 v15, 32, v15
	v_lshrrev_b16_e32 v14, 3, v13
	v_subrev_u32_e32 v16, 28, v15
	v_and_b32_e32 v14, 15, v14
	v_lshlrev_b32_e32 v13, v16, v13
	v_sub_u32_e32 v15, 29, v15
	v_and_b32_e32 v13, 7, v13
	v_cmp_eq_u16_e32 vcc, 0, v14
	v_cndmask_b32_e32 v12, v12, v13, vcc
	v_cndmask_b32_e32 v13, v14, v15, vcc
	v_lshlrev_b32_e32 v14, 16, v6
	v_mov_b32_e32 v15, 0x3b800000
	v_lshlrev_b32_e32 v12, 20, v12
	v_and_b32_e32 v14, 0x80000000, v14
	v_lshl_add_u32 v13, v13, 23, v15
	v_or3_b32 v12, v14, v13, v12
.LBB1_10636:
	s_or_b64 exec, exec, s[6:7]
	v_lshrrev_b32_e32 v13, 8, v2
	s_movk_i32 s4, 0x7f
	v_cmp_gt_i16_sdwa s[6:7], v13, s4 src0_sel:BYTE_0 src1_sel:DWORD
	s_mov_b64 s[4:5], 0
                                        ; implicit-def: $sgpr10
	s_and_saveexec_b64 s[8:9], s[6:7]
	s_xor_b64 s[6:7], exec, s[8:9]
	s_cbranch_execz .LBB1_10637
; %bb.46477:
	s_getpc_b64 s[14:15]
.Lpost_getpc8902:
	s_add_u32 s14, s14, (.LBB1_24973-.Lpost_getpc8902)&4294967295
	s_addc_u32 s15, s15, (.LBB1_24973-.Lpost_getpc8902)>>32
	s_setpc_b64 s[14:15]
.LBB1_10637:
	s_or_saveexec_b64 s[6:7], s[6:7]
	v_mov_b32_e32 v14, s10
	s_xor_b64 exec, exec, s[6:7]
	s_cbranch_execz .LBB1_10638
; %bb.46479:
	s_getpc_b64 s[14:15]
.Lpost_getpc8903:
	s_add_u32 s14, s14, (.LBB1_24976-.Lpost_getpc8903)&4294967295
	s_addc_u32 s15, s15, (.LBB1_24976-.Lpost_getpc8903)>>32
	s_setpc_b64 s[14:15]
.LBB1_10638:
	s_or_b64 exec, exec, s[6:7]
	s_and_saveexec_b64 s[6:7], s[4:5]
	s_cbranch_execz .LBB1_10640
.LBB1_10639:
	v_bfe_u32 v14, v2, 8, 3
	v_ffbh_u32_e32 v16, v14
	v_min_u32_e32 v16, 32, v16
	v_lshrrev_b16_e32 v15, 3, v13
	v_subrev_u32_e32 v17, 28, v16
	v_and_b32_e32 v15, 15, v15
	v_lshlrev_b32_e32 v13, v17, v13
	v_sub_u32_e32 v16, 29, v16
	v_and_b32_e32 v13, 7, v13
	v_cmp_eq_u16_e32 vcc, 0, v15
	v_cndmask_b32_e32 v13, v14, v13, vcc
	v_cndmask_b32_e32 v14, v15, v16, vcc
	v_lshlrev_b32_e32 v15, 16, v2
	v_mov_b32_e32 v16, 0x3b800000
	v_lshlrev_b32_e32 v13, 20, v13
	v_and_b32_e32 v15, 0x80000000, v15
	v_lshl_add_u32 v14, v14, 23, v16
	v_or3_b32 v14, v15, v14, v13
.LBB1_10640:
	s_or_b64 exec, exec, s[6:7]
	s_nop 0
	v_mfma_f32_16x16x4f32 a[0:3], v12, v14, a[0:3]
	s_movk_i32 s4, 0xff
	v_and_b32_sdwa v13, v6, s4 dst_sel:DWORD dst_unused:UNUSED_PAD src0_sel:WORD_1 src1_sel:DWORD
	s_movk_i32 s4, 0x7f
	v_cmp_lt_i16_e32 vcc, s4, v13
	s_mov_b64 s[4:5], 0
                                        ; implicit-def: $sgpr10
	s_and_saveexec_b64 s[6:7], vcc
	s_xor_b64 s[6:7], exec, s[6:7]
	s_cbranch_execz .LBB1_10641
; %bb.46481:
	s_getpc_b64 s[14:15]
.Lpost_getpc8904:
	s_add_u32 s14, s14, (.LBB1_24977-.Lpost_getpc8904)&4294967295
	s_addc_u32 s15, s15, (.LBB1_24977-.Lpost_getpc8904)>>32
	s_setpc_b64 s[14:15]
.LBB1_10641:
	s_or_saveexec_b64 s[6:7], s[6:7]
	v_mov_b32_e32 v12, s10
	s_xor_b64 exec, exec, s[6:7]
	s_cbranch_execz .LBB1_10642
; %bb.46483:
	s_getpc_b64 s[14:15]
.Lpost_getpc8905:
	s_add_u32 s14, s14, (.LBB1_24980-.Lpost_getpc8905)&4294967295
	s_addc_u32 s15, s15, (.LBB1_24980-.Lpost_getpc8905)>>32
	s_setpc_b64 s[14:15]
.LBB1_10642:
	s_or_b64 exec, exec, s[6:7]
	s_and_saveexec_b64 s[6:7], s[4:5]
	s_cbranch_execz .LBB1_10644
.LBB1_10643:
	v_bfe_u32 v12, v6, 16, 3
	v_ffbh_u32_e32 v15, v12
	v_min_u32_e32 v15, 32, v15
	v_lshrrev_b32_e32 v13, 19, v6
	v_subrev_u32_e32 v16, 28, v15
	v_and_b32_e32 v13, 15, v13
	v_lshlrev_b32_sdwa v16, v16, v6 dst_sel:DWORD dst_unused:UNUSED_PAD src0_sel:DWORD src1_sel:WORD_1
	v_bfe_u32 v14, v6, 19, 4
	v_sub_u32_e32 v15, 29, v15
	v_and_b32_e32 v16, 7, v16
	v_cmp_eq_u16_e32 vcc, 0, v13
	v_cndmask_b32_e32 v12, v12, v16, vcc
	v_cndmask_b32_e32 v13, v14, v15, vcc
	v_lshlrev_b32_e32 v14, 8, v6
	v_mov_b32_e32 v15, 0x3b800000
	v_lshlrev_b32_e32 v12, 20, v12
	v_and_b32_e32 v14, 0x80000000, v14
	v_lshl_add_u32 v13, v13, 23, v15
	v_or3_b32 v12, v14, v13, v12
.LBB1_10644:
	s_or_b64 exec, exec, s[6:7]
	s_movk_i32 s4, 0xff
	v_and_b32_sdwa v13, v2, s4 dst_sel:DWORD dst_unused:UNUSED_PAD src0_sel:WORD_1 src1_sel:DWORD
	s_movk_i32 s4, 0x7f
	v_cmp_lt_i16_e32 vcc, s4, v13
	s_mov_b64 s[4:5], 0
                                        ; implicit-def: $sgpr10
	s_and_saveexec_b64 s[6:7], vcc
	s_xor_b64 s[6:7], exec, s[6:7]
	s_cbranch_execz .LBB1_10645
; %bb.46485:
	s_getpc_b64 s[14:15]
.Lpost_getpc8906:
	s_add_u32 s14, s14, (.LBB1_24981-.Lpost_getpc8906)&4294967295
	s_addc_u32 s15, s15, (.LBB1_24981-.Lpost_getpc8906)>>32
	s_setpc_b64 s[14:15]
.LBB1_10645:
	s_or_saveexec_b64 s[6:7], s[6:7]
	v_mov_b32_e32 v14, s10
	s_xor_b64 exec, exec, s[6:7]
	s_cbranch_execz .LBB1_10646
; %bb.46487:
	s_getpc_b64 s[14:15]
.Lpost_getpc8907:
	s_add_u32 s14, s14, (.LBB1_24984-.Lpost_getpc8907)&4294967295
	s_addc_u32 s15, s15, (.LBB1_24984-.Lpost_getpc8907)>>32
	s_setpc_b64 s[14:15]
.LBB1_10646:
	s_or_b64 exec, exec, s[6:7]
	s_and_saveexec_b64 s[6:7], s[4:5]
	s_cbranch_execz .LBB1_10648
.LBB1_10647:
	v_bfe_u32 v13, v2, 16, 3
	v_ffbh_u32_e32 v16, v13
	v_min_u32_e32 v16, 32, v16
	v_lshrrev_b32_e32 v14, 19, v2
	v_subrev_u32_e32 v17, 28, v16
	v_and_b32_e32 v14, 15, v14
	v_lshlrev_b32_sdwa v17, v17, v2 dst_sel:DWORD dst_unused:UNUSED_PAD src0_sel:DWORD src1_sel:WORD_1
	v_bfe_u32 v15, v2, 19, 4
	v_sub_u32_e32 v16, 29, v16
	v_and_b32_e32 v17, 7, v17
	v_cmp_eq_u16_e32 vcc, 0, v14
	v_cndmask_b32_e32 v13, v13, v17, vcc
	v_cndmask_b32_e32 v14, v15, v16, vcc
	v_lshlrev_b32_e32 v15, 8, v2
	v_mov_b32_e32 v16, 0x3b800000
	v_lshlrev_b32_e32 v13, 20, v13
	v_and_b32_e32 v15, 0x80000000, v15
	v_lshl_add_u32 v14, v14, 23, v16
	v_or3_b32 v14, v15, v14, v13
.LBB1_10648:
	s_or_b64 exec, exec, s[6:7]
	s_nop 0
	v_mfma_f32_16x16x4f32 a[0:3], v12, v14, a[0:3]
	s_movk_i32 s4, 0x7f
	v_cmp_gt_i16_sdwa s[6:7], v6, s4 src0_sel:BYTE_3 src1_sel:DWORD
	s_mov_b64 s[4:5], 0
                                        ; implicit-def: $sgpr10
	s_and_saveexec_b64 s[8:9], s[6:7]
	s_xor_b64 s[6:7], exec, s[8:9]
	s_cbranch_execz .LBB1_10649
; %bb.46489:
	s_getpc_b64 s[14:15]
.Lpost_getpc8908:
	s_add_u32 s14, s14, (.LBB1_24985-.Lpost_getpc8908)&4294967295
	s_addc_u32 s15, s15, (.LBB1_24985-.Lpost_getpc8908)>>32
	s_setpc_b64 s[14:15]
.LBB1_10649:
	s_or_saveexec_b64 s[6:7], s[6:7]
	v_mov_b32_e32 v12, s10
	s_xor_b64 exec, exec, s[6:7]
	s_cbranch_execz .LBB1_10650
; %bb.46491:
	s_getpc_b64 s[14:15]
.Lpost_getpc8909:
	s_add_u32 s14, s14, (.LBB1_24988-.Lpost_getpc8909)&4294967295
	s_addc_u32 s15, s15, (.LBB1_24988-.Lpost_getpc8909)>>32
	s_setpc_b64 s[14:15]
.LBB1_10650:
	s_or_b64 exec, exec, s[6:7]
	s_and_saveexec_b64 s[6:7], s[4:5]
	s_cbranch_execz .LBB1_10652
.LBB1_10651:
	v_bfe_u32 v12, v6, 24, 3
	v_ffbh_u32_e32 v16, v12
	v_min_u32_e32 v16, 32, v16
	v_lshrrev_b32_e32 v14, 27, v6
	v_subrev_u32_e32 v17, 28, v16
	v_and_b32_e32 v13, 0x80000000, v6
	v_and_b32_e32 v14, 15, v14
	v_bfe_u32 v15, v6, 27, 4
	v_lshlrev_b32_sdwa v6, v17, v6 dst_sel:DWORD dst_unused:UNUSED_PAD src0_sel:DWORD src1_sel:BYTE_3
	v_sub_u32_e32 v16, 29, v16
	v_and_b32_e32 v6, 7, v6
	v_cmp_eq_u16_e32 vcc, 0, v14
	v_cndmask_b32_e32 v6, v12, v6, vcc
	v_cndmask_b32_e32 v12, v15, v16, vcc
	v_mov_b32_e32 v14, 0x3b800000
	v_lshlrev_b32_e32 v6, 20, v6
	v_lshl_add_u32 v12, v12, 23, v14
	v_or3_b32 v12, v13, v12, v6
.LBB1_10652:
	s_or_b64 exec, exec, s[6:7]
	s_movk_i32 s4, 0x7f
	v_cmp_gt_i16_sdwa s[6:7], v2, s4 src0_sel:BYTE_3 src1_sel:DWORD
	s_mov_b64 s[4:5], 0
                                        ; implicit-def: $sgpr10
	s_and_saveexec_b64 s[8:9], s[6:7]
	s_xor_b64 s[6:7], exec, s[8:9]
	s_cbranch_execz .LBB1_10653
; %bb.46493:
	s_getpc_b64 s[14:15]
.Lpost_getpc8910:
	s_add_u32 s14, s14, (.LBB1_24989-.Lpost_getpc8910)&4294967295
	s_addc_u32 s15, s15, (.LBB1_24989-.Lpost_getpc8910)>>32
	s_setpc_b64 s[14:15]
.LBB1_10653:
	s_or_saveexec_b64 s[6:7], s[6:7]
	v_mov_b32_e32 v6, s10
	s_xor_b64 exec, exec, s[6:7]
	s_cbranch_execz .LBB1_10654
; %bb.46495:
	s_getpc_b64 s[14:15]
.Lpost_getpc8911:
	s_add_u32 s14, s14, (.LBB1_24992-.Lpost_getpc8911)&4294967295
	s_addc_u32 s15, s15, (.LBB1_24992-.Lpost_getpc8911)>>32
	s_setpc_b64 s[14:15]
.LBB1_10654:
	s_or_b64 exec, exec, s[6:7]
	s_and_saveexec_b64 s[6:7], s[4:5]
	s_cbranch_execz .LBB1_10656
.LBB1_10655:
	v_bfe_u32 v6, v2, 24, 3
	v_ffbh_u32_e32 v16, v6
	v_min_u32_e32 v16, 32, v16
	v_lshrrev_b32_e32 v14, 27, v2
	v_subrev_u32_e32 v17, 28, v16
	v_and_b32_e32 v13, 0x80000000, v2
	v_and_b32_e32 v14, 15, v14
	v_bfe_u32 v15, v2, 27, 4
	v_lshlrev_b32_sdwa v2, v17, v2 dst_sel:DWORD dst_unused:UNUSED_PAD src0_sel:DWORD src1_sel:BYTE_3
	v_sub_u32_e32 v16, 29, v16
	v_and_b32_e32 v2, 7, v2
	v_cmp_eq_u16_e32 vcc, 0, v14
	v_cndmask_b32_e32 v2, v6, v2, vcc
	v_cndmask_b32_e32 v6, v15, v16, vcc
	v_mov_b32_e32 v14, 0x3b800000
	v_lshlrev_b32_e32 v2, 20, v2
	v_lshl_add_u32 v6, v6, 23, v14
	v_or3_b32 v6, v13, v6, v2
.LBB1_10656:
	s_or_b64 exec, exec, s[6:7]
	s_nop 0
	v_mfma_f32_16x16x4f32 a[0:3], v12, v6, a[0:3]
	s_movk_i32 s4, 0x7f
	v_cmp_gt_i16_sdwa s[6:7], v7, s4 src0_sel:BYTE_0 src1_sel:DWORD
	s_mov_b64 s[4:5], 0
                                        ; implicit-def: $sgpr10
	s_and_saveexec_b64 s[8:9], s[6:7]
	s_xor_b64 s[6:7], exec, s[8:9]
	s_cbranch_execz .LBB1_10657
; %bb.46497:
	s_getpc_b64 s[14:15]
.Lpost_getpc8912:
	s_add_u32 s14, s14, (.LBB1_24993-.Lpost_getpc8912)&4294967295
	s_addc_u32 s15, s15, (.LBB1_24993-.Lpost_getpc8912)>>32
	s_setpc_b64 s[14:15]
.LBB1_10657:
	s_or_saveexec_b64 s[6:7], s[6:7]
	v_mov_b32_e32 v2, s10
	s_xor_b64 exec, exec, s[6:7]
	s_cbranch_execz .LBB1_10658
; %bb.46499:
	s_getpc_b64 s[14:15]
.Lpost_getpc8913:
	s_add_u32 s14, s14, (.LBB1_24996-.Lpost_getpc8913)&4294967295
	s_addc_u32 s15, s15, (.LBB1_24996-.Lpost_getpc8913)>>32
	s_setpc_b64 s[14:15]
.LBB1_10658:
	s_or_b64 exec, exec, s[6:7]
	s_and_saveexec_b64 s[6:7], s[4:5]
	s_cbranch_execz .LBB1_10660
.LBB1_10659:
	v_and_b32_e32 v2, 7, v7
	v_ffbh_u32_e32 v12, v2
	v_min_u32_e32 v12, 32, v12
	v_lshrrev_b16_e32 v6, 3, v7
	v_subrev_u32_e32 v13, 28, v12
	v_and_b32_e32 v6, 15, v6
	v_lshlrev_b32_e32 v13, v13, v7
	v_sub_u32_e32 v12, 29, v12
	v_and_b32_e32 v13, 7, v13
	v_cmp_eq_u16_e32 vcc, 0, v6
	v_cndmask_b32_e32 v2, v2, v13, vcc
	v_cndmask_b32_e32 v6, v6, v12, vcc
	v_lshlrev_b32_e32 v12, 24, v7
	v_mov_b32_e32 v13, 0x3b800000
	v_lshlrev_b32_e32 v2, 20, v2
	v_and_b32_e32 v12, 0x80000000, v12
	v_lshl_add_u32 v6, v6, 23, v13
	v_or3_b32 v2, v12, v6, v2
.LBB1_10660:
	s_or_b64 exec, exec, s[6:7]
	s_movk_i32 s4, 0x7f
	v_cmp_gt_i16_sdwa s[6:7], v3, s4 src0_sel:BYTE_0 src1_sel:DWORD
	s_mov_b64 s[4:5], 0
                                        ; implicit-def: $sgpr10
	s_and_saveexec_b64 s[8:9], s[6:7]
	s_xor_b64 s[6:7], exec, s[8:9]
	s_cbranch_execz .LBB1_10661
; %bb.46501:
	s_getpc_b64 s[14:15]
.Lpost_getpc8914:
	s_add_u32 s14, s14, (.LBB1_24997-.Lpost_getpc8914)&4294967295
	s_addc_u32 s15, s15, (.LBB1_24997-.Lpost_getpc8914)>>32
	s_setpc_b64 s[14:15]
.LBB1_10661:
	s_or_saveexec_b64 s[6:7], s[6:7]
	v_mov_b32_e32 v6, s10
	s_xor_b64 exec, exec, s[6:7]
	s_cbranch_execz .LBB1_10662
; %bb.46503:
	s_getpc_b64 s[14:15]
.Lpost_getpc8915:
	s_add_u32 s14, s14, (.LBB1_25000-.Lpost_getpc8915)&4294967295
	s_addc_u32 s15, s15, (.LBB1_25000-.Lpost_getpc8915)>>32
	s_setpc_b64 s[14:15]
.LBB1_10662:
	s_or_b64 exec, exec, s[6:7]
	s_and_saveexec_b64 s[6:7], s[4:5]
	s_cbranch_execz .LBB1_10664
.LBB1_10663:
	v_and_b32_e32 v6, 7, v3
	v_ffbh_u32_e32 v13, v6
	v_min_u32_e32 v13, 32, v13
	v_lshrrev_b16_e32 v12, 3, v3
	v_subrev_u32_e32 v14, 28, v13
	v_and_b32_e32 v12, 15, v12
	v_lshlrev_b32_e32 v14, v14, v3
	v_sub_u32_e32 v13, 29, v13
	v_and_b32_e32 v14, 7, v14
	v_cmp_eq_u16_e32 vcc, 0, v12
	v_cndmask_b32_e32 v6, v6, v14, vcc
	v_cndmask_b32_e32 v12, v12, v13, vcc
	v_lshlrev_b32_e32 v13, 24, v3
	v_mov_b32_e32 v14, 0x3b800000
	v_lshlrev_b32_e32 v6, 20, v6
	v_and_b32_e32 v13, 0x80000000, v13
	v_lshl_add_u32 v12, v12, 23, v14
	v_or3_b32 v6, v13, v12, v6
.LBB1_10664:
	s_or_b64 exec, exec, s[6:7]
	s_nop 0
	v_mfma_f32_16x16x4f32 a[0:3], v2, v6, a[0:3]
	v_lshrrev_b32_e32 v6, 8, v7
	s_movk_i32 s4, 0x7f
	v_cmp_gt_i16_sdwa s[6:7], v6, s4 src0_sel:BYTE_0 src1_sel:DWORD
	s_mov_b64 s[4:5], 0
                                        ; implicit-def: $sgpr10
	s_and_saveexec_b64 s[8:9], s[6:7]
	s_xor_b64 s[6:7], exec, s[8:9]
	s_cbranch_execz .LBB1_10665
; %bb.46505:
	s_getpc_b64 s[14:15]
.Lpost_getpc8916:
	s_add_u32 s14, s14, (.LBB1_25001-.Lpost_getpc8916)&4294967295
	s_addc_u32 s15, s15, (.LBB1_25001-.Lpost_getpc8916)>>32
	s_setpc_b64 s[14:15]
.LBB1_10665:
	s_or_saveexec_b64 s[6:7], s[6:7]
	v_mov_b32_e32 v2, s10
	s_xor_b64 exec, exec, s[6:7]
	s_cbranch_execz .LBB1_10666
; %bb.46507:
	s_getpc_b64 s[14:15]
.Lpost_getpc8917:
	s_add_u32 s14, s14, (.LBB1_25004-.Lpost_getpc8917)&4294967295
	s_addc_u32 s15, s15, (.LBB1_25004-.Lpost_getpc8917)>>32
	s_setpc_b64 s[14:15]
.LBB1_10666:
	s_or_b64 exec, exec, s[6:7]
	s_and_saveexec_b64 s[6:7], s[4:5]
	s_cbranch_execz .LBB1_10668
.LBB1_10667:
	v_bfe_u32 v2, v7, 8, 3
	v_ffbh_u32_e32 v13, v2
	v_min_u32_e32 v13, 32, v13
	v_lshrrev_b16_e32 v12, 3, v6
	v_subrev_u32_e32 v14, 28, v13
	v_and_b32_e32 v12, 15, v12
	v_lshlrev_b32_e32 v6, v14, v6
	v_sub_u32_e32 v13, 29, v13
	v_and_b32_e32 v6, 7, v6
	v_cmp_eq_u16_e32 vcc, 0, v12
	v_cndmask_b32_e32 v2, v2, v6, vcc
	v_cndmask_b32_e32 v6, v12, v13, vcc
	v_lshlrev_b32_e32 v12, 16, v7
	v_mov_b32_e32 v13, 0x3b800000
	v_lshlrev_b32_e32 v2, 20, v2
	v_and_b32_e32 v12, 0x80000000, v12
	v_lshl_add_u32 v6, v6, 23, v13
	v_or3_b32 v2, v12, v6, v2
.LBB1_10668:
	s_or_b64 exec, exec, s[6:7]
	v_lshrrev_b32_e32 v6, 8, v3
	s_movk_i32 s4, 0x7f
	v_cmp_gt_i16_sdwa s[6:7], v6, s4 src0_sel:BYTE_0 src1_sel:DWORD
	s_mov_b64 s[4:5], 0
                                        ; implicit-def: $sgpr10
	s_and_saveexec_b64 s[8:9], s[6:7]
	s_xor_b64 s[6:7], exec, s[8:9]
	s_cbranch_execz .LBB1_10669
; %bb.46509:
	s_getpc_b64 s[14:15]
.Lpost_getpc8918:
	s_add_u32 s14, s14, (.LBB1_25005-.Lpost_getpc8918)&4294967295
	s_addc_u32 s15, s15, (.LBB1_25005-.Lpost_getpc8918)>>32
	s_setpc_b64 s[14:15]
.LBB1_10669:
	s_or_saveexec_b64 s[6:7], s[6:7]
	v_mov_b32_e32 v12, s10
	s_xor_b64 exec, exec, s[6:7]
	s_cbranch_execz .LBB1_10670
; %bb.46511:
	s_getpc_b64 s[14:15]
.Lpost_getpc8919:
	s_add_u32 s14, s14, (.LBB1_25008-.Lpost_getpc8919)&4294967295
	s_addc_u32 s15, s15, (.LBB1_25008-.Lpost_getpc8919)>>32
	s_setpc_b64 s[14:15]
.LBB1_10670:
	s_or_b64 exec, exec, s[6:7]
	s_and_saveexec_b64 s[6:7], s[4:5]
	s_cbranch_execz .LBB1_10672
.LBB1_10671:
	v_bfe_u32 v12, v3, 8, 3
	v_ffbh_u32_e32 v14, v12
	v_min_u32_e32 v14, 32, v14
	v_lshrrev_b16_e32 v13, 3, v6
	v_subrev_u32_e32 v15, 28, v14
	v_and_b32_e32 v13, 15, v13
	v_lshlrev_b32_e32 v6, v15, v6
	v_sub_u32_e32 v14, 29, v14
	v_and_b32_e32 v6, 7, v6
	v_cmp_eq_u16_e32 vcc, 0, v13
	v_cndmask_b32_e32 v6, v12, v6, vcc
	v_cndmask_b32_e32 v12, v13, v14, vcc
	v_lshlrev_b32_e32 v13, 16, v3
	v_mov_b32_e32 v14, 0x3b800000
	v_lshlrev_b32_e32 v6, 20, v6
	v_and_b32_e32 v13, 0x80000000, v13
	v_lshl_add_u32 v12, v12, 23, v14
	v_or3_b32 v12, v13, v12, v6
.LBB1_10672:
	s_or_b64 exec, exec, s[6:7]
	s_nop 0
	v_mfma_f32_16x16x4f32 a[0:3], v2, v12, a[0:3]
	s_movk_i32 s4, 0xff
	v_and_b32_sdwa v6, v7, s4 dst_sel:DWORD dst_unused:UNUSED_PAD src0_sel:WORD_1 src1_sel:DWORD
	s_movk_i32 s4, 0x7f
	v_cmp_lt_i16_e32 vcc, s4, v6
	s_mov_b64 s[4:5], 0
                                        ; implicit-def: $sgpr10
	s_and_saveexec_b64 s[6:7], vcc
	s_xor_b64 s[6:7], exec, s[6:7]
	s_cbranch_execz .LBB1_10673
; %bb.46513:
	s_getpc_b64 s[14:15]
.Lpost_getpc8920:
	s_add_u32 s14, s14, (.LBB1_25009-.Lpost_getpc8920)&4294967295
	s_addc_u32 s15, s15, (.LBB1_25009-.Lpost_getpc8920)>>32
	s_setpc_b64 s[14:15]
.LBB1_10673:
	s_or_saveexec_b64 s[6:7], s[6:7]
	v_mov_b32_e32 v2, s10
	s_xor_b64 exec, exec, s[6:7]
	s_cbranch_execz .LBB1_10674
; %bb.46515:
	s_getpc_b64 s[14:15]
.Lpost_getpc8921:
	s_add_u32 s14, s14, (.LBB1_25012-.Lpost_getpc8921)&4294967295
	s_addc_u32 s15, s15, (.LBB1_25012-.Lpost_getpc8921)>>32
	s_setpc_b64 s[14:15]
.LBB1_10674:
	s_or_b64 exec, exec, s[6:7]
	s_and_saveexec_b64 s[6:7], s[4:5]
	s_cbranch_execz .LBB1_10676
.LBB1_10675:
	v_bfe_u32 v2, v7, 16, 3
	v_ffbh_u32_e32 v13, v2
	v_min_u32_e32 v13, 32, v13
	v_lshrrev_b32_e32 v6, 19, v7
	v_subrev_u32_e32 v14, 28, v13
	v_and_b32_e32 v6, 15, v6
	v_lshlrev_b32_sdwa v14, v14, v7 dst_sel:DWORD dst_unused:UNUSED_PAD src0_sel:DWORD src1_sel:WORD_1
	v_bfe_u32 v12, v7, 19, 4
	v_sub_u32_e32 v13, 29, v13
	v_and_b32_e32 v14, 7, v14
	v_cmp_eq_u16_e32 vcc, 0, v6
	v_cndmask_b32_e32 v2, v2, v14, vcc
	v_cndmask_b32_e32 v6, v12, v13, vcc
	v_lshlrev_b32_e32 v12, 8, v7
	v_mov_b32_e32 v13, 0x3b800000
	v_lshlrev_b32_e32 v2, 20, v2
	v_and_b32_e32 v12, 0x80000000, v12
	v_lshl_add_u32 v6, v6, 23, v13
	v_or3_b32 v2, v12, v6, v2
.LBB1_10676:
	s_or_b64 exec, exec, s[6:7]
	s_movk_i32 s4, 0xff
	v_and_b32_sdwa v6, v3, s4 dst_sel:DWORD dst_unused:UNUSED_PAD src0_sel:WORD_1 src1_sel:DWORD
	s_movk_i32 s4, 0x7f
	v_cmp_lt_i16_e32 vcc, s4, v6
	s_mov_b64 s[4:5], 0
                                        ; implicit-def: $sgpr10
	s_and_saveexec_b64 s[6:7], vcc
	s_xor_b64 s[6:7], exec, s[6:7]
	s_cbranch_execz .LBB1_10677
; %bb.46517:
	s_getpc_b64 s[14:15]
.Lpost_getpc8922:
	s_add_u32 s14, s14, (.LBB1_25013-.Lpost_getpc8922)&4294967295
	s_addc_u32 s15, s15, (.LBB1_25013-.Lpost_getpc8922)>>32
	s_setpc_b64 s[14:15]
.LBB1_10677:
	s_or_saveexec_b64 s[6:7], s[6:7]
	v_mov_b32_e32 v12, s10
	s_xor_b64 exec, exec, s[6:7]
	s_cbranch_execz .LBB1_10678
; %bb.46519:
	s_getpc_b64 s[14:15]
.Lpost_getpc8923:
	s_add_u32 s14, s14, (.LBB1_25016-.Lpost_getpc8923)&4294967295
	s_addc_u32 s15, s15, (.LBB1_25016-.Lpost_getpc8923)>>32
	s_setpc_b64 s[14:15]
.LBB1_10678:
	s_or_b64 exec, exec, s[6:7]
	s_and_saveexec_b64 s[6:7], s[4:5]
	s_cbranch_execz .LBB1_10680
.LBB1_10679:
	v_bfe_u32 v6, v3, 16, 3
	v_ffbh_u32_e32 v14, v6
	v_min_u32_e32 v14, 32, v14
	v_lshrrev_b32_e32 v12, 19, v3
	v_subrev_u32_e32 v15, 28, v14
	v_and_b32_e32 v12, 15, v12
	v_lshlrev_b32_sdwa v15, v15, v3 dst_sel:DWORD dst_unused:UNUSED_PAD src0_sel:DWORD src1_sel:WORD_1
	v_bfe_u32 v13, v3, 19, 4
	v_sub_u32_e32 v14, 29, v14
	v_and_b32_e32 v15, 7, v15
	v_cmp_eq_u16_e32 vcc, 0, v12
	v_cndmask_b32_e32 v6, v6, v15, vcc
	v_cndmask_b32_e32 v12, v13, v14, vcc
	v_lshlrev_b32_e32 v13, 8, v3
	v_mov_b32_e32 v14, 0x3b800000
	v_lshlrev_b32_e32 v6, 20, v6
	v_and_b32_e32 v13, 0x80000000, v13
	v_lshl_add_u32 v12, v12, 23, v14
	v_or3_b32 v12, v13, v12, v6
.LBB1_10680:
	s_or_b64 exec, exec, s[6:7]
	s_nop 0
	v_mfma_f32_16x16x4f32 a[0:3], v2, v12, a[0:3]
	s_movk_i32 s4, 0x7f
	v_cmp_gt_i16_sdwa s[6:7], v7, s4 src0_sel:BYTE_3 src1_sel:DWORD
	s_mov_b64 s[4:5], 0
                                        ; implicit-def: $sgpr10
	s_and_saveexec_b64 s[8:9], s[6:7]
	s_xor_b64 s[6:7], exec, s[8:9]
	s_cbranch_execz .LBB1_10681
; %bb.46521:
	s_getpc_b64 s[14:15]
.Lpost_getpc8924:
	s_add_u32 s14, s14, (.LBB1_25017-.Lpost_getpc8924)&4294967295
	s_addc_u32 s15, s15, (.LBB1_25017-.Lpost_getpc8924)>>32
	s_setpc_b64 s[14:15]
.LBB1_10681:
	s_or_saveexec_b64 s[6:7], s[6:7]
	v_mov_b32_e32 v2, s10
	s_xor_b64 exec, exec, s[6:7]
	s_cbranch_execz .LBB1_10682
; %bb.46523:
	s_getpc_b64 s[14:15]
.Lpost_getpc8925:
	s_add_u32 s14, s14, (.LBB1_25020-.Lpost_getpc8925)&4294967295
	s_addc_u32 s15, s15, (.LBB1_25020-.Lpost_getpc8925)>>32
	s_setpc_b64 s[14:15]
.LBB1_10682:
	s_or_b64 exec, exec, s[6:7]
	s_and_saveexec_b64 s[6:7], s[4:5]
	s_cbranch_execz .LBB1_10684
.LBB1_10683:
	v_bfe_u32 v2, v7, 24, 3
	v_ffbh_u32_e32 v14, v2
	v_min_u32_e32 v14, 32, v14
	v_lshrrev_b32_e32 v12, 27, v7
	v_subrev_u32_e32 v15, 28, v14
	v_and_b32_e32 v6, 0x80000000, v7
	v_and_b32_e32 v12, 15, v12
	v_bfe_u32 v13, v7, 27, 4
	v_lshlrev_b32_sdwa v7, v15, v7 dst_sel:DWORD dst_unused:UNUSED_PAD src0_sel:DWORD src1_sel:BYTE_3
	v_sub_u32_e32 v14, 29, v14
	v_and_b32_e32 v7, 7, v7
	v_cmp_eq_u16_e32 vcc, 0, v12
	v_cndmask_b32_e32 v2, v2, v7, vcc
	v_cndmask_b32_e32 v7, v13, v14, vcc
	v_mov_b32_e32 v12, 0x3b800000
	v_lshlrev_b32_e32 v2, 20, v2
	v_lshl_add_u32 v7, v7, 23, v12
	v_or3_b32 v2, v6, v7, v2
.LBB1_10684:
	s_or_b64 exec, exec, s[6:7]
	s_movk_i32 s4, 0x7f
	v_cmp_gt_i16_sdwa s[6:7], v3, s4 src0_sel:BYTE_3 src1_sel:DWORD
	s_mov_b64 s[4:5], 0
                                        ; implicit-def: $sgpr10
	s_and_saveexec_b64 s[8:9], s[6:7]
	s_xor_b64 s[6:7], exec, s[8:9]
	s_cbranch_execz .LBB1_10685
; %bb.46525:
	s_getpc_b64 s[14:15]
.Lpost_getpc8926:
	s_add_u32 s14, s14, (.LBB1_25021-.Lpost_getpc8926)&4294967295
	s_addc_u32 s15, s15, (.LBB1_25021-.Lpost_getpc8926)>>32
	s_setpc_b64 s[14:15]
.LBB1_10685:
	s_or_saveexec_b64 s[6:7], s[6:7]
	v_mov_b32_e32 v6, s10
	s_xor_b64 exec, exec, s[6:7]
	s_cbranch_execz .LBB1_10686
; %bb.46527:
	s_getpc_b64 s[14:15]
.Lpost_getpc8927:
	s_add_u32 s14, s14, (.LBB1_25024-.Lpost_getpc8927)&4294967295
	s_addc_u32 s15, s15, (.LBB1_25024-.Lpost_getpc8927)>>32
	s_setpc_b64 s[14:15]
.LBB1_10686:
	s_or_b64 exec, exec, s[6:7]
	s_and_saveexec_b64 s[6:7], s[4:5]
	s_cbranch_execz .LBB1_10688
.LBB1_10687:
	v_bfe_u32 v6, v3, 24, 3
	v_ffbh_u32_e32 v14, v6
	v_min_u32_e32 v14, 32, v14
	v_lshrrev_b32_e32 v12, 27, v3
	v_subrev_u32_e32 v15, 28, v14
	v_and_b32_e32 v7, 0x80000000, v3
	v_and_b32_e32 v12, 15, v12
	v_bfe_u32 v13, v3, 27, 4
	v_lshlrev_b32_sdwa v3, v15, v3 dst_sel:DWORD dst_unused:UNUSED_PAD src0_sel:DWORD src1_sel:BYTE_3
	v_sub_u32_e32 v14, 29, v14
	v_and_b32_e32 v3, 7, v3
	v_cmp_eq_u16_e32 vcc, 0, v12
	v_cndmask_b32_e32 v3, v6, v3, vcc
	v_cndmask_b32_e32 v6, v13, v14, vcc
	v_mov_b32_e32 v12, 0x3b800000
	v_lshlrev_b32_e32 v3, 20, v3
	v_lshl_add_u32 v6, v6, 23, v12
	v_or3_b32 v6, v7, v6, v3
.LBB1_10688:
	s_or_b64 exec, exec, s[6:7]
	s_nop 0
	v_mfma_f32_16x16x4f32 a[0:3], v2, v6, a[0:3]
	s_movk_i32 s4, 0x7f
	v_cmp_gt_i16_sdwa s[6:7], v8, s4 src0_sel:BYTE_0 src1_sel:DWORD
	s_mov_b64 s[4:5], 0
                                        ; implicit-def: $sgpr10
	s_and_saveexec_b64 s[8:9], s[6:7]
	s_xor_b64 s[6:7], exec, s[8:9]
	s_cbranch_execz .LBB1_10689
; %bb.46529:
	s_getpc_b64 s[14:15]
.Lpost_getpc8928:
	s_add_u32 s14, s14, (.LBB1_25025-.Lpost_getpc8928)&4294967295
	s_addc_u32 s15, s15, (.LBB1_25025-.Lpost_getpc8928)>>32
	s_setpc_b64 s[14:15]
.LBB1_10689:
	s_or_saveexec_b64 s[6:7], s[6:7]
	v_mov_b32_e32 v2, s10
	s_xor_b64 exec, exec, s[6:7]
	s_cbranch_execz .LBB1_10690
; %bb.46531:
	s_getpc_b64 s[14:15]
.Lpost_getpc8929:
	s_add_u32 s14, s14, (.LBB1_25028-.Lpost_getpc8929)&4294967295
	s_addc_u32 s15, s15, (.LBB1_25028-.Lpost_getpc8929)>>32
	s_setpc_b64 s[14:15]
.LBB1_10690:
	s_or_b64 exec, exec, s[6:7]
	s_and_saveexec_b64 s[6:7], s[4:5]
	s_cbranch_execz .LBB1_10692
.LBB1_10691:
	v_and_b32_e32 v2, 7, v8
	v_ffbh_u32_e32 v6, v2
	v_min_u32_e32 v6, 32, v6
	v_lshrrev_b16_e32 v3, 3, v8
	v_subrev_u32_e32 v7, 28, v6
	v_and_b32_e32 v3, 15, v3
	v_lshlrev_b32_e32 v7, v7, v8
	v_sub_u32_e32 v6, 29, v6
	v_and_b32_e32 v7, 7, v7
	v_cmp_eq_u16_e32 vcc, 0, v3
	v_cndmask_b32_e32 v2, v2, v7, vcc
	v_cndmask_b32_e32 v3, v3, v6, vcc
	v_lshlrev_b32_e32 v6, 24, v8
	v_mov_b32_e32 v7, 0x3b800000
	v_lshlrev_b32_e32 v2, 20, v2
	v_and_b32_e32 v6, 0x80000000, v6
	v_lshl_add_u32 v3, v3, 23, v7
	v_or3_b32 v2, v6, v3, v2
.LBB1_10692:
	s_or_b64 exec, exec, s[6:7]
	s_movk_i32 s4, 0x7f
	v_cmp_gt_i16_sdwa s[6:7], v4, s4 src0_sel:BYTE_0 src1_sel:DWORD
	s_mov_b64 s[4:5], 0
                                        ; implicit-def: $sgpr10
	s_and_saveexec_b64 s[8:9], s[6:7]
	s_xor_b64 s[6:7], exec, s[8:9]
	s_cbranch_execz .LBB1_10693
; %bb.46533:
	s_getpc_b64 s[14:15]
.Lpost_getpc8930:
	s_add_u32 s14, s14, (.LBB1_25029-.Lpost_getpc8930)&4294967295
	s_addc_u32 s15, s15, (.LBB1_25029-.Lpost_getpc8930)>>32
	s_setpc_b64 s[14:15]
.LBB1_10693:
	s_or_saveexec_b64 s[6:7], s[6:7]
	v_mov_b32_e32 v3, s10
	s_xor_b64 exec, exec, s[6:7]
	s_cbranch_execz .LBB1_10694
; %bb.46535:
	s_getpc_b64 s[14:15]
.Lpost_getpc8931:
	s_add_u32 s14, s14, (.LBB1_25032-.Lpost_getpc8931)&4294967295
	s_addc_u32 s15, s15, (.LBB1_25032-.Lpost_getpc8931)>>32
	s_setpc_b64 s[14:15]
.LBB1_10694:
	s_or_b64 exec, exec, s[6:7]
	s_and_saveexec_b64 s[6:7], s[4:5]
	s_cbranch_execz .LBB1_10696
.LBB1_10695:
	v_and_b32_e32 v3, 7, v4
	v_ffbh_u32_e32 v7, v3
	v_min_u32_e32 v7, 32, v7
	v_lshrrev_b16_e32 v6, 3, v4
	v_subrev_u32_e32 v12, 28, v7
	v_and_b32_e32 v6, 15, v6
	v_lshlrev_b32_e32 v12, v12, v4
	v_sub_u32_e32 v7, 29, v7
	v_and_b32_e32 v12, 7, v12
	v_cmp_eq_u16_e32 vcc, 0, v6
	v_cndmask_b32_e32 v3, v3, v12, vcc
	v_cndmask_b32_e32 v6, v6, v7, vcc
	v_lshlrev_b32_e32 v7, 24, v4
	v_mov_b32_e32 v12, 0x3b800000
	v_lshlrev_b32_e32 v3, 20, v3
	v_and_b32_e32 v7, 0x80000000, v7
	v_lshl_add_u32 v6, v6, 23, v12
	v_or3_b32 v3, v7, v6, v3
.LBB1_10696:
	s_or_b64 exec, exec, s[6:7]
	s_nop 0
	v_mfma_f32_16x16x4f32 a[0:3], v2, v3, a[0:3]
	v_lshrrev_b32_e32 v3, 8, v8
	s_movk_i32 s4, 0x7f
	v_cmp_gt_i16_sdwa s[6:7], v3, s4 src0_sel:BYTE_0 src1_sel:DWORD
	s_mov_b64 s[4:5], 0
                                        ; implicit-def: $sgpr10
	s_and_saveexec_b64 s[8:9], s[6:7]
	s_xor_b64 s[6:7], exec, s[8:9]
	s_cbranch_execz .LBB1_10697
; %bb.46537:
	s_getpc_b64 s[14:15]
.Lpost_getpc8932:
	s_add_u32 s14, s14, (.LBB1_25033-.Lpost_getpc8932)&4294967295
	s_addc_u32 s15, s15, (.LBB1_25033-.Lpost_getpc8932)>>32
	s_setpc_b64 s[14:15]
.LBB1_10697:
	s_or_saveexec_b64 s[6:7], s[6:7]
	v_mov_b32_e32 v2, s10
	s_xor_b64 exec, exec, s[6:7]
	s_cbranch_execz .LBB1_10698
; %bb.46539:
	s_getpc_b64 s[14:15]
.Lpost_getpc8933:
	s_add_u32 s14, s14, (.LBB1_25036-.Lpost_getpc8933)&4294967295
	s_addc_u32 s15, s15, (.LBB1_25036-.Lpost_getpc8933)>>32
	s_setpc_b64 s[14:15]
.LBB1_10698:
	s_or_b64 exec, exec, s[6:7]
	s_and_saveexec_b64 s[6:7], s[4:5]
	s_cbranch_execz .LBB1_10700
.LBB1_10699:
	v_bfe_u32 v2, v8, 8, 3
	v_ffbh_u32_e32 v7, v2
	v_min_u32_e32 v7, 32, v7
	v_lshrrev_b16_e32 v6, 3, v3
	v_subrev_u32_e32 v12, 28, v7
	v_and_b32_e32 v6, 15, v6
	v_lshlrev_b32_e32 v3, v12, v3
	v_sub_u32_e32 v7, 29, v7
	v_and_b32_e32 v3, 7, v3
	v_cmp_eq_u16_e32 vcc, 0, v6
	v_cndmask_b32_e32 v2, v2, v3, vcc
	v_cndmask_b32_e32 v3, v6, v7, vcc
	v_lshlrev_b32_e32 v6, 16, v8
	v_mov_b32_e32 v7, 0x3b800000
	v_lshlrev_b32_e32 v2, 20, v2
	v_and_b32_e32 v6, 0x80000000, v6
	v_lshl_add_u32 v3, v3, 23, v7
	v_or3_b32 v2, v6, v3, v2
.LBB1_10700:
	s_or_b64 exec, exec, s[6:7]
	v_lshrrev_b32_e32 v3, 8, v4
	s_movk_i32 s4, 0x7f
	v_cmp_gt_i16_sdwa s[6:7], v3, s4 src0_sel:BYTE_0 src1_sel:DWORD
	s_mov_b64 s[4:5], 0
                                        ; implicit-def: $sgpr10
	s_and_saveexec_b64 s[8:9], s[6:7]
	s_xor_b64 s[6:7], exec, s[8:9]
	s_cbranch_execz .LBB1_10701
; %bb.46541:
	s_getpc_b64 s[14:15]
.Lpost_getpc8934:
	s_add_u32 s14, s14, (.LBB1_25037-.Lpost_getpc8934)&4294967295
	s_addc_u32 s15, s15, (.LBB1_25037-.Lpost_getpc8934)>>32
	s_setpc_b64 s[14:15]
.LBB1_10701:
	s_or_saveexec_b64 s[6:7], s[6:7]
	v_mov_b32_e32 v6, s10
	s_xor_b64 exec, exec, s[6:7]
	s_cbranch_execz .LBB1_10702
; %bb.46543:
	s_getpc_b64 s[14:15]
.Lpost_getpc8935:
	s_add_u32 s14, s14, (.LBB1_25040-.Lpost_getpc8935)&4294967295
	s_addc_u32 s15, s15, (.LBB1_25040-.Lpost_getpc8935)>>32
	s_setpc_b64 s[14:15]
.LBB1_10702:
	s_or_b64 exec, exec, s[6:7]
	s_and_saveexec_b64 s[6:7], s[4:5]
	s_cbranch_execz .LBB1_10704
.LBB1_10703:
	v_bfe_u32 v6, v4, 8, 3
	v_ffbh_u32_e32 v12, v6
	v_min_u32_e32 v12, 32, v12
	v_lshrrev_b16_e32 v7, 3, v3
	v_subrev_u32_e32 v13, 28, v12
	v_and_b32_e32 v7, 15, v7
	v_lshlrev_b32_e32 v3, v13, v3
	v_sub_u32_e32 v12, 29, v12
	v_and_b32_e32 v3, 7, v3
	v_cmp_eq_u16_e32 vcc, 0, v7
	v_cndmask_b32_e32 v3, v6, v3, vcc
	v_cndmask_b32_e32 v6, v7, v12, vcc
	v_lshlrev_b32_e32 v7, 16, v4
	v_mov_b32_e32 v12, 0x3b800000
	v_lshlrev_b32_e32 v3, 20, v3
	v_and_b32_e32 v7, 0x80000000, v7
	v_lshl_add_u32 v6, v6, 23, v12
	v_or3_b32 v6, v7, v6, v3
.LBB1_10704:
	s_or_b64 exec, exec, s[6:7]
	s_nop 0
	v_mfma_f32_16x16x4f32 a[0:3], v2, v6, a[0:3]
	s_movk_i32 s4, 0xff
	v_and_b32_sdwa v3, v8, s4 dst_sel:DWORD dst_unused:UNUSED_PAD src0_sel:WORD_1 src1_sel:DWORD
	s_movk_i32 s4, 0x7f
	v_cmp_lt_i16_e32 vcc, s4, v3
	s_mov_b64 s[4:5], 0
                                        ; implicit-def: $sgpr10
	s_and_saveexec_b64 s[6:7], vcc
	s_xor_b64 s[6:7], exec, s[6:7]
	s_cbranch_execz .LBB1_10705
; %bb.46545:
	s_getpc_b64 s[14:15]
.Lpost_getpc8936:
	s_add_u32 s14, s14, (.LBB1_25041-.Lpost_getpc8936)&4294967295
	s_addc_u32 s15, s15, (.LBB1_25041-.Lpost_getpc8936)>>32
	s_setpc_b64 s[14:15]
.LBB1_10705:
	s_or_saveexec_b64 s[6:7], s[6:7]
	v_mov_b32_e32 v2, s10
	s_xor_b64 exec, exec, s[6:7]
	s_cbranch_execz .LBB1_10706
; %bb.46547:
	s_getpc_b64 s[14:15]
.Lpost_getpc8937:
	s_add_u32 s14, s14, (.LBB1_25044-.Lpost_getpc8937)&4294967295
	s_addc_u32 s15, s15, (.LBB1_25044-.Lpost_getpc8937)>>32
	s_setpc_b64 s[14:15]
.LBB1_10706:
	s_or_b64 exec, exec, s[6:7]
	s_and_saveexec_b64 s[6:7], s[4:5]
	s_cbranch_execz .LBB1_10708
.LBB1_10707:
	v_bfe_u32 v2, v8, 16, 3
	v_ffbh_u32_e32 v7, v2
	v_min_u32_e32 v7, 32, v7
	v_lshrrev_b32_e32 v3, 19, v8
	v_subrev_u32_e32 v12, 28, v7
	v_and_b32_e32 v3, 15, v3
	v_lshlrev_b32_sdwa v12, v12, v8 dst_sel:DWORD dst_unused:UNUSED_PAD src0_sel:DWORD src1_sel:WORD_1
	v_bfe_u32 v6, v8, 19, 4
	v_sub_u32_e32 v7, 29, v7
	v_and_b32_e32 v12, 7, v12
	v_cmp_eq_u16_e32 vcc, 0, v3
	v_cndmask_b32_e32 v2, v2, v12, vcc
	v_cndmask_b32_e32 v3, v6, v7, vcc
	v_lshlrev_b32_e32 v6, 8, v8
	v_mov_b32_e32 v7, 0x3b800000
	v_lshlrev_b32_e32 v2, 20, v2
	v_and_b32_e32 v6, 0x80000000, v6
	v_lshl_add_u32 v3, v3, 23, v7
	v_or3_b32 v2, v6, v3, v2
.LBB1_10708:
	s_or_b64 exec, exec, s[6:7]
	s_movk_i32 s4, 0xff
	v_and_b32_sdwa v3, v4, s4 dst_sel:DWORD dst_unused:UNUSED_PAD src0_sel:WORD_1 src1_sel:DWORD
	s_movk_i32 s4, 0x7f
	v_cmp_lt_i16_e32 vcc, s4, v3
	s_mov_b64 s[4:5], 0
                                        ; implicit-def: $sgpr10
	s_and_saveexec_b64 s[6:7], vcc
	s_xor_b64 s[6:7], exec, s[6:7]
	s_cbranch_execz .LBB1_10709
; %bb.46549:
	s_getpc_b64 s[14:15]
.Lpost_getpc8938:
	s_add_u32 s14, s14, (.LBB1_25045-.Lpost_getpc8938)&4294967295
	s_addc_u32 s15, s15, (.LBB1_25045-.Lpost_getpc8938)>>32
	s_setpc_b64 s[14:15]
.LBB1_10709:
	s_or_saveexec_b64 s[6:7], s[6:7]
	v_mov_b32_e32 v6, s10
	s_xor_b64 exec, exec, s[6:7]
	s_cbranch_execz .LBB1_10710
; %bb.46551:
	s_getpc_b64 s[14:15]
.Lpost_getpc8939:
	s_add_u32 s14, s14, (.LBB1_25048-.Lpost_getpc8939)&4294967295
	s_addc_u32 s15, s15, (.LBB1_25048-.Lpost_getpc8939)>>32
	s_setpc_b64 s[14:15]
.LBB1_10710:
	s_or_b64 exec, exec, s[6:7]
	s_and_saveexec_b64 s[6:7], s[4:5]
	s_cbranch_execz .LBB1_10712
.LBB1_10711:
	v_bfe_u32 v3, v4, 16, 3
	v_ffbh_u32_e32 v12, v3
	v_min_u32_e32 v12, 32, v12
	v_lshrrev_b32_e32 v6, 19, v4
	v_subrev_u32_e32 v13, 28, v12
	v_and_b32_e32 v6, 15, v6
	v_lshlrev_b32_sdwa v13, v13, v4 dst_sel:DWORD dst_unused:UNUSED_PAD src0_sel:DWORD src1_sel:WORD_1
	v_bfe_u32 v7, v4, 19, 4
	v_sub_u32_e32 v12, 29, v12
	v_and_b32_e32 v13, 7, v13
	v_cmp_eq_u16_e32 vcc, 0, v6
	v_cndmask_b32_e32 v3, v3, v13, vcc
	v_cndmask_b32_e32 v6, v7, v12, vcc
	v_lshlrev_b32_e32 v7, 8, v4
	v_mov_b32_e32 v12, 0x3b800000
	v_lshlrev_b32_e32 v3, 20, v3
	v_and_b32_e32 v7, 0x80000000, v7
	v_lshl_add_u32 v6, v6, 23, v12
	v_or3_b32 v6, v7, v6, v3
.LBB1_10712:
	s_or_b64 exec, exec, s[6:7]
	s_nop 0
	v_mfma_f32_16x16x4f32 a[0:3], v2, v6, a[0:3]
	s_movk_i32 s4, 0x7f
	v_cmp_gt_i16_sdwa s[6:7], v8, s4 src0_sel:BYTE_3 src1_sel:DWORD
	s_mov_b64 s[4:5], 0
                                        ; implicit-def: $sgpr10
	s_and_saveexec_b64 s[8:9], s[6:7]
	s_xor_b64 s[6:7], exec, s[8:9]
	s_cbranch_execz .LBB1_10713
; %bb.46553:
	s_getpc_b64 s[14:15]
.Lpost_getpc8940:
	s_add_u32 s14, s14, (.LBB1_25049-.Lpost_getpc8940)&4294967295
	s_addc_u32 s15, s15, (.LBB1_25049-.Lpost_getpc8940)>>32
	s_setpc_b64 s[14:15]
.LBB1_10713:
	s_or_saveexec_b64 s[6:7], s[6:7]
	v_mov_b32_e32 v2, s10
	s_xor_b64 exec, exec, s[6:7]
	s_cbranch_execz .LBB1_10714
; %bb.46555:
	s_getpc_b64 s[14:15]
.Lpost_getpc8941:
	s_add_u32 s14, s14, (.LBB1_25052-.Lpost_getpc8941)&4294967295
	s_addc_u32 s15, s15, (.LBB1_25052-.Lpost_getpc8941)>>32
	s_setpc_b64 s[14:15]
.LBB1_10714:
	s_or_b64 exec, exec, s[6:7]
	s_and_saveexec_b64 s[6:7], s[4:5]
	s_cbranch_execz .LBB1_10716
.LBB1_10715:
	v_bfe_u32 v2, v8, 24, 3
	v_ffbh_u32_e32 v12, v2
	v_min_u32_e32 v12, 32, v12
	v_lshrrev_b32_e32 v6, 27, v8
	v_subrev_u32_e32 v13, 28, v12
	v_and_b32_e32 v3, 0x80000000, v8
	v_and_b32_e32 v6, 15, v6
	v_bfe_u32 v7, v8, 27, 4
	v_lshlrev_b32_sdwa v8, v13, v8 dst_sel:DWORD dst_unused:UNUSED_PAD src0_sel:DWORD src1_sel:BYTE_3
	v_sub_u32_e32 v12, 29, v12
	v_and_b32_e32 v8, 7, v8
	v_cmp_eq_u16_e32 vcc, 0, v6
	v_cndmask_b32_e32 v2, v2, v8, vcc
	v_cndmask_b32_e32 v6, v7, v12, vcc
	v_mov_b32_e32 v7, 0x3b800000
	v_lshlrev_b32_e32 v2, 20, v2
	v_lshl_add_u32 v6, v6, 23, v7
	v_or3_b32 v2, v3, v6, v2
.LBB1_10716:
	s_or_b64 exec, exec, s[6:7]
	s_movk_i32 s4, 0x7f
	v_cmp_gt_i16_sdwa s[6:7], v4, s4 src0_sel:BYTE_3 src1_sel:DWORD
	s_mov_b64 s[4:5], 0
                                        ; implicit-def: $sgpr10
	s_and_saveexec_b64 s[8:9], s[6:7]
	s_xor_b64 s[6:7], exec, s[8:9]
	s_cbranch_execz .LBB1_10717
; %bb.46557:
	s_getpc_b64 s[14:15]
.Lpost_getpc8942:
	s_add_u32 s14, s14, (.LBB1_25053-.Lpost_getpc8942)&4294967295
	s_addc_u32 s15, s15, (.LBB1_25053-.Lpost_getpc8942)>>32
	s_setpc_b64 s[14:15]
.LBB1_10717:
	s_or_saveexec_b64 s[6:7], s[6:7]
	v_mov_b32_e32 v3, s10
	s_xor_b64 exec, exec, s[6:7]
	s_cbranch_execz .LBB1_10718
; %bb.46559:
	s_getpc_b64 s[14:15]
.Lpost_getpc8943:
	s_add_u32 s14, s14, (.LBB1_25056-.Lpost_getpc8943)&4294967295
	s_addc_u32 s15, s15, (.LBB1_25056-.Lpost_getpc8943)>>32
	s_setpc_b64 s[14:15]
.LBB1_10718:
	s_or_b64 exec, exec, s[6:7]
	s_and_saveexec_b64 s[6:7], s[4:5]
	s_cbranch_execz .LBB1_10720
.LBB1_10719:
	v_bfe_u32 v3, v4, 24, 3
	v_ffbh_u32_e32 v12, v3
	v_min_u32_e32 v12, 32, v12
	v_lshrrev_b32_e32 v7, 27, v4
	v_subrev_u32_e32 v13, 28, v12
	v_and_b32_e32 v6, 0x80000000, v4
	v_and_b32_e32 v7, 15, v7
	v_bfe_u32 v8, v4, 27, 4
	v_lshlrev_b32_sdwa v4, v13, v4 dst_sel:DWORD dst_unused:UNUSED_PAD src0_sel:DWORD src1_sel:BYTE_3
	v_sub_u32_e32 v12, 29, v12
	v_and_b32_e32 v4, 7, v4
	v_cmp_eq_u16_e32 vcc, 0, v7
	v_cndmask_b32_e32 v3, v3, v4, vcc
	v_cndmask_b32_e32 v4, v8, v12, vcc
	v_mov_b32_e32 v7, 0x3b800000
	v_lshlrev_b32_e32 v3, 20, v3
	v_lshl_add_u32 v4, v4, 23, v7
	v_or3_b32 v3, v6, v4, v3
.LBB1_10720:
	s_or_b64 exec, exec, s[6:7]
	s_nop 0
	v_mfma_f32_16x16x4f32 a[0:3], v2, v3, a[0:3]
	s_movk_i32 s4, 0x7f
	v_cmp_gt_i16_sdwa s[6:7], v9, s4 src0_sel:BYTE_0 src1_sel:DWORD
	s_mov_b64 s[4:5], 0
                                        ; implicit-def: $sgpr10
	s_and_saveexec_b64 s[8:9], s[6:7]
	s_xor_b64 s[6:7], exec, s[8:9]
	s_cbranch_execz .LBB1_10721
; %bb.46561:
	s_getpc_b64 s[14:15]
.Lpost_getpc8944:
	s_add_u32 s14, s14, (.LBB1_25057-.Lpost_getpc8944)&4294967295
	s_addc_u32 s15, s15, (.LBB1_25057-.Lpost_getpc8944)>>32
	s_setpc_b64 s[14:15]
.LBB1_10721:
	s_or_saveexec_b64 s[6:7], s[6:7]
	v_mov_b32_e32 v2, s10
	s_xor_b64 exec, exec, s[6:7]
	s_cbranch_execz .LBB1_10722
; %bb.46563:
	s_getpc_b64 s[14:15]
.Lpost_getpc8945:
	s_add_u32 s14, s14, (.LBB1_25060-.Lpost_getpc8945)&4294967295
	s_addc_u32 s15, s15, (.LBB1_25060-.Lpost_getpc8945)>>32
	s_setpc_b64 s[14:15]
.LBB1_10722:
	s_or_b64 exec, exec, s[6:7]
	s_and_saveexec_b64 s[6:7], s[4:5]
	s_cbranch_execz .LBB1_10724
.LBB1_10723:
	v_mov_b32_e32 v2, 8
	v_and_b32_e32 v3, 7, v9
	v_lshrrev_b32_sdwa v2, v2, v9 dst_sel:BYTE_1 dst_unused:UNUSED_PAD src0_sel:DWORD src1_sel:DWORD
	v_ffbh_u32_e32 v4, v3
	v_or_b32_sdwa v2, v9, v2 dst_sel:DWORD dst_unused:UNUSED_PAD src0_sel:BYTE_0 src1_sel:DWORD
	v_min_u32_e32 v4, 32, v4
	v_lshrrev_b16_e32 v2, 3, v2
	v_subrev_u32_e32 v6, 28, v4
	v_and_b32_e32 v2, 15, v2
	v_lshlrev_b32_e32 v6, v6, v9
	v_sub_u32_e32 v4, 29, v4
	v_and_b32_e32 v6, 7, v6
	v_cmp_eq_u16_e32 vcc, 0, v2
	v_cndmask_b32_e32 v3, v3, v6, vcc
	v_cndmask_b32_e32 v2, v2, v4, vcc
	v_lshlrev_b32_e32 v4, 24, v9
	v_mov_b32_e32 v6, 0x3b800000
	v_lshlrev_b32_e32 v3, 20, v3
	v_and_b32_e32 v4, 0x80000000, v4
	v_lshl_add_u32 v2, v2, 23, v6
	v_or3_b32 v2, v4, v2, v3
.LBB1_10724:
	s_or_b64 exec, exec, s[6:7]
	s_movk_i32 s4, 0x7f
	v_cmp_gt_i16_sdwa s[6:7], v5, s4 src0_sel:BYTE_0 src1_sel:DWORD
	s_mov_b64 s[4:5], 0
                                        ; implicit-def: $sgpr10
	s_and_saveexec_b64 s[8:9], s[6:7]
	s_xor_b64 s[6:7], exec, s[8:9]
	s_cbranch_execz .LBB1_10725
; %bb.46565:
	s_getpc_b64 s[14:15]
.Lpost_getpc8946:
	s_add_u32 s14, s14, (.LBB1_25061-.Lpost_getpc8946)&4294967295
	s_addc_u32 s15, s15, (.LBB1_25061-.Lpost_getpc8946)>>32
	s_setpc_b64 s[14:15]
.LBB1_10725:
	s_or_saveexec_b64 s[6:7], s[6:7]
	v_mov_b32_e32 v3, s10
	s_xor_b64 exec, exec, s[6:7]
	s_cbranch_execz .LBB1_10726
; %bb.46567:
	s_getpc_b64 s[14:15]
.Lpost_getpc8947:
	s_add_u32 s14, s14, (.LBB1_25064-.Lpost_getpc8947)&4294967295
	s_addc_u32 s15, s15, (.LBB1_25064-.Lpost_getpc8947)>>32
	s_setpc_b64 s[14:15]
.LBB1_10726:
	s_or_b64 exec, exec, s[6:7]
	s_and_saveexec_b64 s[6:7], s[4:5]
	s_cbranch_execz .LBB1_10728
.LBB1_10727:
	v_mov_b32_e32 v3, 8
	v_and_b32_e32 v4, 7, v5
	v_lshrrev_b32_sdwa v3, v3, v5 dst_sel:BYTE_1 dst_unused:UNUSED_PAD src0_sel:DWORD src1_sel:DWORD
	v_ffbh_u32_e32 v6, v4
	v_or_b32_sdwa v3, v5, v3 dst_sel:DWORD dst_unused:UNUSED_PAD src0_sel:BYTE_0 src1_sel:DWORD
	v_min_u32_e32 v6, 32, v6
	v_lshrrev_b16_e32 v3, 3, v3
	v_subrev_u32_e32 v7, 28, v6
	v_and_b32_e32 v3, 15, v3
	v_lshlrev_b32_e32 v7, v7, v5
	v_sub_u32_e32 v6, 29, v6
	v_and_b32_e32 v7, 7, v7
	v_cmp_eq_u16_e32 vcc, 0, v3
	v_cndmask_b32_e32 v4, v4, v7, vcc
	v_cndmask_b32_e32 v3, v3, v6, vcc
	v_lshlrev_b32_e32 v6, 24, v5
	v_mov_b32_e32 v7, 0x3b800000
	v_lshlrev_b32_e32 v4, 20, v4
	v_and_b32_e32 v6, 0x80000000, v6
	v_lshl_add_u32 v3, v3, 23, v7
	v_or3_b32 v3, v6, v3, v4
.LBB1_10728:
	s_or_b64 exec, exec, s[6:7]
	s_nop 0
	v_mfma_f32_16x16x4f32 a[0:3], v2, v3, a[0:3]
	v_lshrrev_b32_e32 v3, 8, v9
	s_movk_i32 s4, 0x7f
	v_cmp_gt_i16_sdwa s[6:7], v3, s4 src0_sel:BYTE_0 src1_sel:DWORD
	s_mov_b64 s[4:5], 0
                                        ; implicit-def: $sgpr10
	s_and_saveexec_b64 s[8:9], s[6:7]
	s_xor_b64 s[6:7], exec, s[8:9]
	s_cbranch_execz .LBB1_10729
; %bb.46569:
	s_getpc_b64 s[14:15]
.Lpost_getpc8948:
	s_add_u32 s14, s14, (.LBB1_25065-.Lpost_getpc8948)&4294967295
	s_addc_u32 s15, s15, (.LBB1_25065-.Lpost_getpc8948)>>32
	s_setpc_b64 s[14:15]
.LBB1_10729:
	s_or_saveexec_b64 s[6:7], s[6:7]
	v_mov_b32_e32 v2, s10
	s_xor_b64 exec, exec, s[6:7]
	s_cbranch_execz .LBB1_10730
; %bb.46571:
	s_getpc_b64 s[14:15]
.Lpost_getpc8949:
	s_add_u32 s14, s14, (.LBB1_25068-.Lpost_getpc8949)&4294967295
	s_addc_u32 s15, s15, (.LBB1_25068-.Lpost_getpc8949)>>32
	s_setpc_b64 s[14:15]
.LBB1_10730:
	s_or_b64 exec, exec, s[6:7]
	s_and_saveexec_b64 s[6:7], s[4:5]
	s_cbranch_execz .LBB1_10732
.LBB1_10731:
	v_bfe_u32 v2, v9, 8, 3
	v_ffbh_u32_e32 v6, v2
	v_min_u32_e32 v6, 32, v6
	v_lshrrev_b16_e32 v4, 3, v3
	v_subrev_u32_e32 v7, 28, v6
	v_and_b32_e32 v4, 15, v4
	v_lshlrev_b32_e32 v3, v7, v3
	v_sub_u32_e32 v6, 29, v6
	v_and_b32_e32 v3, 7, v3
	v_cmp_eq_u16_e32 vcc, 0, v4
	v_cndmask_b32_e32 v2, v2, v3, vcc
	v_cndmask_b32_e32 v3, v4, v6, vcc
	v_lshlrev_b32_e32 v4, 16, v9
	v_mov_b32_e32 v6, 0x3b800000
	v_lshlrev_b32_e32 v2, 20, v2
	v_and_b32_e32 v4, 0x80000000, v4
	v_lshl_add_u32 v3, v3, 23, v6
	v_or3_b32 v2, v4, v3, v2
.LBB1_10732:
	s_or_b64 exec, exec, s[6:7]
	v_lshrrev_b32_e32 v3, 8, v5
	s_movk_i32 s4, 0x7f
	v_cmp_gt_i16_sdwa s[6:7], v3, s4 src0_sel:BYTE_0 src1_sel:DWORD
	s_mov_b64 s[4:5], 0
                                        ; implicit-def: $sgpr10
	s_and_saveexec_b64 s[8:9], s[6:7]
	s_xor_b64 s[6:7], exec, s[8:9]
	s_cbranch_execz .LBB1_10733
; %bb.46573:
	s_getpc_b64 s[14:15]
.Lpost_getpc8950:
	s_add_u32 s14, s14, (.LBB1_25069-.Lpost_getpc8950)&4294967295
	s_addc_u32 s15, s15, (.LBB1_25069-.Lpost_getpc8950)>>32
	s_setpc_b64 s[14:15]
.LBB1_10733:
	s_or_saveexec_b64 s[6:7], s[6:7]
	v_mov_b32_e32 v4, s10
	s_xor_b64 exec, exec, s[6:7]
	s_cbranch_execz .LBB1_10734
; %bb.46575:
	s_getpc_b64 s[14:15]
.Lpost_getpc8951:
	s_add_u32 s14, s14, (.LBB1_25072-.Lpost_getpc8951)&4294967295
	s_addc_u32 s15, s15, (.LBB1_25072-.Lpost_getpc8951)>>32
	s_setpc_b64 s[14:15]
.LBB1_10734:
	s_or_b64 exec, exec, s[6:7]
	s_and_saveexec_b64 s[6:7], s[4:5]
	s_cbranch_execz .LBB1_10736
.LBB1_10735:
	v_bfe_u32 v4, v5, 8, 3
	v_ffbh_u32_e32 v7, v4
	v_min_u32_e32 v7, 32, v7
	v_lshrrev_b16_e32 v6, 3, v3
	v_subrev_u32_e32 v8, 28, v7
	v_and_b32_e32 v6, 15, v6
	v_lshlrev_b32_e32 v3, v8, v3
	v_sub_u32_e32 v7, 29, v7
	v_and_b32_e32 v3, 7, v3
	v_cmp_eq_u16_e32 vcc, 0, v6
	v_cndmask_b32_e32 v3, v4, v3, vcc
	v_cndmask_b32_e32 v4, v6, v7, vcc
	v_lshlrev_b32_e32 v6, 16, v5
	v_mov_b32_e32 v7, 0x3b800000
	v_lshlrev_b32_e32 v3, 20, v3
	v_and_b32_e32 v6, 0x80000000, v6
	v_lshl_add_u32 v4, v4, 23, v7
	v_or3_b32 v4, v6, v4, v3
.LBB1_10736:
	s_or_b64 exec, exec, s[6:7]
	s_nop 0
	v_mfma_f32_16x16x4f32 a[0:3], v2, v4, a[0:3]
	s_movk_i32 s4, 0xff
	v_and_b32_sdwa v3, v9, s4 dst_sel:DWORD dst_unused:UNUSED_PAD src0_sel:WORD_1 src1_sel:DWORD
	s_movk_i32 s4, 0x7f
	v_cmp_lt_i16_e32 vcc, s4, v3
	s_mov_b64 s[4:5], 0
                                        ; implicit-def: $sgpr10
	s_and_saveexec_b64 s[6:7], vcc
	s_xor_b64 s[6:7], exec, s[6:7]
	s_cbranch_execz .LBB1_10737
; %bb.46577:
	s_getpc_b64 s[14:15]
.Lpost_getpc8952:
	s_add_u32 s14, s14, (.LBB1_25073-.Lpost_getpc8952)&4294967295
	s_addc_u32 s15, s15, (.LBB1_25073-.Lpost_getpc8952)>>32
	s_setpc_b64 s[14:15]
.LBB1_10737:
	s_or_saveexec_b64 s[6:7], s[6:7]
	v_mov_b32_e32 v2, s10
	s_xor_b64 exec, exec, s[6:7]
	s_cbranch_execz .LBB1_10738
; %bb.46579:
	s_getpc_b64 s[14:15]
.Lpost_getpc8953:
	s_add_u32 s14, s14, (.LBB1_25076-.Lpost_getpc8953)&4294967295
	s_addc_u32 s15, s15, (.LBB1_25076-.Lpost_getpc8953)>>32
	s_setpc_b64 s[14:15]
.LBB1_10738:
	s_or_b64 exec, exec, s[6:7]
	s_and_saveexec_b64 s[6:7], s[4:5]
	s_cbranch_execz .LBB1_10740
.LBB1_10739:
	v_bfe_u32 v2, v9, 16, 3
	v_ffbh_u32_e32 v6, v2
	v_min_u32_e32 v6, 32, v6
	v_lshrrev_b32_e32 v3, 19, v9
	v_subrev_u32_e32 v7, 28, v6
	v_and_b32_e32 v3, 15, v3
	v_lshlrev_b32_sdwa v7, v7, v9 dst_sel:DWORD dst_unused:UNUSED_PAD src0_sel:DWORD src1_sel:WORD_1
	v_bfe_u32 v4, v9, 19, 4
	v_sub_u32_e32 v6, 29, v6
	v_and_b32_e32 v7, 7, v7
	v_cmp_eq_u16_e32 vcc, 0, v3
	v_cndmask_b32_e32 v2, v2, v7, vcc
	v_cndmask_b32_e32 v3, v4, v6, vcc
	v_lshlrev_b32_e32 v4, 8, v9
	v_mov_b32_e32 v6, 0x3b800000
	v_lshlrev_b32_e32 v2, 20, v2
	v_and_b32_e32 v4, 0x80000000, v4
	v_lshl_add_u32 v3, v3, 23, v6
	v_or3_b32 v2, v4, v3, v2
.LBB1_10740:
	s_or_b64 exec, exec, s[6:7]
	s_movk_i32 s4, 0xff
	v_and_b32_sdwa v3, v5, s4 dst_sel:DWORD dst_unused:UNUSED_PAD src0_sel:WORD_1 src1_sel:DWORD
	s_movk_i32 s4, 0x7f
	v_cmp_lt_i16_e32 vcc, s4, v3
	s_mov_b64 s[4:5], 0
                                        ; implicit-def: $sgpr10
	s_and_saveexec_b64 s[6:7], vcc
	s_xor_b64 s[6:7], exec, s[6:7]
	s_cbranch_execz .LBB1_10741
; %bb.46581:
	s_getpc_b64 s[14:15]
.Lpost_getpc8954:
	s_add_u32 s14, s14, (.LBB1_25077-.Lpost_getpc8954)&4294967295
	s_addc_u32 s15, s15, (.LBB1_25077-.Lpost_getpc8954)>>32
	s_setpc_b64 s[14:15]
.LBB1_10741:
	s_or_saveexec_b64 s[6:7], s[6:7]
	v_mov_b32_e32 v4, s10
	s_xor_b64 exec, exec, s[6:7]
	s_cbranch_execz .LBB1_10742
; %bb.46583:
	s_getpc_b64 s[14:15]
.Lpost_getpc8955:
	s_add_u32 s14, s14, (.LBB1_25080-.Lpost_getpc8955)&4294967295
	s_addc_u32 s15, s15, (.LBB1_25080-.Lpost_getpc8955)>>32
	s_setpc_b64 s[14:15]
.LBB1_10742:
	s_or_b64 exec, exec, s[6:7]
	s_and_saveexec_b64 s[6:7], s[4:5]
	s_cbranch_execz .LBB1_10744
.LBB1_10743:
	v_bfe_u32 v3, v5, 16, 3
	v_ffbh_u32_e32 v7, v3
	v_min_u32_e32 v7, 32, v7
	v_lshrrev_b32_e32 v4, 19, v5
	v_subrev_u32_e32 v8, 28, v7
	v_and_b32_e32 v4, 15, v4
	v_lshlrev_b32_sdwa v8, v8, v5 dst_sel:DWORD dst_unused:UNUSED_PAD src0_sel:DWORD src1_sel:WORD_1
	v_bfe_u32 v6, v5, 19, 4
	v_sub_u32_e32 v7, 29, v7
	v_and_b32_e32 v8, 7, v8
	v_cmp_eq_u16_e32 vcc, 0, v4
	v_cndmask_b32_e32 v3, v3, v8, vcc
	v_cndmask_b32_e32 v4, v6, v7, vcc
	v_lshlrev_b32_e32 v6, 8, v5
	v_mov_b32_e32 v7, 0x3b800000
	v_lshlrev_b32_e32 v3, 20, v3
	v_and_b32_e32 v6, 0x80000000, v6
	v_lshl_add_u32 v4, v4, 23, v7
	v_or3_b32 v4, v6, v4, v3
.LBB1_10744:
	s_or_b64 exec, exec, s[6:7]
	s_nop 0
	v_mfma_f32_16x16x4f32 a[0:3], v2, v4, a[0:3]
	s_movk_i32 s4, 0x7f
	v_cmp_gt_i16_sdwa s[6:7], v9, s4 src0_sel:BYTE_3 src1_sel:DWORD
	s_mov_b64 s[4:5], 0
                                        ; implicit-def: $sgpr10
	s_and_saveexec_b64 s[8:9], s[6:7]
	s_xor_b64 s[6:7], exec, s[8:9]
	s_cbranch_execz .LBB1_10745
; %bb.46585:
	s_getpc_b64 s[14:15]
.Lpost_getpc8956:
	s_add_u32 s14, s14, (.LBB1_25081-.Lpost_getpc8956)&4294967295
	s_addc_u32 s15, s15, (.LBB1_25081-.Lpost_getpc8956)>>32
	s_setpc_b64 s[14:15]
.LBB1_10745:
	s_or_saveexec_b64 s[6:7], s[6:7]
	v_mov_b32_e32 v2, s10
	s_xor_b64 exec, exec, s[6:7]
	s_cbranch_execz .LBB1_10746
; %bb.46587:
	s_getpc_b64 s[14:15]
.Lpost_getpc8957:
	s_add_u32 s14, s14, (.LBB1_25084-.Lpost_getpc8957)&4294967295
	s_addc_u32 s15, s15, (.LBB1_25084-.Lpost_getpc8957)>>32
	s_setpc_b64 s[14:15]
.LBB1_10746:
	s_or_b64 exec, exec, s[6:7]
	s_and_saveexec_b64 s[6:7], s[4:5]
	s_cbranch_execz .LBB1_10748
.LBB1_10747:
	v_bfe_u32 v2, v9, 24, 3
	v_ffbh_u32_e32 v7, v2
	v_min_u32_e32 v7, 32, v7
	v_lshrrev_b32_e32 v4, 27, v9
	v_subrev_u32_e32 v8, 28, v7
	v_and_b32_e32 v4, 15, v4
	v_lshlrev_b32_sdwa v8, v8, v9 dst_sel:DWORD dst_unused:UNUSED_PAD src0_sel:DWORD src1_sel:BYTE_3
	v_bfe_u32 v6, v9, 27, 4
	v_sub_u32_e32 v7, 29, v7
	v_and_b32_e32 v8, 7, v8
	v_cmp_eq_u16_e32 vcc, 0, v4
	v_cndmask_b32_e32 v2, v2, v8, vcc
	v_cndmask_b32_e32 v4, v6, v7, vcc
	v_mov_b32_e32 v6, 0x3b800000
	v_and_b32_e32 v3, 0x80000000, v9
	v_lshlrev_b32_e32 v2, 20, v2
	v_lshl_add_u32 v4, v4, 23, v6
	v_or3_b32 v2, v3, v4, v2
.LBB1_10748:
	s_or_b64 exec, exec, s[6:7]
	s_movk_i32 s4, 0x7f
	v_cmp_gt_i16_sdwa s[6:7], v5, s4 src0_sel:BYTE_3 src1_sel:DWORD
	s_mov_b64 s[4:5], 0
                                        ; implicit-def: $sgpr10
	s_and_saveexec_b64 s[8:9], s[6:7]
	s_xor_b64 s[6:7], exec, s[8:9]
	s_cbranch_execz .LBB1_10749
; %bb.46589:
	s_getpc_b64 s[14:15]
.Lpost_getpc8958:
	s_add_u32 s14, s14, (.LBB1_25085-.Lpost_getpc8958)&4294967295
	s_addc_u32 s15, s15, (.LBB1_25085-.Lpost_getpc8958)>>32
	s_setpc_b64 s[14:15]
.LBB1_10749:
	s_or_saveexec_b64 s[6:7], s[6:7]
	v_mov_b32_e32 v3, s10
	s_xor_b64 exec, exec, s[6:7]
	s_cbranch_execz .LBB1_10750
; %bb.46591:
	s_getpc_b64 s[14:15]
.Lpost_getpc8959:
	s_add_u32 s14, s14, (.LBB1_25088-.Lpost_getpc8959)&4294967295
	s_addc_u32 s15, s15, (.LBB1_25088-.Lpost_getpc8959)>>32
	s_setpc_b64 s[14:15]
.LBB1_10750:
	s_or_b64 exec, exec, s[6:7]
	s_and_saveexec_b64 s[6:7], s[4:5]
	s_cbranch_execz .LBB1_10752
.LBB1_10751:
	v_bfe_u32 v3, v5, 24, 3
	v_ffbh_u32_e32 v8, v3
	v_min_u32_e32 v8, 32, v8
	v_lshrrev_b32_e32 v6, 27, v5
	v_subrev_u32_e32 v9, 28, v8
	v_and_b32_e32 v4, 0x80000000, v5
	v_and_b32_e32 v6, 15, v6
	v_bfe_u32 v7, v5, 27, 4
	v_lshlrev_b32_sdwa v5, v9, v5 dst_sel:DWORD dst_unused:UNUSED_PAD src0_sel:DWORD src1_sel:BYTE_3
	v_sub_u32_e32 v8, 29, v8
	v_and_b32_e32 v5, 7, v5
	v_cmp_eq_u16_e32 vcc, 0, v6
	v_cndmask_b32_e32 v3, v3, v5, vcc
	v_cndmask_b32_e32 v5, v7, v8, vcc
	v_mov_b32_e32 v6, 0x3b800000
	v_lshlrev_b32_e32 v3, 20, v3
	v_lshl_add_u32 v5, v5, 23, v6
	v_or3_b32 v3, v4, v5, v3
.LBB1_10752:
	s_or_b64 exec, exec, s[6:7]
	s_nop 0
	v_mfma_f32_16x16x4f32 a[0:3], v2, v3, a[0:3]
	s_movk_i32 s4, 0x7f
                                        ; implicit-def: $sgpr10
	s_nop 7
	s_nop 1
	flat_store_dwordx4 v[10:11], a[0:3] offset:432
	flat_load_dwordx4 v[12:15], v[0:1]
	s_nop 0
	flat_load_dwordx2 v[10:11], v[0:1] offset:16
	s_waitcnt vmcnt(0) lgkmcnt(0)
	flat_load_dwordx4 v[6:9], v[12:13] offset:160
	flat_load_dwordx4 v[2:5], v[14:15] offset:192
	s_waitcnt vmcnt(0) lgkmcnt(0)
	v_cmp_gt_i16_sdwa s[6:7], v6, s4 src0_sel:BYTE_0 src1_sel:DWORD
	s_mov_b64 s[4:5], 0
	s_and_saveexec_b64 s[8:9], s[6:7]
	s_xor_b64 s[6:7], exec, s[8:9]
	s_cbranch_execz .LBB1_10753
; %bb.46593:
	s_getpc_b64 s[14:15]
.Lpost_getpc8960:
	s_add_u32 s14, s14, (.LBB1_25089-.Lpost_getpc8960)&4294967295
	s_addc_u32 s15, s15, (.LBB1_25089-.Lpost_getpc8960)>>32
	s_setpc_b64 s[14:15]
.LBB1_10753:
	s_or_saveexec_b64 s[6:7], s[6:7]
	v_mov_b32_e32 v12, s10
	s_xor_b64 exec, exec, s[6:7]
	s_cbranch_execz .LBB1_10754
; %bb.46595:
	s_getpc_b64 s[14:15]
.Lpost_getpc8961:
	s_add_u32 s14, s14, (.LBB1_25092-.Lpost_getpc8961)&4294967295
	s_addc_u32 s15, s15, (.LBB1_25092-.Lpost_getpc8961)>>32
	s_setpc_b64 s[14:15]
.LBB1_10754:
	s_or_b64 exec, exec, s[6:7]
	s_and_saveexec_b64 s[6:7], s[4:5]
	s_cbranch_execz .LBB1_10756
.LBB1_10755:
	v_and_b32_e32 v12, 7, v6
	v_ffbh_u32_e32 v14, v12
	v_min_u32_e32 v14, 32, v14
	v_lshrrev_b16_e32 v13, 3, v6
	v_subrev_u32_e32 v15, 28, v14
	v_and_b32_e32 v13, 15, v13
	v_lshlrev_b32_e32 v15, v15, v6
	v_sub_u32_e32 v14, 29, v14
	v_and_b32_e32 v15, 7, v15
	v_cmp_eq_u16_e32 vcc, 0, v13
	v_cndmask_b32_e32 v12, v12, v15, vcc
	v_cndmask_b32_e32 v13, v13, v14, vcc
	v_lshlrev_b32_e32 v14, 24, v6
	v_mov_b32_e32 v15, 0x3b800000
	v_lshlrev_b32_e32 v12, 20, v12
	v_and_b32_e32 v14, 0x80000000, v14
	v_lshl_add_u32 v13, v13, 23, v15
	v_or3_b32 v12, v14, v13, v12
.LBB1_10756:
	s_or_b64 exec, exec, s[6:7]
	s_movk_i32 s4, 0x7f
	v_cmp_gt_i16_sdwa s[6:7], v2, s4 src0_sel:BYTE_0 src1_sel:DWORD
	s_mov_b64 s[4:5], 0
                                        ; implicit-def: $sgpr10
	s_and_saveexec_b64 s[8:9], s[6:7]
	s_xor_b64 s[6:7], exec, s[8:9]
	s_cbranch_execz .LBB1_10757
; %bb.46597:
	s_getpc_b64 s[14:15]
.Lpost_getpc8962:
	s_add_u32 s14, s14, (.LBB1_25093-.Lpost_getpc8962)&4294967295
	s_addc_u32 s15, s15, (.LBB1_25093-.Lpost_getpc8962)>>32
	s_setpc_b64 s[14:15]
.LBB1_10757:
	s_or_saveexec_b64 s[6:7], s[6:7]
	v_mov_b32_e32 v13, s10
	s_xor_b64 exec, exec, s[6:7]
	s_cbranch_execz .LBB1_10758
; %bb.46599:
	s_getpc_b64 s[14:15]
.Lpost_getpc8963:
	s_add_u32 s14, s14, (.LBB1_25096-.Lpost_getpc8963)&4294967295
	s_addc_u32 s15, s15, (.LBB1_25096-.Lpost_getpc8963)>>32
	s_setpc_b64 s[14:15]
.LBB1_10758:
	s_or_b64 exec, exec, s[6:7]
	s_and_saveexec_b64 s[6:7], s[4:5]
	s_cbranch_execz .LBB1_10760
.LBB1_10759:
	v_and_b32_e32 v13, 7, v2
	v_ffbh_u32_e32 v15, v13
	v_min_u32_e32 v15, 32, v15
	v_lshrrev_b16_e32 v14, 3, v2
	v_subrev_u32_e32 v16, 28, v15
	v_and_b32_e32 v14, 15, v14
	v_lshlrev_b32_e32 v16, v16, v2
	v_sub_u32_e32 v15, 29, v15
	v_and_b32_e32 v16, 7, v16
	v_cmp_eq_u16_e32 vcc, 0, v14
	v_cndmask_b32_e32 v13, v13, v16, vcc
	v_cndmask_b32_e32 v14, v14, v15, vcc
	v_lshlrev_b32_e32 v15, 24, v2
	v_mov_b32_e32 v16, 0x3b800000
	v_lshlrev_b32_e32 v13, 20, v13
	v_and_b32_e32 v15, 0x80000000, v15
	v_lshl_add_u32 v14, v14, 23, v16
	v_or3_b32 v13, v15, v14, v13
.LBB1_10760:
	s_or_b64 exec, exec, s[6:7]
	flat_load_dwordx4 a[0:3], v[10:11] offset:448
	s_movk_i32 s4, 0x7f
                                        ; implicit-def: $sgpr10
	s_waitcnt vmcnt(0) lgkmcnt(0)
	v_mfma_f32_16x16x4f32 a[0:3], v12, v13, a[0:3]
	v_lshrrev_b32_e32 v13, 8, v6
	v_cmp_gt_i16_sdwa s[6:7], v13, s4 src0_sel:BYTE_0 src1_sel:DWORD
	s_mov_b64 s[4:5], 0
	s_and_saveexec_b64 s[8:9], s[6:7]
	s_xor_b64 s[6:7], exec, s[8:9]
	s_cbranch_execz .LBB1_10761
; %bb.46601:
	s_getpc_b64 s[14:15]
.Lpost_getpc8964:
	s_add_u32 s14, s14, (.LBB1_25097-.Lpost_getpc8964)&4294967295
	s_addc_u32 s15, s15, (.LBB1_25097-.Lpost_getpc8964)>>32
	s_setpc_b64 s[14:15]
.LBB1_10761:
	s_or_saveexec_b64 s[6:7], s[6:7]
	v_mov_b32_e32 v12, s10
	s_xor_b64 exec, exec, s[6:7]
	s_cbranch_execz .LBB1_10762
; %bb.46603:
	s_getpc_b64 s[14:15]
.Lpost_getpc8965:
	s_add_u32 s14, s14, (.LBB1_25100-.Lpost_getpc8965)&4294967295
	s_addc_u32 s15, s15, (.LBB1_25100-.Lpost_getpc8965)>>32
	s_setpc_b64 s[14:15]
.LBB1_10762:
	s_or_b64 exec, exec, s[6:7]
	s_and_saveexec_b64 s[6:7], s[4:5]
	s_cbranch_execz .LBB1_10764
.LBB1_10763:
	v_bfe_u32 v12, v6, 8, 3
	v_ffbh_u32_e32 v15, v12
	v_min_u32_e32 v15, 32, v15
	v_lshrrev_b16_e32 v14, 3, v13
	v_subrev_u32_e32 v16, 28, v15
	v_and_b32_e32 v14, 15, v14
	v_lshlrev_b32_e32 v13, v16, v13
	v_sub_u32_e32 v15, 29, v15
	v_and_b32_e32 v13, 7, v13
	v_cmp_eq_u16_e32 vcc, 0, v14
	v_cndmask_b32_e32 v12, v12, v13, vcc
	v_cndmask_b32_e32 v13, v14, v15, vcc
	v_lshlrev_b32_e32 v14, 16, v6
	v_mov_b32_e32 v15, 0x3b800000
	v_lshlrev_b32_e32 v12, 20, v12
	v_and_b32_e32 v14, 0x80000000, v14
	v_lshl_add_u32 v13, v13, 23, v15
	v_or3_b32 v12, v14, v13, v12
.LBB1_10764:
	s_or_b64 exec, exec, s[6:7]
	v_lshrrev_b32_e32 v13, 8, v2
	s_movk_i32 s4, 0x7f
	v_cmp_gt_i16_sdwa s[6:7], v13, s4 src0_sel:BYTE_0 src1_sel:DWORD
	s_mov_b64 s[4:5], 0
                                        ; implicit-def: $sgpr10
	s_and_saveexec_b64 s[8:9], s[6:7]
	s_xor_b64 s[6:7], exec, s[8:9]
	s_cbranch_execz .LBB1_10765
; %bb.46605:
	s_getpc_b64 s[14:15]
.Lpost_getpc8966:
	s_add_u32 s14, s14, (.LBB1_25101-.Lpost_getpc8966)&4294967295
	s_addc_u32 s15, s15, (.LBB1_25101-.Lpost_getpc8966)>>32
	s_setpc_b64 s[14:15]
.LBB1_10765:
	s_or_saveexec_b64 s[6:7], s[6:7]
	v_mov_b32_e32 v14, s10
	s_xor_b64 exec, exec, s[6:7]
	s_cbranch_execz .LBB1_10766
; %bb.46607:
	s_getpc_b64 s[14:15]
.Lpost_getpc8967:
	s_add_u32 s14, s14, (.LBB1_25104-.Lpost_getpc8967)&4294967295
	s_addc_u32 s15, s15, (.LBB1_25104-.Lpost_getpc8967)>>32
	s_setpc_b64 s[14:15]
.LBB1_10766:
	s_or_b64 exec, exec, s[6:7]
	s_and_saveexec_b64 s[6:7], s[4:5]
	s_cbranch_execz .LBB1_10768
.LBB1_10767:
	v_bfe_u32 v14, v2, 8, 3
	v_ffbh_u32_e32 v16, v14
	v_min_u32_e32 v16, 32, v16
	v_lshrrev_b16_e32 v15, 3, v13
	v_subrev_u32_e32 v17, 28, v16
	v_and_b32_e32 v15, 15, v15
	v_lshlrev_b32_e32 v13, v17, v13
	v_sub_u32_e32 v16, 29, v16
	v_and_b32_e32 v13, 7, v13
	v_cmp_eq_u16_e32 vcc, 0, v15
	v_cndmask_b32_e32 v13, v14, v13, vcc
	v_cndmask_b32_e32 v14, v15, v16, vcc
	v_lshlrev_b32_e32 v15, 16, v2
	v_mov_b32_e32 v16, 0x3b800000
	v_lshlrev_b32_e32 v13, 20, v13
	v_and_b32_e32 v15, 0x80000000, v15
	v_lshl_add_u32 v14, v14, 23, v16
	v_or3_b32 v14, v15, v14, v13
.LBB1_10768:
	s_or_b64 exec, exec, s[6:7]
	s_nop 0
	v_mfma_f32_16x16x4f32 a[0:3], v12, v14, a[0:3]
	s_movk_i32 s4, 0xff
	v_and_b32_sdwa v13, v6, s4 dst_sel:DWORD dst_unused:UNUSED_PAD src0_sel:WORD_1 src1_sel:DWORD
	s_movk_i32 s4, 0x7f
	v_cmp_lt_i16_e32 vcc, s4, v13
	s_mov_b64 s[4:5], 0
                                        ; implicit-def: $sgpr10
	s_and_saveexec_b64 s[6:7], vcc
	s_xor_b64 s[6:7], exec, s[6:7]
	s_cbranch_execz .LBB1_10769
; %bb.46609:
	s_getpc_b64 s[14:15]
.Lpost_getpc8968:
	s_add_u32 s14, s14, (.LBB1_25105-.Lpost_getpc8968)&4294967295
	s_addc_u32 s15, s15, (.LBB1_25105-.Lpost_getpc8968)>>32
	s_setpc_b64 s[14:15]
.LBB1_10769:
	s_or_saveexec_b64 s[6:7], s[6:7]
	v_mov_b32_e32 v12, s10
	s_xor_b64 exec, exec, s[6:7]
	s_cbranch_execz .LBB1_10770
; %bb.46611:
	s_getpc_b64 s[14:15]
.Lpost_getpc8969:
	s_add_u32 s14, s14, (.LBB1_25108-.Lpost_getpc8969)&4294967295
	s_addc_u32 s15, s15, (.LBB1_25108-.Lpost_getpc8969)>>32
	s_setpc_b64 s[14:15]
.LBB1_10770:
	s_or_b64 exec, exec, s[6:7]
	s_and_saveexec_b64 s[6:7], s[4:5]
	s_cbranch_execz .LBB1_10772
.LBB1_10771:
	v_bfe_u32 v12, v6, 16, 3
	v_ffbh_u32_e32 v15, v12
	v_min_u32_e32 v15, 32, v15
	v_lshrrev_b32_e32 v13, 19, v6
	v_subrev_u32_e32 v16, 28, v15
	v_and_b32_e32 v13, 15, v13
	v_lshlrev_b32_sdwa v16, v16, v6 dst_sel:DWORD dst_unused:UNUSED_PAD src0_sel:DWORD src1_sel:WORD_1
	v_bfe_u32 v14, v6, 19, 4
	v_sub_u32_e32 v15, 29, v15
	v_and_b32_e32 v16, 7, v16
	v_cmp_eq_u16_e32 vcc, 0, v13
	v_cndmask_b32_e32 v12, v12, v16, vcc
	v_cndmask_b32_e32 v13, v14, v15, vcc
	v_lshlrev_b32_e32 v14, 8, v6
	v_mov_b32_e32 v15, 0x3b800000
	v_lshlrev_b32_e32 v12, 20, v12
	v_and_b32_e32 v14, 0x80000000, v14
	v_lshl_add_u32 v13, v13, 23, v15
	v_or3_b32 v12, v14, v13, v12
.LBB1_10772:
	s_or_b64 exec, exec, s[6:7]
	s_movk_i32 s4, 0xff
	v_and_b32_sdwa v13, v2, s4 dst_sel:DWORD dst_unused:UNUSED_PAD src0_sel:WORD_1 src1_sel:DWORD
	s_movk_i32 s4, 0x7f
	v_cmp_lt_i16_e32 vcc, s4, v13
	s_mov_b64 s[4:5], 0
                                        ; implicit-def: $sgpr10
	s_and_saveexec_b64 s[6:7], vcc
	s_xor_b64 s[6:7], exec, s[6:7]
	s_cbranch_execz .LBB1_10773
; %bb.46613:
	s_getpc_b64 s[14:15]
.Lpost_getpc8970:
	s_add_u32 s14, s14, (.LBB1_25109-.Lpost_getpc8970)&4294967295
	s_addc_u32 s15, s15, (.LBB1_25109-.Lpost_getpc8970)>>32
	s_setpc_b64 s[14:15]
.LBB1_10773:
	s_or_saveexec_b64 s[6:7], s[6:7]
	v_mov_b32_e32 v14, s10
	s_xor_b64 exec, exec, s[6:7]
	s_cbranch_execz .LBB1_10774
; %bb.46615:
	s_getpc_b64 s[14:15]
.Lpost_getpc8971:
	s_add_u32 s14, s14, (.LBB1_25112-.Lpost_getpc8971)&4294967295
	s_addc_u32 s15, s15, (.LBB1_25112-.Lpost_getpc8971)>>32
	s_setpc_b64 s[14:15]
.LBB1_10774:
	s_or_b64 exec, exec, s[6:7]
	s_and_saveexec_b64 s[6:7], s[4:5]
	s_cbranch_execz .LBB1_10776
.LBB1_10775:
	v_bfe_u32 v13, v2, 16, 3
	v_ffbh_u32_e32 v16, v13
	v_min_u32_e32 v16, 32, v16
	v_lshrrev_b32_e32 v14, 19, v2
	v_subrev_u32_e32 v17, 28, v16
	v_and_b32_e32 v14, 15, v14
	v_lshlrev_b32_sdwa v17, v17, v2 dst_sel:DWORD dst_unused:UNUSED_PAD src0_sel:DWORD src1_sel:WORD_1
	v_bfe_u32 v15, v2, 19, 4
	v_sub_u32_e32 v16, 29, v16
	v_and_b32_e32 v17, 7, v17
	v_cmp_eq_u16_e32 vcc, 0, v14
	v_cndmask_b32_e32 v13, v13, v17, vcc
	v_cndmask_b32_e32 v14, v15, v16, vcc
	v_lshlrev_b32_e32 v15, 8, v2
	v_mov_b32_e32 v16, 0x3b800000
	v_lshlrev_b32_e32 v13, 20, v13
	v_and_b32_e32 v15, 0x80000000, v15
	v_lshl_add_u32 v14, v14, 23, v16
	v_or3_b32 v14, v15, v14, v13
.LBB1_10776:
	s_or_b64 exec, exec, s[6:7]
	s_nop 0
	v_mfma_f32_16x16x4f32 a[0:3], v12, v14, a[0:3]
	s_movk_i32 s4, 0x7f
	v_cmp_gt_i16_sdwa s[6:7], v6, s4 src0_sel:BYTE_3 src1_sel:DWORD
	s_mov_b64 s[4:5], 0
                                        ; implicit-def: $sgpr10
	s_and_saveexec_b64 s[8:9], s[6:7]
	s_xor_b64 s[6:7], exec, s[8:9]
	s_cbranch_execz .LBB1_10777
; %bb.46617:
	s_getpc_b64 s[14:15]
.Lpost_getpc8972:
	s_add_u32 s14, s14, (.LBB1_25113-.Lpost_getpc8972)&4294967295
	s_addc_u32 s15, s15, (.LBB1_25113-.Lpost_getpc8972)>>32
	s_setpc_b64 s[14:15]
.LBB1_10777:
	s_or_saveexec_b64 s[6:7], s[6:7]
	v_mov_b32_e32 v12, s10
	s_xor_b64 exec, exec, s[6:7]
	s_cbranch_execz .LBB1_10778
; %bb.46619:
	s_getpc_b64 s[14:15]
.Lpost_getpc8973:
	s_add_u32 s14, s14, (.LBB1_25116-.Lpost_getpc8973)&4294967295
	s_addc_u32 s15, s15, (.LBB1_25116-.Lpost_getpc8973)>>32
	s_setpc_b64 s[14:15]
.LBB1_10778:
	s_or_b64 exec, exec, s[6:7]
	s_and_saveexec_b64 s[6:7], s[4:5]
	s_cbranch_execz .LBB1_10780
.LBB1_10779:
	v_bfe_u32 v12, v6, 24, 3
	v_ffbh_u32_e32 v16, v12
	v_min_u32_e32 v16, 32, v16
	v_lshrrev_b32_e32 v14, 27, v6
	v_subrev_u32_e32 v17, 28, v16
	v_and_b32_e32 v13, 0x80000000, v6
	v_and_b32_e32 v14, 15, v14
	v_bfe_u32 v15, v6, 27, 4
	v_lshlrev_b32_sdwa v6, v17, v6 dst_sel:DWORD dst_unused:UNUSED_PAD src0_sel:DWORD src1_sel:BYTE_3
	v_sub_u32_e32 v16, 29, v16
	v_and_b32_e32 v6, 7, v6
	v_cmp_eq_u16_e32 vcc, 0, v14
	v_cndmask_b32_e32 v6, v12, v6, vcc
	v_cndmask_b32_e32 v12, v15, v16, vcc
	v_mov_b32_e32 v14, 0x3b800000
	v_lshlrev_b32_e32 v6, 20, v6
	v_lshl_add_u32 v12, v12, 23, v14
	v_or3_b32 v12, v13, v12, v6
.LBB1_10780:
	s_or_b64 exec, exec, s[6:7]
	s_movk_i32 s4, 0x7f
	v_cmp_gt_i16_sdwa s[6:7], v2, s4 src0_sel:BYTE_3 src1_sel:DWORD
	s_mov_b64 s[4:5], 0
                                        ; implicit-def: $sgpr10
	s_and_saveexec_b64 s[8:9], s[6:7]
	s_xor_b64 s[6:7], exec, s[8:9]
	s_cbranch_execz .LBB1_10781
; %bb.46621:
	s_getpc_b64 s[14:15]
.Lpost_getpc8974:
	s_add_u32 s14, s14, (.LBB1_25117-.Lpost_getpc8974)&4294967295
	s_addc_u32 s15, s15, (.LBB1_25117-.Lpost_getpc8974)>>32
	s_setpc_b64 s[14:15]
.LBB1_10781:
	s_or_saveexec_b64 s[6:7], s[6:7]
	v_mov_b32_e32 v6, s10
	s_xor_b64 exec, exec, s[6:7]
	s_cbranch_execz .LBB1_10782
; %bb.46623:
	s_getpc_b64 s[14:15]
.Lpost_getpc8975:
	s_add_u32 s14, s14, (.LBB1_25120-.Lpost_getpc8975)&4294967295
	s_addc_u32 s15, s15, (.LBB1_25120-.Lpost_getpc8975)>>32
	s_setpc_b64 s[14:15]
.LBB1_10782:
	s_or_b64 exec, exec, s[6:7]
	s_and_saveexec_b64 s[6:7], s[4:5]
	s_cbranch_execz .LBB1_10784
.LBB1_10783:
	v_bfe_u32 v6, v2, 24, 3
	v_ffbh_u32_e32 v16, v6
	v_min_u32_e32 v16, 32, v16
	v_lshrrev_b32_e32 v14, 27, v2
	v_subrev_u32_e32 v17, 28, v16
	v_and_b32_e32 v13, 0x80000000, v2
	v_and_b32_e32 v14, 15, v14
	v_bfe_u32 v15, v2, 27, 4
	v_lshlrev_b32_sdwa v2, v17, v2 dst_sel:DWORD dst_unused:UNUSED_PAD src0_sel:DWORD src1_sel:BYTE_3
	v_sub_u32_e32 v16, 29, v16
	v_and_b32_e32 v2, 7, v2
	v_cmp_eq_u16_e32 vcc, 0, v14
	v_cndmask_b32_e32 v2, v6, v2, vcc
	v_cndmask_b32_e32 v6, v15, v16, vcc
	v_mov_b32_e32 v14, 0x3b800000
	v_lshlrev_b32_e32 v2, 20, v2
	v_lshl_add_u32 v6, v6, 23, v14
	v_or3_b32 v6, v13, v6, v2
.LBB1_10784:
	s_or_b64 exec, exec, s[6:7]
	s_nop 0
	v_mfma_f32_16x16x4f32 a[0:3], v12, v6, a[0:3]
	s_movk_i32 s4, 0x7f
	v_cmp_gt_i16_sdwa s[6:7], v7, s4 src0_sel:BYTE_0 src1_sel:DWORD
	s_mov_b64 s[4:5], 0
                                        ; implicit-def: $sgpr10
	s_and_saveexec_b64 s[8:9], s[6:7]
	s_xor_b64 s[6:7], exec, s[8:9]
	s_cbranch_execz .LBB1_10785
; %bb.46625:
	s_getpc_b64 s[14:15]
.Lpost_getpc8976:
	s_add_u32 s14, s14, (.LBB1_25121-.Lpost_getpc8976)&4294967295
	s_addc_u32 s15, s15, (.LBB1_25121-.Lpost_getpc8976)>>32
	s_setpc_b64 s[14:15]
.LBB1_10785:
	s_or_saveexec_b64 s[6:7], s[6:7]
	v_mov_b32_e32 v2, s10
	s_xor_b64 exec, exec, s[6:7]
	s_cbranch_execz .LBB1_10786
; %bb.46627:
	s_getpc_b64 s[14:15]
.Lpost_getpc8977:
	s_add_u32 s14, s14, (.LBB1_25124-.Lpost_getpc8977)&4294967295
	s_addc_u32 s15, s15, (.LBB1_25124-.Lpost_getpc8977)>>32
	s_setpc_b64 s[14:15]
.LBB1_10786:
	s_or_b64 exec, exec, s[6:7]
	s_and_saveexec_b64 s[6:7], s[4:5]
	s_cbranch_execz .LBB1_10788
.LBB1_10787:
	v_and_b32_e32 v2, 7, v7
	v_ffbh_u32_e32 v12, v2
	v_min_u32_e32 v12, 32, v12
	v_lshrrev_b16_e32 v6, 3, v7
	v_subrev_u32_e32 v13, 28, v12
	v_and_b32_e32 v6, 15, v6
	v_lshlrev_b32_e32 v13, v13, v7
	v_sub_u32_e32 v12, 29, v12
	v_and_b32_e32 v13, 7, v13
	v_cmp_eq_u16_e32 vcc, 0, v6
	v_cndmask_b32_e32 v2, v2, v13, vcc
	v_cndmask_b32_e32 v6, v6, v12, vcc
	v_lshlrev_b32_e32 v12, 24, v7
	v_mov_b32_e32 v13, 0x3b800000
	v_lshlrev_b32_e32 v2, 20, v2
	v_and_b32_e32 v12, 0x80000000, v12
	v_lshl_add_u32 v6, v6, 23, v13
	v_or3_b32 v2, v12, v6, v2
.LBB1_10788:
	s_or_b64 exec, exec, s[6:7]
	s_movk_i32 s4, 0x7f
	v_cmp_gt_i16_sdwa s[6:7], v3, s4 src0_sel:BYTE_0 src1_sel:DWORD
	s_mov_b64 s[4:5], 0
                                        ; implicit-def: $sgpr10
	s_and_saveexec_b64 s[8:9], s[6:7]
	s_xor_b64 s[6:7], exec, s[8:9]
	s_cbranch_execz .LBB1_10789
; %bb.46629:
	s_getpc_b64 s[14:15]
.Lpost_getpc8978:
	s_add_u32 s14, s14, (.LBB1_25125-.Lpost_getpc8978)&4294967295
	s_addc_u32 s15, s15, (.LBB1_25125-.Lpost_getpc8978)>>32
	s_setpc_b64 s[14:15]
.LBB1_10789:
	s_or_saveexec_b64 s[6:7], s[6:7]
	v_mov_b32_e32 v6, s10
	s_xor_b64 exec, exec, s[6:7]
	s_cbranch_execz .LBB1_10790
; %bb.46631:
	s_getpc_b64 s[14:15]
.Lpost_getpc8979:
	s_add_u32 s14, s14, (.LBB1_25128-.Lpost_getpc8979)&4294967295
	s_addc_u32 s15, s15, (.LBB1_25128-.Lpost_getpc8979)>>32
	s_setpc_b64 s[14:15]
.LBB1_10790:
	s_or_b64 exec, exec, s[6:7]
	s_and_saveexec_b64 s[6:7], s[4:5]
	s_cbranch_execz .LBB1_10792
.LBB1_10791:
	v_and_b32_e32 v6, 7, v3
	v_ffbh_u32_e32 v13, v6
	v_min_u32_e32 v13, 32, v13
	v_lshrrev_b16_e32 v12, 3, v3
	v_subrev_u32_e32 v14, 28, v13
	v_and_b32_e32 v12, 15, v12
	v_lshlrev_b32_e32 v14, v14, v3
	v_sub_u32_e32 v13, 29, v13
	v_and_b32_e32 v14, 7, v14
	v_cmp_eq_u16_e32 vcc, 0, v12
	v_cndmask_b32_e32 v6, v6, v14, vcc
	v_cndmask_b32_e32 v12, v12, v13, vcc
	v_lshlrev_b32_e32 v13, 24, v3
	v_mov_b32_e32 v14, 0x3b800000
	v_lshlrev_b32_e32 v6, 20, v6
	v_and_b32_e32 v13, 0x80000000, v13
	v_lshl_add_u32 v12, v12, 23, v14
	v_or3_b32 v6, v13, v12, v6
.LBB1_10792:
	s_or_b64 exec, exec, s[6:7]
	s_nop 0
	v_mfma_f32_16x16x4f32 a[0:3], v2, v6, a[0:3]
	v_lshrrev_b32_e32 v6, 8, v7
	s_movk_i32 s4, 0x7f
	v_cmp_gt_i16_sdwa s[6:7], v6, s4 src0_sel:BYTE_0 src1_sel:DWORD
	s_mov_b64 s[4:5], 0
                                        ; implicit-def: $sgpr10
	s_and_saveexec_b64 s[8:9], s[6:7]
	s_xor_b64 s[6:7], exec, s[8:9]
	s_cbranch_execz .LBB1_10793
; %bb.46633:
	s_getpc_b64 s[14:15]
.Lpost_getpc8980:
	s_add_u32 s14, s14, (.LBB1_25129-.Lpost_getpc8980)&4294967295
	s_addc_u32 s15, s15, (.LBB1_25129-.Lpost_getpc8980)>>32
	s_setpc_b64 s[14:15]
.LBB1_10793:
	s_or_saveexec_b64 s[6:7], s[6:7]
	v_mov_b32_e32 v2, s10
	s_xor_b64 exec, exec, s[6:7]
	s_cbranch_execz .LBB1_10794
; %bb.46635:
	s_getpc_b64 s[14:15]
.Lpost_getpc8981:
	s_add_u32 s14, s14, (.LBB1_25132-.Lpost_getpc8981)&4294967295
	s_addc_u32 s15, s15, (.LBB1_25132-.Lpost_getpc8981)>>32
	s_setpc_b64 s[14:15]
.LBB1_10794:
	s_or_b64 exec, exec, s[6:7]
	s_and_saveexec_b64 s[6:7], s[4:5]
	s_cbranch_execz .LBB1_10796
.LBB1_10795:
	v_bfe_u32 v2, v7, 8, 3
	v_ffbh_u32_e32 v13, v2
	v_min_u32_e32 v13, 32, v13
	v_lshrrev_b16_e32 v12, 3, v6
	v_subrev_u32_e32 v14, 28, v13
	v_and_b32_e32 v12, 15, v12
	v_lshlrev_b32_e32 v6, v14, v6
	v_sub_u32_e32 v13, 29, v13
	v_and_b32_e32 v6, 7, v6
	v_cmp_eq_u16_e32 vcc, 0, v12
	v_cndmask_b32_e32 v2, v2, v6, vcc
	v_cndmask_b32_e32 v6, v12, v13, vcc
	v_lshlrev_b32_e32 v12, 16, v7
	v_mov_b32_e32 v13, 0x3b800000
	v_lshlrev_b32_e32 v2, 20, v2
	v_and_b32_e32 v12, 0x80000000, v12
	v_lshl_add_u32 v6, v6, 23, v13
	v_or3_b32 v2, v12, v6, v2
.LBB1_10796:
	s_or_b64 exec, exec, s[6:7]
	v_lshrrev_b32_e32 v6, 8, v3
	s_movk_i32 s4, 0x7f
	v_cmp_gt_i16_sdwa s[6:7], v6, s4 src0_sel:BYTE_0 src1_sel:DWORD
	s_mov_b64 s[4:5], 0
                                        ; implicit-def: $sgpr10
	s_and_saveexec_b64 s[8:9], s[6:7]
	s_xor_b64 s[6:7], exec, s[8:9]
	s_cbranch_execz .LBB1_10797
; %bb.46637:
	s_getpc_b64 s[14:15]
.Lpost_getpc8982:
	s_add_u32 s14, s14, (.LBB1_25133-.Lpost_getpc8982)&4294967295
	s_addc_u32 s15, s15, (.LBB1_25133-.Lpost_getpc8982)>>32
	s_setpc_b64 s[14:15]
.LBB1_10797:
	s_or_saveexec_b64 s[6:7], s[6:7]
	v_mov_b32_e32 v12, s10
	s_xor_b64 exec, exec, s[6:7]
	s_cbranch_execz .LBB1_10798
; %bb.46639:
	s_getpc_b64 s[14:15]
.Lpost_getpc8983:
	s_add_u32 s14, s14, (.LBB1_25136-.Lpost_getpc8983)&4294967295
	s_addc_u32 s15, s15, (.LBB1_25136-.Lpost_getpc8983)>>32
	s_setpc_b64 s[14:15]
.LBB1_10798:
	s_or_b64 exec, exec, s[6:7]
	s_and_saveexec_b64 s[6:7], s[4:5]
	s_cbranch_execz .LBB1_10800
.LBB1_10799:
	v_bfe_u32 v12, v3, 8, 3
	v_ffbh_u32_e32 v14, v12
	v_min_u32_e32 v14, 32, v14
	v_lshrrev_b16_e32 v13, 3, v6
	v_subrev_u32_e32 v15, 28, v14
	v_and_b32_e32 v13, 15, v13
	v_lshlrev_b32_e32 v6, v15, v6
	v_sub_u32_e32 v14, 29, v14
	v_and_b32_e32 v6, 7, v6
	v_cmp_eq_u16_e32 vcc, 0, v13
	v_cndmask_b32_e32 v6, v12, v6, vcc
	v_cndmask_b32_e32 v12, v13, v14, vcc
	v_lshlrev_b32_e32 v13, 16, v3
	v_mov_b32_e32 v14, 0x3b800000
	v_lshlrev_b32_e32 v6, 20, v6
	v_and_b32_e32 v13, 0x80000000, v13
	v_lshl_add_u32 v12, v12, 23, v14
	v_or3_b32 v12, v13, v12, v6
.LBB1_10800:
	s_or_b64 exec, exec, s[6:7]
	s_nop 0
	v_mfma_f32_16x16x4f32 a[0:3], v2, v12, a[0:3]
	s_movk_i32 s4, 0xff
	v_and_b32_sdwa v6, v7, s4 dst_sel:DWORD dst_unused:UNUSED_PAD src0_sel:WORD_1 src1_sel:DWORD
	s_movk_i32 s4, 0x7f
	v_cmp_lt_i16_e32 vcc, s4, v6
	s_mov_b64 s[4:5], 0
                                        ; implicit-def: $sgpr10
	s_and_saveexec_b64 s[6:7], vcc
	s_xor_b64 s[6:7], exec, s[6:7]
	s_cbranch_execz .LBB1_10801
; %bb.46641:
	s_getpc_b64 s[14:15]
.Lpost_getpc8984:
	s_add_u32 s14, s14, (.LBB1_25137-.Lpost_getpc8984)&4294967295
	s_addc_u32 s15, s15, (.LBB1_25137-.Lpost_getpc8984)>>32
	s_setpc_b64 s[14:15]
.LBB1_10801:
	s_or_saveexec_b64 s[6:7], s[6:7]
	v_mov_b32_e32 v2, s10
	s_xor_b64 exec, exec, s[6:7]
	s_cbranch_execz .LBB1_10802
; %bb.46643:
	s_getpc_b64 s[14:15]
.Lpost_getpc8985:
	s_add_u32 s14, s14, (.LBB1_25140-.Lpost_getpc8985)&4294967295
	s_addc_u32 s15, s15, (.LBB1_25140-.Lpost_getpc8985)>>32
	s_setpc_b64 s[14:15]
.LBB1_10802:
	s_or_b64 exec, exec, s[6:7]
	s_and_saveexec_b64 s[6:7], s[4:5]
	s_cbranch_execz .LBB1_10804
.LBB1_10803:
	v_bfe_u32 v2, v7, 16, 3
	v_ffbh_u32_e32 v13, v2
	v_min_u32_e32 v13, 32, v13
	v_lshrrev_b32_e32 v6, 19, v7
	v_subrev_u32_e32 v14, 28, v13
	v_and_b32_e32 v6, 15, v6
	v_lshlrev_b32_sdwa v14, v14, v7 dst_sel:DWORD dst_unused:UNUSED_PAD src0_sel:DWORD src1_sel:WORD_1
	v_bfe_u32 v12, v7, 19, 4
	v_sub_u32_e32 v13, 29, v13
	v_and_b32_e32 v14, 7, v14
	v_cmp_eq_u16_e32 vcc, 0, v6
	v_cndmask_b32_e32 v2, v2, v14, vcc
	v_cndmask_b32_e32 v6, v12, v13, vcc
	v_lshlrev_b32_e32 v12, 8, v7
	v_mov_b32_e32 v13, 0x3b800000
	v_lshlrev_b32_e32 v2, 20, v2
	v_and_b32_e32 v12, 0x80000000, v12
	v_lshl_add_u32 v6, v6, 23, v13
	v_or3_b32 v2, v12, v6, v2
.LBB1_10804:
	s_or_b64 exec, exec, s[6:7]
	s_movk_i32 s4, 0xff
	v_and_b32_sdwa v6, v3, s4 dst_sel:DWORD dst_unused:UNUSED_PAD src0_sel:WORD_1 src1_sel:DWORD
	s_movk_i32 s4, 0x7f
	v_cmp_lt_i16_e32 vcc, s4, v6
	s_mov_b64 s[4:5], 0
                                        ; implicit-def: $sgpr10
	s_and_saveexec_b64 s[6:7], vcc
	s_xor_b64 s[6:7], exec, s[6:7]
	s_cbranch_execz .LBB1_10805
; %bb.46645:
	s_getpc_b64 s[14:15]
.Lpost_getpc8986:
	s_add_u32 s14, s14, (.LBB1_25141-.Lpost_getpc8986)&4294967295
	s_addc_u32 s15, s15, (.LBB1_25141-.Lpost_getpc8986)>>32
	s_setpc_b64 s[14:15]
.LBB1_10805:
	s_or_saveexec_b64 s[6:7], s[6:7]
	v_mov_b32_e32 v12, s10
	s_xor_b64 exec, exec, s[6:7]
	s_cbranch_execz .LBB1_10806
; %bb.46647:
	s_getpc_b64 s[14:15]
.Lpost_getpc8987:
	s_add_u32 s14, s14, (.LBB1_25144-.Lpost_getpc8987)&4294967295
	s_addc_u32 s15, s15, (.LBB1_25144-.Lpost_getpc8987)>>32
	s_setpc_b64 s[14:15]
.LBB1_10806:
	s_or_b64 exec, exec, s[6:7]
	s_and_saveexec_b64 s[6:7], s[4:5]
	s_cbranch_execz .LBB1_10808
.LBB1_10807:
	v_bfe_u32 v6, v3, 16, 3
	v_ffbh_u32_e32 v14, v6
	v_min_u32_e32 v14, 32, v14
	v_lshrrev_b32_e32 v12, 19, v3
	v_subrev_u32_e32 v15, 28, v14
	v_and_b32_e32 v12, 15, v12
	v_lshlrev_b32_sdwa v15, v15, v3 dst_sel:DWORD dst_unused:UNUSED_PAD src0_sel:DWORD src1_sel:WORD_1
	v_bfe_u32 v13, v3, 19, 4
	v_sub_u32_e32 v14, 29, v14
	v_and_b32_e32 v15, 7, v15
	v_cmp_eq_u16_e32 vcc, 0, v12
	v_cndmask_b32_e32 v6, v6, v15, vcc
	v_cndmask_b32_e32 v12, v13, v14, vcc
	v_lshlrev_b32_e32 v13, 8, v3
	v_mov_b32_e32 v14, 0x3b800000
	v_lshlrev_b32_e32 v6, 20, v6
	v_and_b32_e32 v13, 0x80000000, v13
	v_lshl_add_u32 v12, v12, 23, v14
	v_or3_b32 v12, v13, v12, v6
.LBB1_10808:
	s_or_b64 exec, exec, s[6:7]
	s_nop 0
	v_mfma_f32_16x16x4f32 a[0:3], v2, v12, a[0:3]
	s_movk_i32 s4, 0x7f
	v_cmp_gt_i16_sdwa s[6:7], v7, s4 src0_sel:BYTE_3 src1_sel:DWORD
	s_mov_b64 s[4:5], 0
                                        ; implicit-def: $sgpr10
	s_and_saveexec_b64 s[8:9], s[6:7]
	s_xor_b64 s[6:7], exec, s[8:9]
	s_cbranch_execz .LBB1_10809
; %bb.46649:
	s_getpc_b64 s[14:15]
.Lpost_getpc8988:
	s_add_u32 s14, s14, (.LBB1_25145-.Lpost_getpc8988)&4294967295
	s_addc_u32 s15, s15, (.LBB1_25145-.Lpost_getpc8988)>>32
	s_setpc_b64 s[14:15]
.LBB1_10809:
	s_or_saveexec_b64 s[6:7], s[6:7]
	v_mov_b32_e32 v2, s10
	s_xor_b64 exec, exec, s[6:7]
	s_cbranch_execz .LBB1_10810
; %bb.46651:
	s_getpc_b64 s[14:15]
.Lpost_getpc8989:
	s_add_u32 s14, s14, (.LBB1_25148-.Lpost_getpc8989)&4294967295
	s_addc_u32 s15, s15, (.LBB1_25148-.Lpost_getpc8989)>>32
	s_setpc_b64 s[14:15]
.LBB1_10810:
	s_or_b64 exec, exec, s[6:7]
	s_and_saveexec_b64 s[6:7], s[4:5]
	s_cbranch_execz .LBB1_10812
.LBB1_10811:
	v_bfe_u32 v2, v7, 24, 3
	v_ffbh_u32_e32 v14, v2
	v_min_u32_e32 v14, 32, v14
	v_lshrrev_b32_e32 v12, 27, v7
	v_subrev_u32_e32 v15, 28, v14
	v_and_b32_e32 v6, 0x80000000, v7
	v_and_b32_e32 v12, 15, v12
	v_bfe_u32 v13, v7, 27, 4
	v_lshlrev_b32_sdwa v7, v15, v7 dst_sel:DWORD dst_unused:UNUSED_PAD src0_sel:DWORD src1_sel:BYTE_3
	v_sub_u32_e32 v14, 29, v14
	v_and_b32_e32 v7, 7, v7
	v_cmp_eq_u16_e32 vcc, 0, v12
	v_cndmask_b32_e32 v2, v2, v7, vcc
	v_cndmask_b32_e32 v7, v13, v14, vcc
	v_mov_b32_e32 v12, 0x3b800000
	v_lshlrev_b32_e32 v2, 20, v2
	v_lshl_add_u32 v7, v7, 23, v12
	v_or3_b32 v2, v6, v7, v2
.LBB1_10812:
	s_or_b64 exec, exec, s[6:7]
	s_movk_i32 s4, 0x7f
	v_cmp_gt_i16_sdwa s[6:7], v3, s4 src0_sel:BYTE_3 src1_sel:DWORD
	s_mov_b64 s[4:5], 0
                                        ; implicit-def: $sgpr10
	s_and_saveexec_b64 s[8:9], s[6:7]
	s_xor_b64 s[6:7], exec, s[8:9]
	s_cbranch_execz .LBB1_10813
; %bb.46653:
	s_getpc_b64 s[14:15]
.Lpost_getpc8990:
	s_add_u32 s14, s14, (.LBB1_25149-.Lpost_getpc8990)&4294967295
	s_addc_u32 s15, s15, (.LBB1_25149-.Lpost_getpc8990)>>32
	s_setpc_b64 s[14:15]
.LBB1_10813:
	s_or_saveexec_b64 s[6:7], s[6:7]
	v_mov_b32_e32 v6, s10
	s_xor_b64 exec, exec, s[6:7]
	s_cbranch_execz .LBB1_10814
; %bb.46655:
	s_getpc_b64 s[14:15]
.Lpost_getpc8991:
	s_add_u32 s14, s14, (.LBB1_25152-.Lpost_getpc8991)&4294967295
	s_addc_u32 s15, s15, (.LBB1_25152-.Lpost_getpc8991)>>32
	s_setpc_b64 s[14:15]
.LBB1_10814:
	s_or_b64 exec, exec, s[6:7]
	s_and_saveexec_b64 s[6:7], s[4:5]
	s_cbranch_execz .LBB1_10816
.LBB1_10815:
	v_bfe_u32 v6, v3, 24, 3
	v_ffbh_u32_e32 v14, v6
	v_min_u32_e32 v14, 32, v14
	v_lshrrev_b32_e32 v12, 27, v3
	v_subrev_u32_e32 v15, 28, v14
	v_and_b32_e32 v7, 0x80000000, v3
	v_and_b32_e32 v12, 15, v12
	v_bfe_u32 v13, v3, 27, 4
	v_lshlrev_b32_sdwa v3, v15, v3 dst_sel:DWORD dst_unused:UNUSED_PAD src0_sel:DWORD src1_sel:BYTE_3
	v_sub_u32_e32 v14, 29, v14
	v_and_b32_e32 v3, 7, v3
	v_cmp_eq_u16_e32 vcc, 0, v12
	v_cndmask_b32_e32 v3, v6, v3, vcc
	v_cndmask_b32_e32 v6, v13, v14, vcc
	v_mov_b32_e32 v12, 0x3b800000
	v_lshlrev_b32_e32 v3, 20, v3
	v_lshl_add_u32 v6, v6, 23, v12
	v_or3_b32 v6, v7, v6, v3
.LBB1_10816:
	s_or_b64 exec, exec, s[6:7]
	s_nop 0
	v_mfma_f32_16x16x4f32 a[0:3], v2, v6, a[0:3]
	s_movk_i32 s4, 0x7f
	v_cmp_gt_i16_sdwa s[6:7], v8, s4 src0_sel:BYTE_0 src1_sel:DWORD
	s_mov_b64 s[4:5], 0
                                        ; implicit-def: $sgpr10
	s_and_saveexec_b64 s[8:9], s[6:7]
	s_xor_b64 s[6:7], exec, s[8:9]
	s_cbranch_execz .LBB1_10817
; %bb.46657:
	s_getpc_b64 s[14:15]
.Lpost_getpc8992:
	s_add_u32 s14, s14, (.LBB1_25153-.Lpost_getpc8992)&4294967295
	s_addc_u32 s15, s15, (.LBB1_25153-.Lpost_getpc8992)>>32
	s_setpc_b64 s[14:15]
.LBB1_10817:
	s_or_saveexec_b64 s[6:7], s[6:7]
	v_mov_b32_e32 v2, s10
	s_xor_b64 exec, exec, s[6:7]
	s_cbranch_execz .LBB1_10818
; %bb.46659:
	s_getpc_b64 s[14:15]
.Lpost_getpc8993:
	s_add_u32 s14, s14, (.LBB1_25156-.Lpost_getpc8993)&4294967295
	s_addc_u32 s15, s15, (.LBB1_25156-.Lpost_getpc8993)>>32
	s_setpc_b64 s[14:15]
.LBB1_10818:
	s_or_b64 exec, exec, s[6:7]
	s_and_saveexec_b64 s[6:7], s[4:5]
	s_cbranch_execz .LBB1_10820
.LBB1_10819:
	v_and_b32_e32 v2, 7, v8
	v_ffbh_u32_e32 v6, v2
	v_min_u32_e32 v6, 32, v6
	v_lshrrev_b16_e32 v3, 3, v8
	v_subrev_u32_e32 v7, 28, v6
	v_and_b32_e32 v3, 15, v3
	v_lshlrev_b32_e32 v7, v7, v8
	v_sub_u32_e32 v6, 29, v6
	v_and_b32_e32 v7, 7, v7
	v_cmp_eq_u16_e32 vcc, 0, v3
	v_cndmask_b32_e32 v2, v2, v7, vcc
	v_cndmask_b32_e32 v3, v3, v6, vcc
	v_lshlrev_b32_e32 v6, 24, v8
	v_mov_b32_e32 v7, 0x3b800000
	v_lshlrev_b32_e32 v2, 20, v2
	v_and_b32_e32 v6, 0x80000000, v6
	v_lshl_add_u32 v3, v3, 23, v7
	v_or3_b32 v2, v6, v3, v2
.LBB1_10820:
	s_or_b64 exec, exec, s[6:7]
	s_movk_i32 s4, 0x7f
	v_cmp_gt_i16_sdwa s[6:7], v4, s4 src0_sel:BYTE_0 src1_sel:DWORD
	s_mov_b64 s[4:5], 0
                                        ; implicit-def: $sgpr10
	s_and_saveexec_b64 s[8:9], s[6:7]
	s_xor_b64 s[6:7], exec, s[8:9]
	s_cbranch_execz .LBB1_10821
; %bb.46661:
	s_getpc_b64 s[14:15]
.Lpost_getpc8994:
	s_add_u32 s14, s14, (.LBB1_25157-.Lpost_getpc8994)&4294967295
	s_addc_u32 s15, s15, (.LBB1_25157-.Lpost_getpc8994)>>32
	s_setpc_b64 s[14:15]
.LBB1_10821:
	s_or_saveexec_b64 s[6:7], s[6:7]
	v_mov_b32_e32 v3, s10
	s_xor_b64 exec, exec, s[6:7]
	s_cbranch_execz .LBB1_10822
; %bb.46663:
	s_getpc_b64 s[14:15]
.Lpost_getpc8995:
	s_add_u32 s14, s14, (.LBB1_25160-.Lpost_getpc8995)&4294967295
	s_addc_u32 s15, s15, (.LBB1_25160-.Lpost_getpc8995)>>32
	s_setpc_b64 s[14:15]
.LBB1_10822:
	s_or_b64 exec, exec, s[6:7]
	s_and_saveexec_b64 s[6:7], s[4:5]
	s_cbranch_execz .LBB1_10824
.LBB1_10823:
	v_and_b32_e32 v3, 7, v4
	v_ffbh_u32_e32 v7, v3
	v_min_u32_e32 v7, 32, v7
	v_lshrrev_b16_e32 v6, 3, v4
	v_subrev_u32_e32 v12, 28, v7
	v_and_b32_e32 v6, 15, v6
	v_lshlrev_b32_e32 v12, v12, v4
	v_sub_u32_e32 v7, 29, v7
	v_and_b32_e32 v12, 7, v12
	v_cmp_eq_u16_e32 vcc, 0, v6
	v_cndmask_b32_e32 v3, v3, v12, vcc
	v_cndmask_b32_e32 v6, v6, v7, vcc
	v_lshlrev_b32_e32 v7, 24, v4
	v_mov_b32_e32 v12, 0x3b800000
	v_lshlrev_b32_e32 v3, 20, v3
	v_and_b32_e32 v7, 0x80000000, v7
	v_lshl_add_u32 v6, v6, 23, v12
	v_or3_b32 v3, v7, v6, v3
.LBB1_10824:
	s_or_b64 exec, exec, s[6:7]
	s_nop 0
	v_mfma_f32_16x16x4f32 a[0:3], v2, v3, a[0:3]
	v_lshrrev_b32_e32 v3, 8, v8
	s_movk_i32 s4, 0x7f
	v_cmp_gt_i16_sdwa s[6:7], v3, s4 src0_sel:BYTE_0 src1_sel:DWORD
	s_mov_b64 s[4:5], 0
                                        ; implicit-def: $sgpr10
	s_and_saveexec_b64 s[8:9], s[6:7]
	s_xor_b64 s[6:7], exec, s[8:9]
	s_cbranch_execz .LBB1_10825
; %bb.46665:
	s_getpc_b64 s[14:15]
.Lpost_getpc8996:
	s_add_u32 s14, s14, (.LBB1_25161-.Lpost_getpc8996)&4294967295
	s_addc_u32 s15, s15, (.LBB1_25161-.Lpost_getpc8996)>>32
	s_setpc_b64 s[14:15]
.LBB1_10825:
	s_or_saveexec_b64 s[6:7], s[6:7]
	v_mov_b32_e32 v2, s10
	s_xor_b64 exec, exec, s[6:7]
	s_cbranch_execz .LBB1_10826
; %bb.46667:
	s_getpc_b64 s[14:15]
.Lpost_getpc8997:
	s_add_u32 s14, s14, (.LBB1_25164-.Lpost_getpc8997)&4294967295
	s_addc_u32 s15, s15, (.LBB1_25164-.Lpost_getpc8997)>>32
	s_setpc_b64 s[14:15]
.LBB1_10826:
	s_or_b64 exec, exec, s[6:7]
	s_and_saveexec_b64 s[6:7], s[4:5]
	s_cbranch_execz .LBB1_10828
.LBB1_10827:
	v_bfe_u32 v2, v8, 8, 3
	v_ffbh_u32_e32 v7, v2
	v_min_u32_e32 v7, 32, v7
	v_lshrrev_b16_e32 v6, 3, v3
	v_subrev_u32_e32 v12, 28, v7
	v_and_b32_e32 v6, 15, v6
	v_lshlrev_b32_e32 v3, v12, v3
	v_sub_u32_e32 v7, 29, v7
	v_and_b32_e32 v3, 7, v3
	v_cmp_eq_u16_e32 vcc, 0, v6
	v_cndmask_b32_e32 v2, v2, v3, vcc
	v_cndmask_b32_e32 v3, v6, v7, vcc
	v_lshlrev_b32_e32 v6, 16, v8
	v_mov_b32_e32 v7, 0x3b800000
	v_lshlrev_b32_e32 v2, 20, v2
	v_and_b32_e32 v6, 0x80000000, v6
	v_lshl_add_u32 v3, v3, 23, v7
	v_or3_b32 v2, v6, v3, v2
.LBB1_10828:
	s_or_b64 exec, exec, s[6:7]
	v_lshrrev_b32_e32 v3, 8, v4
	s_movk_i32 s4, 0x7f
	v_cmp_gt_i16_sdwa s[6:7], v3, s4 src0_sel:BYTE_0 src1_sel:DWORD
	s_mov_b64 s[4:5], 0
                                        ; implicit-def: $sgpr10
	s_and_saveexec_b64 s[8:9], s[6:7]
	s_xor_b64 s[6:7], exec, s[8:9]
	s_cbranch_execz .LBB1_10829
; %bb.46669:
	s_getpc_b64 s[14:15]
.Lpost_getpc8998:
	s_add_u32 s14, s14, (.LBB1_25165-.Lpost_getpc8998)&4294967295
	s_addc_u32 s15, s15, (.LBB1_25165-.Lpost_getpc8998)>>32
	s_setpc_b64 s[14:15]
.LBB1_10829:
	s_or_saveexec_b64 s[6:7], s[6:7]
	v_mov_b32_e32 v6, s10
	s_xor_b64 exec, exec, s[6:7]
	s_cbranch_execz .LBB1_10830
; %bb.46671:
	s_getpc_b64 s[14:15]
.Lpost_getpc8999:
	s_add_u32 s14, s14, (.LBB1_25168-.Lpost_getpc8999)&4294967295
	s_addc_u32 s15, s15, (.LBB1_25168-.Lpost_getpc8999)>>32
	s_setpc_b64 s[14:15]
.LBB1_10830:
	s_or_b64 exec, exec, s[6:7]
	s_and_saveexec_b64 s[6:7], s[4:5]
	s_cbranch_execz .LBB1_10832
.LBB1_10831:
	v_bfe_u32 v6, v4, 8, 3
	v_ffbh_u32_e32 v12, v6
	v_min_u32_e32 v12, 32, v12
	v_lshrrev_b16_e32 v7, 3, v3
	v_subrev_u32_e32 v13, 28, v12
	v_and_b32_e32 v7, 15, v7
	v_lshlrev_b32_e32 v3, v13, v3
	v_sub_u32_e32 v12, 29, v12
	v_and_b32_e32 v3, 7, v3
	v_cmp_eq_u16_e32 vcc, 0, v7
	v_cndmask_b32_e32 v3, v6, v3, vcc
	v_cndmask_b32_e32 v6, v7, v12, vcc
	v_lshlrev_b32_e32 v7, 16, v4
	v_mov_b32_e32 v12, 0x3b800000
	v_lshlrev_b32_e32 v3, 20, v3
	v_and_b32_e32 v7, 0x80000000, v7
	v_lshl_add_u32 v6, v6, 23, v12
	v_or3_b32 v6, v7, v6, v3
.LBB1_10832:
	s_or_b64 exec, exec, s[6:7]
	s_nop 0
	v_mfma_f32_16x16x4f32 a[0:3], v2, v6, a[0:3]
	s_movk_i32 s4, 0xff
	v_and_b32_sdwa v3, v8, s4 dst_sel:DWORD dst_unused:UNUSED_PAD src0_sel:WORD_1 src1_sel:DWORD
	s_movk_i32 s4, 0x7f
	v_cmp_lt_i16_e32 vcc, s4, v3
	s_mov_b64 s[4:5], 0
                                        ; implicit-def: $sgpr10
	s_and_saveexec_b64 s[6:7], vcc
	s_xor_b64 s[6:7], exec, s[6:7]
	s_cbranch_execz .LBB1_10833
; %bb.46673:
	s_getpc_b64 s[14:15]
.Lpost_getpc9000:
	s_add_u32 s14, s14, (.LBB1_25169-.Lpost_getpc9000)&4294967295
	s_addc_u32 s15, s15, (.LBB1_25169-.Lpost_getpc9000)>>32
	s_setpc_b64 s[14:15]
.LBB1_10833:
	s_or_saveexec_b64 s[6:7], s[6:7]
	v_mov_b32_e32 v2, s10
	s_xor_b64 exec, exec, s[6:7]
	s_cbranch_execz .LBB1_10834
; %bb.46675:
	s_getpc_b64 s[14:15]
.Lpost_getpc9001:
	s_add_u32 s14, s14, (.LBB1_25172-.Lpost_getpc9001)&4294967295
	s_addc_u32 s15, s15, (.LBB1_25172-.Lpost_getpc9001)>>32
	s_setpc_b64 s[14:15]
.LBB1_10834:
	s_or_b64 exec, exec, s[6:7]
	s_and_saveexec_b64 s[6:7], s[4:5]
	s_cbranch_execz .LBB1_10836
.LBB1_10835:
	v_bfe_u32 v2, v8, 16, 3
	v_ffbh_u32_e32 v7, v2
	v_min_u32_e32 v7, 32, v7
	v_lshrrev_b32_e32 v3, 19, v8
	v_subrev_u32_e32 v12, 28, v7
	v_and_b32_e32 v3, 15, v3
	v_lshlrev_b32_sdwa v12, v12, v8 dst_sel:DWORD dst_unused:UNUSED_PAD src0_sel:DWORD src1_sel:WORD_1
	v_bfe_u32 v6, v8, 19, 4
	v_sub_u32_e32 v7, 29, v7
	v_and_b32_e32 v12, 7, v12
	v_cmp_eq_u16_e32 vcc, 0, v3
	v_cndmask_b32_e32 v2, v2, v12, vcc
	v_cndmask_b32_e32 v3, v6, v7, vcc
	v_lshlrev_b32_e32 v6, 8, v8
	v_mov_b32_e32 v7, 0x3b800000
	v_lshlrev_b32_e32 v2, 20, v2
	v_and_b32_e32 v6, 0x80000000, v6
	v_lshl_add_u32 v3, v3, 23, v7
	v_or3_b32 v2, v6, v3, v2
.LBB1_10836:
	s_or_b64 exec, exec, s[6:7]
	s_movk_i32 s4, 0xff
	v_and_b32_sdwa v3, v4, s4 dst_sel:DWORD dst_unused:UNUSED_PAD src0_sel:WORD_1 src1_sel:DWORD
	s_movk_i32 s4, 0x7f
	v_cmp_lt_i16_e32 vcc, s4, v3
	s_mov_b64 s[4:5], 0
                                        ; implicit-def: $sgpr10
	s_and_saveexec_b64 s[6:7], vcc
	s_xor_b64 s[6:7], exec, s[6:7]
	s_cbranch_execz .LBB1_10837
; %bb.46677:
	s_getpc_b64 s[14:15]
.Lpost_getpc9002:
	s_add_u32 s14, s14, (.LBB1_25173-.Lpost_getpc9002)&4294967295
	s_addc_u32 s15, s15, (.LBB1_25173-.Lpost_getpc9002)>>32
	s_setpc_b64 s[14:15]
.LBB1_10837:
	s_or_saveexec_b64 s[6:7], s[6:7]
	v_mov_b32_e32 v6, s10
	s_xor_b64 exec, exec, s[6:7]
	s_cbranch_execz .LBB1_10838
; %bb.46679:
	s_getpc_b64 s[14:15]
.Lpost_getpc9003:
	s_add_u32 s14, s14, (.LBB1_25176-.Lpost_getpc9003)&4294967295
	s_addc_u32 s15, s15, (.LBB1_25176-.Lpost_getpc9003)>>32
	s_setpc_b64 s[14:15]
.LBB1_10838:
	s_or_b64 exec, exec, s[6:7]
	s_and_saveexec_b64 s[6:7], s[4:5]
	s_cbranch_execz .LBB1_10840
.LBB1_10839:
	v_bfe_u32 v3, v4, 16, 3
	v_ffbh_u32_e32 v12, v3
	v_min_u32_e32 v12, 32, v12
	v_lshrrev_b32_e32 v6, 19, v4
	v_subrev_u32_e32 v13, 28, v12
	v_and_b32_e32 v6, 15, v6
	v_lshlrev_b32_sdwa v13, v13, v4 dst_sel:DWORD dst_unused:UNUSED_PAD src0_sel:DWORD src1_sel:WORD_1
	v_bfe_u32 v7, v4, 19, 4
	v_sub_u32_e32 v12, 29, v12
	v_and_b32_e32 v13, 7, v13
	v_cmp_eq_u16_e32 vcc, 0, v6
	v_cndmask_b32_e32 v3, v3, v13, vcc
	v_cndmask_b32_e32 v6, v7, v12, vcc
	v_lshlrev_b32_e32 v7, 8, v4
	v_mov_b32_e32 v12, 0x3b800000
	v_lshlrev_b32_e32 v3, 20, v3
	v_and_b32_e32 v7, 0x80000000, v7
	v_lshl_add_u32 v6, v6, 23, v12
	v_or3_b32 v6, v7, v6, v3
.LBB1_10840:
	s_or_b64 exec, exec, s[6:7]
	s_nop 0
	v_mfma_f32_16x16x4f32 a[0:3], v2, v6, a[0:3]
	s_movk_i32 s4, 0x7f
	v_cmp_gt_i16_sdwa s[6:7], v8, s4 src0_sel:BYTE_3 src1_sel:DWORD
	s_mov_b64 s[4:5], 0
                                        ; implicit-def: $sgpr10
	s_and_saveexec_b64 s[8:9], s[6:7]
	s_xor_b64 s[6:7], exec, s[8:9]
	s_cbranch_execz .LBB1_10841
; %bb.46681:
	s_getpc_b64 s[14:15]
.Lpost_getpc9004:
	s_add_u32 s14, s14, (.LBB1_25177-.Lpost_getpc9004)&4294967295
	s_addc_u32 s15, s15, (.LBB1_25177-.Lpost_getpc9004)>>32
	s_setpc_b64 s[14:15]
.LBB1_10841:
	s_or_saveexec_b64 s[6:7], s[6:7]
	v_mov_b32_e32 v2, s10
	s_xor_b64 exec, exec, s[6:7]
	s_cbranch_execz .LBB1_10842
; %bb.46683:
	s_getpc_b64 s[14:15]
.Lpost_getpc9005:
	s_add_u32 s14, s14, (.LBB1_25180-.Lpost_getpc9005)&4294967295
	s_addc_u32 s15, s15, (.LBB1_25180-.Lpost_getpc9005)>>32
	s_setpc_b64 s[14:15]
.LBB1_10842:
	s_or_b64 exec, exec, s[6:7]
	s_and_saveexec_b64 s[6:7], s[4:5]
	s_cbranch_execz .LBB1_10844
.LBB1_10843:
	v_bfe_u32 v2, v8, 24, 3
	v_ffbh_u32_e32 v12, v2
	v_min_u32_e32 v12, 32, v12
	v_lshrrev_b32_e32 v6, 27, v8
	v_subrev_u32_e32 v13, 28, v12
	v_and_b32_e32 v3, 0x80000000, v8
	v_and_b32_e32 v6, 15, v6
	v_bfe_u32 v7, v8, 27, 4
	v_lshlrev_b32_sdwa v8, v13, v8 dst_sel:DWORD dst_unused:UNUSED_PAD src0_sel:DWORD src1_sel:BYTE_3
	v_sub_u32_e32 v12, 29, v12
	v_and_b32_e32 v8, 7, v8
	v_cmp_eq_u16_e32 vcc, 0, v6
	v_cndmask_b32_e32 v2, v2, v8, vcc
	v_cndmask_b32_e32 v6, v7, v12, vcc
	v_mov_b32_e32 v7, 0x3b800000
	v_lshlrev_b32_e32 v2, 20, v2
	v_lshl_add_u32 v6, v6, 23, v7
	v_or3_b32 v2, v3, v6, v2
.LBB1_10844:
	s_or_b64 exec, exec, s[6:7]
	s_movk_i32 s4, 0x7f
	v_cmp_gt_i16_sdwa s[6:7], v4, s4 src0_sel:BYTE_3 src1_sel:DWORD
	s_mov_b64 s[4:5], 0
                                        ; implicit-def: $sgpr10
	s_and_saveexec_b64 s[8:9], s[6:7]
	s_xor_b64 s[6:7], exec, s[8:9]
	s_cbranch_execz .LBB1_10845
; %bb.46685:
	s_getpc_b64 s[14:15]
.Lpost_getpc9006:
	s_add_u32 s14, s14, (.LBB1_25181-.Lpost_getpc9006)&4294967295
	s_addc_u32 s15, s15, (.LBB1_25181-.Lpost_getpc9006)>>32
	s_setpc_b64 s[14:15]
.LBB1_10845:
	s_or_saveexec_b64 s[6:7], s[6:7]
	v_mov_b32_e32 v3, s10
	s_xor_b64 exec, exec, s[6:7]
	s_cbranch_execz .LBB1_10846
; %bb.46687:
	s_getpc_b64 s[14:15]
.Lpost_getpc9007:
	s_add_u32 s14, s14, (.LBB1_25184-.Lpost_getpc9007)&4294967295
	s_addc_u32 s15, s15, (.LBB1_25184-.Lpost_getpc9007)>>32
	s_setpc_b64 s[14:15]
.LBB1_10846:
	s_or_b64 exec, exec, s[6:7]
	s_and_saveexec_b64 s[6:7], s[4:5]
	s_cbranch_execz .LBB1_10848
.LBB1_10847:
	v_bfe_u32 v3, v4, 24, 3
	v_ffbh_u32_e32 v12, v3
	v_min_u32_e32 v12, 32, v12
	v_lshrrev_b32_e32 v7, 27, v4
	v_subrev_u32_e32 v13, 28, v12
	v_and_b32_e32 v6, 0x80000000, v4
	v_and_b32_e32 v7, 15, v7
	v_bfe_u32 v8, v4, 27, 4
	v_lshlrev_b32_sdwa v4, v13, v4 dst_sel:DWORD dst_unused:UNUSED_PAD src0_sel:DWORD src1_sel:BYTE_3
	v_sub_u32_e32 v12, 29, v12
	v_and_b32_e32 v4, 7, v4
	v_cmp_eq_u16_e32 vcc, 0, v7
	v_cndmask_b32_e32 v3, v3, v4, vcc
	v_cndmask_b32_e32 v4, v8, v12, vcc
	v_mov_b32_e32 v7, 0x3b800000
	v_lshlrev_b32_e32 v3, 20, v3
	v_lshl_add_u32 v4, v4, 23, v7
	v_or3_b32 v3, v6, v4, v3
.LBB1_10848:
	s_or_b64 exec, exec, s[6:7]
	s_nop 0
	v_mfma_f32_16x16x4f32 a[0:3], v2, v3, a[0:3]
	s_movk_i32 s4, 0x7f
	v_cmp_gt_i16_sdwa s[6:7], v9, s4 src0_sel:BYTE_0 src1_sel:DWORD
	s_mov_b64 s[4:5], 0
                                        ; implicit-def: $sgpr10
	s_and_saveexec_b64 s[8:9], s[6:7]
	s_xor_b64 s[6:7], exec, s[8:9]
	s_cbranch_execz .LBB1_10849
; %bb.46689:
	s_getpc_b64 s[14:15]
.Lpost_getpc9008:
	s_add_u32 s14, s14, (.LBB1_25185-.Lpost_getpc9008)&4294967295
	s_addc_u32 s15, s15, (.LBB1_25185-.Lpost_getpc9008)>>32
	s_setpc_b64 s[14:15]
.LBB1_10849:
	s_or_saveexec_b64 s[6:7], s[6:7]
	v_mov_b32_e32 v2, s10
	s_xor_b64 exec, exec, s[6:7]
	s_cbranch_execz .LBB1_10850
; %bb.46691:
	s_getpc_b64 s[14:15]
.Lpost_getpc9009:
	s_add_u32 s14, s14, (.LBB1_25188-.Lpost_getpc9009)&4294967295
	s_addc_u32 s15, s15, (.LBB1_25188-.Lpost_getpc9009)>>32
	s_setpc_b64 s[14:15]
.LBB1_10850:
	s_or_b64 exec, exec, s[6:7]
	s_and_saveexec_b64 s[6:7], s[4:5]
	s_cbranch_execz .LBB1_10852
.LBB1_10851:
	v_mov_b32_e32 v2, 8
	v_and_b32_e32 v3, 7, v9
	v_lshrrev_b32_sdwa v2, v2, v9 dst_sel:BYTE_1 dst_unused:UNUSED_PAD src0_sel:DWORD src1_sel:DWORD
	v_ffbh_u32_e32 v4, v3
	v_or_b32_sdwa v2, v9, v2 dst_sel:DWORD dst_unused:UNUSED_PAD src0_sel:BYTE_0 src1_sel:DWORD
	v_min_u32_e32 v4, 32, v4
	v_lshrrev_b16_e32 v2, 3, v2
	v_subrev_u32_e32 v6, 28, v4
	v_and_b32_e32 v2, 15, v2
	v_lshlrev_b32_e32 v6, v6, v9
	v_sub_u32_e32 v4, 29, v4
	v_and_b32_e32 v6, 7, v6
	v_cmp_eq_u16_e32 vcc, 0, v2
	v_cndmask_b32_e32 v3, v3, v6, vcc
	v_cndmask_b32_e32 v2, v2, v4, vcc
	v_lshlrev_b32_e32 v4, 24, v9
	v_mov_b32_e32 v6, 0x3b800000
	v_lshlrev_b32_e32 v3, 20, v3
	v_and_b32_e32 v4, 0x80000000, v4
	v_lshl_add_u32 v2, v2, 23, v6
	v_or3_b32 v2, v4, v2, v3
.LBB1_10852:
	s_or_b64 exec, exec, s[6:7]
	s_movk_i32 s4, 0x7f
	v_cmp_gt_i16_sdwa s[6:7], v5, s4 src0_sel:BYTE_0 src1_sel:DWORD
	s_mov_b64 s[4:5], 0
                                        ; implicit-def: $sgpr10
	s_and_saveexec_b64 s[8:9], s[6:7]
	s_xor_b64 s[6:7], exec, s[8:9]
	s_cbranch_execz .LBB1_10853
; %bb.46693:
	s_getpc_b64 s[14:15]
.Lpost_getpc9010:
	s_add_u32 s14, s14, (.LBB1_25189-.Lpost_getpc9010)&4294967295
	s_addc_u32 s15, s15, (.LBB1_25189-.Lpost_getpc9010)>>32
	s_setpc_b64 s[14:15]
.LBB1_10853:
	s_or_saveexec_b64 s[6:7], s[6:7]
	v_mov_b32_e32 v3, s10
	s_xor_b64 exec, exec, s[6:7]
	s_cbranch_execz .LBB1_10854
; %bb.46695:
	s_getpc_b64 s[14:15]
.Lpost_getpc9011:
	s_add_u32 s14, s14, (.LBB1_25192-.Lpost_getpc9011)&4294967295
	s_addc_u32 s15, s15, (.LBB1_25192-.Lpost_getpc9011)>>32
	s_setpc_b64 s[14:15]
.LBB1_10854:
	s_or_b64 exec, exec, s[6:7]
	s_and_saveexec_b64 s[6:7], s[4:5]
	s_cbranch_execz .LBB1_10856
.LBB1_10855:
	v_mov_b32_e32 v3, 8
	v_and_b32_e32 v4, 7, v5
	v_lshrrev_b32_sdwa v3, v3, v5 dst_sel:BYTE_1 dst_unused:UNUSED_PAD src0_sel:DWORD src1_sel:DWORD
	v_ffbh_u32_e32 v6, v4
	v_or_b32_sdwa v3, v5, v3 dst_sel:DWORD dst_unused:UNUSED_PAD src0_sel:BYTE_0 src1_sel:DWORD
	v_min_u32_e32 v6, 32, v6
	v_lshrrev_b16_e32 v3, 3, v3
	v_subrev_u32_e32 v7, 28, v6
	v_and_b32_e32 v3, 15, v3
	v_lshlrev_b32_e32 v7, v7, v5
	v_sub_u32_e32 v6, 29, v6
	v_and_b32_e32 v7, 7, v7
	v_cmp_eq_u16_e32 vcc, 0, v3
	v_cndmask_b32_e32 v4, v4, v7, vcc
	v_cndmask_b32_e32 v3, v3, v6, vcc
	v_lshlrev_b32_e32 v6, 24, v5
	v_mov_b32_e32 v7, 0x3b800000
	v_lshlrev_b32_e32 v4, 20, v4
	v_and_b32_e32 v6, 0x80000000, v6
	v_lshl_add_u32 v3, v3, 23, v7
	v_or3_b32 v3, v6, v3, v4
.LBB1_10856:
	s_or_b64 exec, exec, s[6:7]
	s_nop 0
	v_mfma_f32_16x16x4f32 a[0:3], v2, v3, a[0:3]
	v_lshrrev_b32_e32 v3, 8, v9
	s_movk_i32 s4, 0x7f
	v_cmp_gt_i16_sdwa s[6:7], v3, s4 src0_sel:BYTE_0 src1_sel:DWORD
	s_mov_b64 s[4:5], 0
                                        ; implicit-def: $sgpr10
	s_and_saveexec_b64 s[8:9], s[6:7]
	s_xor_b64 s[6:7], exec, s[8:9]
	s_cbranch_execz .LBB1_10857
; %bb.46697:
	s_getpc_b64 s[14:15]
.Lpost_getpc9012:
	s_add_u32 s14, s14, (.LBB1_25193-.Lpost_getpc9012)&4294967295
	s_addc_u32 s15, s15, (.LBB1_25193-.Lpost_getpc9012)>>32
	s_setpc_b64 s[14:15]
.LBB1_10857:
	s_or_saveexec_b64 s[6:7], s[6:7]
	v_mov_b32_e32 v2, s10
	s_xor_b64 exec, exec, s[6:7]
	s_cbranch_execz .LBB1_10858
; %bb.46699:
	s_getpc_b64 s[14:15]
.Lpost_getpc9013:
	s_add_u32 s14, s14, (.LBB1_25196-.Lpost_getpc9013)&4294967295
	s_addc_u32 s15, s15, (.LBB1_25196-.Lpost_getpc9013)>>32
	s_setpc_b64 s[14:15]
.LBB1_10858:
	s_or_b64 exec, exec, s[6:7]
	s_and_saveexec_b64 s[6:7], s[4:5]
	s_cbranch_execz .LBB1_10860
.LBB1_10859:
	v_bfe_u32 v2, v9, 8, 3
	v_ffbh_u32_e32 v6, v2
	v_min_u32_e32 v6, 32, v6
	v_lshrrev_b16_e32 v4, 3, v3
	v_subrev_u32_e32 v7, 28, v6
	v_and_b32_e32 v4, 15, v4
	v_lshlrev_b32_e32 v3, v7, v3
	v_sub_u32_e32 v6, 29, v6
	v_and_b32_e32 v3, 7, v3
	v_cmp_eq_u16_e32 vcc, 0, v4
	v_cndmask_b32_e32 v2, v2, v3, vcc
	v_cndmask_b32_e32 v3, v4, v6, vcc
	v_lshlrev_b32_e32 v4, 16, v9
	v_mov_b32_e32 v6, 0x3b800000
	v_lshlrev_b32_e32 v2, 20, v2
	v_and_b32_e32 v4, 0x80000000, v4
	v_lshl_add_u32 v3, v3, 23, v6
	v_or3_b32 v2, v4, v3, v2
.LBB1_10860:
	s_or_b64 exec, exec, s[6:7]
	v_lshrrev_b32_e32 v3, 8, v5
	s_movk_i32 s4, 0x7f
	v_cmp_gt_i16_sdwa s[6:7], v3, s4 src0_sel:BYTE_0 src1_sel:DWORD
	s_mov_b64 s[4:5], 0
                                        ; implicit-def: $sgpr10
	s_and_saveexec_b64 s[8:9], s[6:7]
	s_xor_b64 s[6:7], exec, s[8:9]
	s_cbranch_execz .LBB1_10861
; %bb.46701:
	s_getpc_b64 s[14:15]
.Lpost_getpc9014:
	s_add_u32 s14, s14, (.LBB1_25197-.Lpost_getpc9014)&4294967295
	s_addc_u32 s15, s15, (.LBB1_25197-.Lpost_getpc9014)>>32
	s_setpc_b64 s[14:15]
.LBB1_10861:
	s_or_saveexec_b64 s[6:7], s[6:7]
	v_mov_b32_e32 v4, s10
	s_xor_b64 exec, exec, s[6:7]
	s_cbranch_execz .LBB1_10862
; %bb.46703:
	s_getpc_b64 s[14:15]
.Lpost_getpc9015:
	s_add_u32 s14, s14, (.LBB1_25200-.Lpost_getpc9015)&4294967295
	s_addc_u32 s15, s15, (.LBB1_25200-.Lpost_getpc9015)>>32
	s_setpc_b64 s[14:15]
.LBB1_10862:
	s_or_b64 exec, exec, s[6:7]
	s_and_saveexec_b64 s[6:7], s[4:5]
	s_cbranch_execz .LBB1_10864
.LBB1_10863:
	v_bfe_u32 v4, v5, 8, 3
	v_ffbh_u32_e32 v7, v4
	v_min_u32_e32 v7, 32, v7
	v_lshrrev_b16_e32 v6, 3, v3
	v_subrev_u32_e32 v8, 28, v7
	v_and_b32_e32 v6, 15, v6
	v_lshlrev_b32_e32 v3, v8, v3
	v_sub_u32_e32 v7, 29, v7
	v_and_b32_e32 v3, 7, v3
	v_cmp_eq_u16_e32 vcc, 0, v6
	v_cndmask_b32_e32 v3, v4, v3, vcc
	v_cndmask_b32_e32 v4, v6, v7, vcc
	v_lshlrev_b32_e32 v6, 16, v5
	v_mov_b32_e32 v7, 0x3b800000
	v_lshlrev_b32_e32 v3, 20, v3
	v_and_b32_e32 v6, 0x80000000, v6
	v_lshl_add_u32 v4, v4, 23, v7
	v_or3_b32 v4, v6, v4, v3
.LBB1_10864:
	s_or_b64 exec, exec, s[6:7]
	s_nop 0
	v_mfma_f32_16x16x4f32 a[0:3], v2, v4, a[0:3]
	s_movk_i32 s4, 0xff
	v_and_b32_sdwa v3, v9, s4 dst_sel:DWORD dst_unused:UNUSED_PAD src0_sel:WORD_1 src1_sel:DWORD
	s_movk_i32 s4, 0x7f
	v_cmp_lt_i16_e32 vcc, s4, v3
	s_mov_b64 s[4:5], 0
                                        ; implicit-def: $sgpr10
	s_and_saveexec_b64 s[6:7], vcc
	s_xor_b64 s[6:7], exec, s[6:7]
	s_cbranch_execz .LBB1_10865
; %bb.46705:
	s_getpc_b64 s[14:15]
.Lpost_getpc9016:
	s_add_u32 s14, s14, (.LBB1_25201-.Lpost_getpc9016)&4294967295
	s_addc_u32 s15, s15, (.LBB1_25201-.Lpost_getpc9016)>>32
	s_setpc_b64 s[14:15]
.LBB1_10865:
	s_or_saveexec_b64 s[6:7], s[6:7]
	v_mov_b32_e32 v2, s10
	s_xor_b64 exec, exec, s[6:7]
	s_cbranch_execz .LBB1_10866
; %bb.46707:
	s_getpc_b64 s[14:15]
.Lpost_getpc9017:
	s_add_u32 s14, s14, (.LBB1_25204-.Lpost_getpc9017)&4294967295
	s_addc_u32 s15, s15, (.LBB1_25204-.Lpost_getpc9017)>>32
	s_setpc_b64 s[14:15]
.LBB1_10866:
	s_or_b64 exec, exec, s[6:7]
	s_and_saveexec_b64 s[6:7], s[4:5]
	s_cbranch_execz .LBB1_10868
.LBB1_10867:
	v_bfe_u32 v2, v9, 16, 3
	v_ffbh_u32_e32 v6, v2
	v_min_u32_e32 v6, 32, v6
	v_lshrrev_b32_e32 v3, 19, v9
	v_subrev_u32_e32 v7, 28, v6
	v_and_b32_e32 v3, 15, v3
	v_lshlrev_b32_sdwa v7, v7, v9 dst_sel:DWORD dst_unused:UNUSED_PAD src0_sel:DWORD src1_sel:WORD_1
	v_bfe_u32 v4, v9, 19, 4
	v_sub_u32_e32 v6, 29, v6
	v_and_b32_e32 v7, 7, v7
	v_cmp_eq_u16_e32 vcc, 0, v3
	v_cndmask_b32_e32 v2, v2, v7, vcc
	v_cndmask_b32_e32 v3, v4, v6, vcc
	v_lshlrev_b32_e32 v4, 8, v9
	v_mov_b32_e32 v6, 0x3b800000
	v_lshlrev_b32_e32 v2, 20, v2
	v_and_b32_e32 v4, 0x80000000, v4
	v_lshl_add_u32 v3, v3, 23, v6
	v_or3_b32 v2, v4, v3, v2
.LBB1_10868:
	s_or_b64 exec, exec, s[6:7]
	s_movk_i32 s4, 0xff
	v_and_b32_sdwa v3, v5, s4 dst_sel:DWORD dst_unused:UNUSED_PAD src0_sel:WORD_1 src1_sel:DWORD
	s_movk_i32 s4, 0x7f
	v_cmp_lt_i16_e32 vcc, s4, v3
	s_mov_b64 s[4:5], 0
                                        ; implicit-def: $sgpr10
	s_and_saveexec_b64 s[6:7], vcc
	s_xor_b64 s[6:7], exec, s[6:7]
	s_cbranch_execz .LBB1_10869
; %bb.46709:
	s_getpc_b64 s[14:15]
.Lpost_getpc9018:
	s_add_u32 s14, s14, (.LBB1_25205-.Lpost_getpc9018)&4294967295
	s_addc_u32 s15, s15, (.LBB1_25205-.Lpost_getpc9018)>>32
	s_setpc_b64 s[14:15]
.LBB1_10869:
	s_or_saveexec_b64 s[6:7], s[6:7]
	v_mov_b32_e32 v4, s10
	s_xor_b64 exec, exec, s[6:7]
	s_cbranch_execz .LBB1_10870
; %bb.46711:
	s_getpc_b64 s[14:15]
.Lpost_getpc9019:
	s_add_u32 s14, s14, (.LBB1_25208-.Lpost_getpc9019)&4294967295
	s_addc_u32 s15, s15, (.LBB1_25208-.Lpost_getpc9019)>>32
	s_setpc_b64 s[14:15]
.LBB1_10870:
	s_or_b64 exec, exec, s[6:7]
	s_and_saveexec_b64 s[6:7], s[4:5]
	s_cbranch_execz .LBB1_10872
.LBB1_10871:
	v_bfe_u32 v3, v5, 16, 3
	v_ffbh_u32_e32 v7, v3
	v_min_u32_e32 v7, 32, v7
	v_lshrrev_b32_e32 v4, 19, v5
	v_subrev_u32_e32 v8, 28, v7
	v_and_b32_e32 v4, 15, v4
	v_lshlrev_b32_sdwa v8, v8, v5 dst_sel:DWORD dst_unused:UNUSED_PAD src0_sel:DWORD src1_sel:WORD_1
	v_bfe_u32 v6, v5, 19, 4
	v_sub_u32_e32 v7, 29, v7
	v_and_b32_e32 v8, 7, v8
	v_cmp_eq_u16_e32 vcc, 0, v4
	v_cndmask_b32_e32 v3, v3, v8, vcc
	v_cndmask_b32_e32 v4, v6, v7, vcc
	v_lshlrev_b32_e32 v6, 8, v5
	v_mov_b32_e32 v7, 0x3b800000
	v_lshlrev_b32_e32 v3, 20, v3
	v_and_b32_e32 v6, 0x80000000, v6
	v_lshl_add_u32 v4, v4, 23, v7
	v_or3_b32 v4, v6, v4, v3
.LBB1_10872:
	s_or_b64 exec, exec, s[6:7]
	s_nop 0
	v_mfma_f32_16x16x4f32 a[0:3], v2, v4, a[0:3]
	s_movk_i32 s4, 0x7f
	v_cmp_gt_i16_sdwa s[6:7], v9, s4 src0_sel:BYTE_3 src1_sel:DWORD
	s_mov_b64 s[4:5], 0
                                        ; implicit-def: $sgpr10
	s_and_saveexec_b64 s[8:9], s[6:7]
	s_xor_b64 s[6:7], exec, s[8:9]
	s_cbranch_execz .LBB1_10873
; %bb.46713:
	s_getpc_b64 s[14:15]
.Lpost_getpc9020:
	s_add_u32 s14, s14, (.LBB1_25209-.Lpost_getpc9020)&4294967295
	s_addc_u32 s15, s15, (.LBB1_25209-.Lpost_getpc9020)>>32
	s_setpc_b64 s[14:15]
.LBB1_10873:
	s_or_saveexec_b64 s[6:7], s[6:7]
	v_mov_b32_e32 v2, s10
	s_xor_b64 exec, exec, s[6:7]
	s_cbranch_execz .LBB1_10874
; %bb.46715:
	s_getpc_b64 s[14:15]
.Lpost_getpc9021:
	s_add_u32 s14, s14, (.LBB1_25212-.Lpost_getpc9021)&4294967295
	s_addc_u32 s15, s15, (.LBB1_25212-.Lpost_getpc9021)>>32
	s_setpc_b64 s[14:15]
.LBB1_10874:
	s_or_b64 exec, exec, s[6:7]
	s_and_saveexec_b64 s[6:7], s[4:5]
	s_cbranch_execz .LBB1_10876
.LBB1_10875:
	v_bfe_u32 v2, v9, 24, 3
	v_ffbh_u32_e32 v7, v2
	v_min_u32_e32 v7, 32, v7
	v_lshrrev_b32_e32 v4, 27, v9
	v_subrev_u32_e32 v8, 28, v7
	v_and_b32_e32 v4, 15, v4
	v_lshlrev_b32_sdwa v8, v8, v9 dst_sel:DWORD dst_unused:UNUSED_PAD src0_sel:DWORD src1_sel:BYTE_3
	v_bfe_u32 v6, v9, 27, 4
	v_sub_u32_e32 v7, 29, v7
	v_and_b32_e32 v8, 7, v8
	v_cmp_eq_u16_e32 vcc, 0, v4
	v_cndmask_b32_e32 v2, v2, v8, vcc
	v_cndmask_b32_e32 v4, v6, v7, vcc
	v_mov_b32_e32 v6, 0x3b800000
	v_and_b32_e32 v3, 0x80000000, v9
	v_lshlrev_b32_e32 v2, 20, v2
	v_lshl_add_u32 v4, v4, 23, v6
	v_or3_b32 v2, v3, v4, v2
.LBB1_10876:
	s_or_b64 exec, exec, s[6:7]
	s_movk_i32 s4, 0x7f
	v_cmp_gt_i16_sdwa s[6:7], v5, s4 src0_sel:BYTE_3 src1_sel:DWORD
	s_mov_b64 s[4:5], 0
                                        ; implicit-def: $sgpr10
	s_and_saveexec_b64 s[8:9], s[6:7]
	s_xor_b64 s[6:7], exec, s[8:9]
	s_cbranch_execz .LBB1_10877
; %bb.46717:
	s_getpc_b64 s[14:15]
.Lpost_getpc9022:
	s_add_u32 s14, s14, (.LBB1_25213-.Lpost_getpc9022)&4294967295
	s_addc_u32 s15, s15, (.LBB1_25213-.Lpost_getpc9022)>>32
	s_setpc_b64 s[14:15]
.LBB1_10877:
	s_or_saveexec_b64 s[6:7], s[6:7]
	v_mov_b32_e32 v3, s10
	s_xor_b64 exec, exec, s[6:7]
	s_cbranch_execz .LBB1_10878
; %bb.46719:
	s_getpc_b64 s[14:15]
.Lpost_getpc9023:
	s_add_u32 s14, s14, (.LBB1_25216-.Lpost_getpc9023)&4294967295
	s_addc_u32 s15, s15, (.LBB1_25216-.Lpost_getpc9023)>>32
	s_setpc_b64 s[14:15]
.LBB1_10878:
	s_or_b64 exec, exec, s[6:7]
	s_and_saveexec_b64 s[6:7], s[4:5]
	s_cbranch_execz .LBB1_10880
.LBB1_10879:
	v_bfe_u32 v3, v5, 24, 3
	v_ffbh_u32_e32 v8, v3
	v_min_u32_e32 v8, 32, v8
	v_lshrrev_b32_e32 v6, 27, v5
	v_subrev_u32_e32 v9, 28, v8
	v_and_b32_e32 v4, 0x80000000, v5
	v_and_b32_e32 v6, 15, v6
	v_bfe_u32 v7, v5, 27, 4
	v_lshlrev_b32_sdwa v5, v9, v5 dst_sel:DWORD dst_unused:UNUSED_PAD src0_sel:DWORD src1_sel:BYTE_3
	v_sub_u32_e32 v8, 29, v8
	v_and_b32_e32 v5, 7, v5
	v_cmp_eq_u16_e32 vcc, 0, v6
	v_cndmask_b32_e32 v3, v3, v5, vcc
	v_cndmask_b32_e32 v5, v7, v8, vcc
	v_mov_b32_e32 v6, 0x3b800000
	v_lshlrev_b32_e32 v3, 20, v3
	v_lshl_add_u32 v5, v5, 23, v6
	v_or3_b32 v3, v4, v5, v3
.LBB1_10880:
	s_or_b64 exec, exec, s[6:7]
	s_nop 0
	v_mfma_f32_16x16x4f32 a[0:3], v2, v3, a[0:3]
	s_movk_i32 s4, 0x7f
                                        ; implicit-def: $sgpr10
	s_nop 7
	s_nop 1
	flat_store_dwordx4 v[10:11], a[0:3] offset:448
	flat_load_dwordx4 v[12:15], v[0:1]
	s_nop 0
	flat_load_dwordx2 v[10:11], v[0:1] offset:16
	s_waitcnt vmcnt(0) lgkmcnt(0)
	flat_load_dwordx4 v[6:9], v[12:13] offset:160
	flat_load_dwordx4 v[2:5], v[14:15] offset:208
	s_waitcnt vmcnt(0) lgkmcnt(0)
	v_cmp_gt_i16_sdwa s[6:7], v6, s4 src0_sel:BYTE_0 src1_sel:DWORD
	s_mov_b64 s[4:5], 0
	s_and_saveexec_b64 s[8:9], s[6:7]
	s_xor_b64 s[6:7], exec, s[8:9]
	s_cbranch_execz .LBB1_10881
; %bb.46721:
	s_getpc_b64 s[14:15]
.Lpost_getpc9024:
	s_add_u32 s14, s14, (.LBB1_25217-.Lpost_getpc9024)&4294967295
	s_addc_u32 s15, s15, (.LBB1_25217-.Lpost_getpc9024)>>32
	s_setpc_b64 s[14:15]
.LBB1_10881:
	s_or_saveexec_b64 s[6:7], s[6:7]
	v_mov_b32_e32 v12, s10
	s_xor_b64 exec, exec, s[6:7]
	s_cbranch_execz .LBB1_10882
; %bb.46723:
	s_getpc_b64 s[14:15]
.Lpost_getpc9025:
	s_add_u32 s14, s14, (.LBB1_25220-.Lpost_getpc9025)&4294967295
	s_addc_u32 s15, s15, (.LBB1_25220-.Lpost_getpc9025)>>32
	s_setpc_b64 s[14:15]
.LBB1_10882:
	s_or_b64 exec, exec, s[6:7]
	s_and_saveexec_b64 s[6:7], s[4:5]
	s_cbranch_execz .LBB1_10884
.LBB1_10883:
	v_and_b32_e32 v12, 7, v6
	v_ffbh_u32_e32 v14, v12
	v_min_u32_e32 v14, 32, v14
	v_lshrrev_b16_e32 v13, 3, v6
	v_subrev_u32_e32 v15, 28, v14
	v_and_b32_e32 v13, 15, v13
	v_lshlrev_b32_e32 v15, v15, v6
	v_sub_u32_e32 v14, 29, v14
	v_and_b32_e32 v15, 7, v15
	v_cmp_eq_u16_e32 vcc, 0, v13
	v_cndmask_b32_e32 v12, v12, v15, vcc
	v_cndmask_b32_e32 v13, v13, v14, vcc
	v_lshlrev_b32_e32 v14, 24, v6
	v_mov_b32_e32 v15, 0x3b800000
	v_lshlrev_b32_e32 v12, 20, v12
	v_and_b32_e32 v14, 0x80000000, v14
	v_lshl_add_u32 v13, v13, 23, v15
	v_or3_b32 v12, v14, v13, v12
.LBB1_10884:
	s_or_b64 exec, exec, s[6:7]
	s_movk_i32 s4, 0x7f
	v_cmp_gt_i16_sdwa s[6:7], v2, s4 src0_sel:BYTE_0 src1_sel:DWORD
	s_mov_b64 s[4:5], 0
                                        ; implicit-def: $sgpr10
	s_and_saveexec_b64 s[8:9], s[6:7]
	s_xor_b64 s[6:7], exec, s[8:9]
	s_cbranch_execz .LBB1_10885
; %bb.46725:
	s_getpc_b64 s[14:15]
.Lpost_getpc9026:
	s_add_u32 s14, s14, (.LBB1_25221-.Lpost_getpc9026)&4294967295
	s_addc_u32 s15, s15, (.LBB1_25221-.Lpost_getpc9026)>>32
	s_setpc_b64 s[14:15]
.LBB1_10885:
	s_or_saveexec_b64 s[6:7], s[6:7]
	v_mov_b32_e32 v13, s10
	s_xor_b64 exec, exec, s[6:7]
	s_cbranch_execz .LBB1_10886
; %bb.46727:
	s_getpc_b64 s[14:15]
.Lpost_getpc9027:
	s_add_u32 s14, s14, (.LBB1_25224-.Lpost_getpc9027)&4294967295
	s_addc_u32 s15, s15, (.LBB1_25224-.Lpost_getpc9027)>>32
	s_setpc_b64 s[14:15]
.LBB1_10886:
	s_or_b64 exec, exec, s[6:7]
	s_and_saveexec_b64 s[6:7], s[4:5]
	s_cbranch_execz .LBB1_10888
.LBB1_10887:
	v_and_b32_e32 v13, 7, v2
	v_ffbh_u32_e32 v15, v13
	v_min_u32_e32 v15, 32, v15
	v_lshrrev_b16_e32 v14, 3, v2
	v_subrev_u32_e32 v16, 28, v15
	v_and_b32_e32 v14, 15, v14
	v_lshlrev_b32_e32 v16, v16, v2
	v_sub_u32_e32 v15, 29, v15
	v_and_b32_e32 v16, 7, v16
	v_cmp_eq_u16_e32 vcc, 0, v14
	v_cndmask_b32_e32 v13, v13, v16, vcc
	v_cndmask_b32_e32 v14, v14, v15, vcc
	v_lshlrev_b32_e32 v15, 24, v2
	v_mov_b32_e32 v16, 0x3b800000
	v_lshlrev_b32_e32 v13, 20, v13
	v_and_b32_e32 v15, 0x80000000, v15
	v_lshl_add_u32 v14, v14, 23, v16
	v_or3_b32 v13, v15, v14, v13
.LBB1_10888:
	s_or_b64 exec, exec, s[6:7]
	flat_load_dwordx4 a[0:3], v[10:11] offset:464
	s_movk_i32 s4, 0x7f
                                        ; implicit-def: $sgpr10
	s_waitcnt vmcnt(0) lgkmcnt(0)
	v_mfma_f32_16x16x4f32 a[0:3], v12, v13, a[0:3]
	v_lshrrev_b32_e32 v13, 8, v6
	v_cmp_gt_i16_sdwa s[6:7], v13, s4 src0_sel:BYTE_0 src1_sel:DWORD
	s_mov_b64 s[4:5], 0
	s_and_saveexec_b64 s[8:9], s[6:7]
	s_xor_b64 s[6:7], exec, s[8:9]
	s_cbranch_execz .LBB1_10889
; %bb.46729:
	s_getpc_b64 s[14:15]
.Lpost_getpc9028:
	s_add_u32 s14, s14, (.LBB1_25225-.Lpost_getpc9028)&4294967295
	s_addc_u32 s15, s15, (.LBB1_25225-.Lpost_getpc9028)>>32
	s_setpc_b64 s[14:15]
.LBB1_10889:
	s_or_saveexec_b64 s[6:7], s[6:7]
	v_mov_b32_e32 v12, s10
	s_xor_b64 exec, exec, s[6:7]
	s_cbranch_execz .LBB1_10890
; %bb.46731:
	s_getpc_b64 s[14:15]
.Lpost_getpc9029:
	s_add_u32 s14, s14, (.LBB1_25228-.Lpost_getpc9029)&4294967295
	s_addc_u32 s15, s15, (.LBB1_25228-.Lpost_getpc9029)>>32
	s_setpc_b64 s[14:15]
.LBB1_10890:
	s_or_b64 exec, exec, s[6:7]
	s_and_saveexec_b64 s[6:7], s[4:5]
	s_cbranch_execz .LBB1_10892
.LBB1_10891:
	v_bfe_u32 v12, v6, 8, 3
	v_ffbh_u32_e32 v15, v12
	v_min_u32_e32 v15, 32, v15
	v_lshrrev_b16_e32 v14, 3, v13
	v_subrev_u32_e32 v16, 28, v15
	v_and_b32_e32 v14, 15, v14
	v_lshlrev_b32_e32 v13, v16, v13
	v_sub_u32_e32 v15, 29, v15
	v_and_b32_e32 v13, 7, v13
	v_cmp_eq_u16_e32 vcc, 0, v14
	v_cndmask_b32_e32 v12, v12, v13, vcc
	v_cndmask_b32_e32 v13, v14, v15, vcc
	v_lshlrev_b32_e32 v14, 16, v6
	v_mov_b32_e32 v15, 0x3b800000
	v_lshlrev_b32_e32 v12, 20, v12
	v_and_b32_e32 v14, 0x80000000, v14
	v_lshl_add_u32 v13, v13, 23, v15
	v_or3_b32 v12, v14, v13, v12
.LBB1_10892:
	s_or_b64 exec, exec, s[6:7]
	v_lshrrev_b32_e32 v13, 8, v2
	s_movk_i32 s4, 0x7f
	v_cmp_gt_i16_sdwa s[6:7], v13, s4 src0_sel:BYTE_0 src1_sel:DWORD
	s_mov_b64 s[4:5], 0
                                        ; implicit-def: $sgpr10
	s_and_saveexec_b64 s[8:9], s[6:7]
	s_xor_b64 s[6:7], exec, s[8:9]
	s_cbranch_execz .LBB1_10893
; %bb.46733:
	s_getpc_b64 s[14:15]
.Lpost_getpc9030:
	s_add_u32 s14, s14, (.LBB1_25229-.Lpost_getpc9030)&4294967295
	s_addc_u32 s15, s15, (.LBB1_25229-.Lpost_getpc9030)>>32
	s_setpc_b64 s[14:15]
.LBB1_10893:
	s_or_saveexec_b64 s[6:7], s[6:7]
	v_mov_b32_e32 v14, s10
	s_xor_b64 exec, exec, s[6:7]
	s_cbranch_execz .LBB1_10894
; %bb.46735:
	s_getpc_b64 s[14:15]
.Lpost_getpc9031:
	s_add_u32 s14, s14, (.LBB1_25232-.Lpost_getpc9031)&4294967295
	s_addc_u32 s15, s15, (.LBB1_25232-.Lpost_getpc9031)>>32
	s_setpc_b64 s[14:15]
.LBB1_10894:
	s_or_b64 exec, exec, s[6:7]
	s_and_saveexec_b64 s[6:7], s[4:5]
	s_cbranch_execz .LBB1_10896
.LBB1_10895:
	v_bfe_u32 v14, v2, 8, 3
	v_ffbh_u32_e32 v16, v14
	v_min_u32_e32 v16, 32, v16
	v_lshrrev_b16_e32 v15, 3, v13
	v_subrev_u32_e32 v17, 28, v16
	v_and_b32_e32 v15, 15, v15
	v_lshlrev_b32_e32 v13, v17, v13
	v_sub_u32_e32 v16, 29, v16
	v_and_b32_e32 v13, 7, v13
	v_cmp_eq_u16_e32 vcc, 0, v15
	v_cndmask_b32_e32 v13, v14, v13, vcc
	v_cndmask_b32_e32 v14, v15, v16, vcc
	v_lshlrev_b32_e32 v15, 16, v2
	v_mov_b32_e32 v16, 0x3b800000
	v_lshlrev_b32_e32 v13, 20, v13
	v_and_b32_e32 v15, 0x80000000, v15
	v_lshl_add_u32 v14, v14, 23, v16
	v_or3_b32 v14, v15, v14, v13
.LBB1_10896:
	s_or_b64 exec, exec, s[6:7]
	s_nop 0
	v_mfma_f32_16x16x4f32 a[0:3], v12, v14, a[0:3]
	s_movk_i32 s4, 0xff
	v_and_b32_sdwa v13, v6, s4 dst_sel:DWORD dst_unused:UNUSED_PAD src0_sel:WORD_1 src1_sel:DWORD
	s_movk_i32 s4, 0x7f
	v_cmp_lt_i16_e32 vcc, s4, v13
	s_mov_b64 s[4:5], 0
                                        ; implicit-def: $sgpr10
	s_and_saveexec_b64 s[6:7], vcc
	s_xor_b64 s[6:7], exec, s[6:7]
	s_cbranch_execz .LBB1_10897
; %bb.46737:
	s_getpc_b64 s[14:15]
.Lpost_getpc9032:
	s_add_u32 s14, s14, (.LBB1_25233-.Lpost_getpc9032)&4294967295
	s_addc_u32 s15, s15, (.LBB1_25233-.Lpost_getpc9032)>>32
	s_setpc_b64 s[14:15]
.LBB1_10897:
	s_or_saveexec_b64 s[6:7], s[6:7]
	v_mov_b32_e32 v12, s10
	s_xor_b64 exec, exec, s[6:7]
	s_cbranch_execz .LBB1_10898
; %bb.46739:
	s_getpc_b64 s[14:15]
.Lpost_getpc9033:
	s_add_u32 s14, s14, (.LBB1_25236-.Lpost_getpc9033)&4294967295
	s_addc_u32 s15, s15, (.LBB1_25236-.Lpost_getpc9033)>>32
	s_setpc_b64 s[14:15]
.LBB1_10898:
	s_or_b64 exec, exec, s[6:7]
	s_and_saveexec_b64 s[6:7], s[4:5]
	s_cbranch_execz .LBB1_10900
.LBB1_10899:
	v_bfe_u32 v12, v6, 16, 3
	v_ffbh_u32_e32 v15, v12
	v_min_u32_e32 v15, 32, v15
	v_lshrrev_b32_e32 v13, 19, v6
	v_subrev_u32_e32 v16, 28, v15
	v_and_b32_e32 v13, 15, v13
	v_lshlrev_b32_sdwa v16, v16, v6 dst_sel:DWORD dst_unused:UNUSED_PAD src0_sel:DWORD src1_sel:WORD_1
	v_bfe_u32 v14, v6, 19, 4
	v_sub_u32_e32 v15, 29, v15
	v_and_b32_e32 v16, 7, v16
	v_cmp_eq_u16_e32 vcc, 0, v13
	v_cndmask_b32_e32 v12, v12, v16, vcc
	v_cndmask_b32_e32 v13, v14, v15, vcc
	v_lshlrev_b32_e32 v14, 8, v6
	v_mov_b32_e32 v15, 0x3b800000
	v_lshlrev_b32_e32 v12, 20, v12
	v_and_b32_e32 v14, 0x80000000, v14
	v_lshl_add_u32 v13, v13, 23, v15
	v_or3_b32 v12, v14, v13, v12
.LBB1_10900:
	s_or_b64 exec, exec, s[6:7]
	s_movk_i32 s4, 0xff
	v_and_b32_sdwa v13, v2, s4 dst_sel:DWORD dst_unused:UNUSED_PAD src0_sel:WORD_1 src1_sel:DWORD
	s_movk_i32 s4, 0x7f
	v_cmp_lt_i16_e32 vcc, s4, v13
	s_mov_b64 s[4:5], 0
                                        ; implicit-def: $sgpr10
	s_and_saveexec_b64 s[6:7], vcc
	s_xor_b64 s[6:7], exec, s[6:7]
	s_cbranch_execz .LBB1_10901
; %bb.46741:
	s_getpc_b64 s[14:15]
.Lpost_getpc9034:
	s_add_u32 s14, s14, (.LBB1_25237-.Lpost_getpc9034)&4294967295
	s_addc_u32 s15, s15, (.LBB1_25237-.Lpost_getpc9034)>>32
	s_setpc_b64 s[14:15]
.LBB1_10901:
	s_or_saveexec_b64 s[6:7], s[6:7]
	v_mov_b32_e32 v14, s10
	s_xor_b64 exec, exec, s[6:7]
	s_cbranch_execz .LBB1_10902
; %bb.46743:
	s_getpc_b64 s[14:15]
.Lpost_getpc9035:
	s_add_u32 s14, s14, (.LBB1_25240-.Lpost_getpc9035)&4294967295
	s_addc_u32 s15, s15, (.LBB1_25240-.Lpost_getpc9035)>>32
	s_setpc_b64 s[14:15]
.LBB1_10902:
	s_or_b64 exec, exec, s[6:7]
	s_and_saveexec_b64 s[6:7], s[4:5]
	s_cbranch_execz .LBB1_10904
.LBB1_10903:
	v_bfe_u32 v13, v2, 16, 3
	v_ffbh_u32_e32 v16, v13
	v_min_u32_e32 v16, 32, v16
	v_lshrrev_b32_e32 v14, 19, v2
	v_subrev_u32_e32 v17, 28, v16
	v_and_b32_e32 v14, 15, v14
	v_lshlrev_b32_sdwa v17, v17, v2 dst_sel:DWORD dst_unused:UNUSED_PAD src0_sel:DWORD src1_sel:WORD_1
	v_bfe_u32 v15, v2, 19, 4
	v_sub_u32_e32 v16, 29, v16
	v_and_b32_e32 v17, 7, v17
	v_cmp_eq_u16_e32 vcc, 0, v14
	v_cndmask_b32_e32 v13, v13, v17, vcc
	v_cndmask_b32_e32 v14, v15, v16, vcc
	v_lshlrev_b32_e32 v15, 8, v2
	v_mov_b32_e32 v16, 0x3b800000
	v_lshlrev_b32_e32 v13, 20, v13
	v_and_b32_e32 v15, 0x80000000, v15
	v_lshl_add_u32 v14, v14, 23, v16
	v_or3_b32 v14, v15, v14, v13
.LBB1_10904:
	s_or_b64 exec, exec, s[6:7]
	s_nop 0
	v_mfma_f32_16x16x4f32 a[0:3], v12, v14, a[0:3]
	s_movk_i32 s4, 0x7f
	v_cmp_gt_i16_sdwa s[6:7], v6, s4 src0_sel:BYTE_3 src1_sel:DWORD
	s_mov_b64 s[4:5], 0
                                        ; implicit-def: $sgpr10
	s_and_saveexec_b64 s[8:9], s[6:7]
	s_xor_b64 s[6:7], exec, s[8:9]
	s_cbranch_execz .LBB1_10905
; %bb.46745:
	s_getpc_b64 s[14:15]
.Lpost_getpc9036:
	s_add_u32 s14, s14, (.LBB1_25241-.Lpost_getpc9036)&4294967295
	s_addc_u32 s15, s15, (.LBB1_25241-.Lpost_getpc9036)>>32
	s_setpc_b64 s[14:15]
.LBB1_10905:
	s_or_saveexec_b64 s[6:7], s[6:7]
	v_mov_b32_e32 v12, s10
	s_xor_b64 exec, exec, s[6:7]
	s_cbranch_execz .LBB1_10906
; %bb.46747:
	s_getpc_b64 s[14:15]
.Lpost_getpc9037:
	s_add_u32 s14, s14, (.LBB1_25244-.Lpost_getpc9037)&4294967295
	s_addc_u32 s15, s15, (.LBB1_25244-.Lpost_getpc9037)>>32
	s_setpc_b64 s[14:15]
.LBB1_10906:
	s_or_b64 exec, exec, s[6:7]
	s_and_saveexec_b64 s[6:7], s[4:5]
	s_cbranch_execz .LBB1_10908
.LBB1_10907:
	v_bfe_u32 v12, v6, 24, 3
	v_ffbh_u32_e32 v16, v12
	v_min_u32_e32 v16, 32, v16
	v_lshrrev_b32_e32 v14, 27, v6
	v_subrev_u32_e32 v17, 28, v16
	v_and_b32_e32 v13, 0x80000000, v6
	v_and_b32_e32 v14, 15, v14
	v_bfe_u32 v15, v6, 27, 4
	v_lshlrev_b32_sdwa v6, v17, v6 dst_sel:DWORD dst_unused:UNUSED_PAD src0_sel:DWORD src1_sel:BYTE_3
	v_sub_u32_e32 v16, 29, v16
	v_and_b32_e32 v6, 7, v6
	v_cmp_eq_u16_e32 vcc, 0, v14
	v_cndmask_b32_e32 v6, v12, v6, vcc
	v_cndmask_b32_e32 v12, v15, v16, vcc
	v_mov_b32_e32 v14, 0x3b800000
	v_lshlrev_b32_e32 v6, 20, v6
	v_lshl_add_u32 v12, v12, 23, v14
	v_or3_b32 v12, v13, v12, v6
.LBB1_10908:
	s_or_b64 exec, exec, s[6:7]
	s_movk_i32 s4, 0x7f
	v_cmp_gt_i16_sdwa s[6:7], v2, s4 src0_sel:BYTE_3 src1_sel:DWORD
	s_mov_b64 s[4:5], 0
                                        ; implicit-def: $sgpr10
	s_and_saveexec_b64 s[8:9], s[6:7]
	s_xor_b64 s[6:7], exec, s[8:9]
	s_cbranch_execz .LBB1_10909
; %bb.46749:
	s_getpc_b64 s[14:15]
.Lpost_getpc9038:
	s_add_u32 s14, s14, (.LBB1_25245-.Lpost_getpc9038)&4294967295
	s_addc_u32 s15, s15, (.LBB1_25245-.Lpost_getpc9038)>>32
	s_setpc_b64 s[14:15]
.LBB1_10909:
	s_or_saveexec_b64 s[6:7], s[6:7]
	v_mov_b32_e32 v6, s10
	s_xor_b64 exec, exec, s[6:7]
	s_cbranch_execz .LBB1_10910
; %bb.46751:
	s_getpc_b64 s[14:15]
.Lpost_getpc9039:
	s_add_u32 s14, s14, (.LBB1_25248-.Lpost_getpc9039)&4294967295
	s_addc_u32 s15, s15, (.LBB1_25248-.Lpost_getpc9039)>>32
	s_setpc_b64 s[14:15]
.LBB1_10910:
	s_or_b64 exec, exec, s[6:7]
	s_and_saveexec_b64 s[6:7], s[4:5]
	s_cbranch_execz .LBB1_10912
.LBB1_10911:
	v_bfe_u32 v6, v2, 24, 3
	v_ffbh_u32_e32 v16, v6
	v_min_u32_e32 v16, 32, v16
	v_lshrrev_b32_e32 v14, 27, v2
	v_subrev_u32_e32 v17, 28, v16
	v_and_b32_e32 v13, 0x80000000, v2
	v_and_b32_e32 v14, 15, v14
	v_bfe_u32 v15, v2, 27, 4
	v_lshlrev_b32_sdwa v2, v17, v2 dst_sel:DWORD dst_unused:UNUSED_PAD src0_sel:DWORD src1_sel:BYTE_3
	v_sub_u32_e32 v16, 29, v16
	v_and_b32_e32 v2, 7, v2
	v_cmp_eq_u16_e32 vcc, 0, v14
	v_cndmask_b32_e32 v2, v6, v2, vcc
	v_cndmask_b32_e32 v6, v15, v16, vcc
	v_mov_b32_e32 v14, 0x3b800000
	v_lshlrev_b32_e32 v2, 20, v2
	v_lshl_add_u32 v6, v6, 23, v14
	v_or3_b32 v6, v13, v6, v2
.LBB1_10912:
	s_or_b64 exec, exec, s[6:7]
	s_nop 0
	v_mfma_f32_16x16x4f32 a[0:3], v12, v6, a[0:3]
	s_movk_i32 s4, 0x7f
	v_cmp_gt_i16_sdwa s[6:7], v7, s4 src0_sel:BYTE_0 src1_sel:DWORD
	s_mov_b64 s[4:5], 0
                                        ; implicit-def: $sgpr10
	s_and_saveexec_b64 s[8:9], s[6:7]
	s_xor_b64 s[6:7], exec, s[8:9]
	s_cbranch_execz .LBB1_10913
; %bb.46753:
	s_getpc_b64 s[14:15]
.Lpost_getpc9040:
	s_add_u32 s14, s14, (.LBB1_25249-.Lpost_getpc9040)&4294967295
	s_addc_u32 s15, s15, (.LBB1_25249-.Lpost_getpc9040)>>32
	s_setpc_b64 s[14:15]
.LBB1_10913:
	s_or_saveexec_b64 s[6:7], s[6:7]
	v_mov_b32_e32 v2, s10
	s_xor_b64 exec, exec, s[6:7]
	s_cbranch_execz .LBB1_10914
; %bb.46755:
	s_getpc_b64 s[14:15]
.Lpost_getpc9041:
	s_add_u32 s14, s14, (.LBB1_25252-.Lpost_getpc9041)&4294967295
	s_addc_u32 s15, s15, (.LBB1_25252-.Lpost_getpc9041)>>32
	s_setpc_b64 s[14:15]
.LBB1_10914:
	s_or_b64 exec, exec, s[6:7]
	s_and_saveexec_b64 s[6:7], s[4:5]
	s_cbranch_execz .LBB1_10916
.LBB1_10915:
	v_and_b32_e32 v2, 7, v7
	v_ffbh_u32_e32 v12, v2
	v_min_u32_e32 v12, 32, v12
	v_lshrrev_b16_e32 v6, 3, v7
	v_subrev_u32_e32 v13, 28, v12
	v_and_b32_e32 v6, 15, v6
	v_lshlrev_b32_e32 v13, v13, v7
	v_sub_u32_e32 v12, 29, v12
	v_and_b32_e32 v13, 7, v13
	v_cmp_eq_u16_e32 vcc, 0, v6
	v_cndmask_b32_e32 v2, v2, v13, vcc
	v_cndmask_b32_e32 v6, v6, v12, vcc
	v_lshlrev_b32_e32 v12, 24, v7
	v_mov_b32_e32 v13, 0x3b800000
	v_lshlrev_b32_e32 v2, 20, v2
	v_and_b32_e32 v12, 0x80000000, v12
	v_lshl_add_u32 v6, v6, 23, v13
	v_or3_b32 v2, v12, v6, v2
.LBB1_10916:
	s_or_b64 exec, exec, s[6:7]
	s_movk_i32 s4, 0x7f
	v_cmp_gt_i16_sdwa s[6:7], v3, s4 src0_sel:BYTE_0 src1_sel:DWORD
	s_mov_b64 s[4:5], 0
                                        ; implicit-def: $sgpr10
	s_and_saveexec_b64 s[8:9], s[6:7]
	s_xor_b64 s[6:7], exec, s[8:9]
	s_cbranch_execz .LBB1_10917
; %bb.46757:
	s_getpc_b64 s[14:15]
.Lpost_getpc9042:
	s_add_u32 s14, s14, (.LBB1_25253-.Lpost_getpc9042)&4294967295
	s_addc_u32 s15, s15, (.LBB1_25253-.Lpost_getpc9042)>>32
	s_setpc_b64 s[14:15]
.LBB1_10917:
	s_or_saveexec_b64 s[6:7], s[6:7]
	v_mov_b32_e32 v6, s10
	s_xor_b64 exec, exec, s[6:7]
	s_cbranch_execz .LBB1_10918
; %bb.46759:
	s_getpc_b64 s[14:15]
.Lpost_getpc9043:
	s_add_u32 s14, s14, (.LBB1_25256-.Lpost_getpc9043)&4294967295
	s_addc_u32 s15, s15, (.LBB1_25256-.Lpost_getpc9043)>>32
	s_setpc_b64 s[14:15]
.LBB1_10918:
	s_or_b64 exec, exec, s[6:7]
	s_and_saveexec_b64 s[6:7], s[4:5]
	s_cbranch_execz .LBB1_10920
.LBB1_10919:
	v_and_b32_e32 v6, 7, v3
	v_ffbh_u32_e32 v13, v6
	v_min_u32_e32 v13, 32, v13
	v_lshrrev_b16_e32 v12, 3, v3
	v_subrev_u32_e32 v14, 28, v13
	v_and_b32_e32 v12, 15, v12
	v_lshlrev_b32_e32 v14, v14, v3
	v_sub_u32_e32 v13, 29, v13
	v_and_b32_e32 v14, 7, v14
	v_cmp_eq_u16_e32 vcc, 0, v12
	v_cndmask_b32_e32 v6, v6, v14, vcc
	v_cndmask_b32_e32 v12, v12, v13, vcc
	v_lshlrev_b32_e32 v13, 24, v3
	v_mov_b32_e32 v14, 0x3b800000
	v_lshlrev_b32_e32 v6, 20, v6
	v_and_b32_e32 v13, 0x80000000, v13
	v_lshl_add_u32 v12, v12, 23, v14
	v_or3_b32 v6, v13, v12, v6
.LBB1_10920:
	s_or_b64 exec, exec, s[6:7]
	s_nop 0
	v_mfma_f32_16x16x4f32 a[0:3], v2, v6, a[0:3]
	v_lshrrev_b32_e32 v6, 8, v7
	s_movk_i32 s4, 0x7f
	v_cmp_gt_i16_sdwa s[6:7], v6, s4 src0_sel:BYTE_0 src1_sel:DWORD
	s_mov_b64 s[4:5], 0
                                        ; implicit-def: $sgpr10
	s_and_saveexec_b64 s[8:9], s[6:7]
	s_xor_b64 s[6:7], exec, s[8:9]
	s_cbranch_execz .LBB1_10921
; %bb.46761:
	s_getpc_b64 s[14:15]
.Lpost_getpc9044:
	s_add_u32 s14, s14, (.LBB1_25257-.Lpost_getpc9044)&4294967295
	s_addc_u32 s15, s15, (.LBB1_25257-.Lpost_getpc9044)>>32
	s_setpc_b64 s[14:15]
.LBB1_10921:
	s_or_saveexec_b64 s[6:7], s[6:7]
	v_mov_b32_e32 v2, s10
	s_xor_b64 exec, exec, s[6:7]
	s_cbranch_execz .LBB1_10922
; %bb.46763:
	s_getpc_b64 s[14:15]
.Lpost_getpc9045:
	s_add_u32 s14, s14, (.LBB1_25260-.Lpost_getpc9045)&4294967295
	s_addc_u32 s15, s15, (.LBB1_25260-.Lpost_getpc9045)>>32
	s_setpc_b64 s[14:15]
.LBB1_10922:
	s_or_b64 exec, exec, s[6:7]
	s_and_saveexec_b64 s[6:7], s[4:5]
	s_cbranch_execz .LBB1_10924
.LBB1_10923:
	v_bfe_u32 v2, v7, 8, 3
	v_ffbh_u32_e32 v13, v2
	v_min_u32_e32 v13, 32, v13
	v_lshrrev_b16_e32 v12, 3, v6
	v_subrev_u32_e32 v14, 28, v13
	v_and_b32_e32 v12, 15, v12
	v_lshlrev_b32_e32 v6, v14, v6
	v_sub_u32_e32 v13, 29, v13
	v_and_b32_e32 v6, 7, v6
	v_cmp_eq_u16_e32 vcc, 0, v12
	v_cndmask_b32_e32 v2, v2, v6, vcc
	v_cndmask_b32_e32 v6, v12, v13, vcc
	v_lshlrev_b32_e32 v12, 16, v7
	v_mov_b32_e32 v13, 0x3b800000
	v_lshlrev_b32_e32 v2, 20, v2
	v_and_b32_e32 v12, 0x80000000, v12
	v_lshl_add_u32 v6, v6, 23, v13
	v_or3_b32 v2, v12, v6, v2
.LBB1_10924:
	s_or_b64 exec, exec, s[6:7]
	v_lshrrev_b32_e32 v6, 8, v3
	s_movk_i32 s4, 0x7f
	v_cmp_gt_i16_sdwa s[6:7], v6, s4 src0_sel:BYTE_0 src1_sel:DWORD
	s_mov_b64 s[4:5], 0
                                        ; implicit-def: $sgpr10
	s_and_saveexec_b64 s[8:9], s[6:7]
	s_xor_b64 s[6:7], exec, s[8:9]
	s_cbranch_execz .LBB1_10925
; %bb.46765:
	s_getpc_b64 s[14:15]
.Lpost_getpc9046:
	s_add_u32 s14, s14, (.LBB1_25261-.Lpost_getpc9046)&4294967295
	s_addc_u32 s15, s15, (.LBB1_25261-.Lpost_getpc9046)>>32
	s_setpc_b64 s[14:15]
.LBB1_10925:
	s_or_saveexec_b64 s[6:7], s[6:7]
	v_mov_b32_e32 v12, s10
	s_xor_b64 exec, exec, s[6:7]
	s_cbranch_execz .LBB1_10926
; %bb.46767:
	s_getpc_b64 s[14:15]
.Lpost_getpc9047:
	s_add_u32 s14, s14, (.LBB1_25264-.Lpost_getpc9047)&4294967295
	s_addc_u32 s15, s15, (.LBB1_25264-.Lpost_getpc9047)>>32
	s_setpc_b64 s[14:15]
.LBB1_10926:
	s_or_b64 exec, exec, s[6:7]
	s_and_saveexec_b64 s[6:7], s[4:5]
	s_cbranch_execz .LBB1_10928
.LBB1_10927:
	v_bfe_u32 v12, v3, 8, 3
	v_ffbh_u32_e32 v14, v12
	v_min_u32_e32 v14, 32, v14
	v_lshrrev_b16_e32 v13, 3, v6
	v_subrev_u32_e32 v15, 28, v14
	v_and_b32_e32 v13, 15, v13
	v_lshlrev_b32_e32 v6, v15, v6
	v_sub_u32_e32 v14, 29, v14
	v_and_b32_e32 v6, 7, v6
	v_cmp_eq_u16_e32 vcc, 0, v13
	v_cndmask_b32_e32 v6, v12, v6, vcc
	v_cndmask_b32_e32 v12, v13, v14, vcc
	v_lshlrev_b32_e32 v13, 16, v3
	v_mov_b32_e32 v14, 0x3b800000
	v_lshlrev_b32_e32 v6, 20, v6
	v_and_b32_e32 v13, 0x80000000, v13
	v_lshl_add_u32 v12, v12, 23, v14
	v_or3_b32 v12, v13, v12, v6
.LBB1_10928:
	s_or_b64 exec, exec, s[6:7]
	s_nop 0
	v_mfma_f32_16x16x4f32 a[0:3], v2, v12, a[0:3]
	s_movk_i32 s4, 0xff
	v_and_b32_sdwa v6, v7, s4 dst_sel:DWORD dst_unused:UNUSED_PAD src0_sel:WORD_1 src1_sel:DWORD
	s_movk_i32 s4, 0x7f
	v_cmp_lt_i16_e32 vcc, s4, v6
	s_mov_b64 s[4:5], 0
                                        ; implicit-def: $sgpr10
	s_and_saveexec_b64 s[6:7], vcc
	s_xor_b64 s[6:7], exec, s[6:7]
	s_cbranch_execz .LBB1_10929
; %bb.46769:
	s_getpc_b64 s[14:15]
.Lpost_getpc9048:
	s_add_u32 s14, s14, (.LBB1_25265-.Lpost_getpc9048)&4294967295
	s_addc_u32 s15, s15, (.LBB1_25265-.Lpost_getpc9048)>>32
	s_setpc_b64 s[14:15]
.LBB1_10929:
	s_or_saveexec_b64 s[6:7], s[6:7]
	v_mov_b32_e32 v2, s10
	s_xor_b64 exec, exec, s[6:7]
	s_cbranch_execz .LBB1_10930
; %bb.46771:
	s_getpc_b64 s[14:15]
.Lpost_getpc9049:
	s_add_u32 s14, s14, (.LBB1_25268-.Lpost_getpc9049)&4294967295
	s_addc_u32 s15, s15, (.LBB1_25268-.Lpost_getpc9049)>>32
	s_setpc_b64 s[14:15]
.LBB1_10930:
	s_or_b64 exec, exec, s[6:7]
	s_and_saveexec_b64 s[6:7], s[4:5]
	s_cbranch_execz .LBB1_10932
.LBB1_10931:
	v_bfe_u32 v2, v7, 16, 3
	v_ffbh_u32_e32 v13, v2
	v_min_u32_e32 v13, 32, v13
	v_lshrrev_b32_e32 v6, 19, v7
	v_subrev_u32_e32 v14, 28, v13
	v_and_b32_e32 v6, 15, v6
	v_lshlrev_b32_sdwa v14, v14, v7 dst_sel:DWORD dst_unused:UNUSED_PAD src0_sel:DWORD src1_sel:WORD_1
	v_bfe_u32 v12, v7, 19, 4
	v_sub_u32_e32 v13, 29, v13
	v_and_b32_e32 v14, 7, v14
	v_cmp_eq_u16_e32 vcc, 0, v6
	v_cndmask_b32_e32 v2, v2, v14, vcc
	v_cndmask_b32_e32 v6, v12, v13, vcc
	v_lshlrev_b32_e32 v12, 8, v7
	v_mov_b32_e32 v13, 0x3b800000
	v_lshlrev_b32_e32 v2, 20, v2
	v_and_b32_e32 v12, 0x80000000, v12
	v_lshl_add_u32 v6, v6, 23, v13
	v_or3_b32 v2, v12, v6, v2
.LBB1_10932:
	s_or_b64 exec, exec, s[6:7]
	s_movk_i32 s4, 0xff
	v_and_b32_sdwa v6, v3, s4 dst_sel:DWORD dst_unused:UNUSED_PAD src0_sel:WORD_1 src1_sel:DWORD
	s_movk_i32 s4, 0x7f
	v_cmp_lt_i16_e32 vcc, s4, v6
	s_mov_b64 s[4:5], 0
                                        ; implicit-def: $sgpr10
	s_and_saveexec_b64 s[6:7], vcc
	s_xor_b64 s[6:7], exec, s[6:7]
	s_cbranch_execz .LBB1_10933
; %bb.46773:
	s_getpc_b64 s[14:15]
.Lpost_getpc9050:
	s_add_u32 s14, s14, (.LBB1_25269-.Lpost_getpc9050)&4294967295
	s_addc_u32 s15, s15, (.LBB1_25269-.Lpost_getpc9050)>>32
	s_setpc_b64 s[14:15]
.LBB1_10933:
	s_or_saveexec_b64 s[6:7], s[6:7]
	v_mov_b32_e32 v12, s10
	s_xor_b64 exec, exec, s[6:7]
	s_cbranch_execz .LBB1_10934
; %bb.46775:
	s_getpc_b64 s[14:15]
.Lpost_getpc9051:
	s_add_u32 s14, s14, (.LBB1_25272-.Lpost_getpc9051)&4294967295
	s_addc_u32 s15, s15, (.LBB1_25272-.Lpost_getpc9051)>>32
	s_setpc_b64 s[14:15]
.LBB1_10934:
	s_or_b64 exec, exec, s[6:7]
	s_and_saveexec_b64 s[6:7], s[4:5]
	s_cbranch_execz .LBB1_10936
.LBB1_10935:
	v_bfe_u32 v6, v3, 16, 3
	v_ffbh_u32_e32 v14, v6
	v_min_u32_e32 v14, 32, v14
	v_lshrrev_b32_e32 v12, 19, v3
	v_subrev_u32_e32 v15, 28, v14
	v_and_b32_e32 v12, 15, v12
	v_lshlrev_b32_sdwa v15, v15, v3 dst_sel:DWORD dst_unused:UNUSED_PAD src0_sel:DWORD src1_sel:WORD_1
	v_bfe_u32 v13, v3, 19, 4
	v_sub_u32_e32 v14, 29, v14
	v_and_b32_e32 v15, 7, v15
	v_cmp_eq_u16_e32 vcc, 0, v12
	v_cndmask_b32_e32 v6, v6, v15, vcc
	v_cndmask_b32_e32 v12, v13, v14, vcc
	v_lshlrev_b32_e32 v13, 8, v3
	v_mov_b32_e32 v14, 0x3b800000
	v_lshlrev_b32_e32 v6, 20, v6
	v_and_b32_e32 v13, 0x80000000, v13
	v_lshl_add_u32 v12, v12, 23, v14
	v_or3_b32 v12, v13, v12, v6
.LBB1_10936:
	s_or_b64 exec, exec, s[6:7]
	s_nop 0
	v_mfma_f32_16x16x4f32 a[0:3], v2, v12, a[0:3]
	s_movk_i32 s4, 0x7f
	v_cmp_gt_i16_sdwa s[6:7], v7, s4 src0_sel:BYTE_3 src1_sel:DWORD
	s_mov_b64 s[4:5], 0
                                        ; implicit-def: $sgpr10
	s_and_saveexec_b64 s[8:9], s[6:7]
	s_xor_b64 s[6:7], exec, s[8:9]
	s_cbranch_execz .LBB1_10937
; %bb.46777:
	s_getpc_b64 s[14:15]
.Lpost_getpc9052:
	s_add_u32 s14, s14, (.LBB1_25273-.Lpost_getpc9052)&4294967295
	s_addc_u32 s15, s15, (.LBB1_25273-.Lpost_getpc9052)>>32
	s_setpc_b64 s[14:15]
.LBB1_10937:
	s_or_saveexec_b64 s[6:7], s[6:7]
	v_mov_b32_e32 v2, s10
	s_xor_b64 exec, exec, s[6:7]
	s_cbranch_execz .LBB1_10938
; %bb.46779:
	s_getpc_b64 s[14:15]
.Lpost_getpc9053:
	s_add_u32 s14, s14, (.LBB1_25276-.Lpost_getpc9053)&4294967295
	s_addc_u32 s15, s15, (.LBB1_25276-.Lpost_getpc9053)>>32
	s_setpc_b64 s[14:15]
.LBB1_10938:
	s_or_b64 exec, exec, s[6:7]
	s_and_saveexec_b64 s[6:7], s[4:5]
	s_cbranch_execz .LBB1_10940
.LBB1_10939:
	v_bfe_u32 v2, v7, 24, 3
	v_ffbh_u32_e32 v14, v2
	v_min_u32_e32 v14, 32, v14
	v_lshrrev_b32_e32 v12, 27, v7
	v_subrev_u32_e32 v15, 28, v14
	v_and_b32_e32 v6, 0x80000000, v7
	v_and_b32_e32 v12, 15, v12
	v_bfe_u32 v13, v7, 27, 4
	v_lshlrev_b32_sdwa v7, v15, v7 dst_sel:DWORD dst_unused:UNUSED_PAD src0_sel:DWORD src1_sel:BYTE_3
	v_sub_u32_e32 v14, 29, v14
	v_and_b32_e32 v7, 7, v7
	v_cmp_eq_u16_e32 vcc, 0, v12
	v_cndmask_b32_e32 v2, v2, v7, vcc
	v_cndmask_b32_e32 v7, v13, v14, vcc
	v_mov_b32_e32 v12, 0x3b800000
	v_lshlrev_b32_e32 v2, 20, v2
	v_lshl_add_u32 v7, v7, 23, v12
	v_or3_b32 v2, v6, v7, v2
.LBB1_10940:
	s_or_b64 exec, exec, s[6:7]
	s_movk_i32 s4, 0x7f
	v_cmp_gt_i16_sdwa s[6:7], v3, s4 src0_sel:BYTE_3 src1_sel:DWORD
	s_mov_b64 s[4:5], 0
                                        ; implicit-def: $sgpr10
	s_and_saveexec_b64 s[8:9], s[6:7]
	s_xor_b64 s[6:7], exec, s[8:9]
	s_cbranch_execz .LBB1_10941
; %bb.46781:
	s_getpc_b64 s[14:15]
.Lpost_getpc9054:
	s_add_u32 s14, s14, (.LBB1_25277-.Lpost_getpc9054)&4294967295
	s_addc_u32 s15, s15, (.LBB1_25277-.Lpost_getpc9054)>>32
	s_setpc_b64 s[14:15]
.LBB1_10941:
	s_or_saveexec_b64 s[6:7], s[6:7]
	v_mov_b32_e32 v6, s10
	s_xor_b64 exec, exec, s[6:7]
	s_cbranch_execz .LBB1_10942
; %bb.46783:
	s_getpc_b64 s[14:15]
.Lpost_getpc9055:
	s_add_u32 s14, s14, (.LBB1_25280-.Lpost_getpc9055)&4294967295
	s_addc_u32 s15, s15, (.LBB1_25280-.Lpost_getpc9055)>>32
	s_setpc_b64 s[14:15]
.LBB1_10942:
	s_or_b64 exec, exec, s[6:7]
	s_and_saveexec_b64 s[6:7], s[4:5]
	s_cbranch_execz .LBB1_10944
.LBB1_10943:
	v_bfe_u32 v6, v3, 24, 3
	v_ffbh_u32_e32 v14, v6
	v_min_u32_e32 v14, 32, v14
	v_lshrrev_b32_e32 v12, 27, v3
	v_subrev_u32_e32 v15, 28, v14
	v_and_b32_e32 v7, 0x80000000, v3
	v_and_b32_e32 v12, 15, v12
	v_bfe_u32 v13, v3, 27, 4
	v_lshlrev_b32_sdwa v3, v15, v3 dst_sel:DWORD dst_unused:UNUSED_PAD src0_sel:DWORD src1_sel:BYTE_3
	v_sub_u32_e32 v14, 29, v14
	v_and_b32_e32 v3, 7, v3
	v_cmp_eq_u16_e32 vcc, 0, v12
	v_cndmask_b32_e32 v3, v6, v3, vcc
	v_cndmask_b32_e32 v6, v13, v14, vcc
	v_mov_b32_e32 v12, 0x3b800000
	v_lshlrev_b32_e32 v3, 20, v3
	v_lshl_add_u32 v6, v6, 23, v12
	v_or3_b32 v6, v7, v6, v3
.LBB1_10944:
	s_or_b64 exec, exec, s[6:7]
	s_nop 0
	v_mfma_f32_16x16x4f32 a[0:3], v2, v6, a[0:3]
	s_movk_i32 s4, 0x7f
	v_cmp_gt_i16_sdwa s[6:7], v8, s4 src0_sel:BYTE_0 src1_sel:DWORD
	s_mov_b64 s[4:5], 0
                                        ; implicit-def: $sgpr10
	s_and_saveexec_b64 s[8:9], s[6:7]
	s_xor_b64 s[6:7], exec, s[8:9]
	s_cbranch_execz .LBB1_10945
; %bb.46785:
	s_getpc_b64 s[14:15]
.Lpost_getpc9056:
	s_add_u32 s14, s14, (.LBB1_25281-.Lpost_getpc9056)&4294967295
	s_addc_u32 s15, s15, (.LBB1_25281-.Lpost_getpc9056)>>32
	s_setpc_b64 s[14:15]
.LBB1_10945:
	s_or_saveexec_b64 s[6:7], s[6:7]
	v_mov_b32_e32 v2, s10
	s_xor_b64 exec, exec, s[6:7]
	s_cbranch_execz .LBB1_10946
; %bb.46787:
	s_getpc_b64 s[14:15]
.Lpost_getpc9057:
	s_add_u32 s14, s14, (.LBB1_25284-.Lpost_getpc9057)&4294967295
	s_addc_u32 s15, s15, (.LBB1_25284-.Lpost_getpc9057)>>32
	s_setpc_b64 s[14:15]
.LBB1_10946:
	s_or_b64 exec, exec, s[6:7]
	s_and_saveexec_b64 s[6:7], s[4:5]
	s_cbranch_execz .LBB1_10948
.LBB1_10947:
	v_and_b32_e32 v2, 7, v8
	v_ffbh_u32_e32 v6, v2
	v_min_u32_e32 v6, 32, v6
	v_lshrrev_b16_e32 v3, 3, v8
	v_subrev_u32_e32 v7, 28, v6
	v_and_b32_e32 v3, 15, v3
	v_lshlrev_b32_e32 v7, v7, v8
	v_sub_u32_e32 v6, 29, v6
	v_and_b32_e32 v7, 7, v7
	v_cmp_eq_u16_e32 vcc, 0, v3
	v_cndmask_b32_e32 v2, v2, v7, vcc
	v_cndmask_b32_e32 v3, v3, v6, vcc
	v_lshlrev_b32_e32 v6, 24, v8
	v_mov_b32_e32 v7, 0x3b800000
	v_lshlrev_b32_e32 v2, 20, v2
	v_and_b32_e32 v6, 0x80000000, v6
	v_lshl_add_u32 v3, v3, 23, v7
	v_or3_b32 v2, v6, v3, v2
.LBB1_10948:
	s_or_b64 exec, exec, s[6:7]
	s_movk_i32 s4, 0x7f
	v_cmp_gt_i16_sdwa s[6:7], v4, s4 src0_sel:BYTE_0 src1_sel:DWORD
	s_mov_b64 s[4:5], 0
                                        ; implicit-def: $sgpr10
	s_and_saveexec_b64 s[8:9], s[6:7]
	s_xor_b64 s[6:7], exec, s[8:9]
	s_cbranch_execz .LBB1_10949
; %bb.46789:
	s_getpc_b64 s[14:15]
.Lpost_getpc9058:
	s_add_u32 s14, s14, (.LBB1_25285-.Lpost_getpc9058)&4294967295
	s_addc_u32 s15, s15, (.LBB1_25285-.Lpost_getpc9058)>>32
	s_setpc_b64 s[14:15]
.LBB1_10949:
	s_or_saveexec_b64 s[6:7], s[6:7]
	v_mov_b32_e32 v3, s10
	s_xor_b64 exec, exec, s[6:7]
	s_cbranch_execz .LBB1_10950
; %bb.46791:
	s_getpc_b64 s[14:15]
.Lpost_getpc9059:
	s_add_u32 s14, s14, (.LBB1_25288-.Lpost_getpc9059)&4294967295
	s_addc_u32 s15, s15, (.LBB1_25288-.Lpost_getpc9059)>>32
	s_setpc_b64 s[14:15]
.LBB1_10950:
	s_or_b64 exec, exec, s[6:7]
	s_and_saveexec_b64 s[6:7], s[4:5]
	s_cbranch_execz .LBB1_10952
.LBB1_10951:
	v_and_b32_e32 v3, 7, v4
	v_ffbh_u32_e32 v7, v3
	v_min_u32_e32 v7, 32, v7
	v_lshrrev_b16_e32 v6, 3, v4
	v_subrev_u32_e32 v12, 28, v7
	v_and_b32_e32 v6, 15, v6
	v_lshlrev_b32_e32 v12, v12, v4
	v_sub_u32_e32 v7, 29, v7
	v_and_b32_e32 v12, 7, v12
	v_cmp_eq_u16_e32 vcc, 0, v6
	v_cndmask_b32_e32 v3, v3, v12, vcc
	v_cndmask_b32_e32 v6, v6, v7, vcc
	v_lshlrev_b32_e32 v7, 24, v4
	v_mov_b32_e32 v12, 0x3b800000
	v_lshlrev_b32_e32 v3, 20, v3
	v_and_b32_e32 v7, 0x80000000, v7
	v_lshl_add_u32 v6, v6, 23, v12
	v_or3_b32 v3, v7, v6, v3
.LBB1_10952:
	s_or_b64 exec, exec, s[6:7]
	s_nop 0
	v_mfma_f32_16x16x4f32 a[0:3], v2, v3, a[0:3]
	v_lshrrev_b32_e32 v3, 8, v8
	s_movk_i32 s4, 0x7f
	v_cmp_gt_i16_sdwa s[6:7], v3, s4 src0_sel:BYTE_0 src1_sel:DWORD
	s_mov_b64 s[4:5], 0
                                        ; implicit-def: $sgpr10
	s_and_saveexec_b64 s[8:9], s[6:7]
	s_xor_b64 s[6:7], exec, s[8:9]
	s_cbranch_execz .LBB1_10953
; %bb.46793:
	s_getpc_b64 s[14:15]
.Lpost_getpc9060:
	s_add_u32 s14, s14, (.LBB1_25289-.Lpost_getpc9060)&4294967295
	s_addc_u32 s15, s15, (.LBB1_25289-.Lpost_getpc9060)>>32
	s_setpc_b64 s[14:15]
.LBB1_10953:
	s_or_saveexec_b64 s[6:7], s[6:7]
	v_mov_b32_e32 v2, s10
	s_xor_b64 exec, exec, s[6:7]
	s_cbranch_execz .LBB1_10954
; %bb.46795:
	s_getpc_b64 s[14:15]
.Lpost_getpc9061:
	s_add_u32 s14, s14, (.LBB1_25292-.Lpost_getpc9061)&4294967295
	s_addc_u32 s15, s15, (.LBB1_25292-.Lpost_getpc9061)>>32
	s_setpc_b64 s[14:15]
.LBB1_10954:
	s_or_b64 exec, exec, s[6:7]
	s_and_saveexec_b64 s[6:7], s[4:5]
	s_cbranch_execz .LBB1_10956
.LBB1_10955:
	v_bfe_u32 v2, v8, 8, 3
	v_ffbh_u32_e32 v7, v2
	v_min_u32_e32 v7, 32, v7
	v_lshrrev_b16_e32 v6, 3, v3
	v_subrev_u32_e32 v12, 28, v7
	v_and_b32_e32 v6, 15, v6
	v_lshlrev_b32_e32 v3, v12, v3
	v_sub_u32_e32 v7, 29, v7
	v_and_b32_e32 v3, 7, v3
	v_cmp_eq_u16_e32 vcc, 0, v6
	v_cndmask_b32_e32 v2, v2, v3, vcc
	v_cndmask_b32_e32 v3, v6, v7, vcc
	v_lshlrev_b32_e32 v6, 16, v8
	v_mov_b32_e32 v7, 0x3b800000
	v_lshlrev_b32_e32 v2, 20, v2
	v_and_b32_e32 v6, 0x80000000, v6
	v_lshl_add_u32 v3, v3, 23, v7
	v_or3_b32 v2, v6, v3, v2
.LBB1_10956:
	s_or_b64 exec, exec, s[6:7]
	v_lshrrev_b32_e32 v3, 8, v4
	s_movk_i32 s4, 0x7f
	v_cmp_gt_i16_sdwa s[6:7], v3, s4 src0_sel:BYTE_0 src1_sel:DWORD
	s_mov_b64 s[4:5], 0
                                        ; implicit-def: $sgpr10
	s_and_saveexec_b64 s[8:9], s[6:7]
	s_xor_b64 s[6:7], exec, s[8:9]
	s_cbranch_execz .LBB1_10957
; %bb.46797:
	s_getpc_b64 s[14:15]
.Lpost_getpc9062:
	s_add_u32 s14, s14, (.LBB1_25293-.Lpost_getpc9062)&4294967295
	s_addc_u32 s15, s15, (.LBB1_25293-.Lpost_getpc9062)>>32
	s_setpc_b64 s[14:15]
.LBB1_10957:
	s_or_saveexec_b64 s[6:7], s[6:7]
	v_mov_b32_e32 v6, s10
	s_xor_b64 exec, exec, s[6:7]
	s_cbranch_execz .LBB1_10958
; %bb.46799:
	s_getpc_b64 s[14:15]
.Lpost_getpc9063:
	s_add_u32 s14, s14, (.LBB1_25296-.Lpost_getpc9063)&4294967295
	s_addc_u32 s15, s15, (.LBB1_25296-.Lpost_getpc9063)>>32
	s_setpc_b64 s[14:15]
.LBB1_10958:
	s_or_b64 exec, exec, s[6:7]
	s_and_saveexec_b64 s[6:7], s[4:5]
	s_cbranch_execz .LBB1_10960
.LBB1_10959:
	v_bfe_u32 v6, v4, 8, 3
	v_ffbh_u32_e32 v12, v6
	v_min_u32_e32 v12, 32, v12
	v_lshrrev_b16_e32 v7, 3, v3
	v_subrev_u32_e32 v13, 28, v12
	v_and_b32_e32 v7, 15, v7
	v_lshlrev_b32_e32 v3, v13, v3
	v_sub_u32_e32 v12, 29, v12
	v_and_b32_e32 v3, 7, v3
	v_cmp_eq_u16_e32 vcc, 0, v7
	v_cndmask_b32_e32 v3, v6, v3, vcc
	v_cndmask_b32_e32 v6, v7, v12, vcc
	v_lshlrev_b32_e32 v7, 16, v4
	v_mov_b32_e32 v12, 0x3b800000
	v_lshlrev_b32_e32 v3, 20, v3
	v_and_b32_e32 v7, 0x80000000, v7
	v_lshl_add_u32 v6, v6, 23, v12
	v_or3_b32 v6, v7, v6, v3
.LBB1_10960:
	s_or_b64 exec, exec, s[6:7]
	s_nop 0
	v_mfma_f32_16x16x4f32 a[0:3], v2, v6, a[0:3]
	s_movk_i32 s4, 0xff
	v_and_b32_sdwa v3, v8, s4 dst_sel:DWORD dst_unused:UNUSED_PAD src0_sel:WORD_1 src1_sel:DWORD
	s_movk_i32 s4, 0x7f
	v_cmp_lt_i16_e32 vcc, s4, v3
	s_mov_b64 s[4:5], 0
                                        ; implicit-def: $sgpr10
	s_and_saveexec_b64 s[6:7], vcc
	s_xor_b64 s[6:7], exec, s[6:7]
	s_cbranch_execz .LBB1_10961
; %bb.46801:
	s_getpc_b64 s[14:15]
.Lpost_getpc9064:
	s_add_u32 s14, s14, (.LBB1_25297-.Lpost_getpc9064)&4294967295
	s_addc_u32 s15, s15, (.LBB1_25297-.Lpost_getpc9064)>>32
	s_setpc_b64 s[14:15]
.LBB1_10961:
	s_or_saveexec_b64 s[6:7], s[6:7]
	v_mov_b32_e32 v2, s10
	s_xor_b64 exec, exec, s[6:7]
	s_cbranch_execz .LBB1_10962
; %bb.46803:
	s_getpc_b64 s[14:15]
.Lpost_getpc9065:
	s_add_u32 s14, s14, (.LBB1_25300-.Lpost_getpc9065)&4294967295
	s_addc_u32 s15, s15, (.LBB1_25300-.Lpost_getpc9065)>>32
	s_setpc_b64 s[14:15]
.LBB1_10962:
	s_or_b64 exec, exec, s[6:7]
	s_and_saveexec_b64 s[6:7], s[4:5]
	s_cbranch_execz .LBB1_10964
.LBB1_10963:
	v_bfe_u32 v2, v8, 16, 3
	v_ffbh_u32_e32 v7, v2
	v_min_u32_e32 v7, 32, v7
	v_lshrrev_b32_e32 v3, 19, v8
	v_subrev_u32_e32 v12, 28, v7
	v_and_b32_e32 v3, 15, v3
	v_lshlrev_b32_sdwa v12, v12, v8 dst_sel:DWORD dst_unused:UNUSED_PAD src0_sel:DWORD src1_sel:WORD_1
	v_bfe_u32 v6, v8, 19, 4
	v_sub_u32_e32 v7, 29, v7
	v_and_b32_e32 v12, 7, v12
	v_cmp_eq_u16_e32 vcc, 0, v3
	v_cndmask_b32_e32 v2, v2, v12, vcc
	v_cndmask_b32_e32 v3, v6, v7, vcc
	v_lshlrev_b32_e32 v6, 8, v8
	v_mov_b32_e32 v7, 0x3b800000
	v_lshlrev_b32_e32 v2, 20, v2
	v_and_b32_e32 v6, 0x80000000, v6
	v_lshl_add_u32 v3, v3, 23, v7
	v_or3_b32 v2, v6, v3, v2
.LBB1_10964:
	s_or_b64 exec, exec, s[6:7]
	s_movk_i32 s4, 0xff
	v_and_b32_sdwa v3, v4, s4 dst_sel:DWORD dst_unused:UNUSED_PAD src0_sel:WORD_1 src1_sel:DWORD
	s_movk_i32 s4, 0x7f
	v_cmp_lt_i16_e32 vcc, s4, v3
	s_mov_b64 s[4:5], 0
                                        ; implicit-def: $sgpr10
	s_and_saveexec_b64 s[6:7], vcc
	s_xor_b64 s[6:7], exec, s[6:7]
	s_cbranch_execz .LBB1_10965
; %bb.46805:
	s_getpc_b64 s[14:15]
.Lpost_getpc9066:
	s_add_u32 s14, s14, (.LBB1_25301-.Lpost_getpc9066)&4294967295
	s_addc_u32 s15, s15, (.LBB1_25301-.Lpost_getpc9066)>>32
	s_setpc_b64 s[14:15]
.LBB1_10965:
	s_or_saveexec_b64 s[6:7], s[6:7]
	v_mov_b32_e32 v6, s10
	s_xor_b64 exec, exec, s[6:7]
	s_cbranch_execz .LBB1_10966
; %bb.46807:
	s_getpc_b64 s[14:15]
.Lpost_getpc9067:
	s_add_u32 s14, s14, (.LBB1_25304-.Lpost_getpc9067)&4294967295
	s_addc_u32 s15, s15, (.LBB1_25304-.Lpost_getpc9067)>>32
	s_setpc_b64 s[14:15]
.LBB1_10966:
	s_or_b64 exec, exec, s[6:7]
	s_and_saveexec_b64 s[6:7], s[4:5]
	s_cbranch_execz .LBB1_10968
.LBB1_10967:
	v_bfe_u32 v3, v4, 16, 3
	v_ffbh_u32_e32 v12, v3
	v_min_u32_e32 v12, 32, v12
	v_lshrrev_b32_e32 v6, 19, v4
	v_subrev_u32_e32 v13, 28, v12
	v_and_b32_e32 v6, 15, v6
	v_lshlrev_b32_sdwa v13, v13, v4 dst_sel:DWORD dst_unused:UNUSED_PAD src0_sel:DWORD src1_sel:WORD_1
	v_bfe_u32 v7, v4, 19, 4
	v_sub_u32_e32 v12, 29, v12
	v_and_b32_e32 v13, 7, v13
	v_cmp_eq_u16_e32 vcc, 0, v6
	v_cndmask_b32_e32 v3, v3, v13, vcc
	v_cndmask_b32_e32 v6, v7, v12, vcc
	v_lshlrev_b32_e32 v7, 8, v4
	v_mov_b32_e32 v12, 0x3b800000
	v_lshlrev_b32_e32 v3, 20, v3
	v_and_b32_e32 v7, 0x80000000, v7
	v_lshl_add_u32 v6, v6, 23, v12
	v_or3_b32 v6, v7, v6, v3
.LBB1_10968:
	s_or_b64 exec, exec, s[6:7]
	s_nop 0
	v_mfma_f32_16x16x4f32 a[0:3], v2, v6, a[0:3]
	s_movk_i32 s4, 0x7f
	v_cmp_gt_i16_sdwa s[6:7], v8, s4 src0_sel:BYTE_3 src1_sel:DWORD
	s_mov_b64 s[4:5], 0
                                        ; implicit-def: $sgpr10
	s_and_saveexec_b64 s[8:9], s[6:7]
	s_xor_b64 s[6:7], exec, s[8:9]
	s_cbranch_execz .LBB1_10969
; %bb.46809:
	s_getpc_b64 s[14:15]
.Lpost_getpc9068:
	s_add_u32 s14, s14, (.LBB1_25305-.Lpost_getpc9068)&4294967295
	s_addc_u32 s15, s15, (.LBB1_25305-.Lpost_getpc9068)>>32
	s_setpc_b64 s[14:15]
.LBB1_10969:
	s_or_saveexec_b64 s[6:7], s[6:7]
	v_mov_b32_e32 v2, s10
	s_xor_b64 exec, exec, s[6:7]
	s_cbranch_execz .LBB1_10970
; %bb.46811:
	s_getpc_b64 s[14:15]
.Lpost_getpc9069:
	s_add_u32 s14, s14, (.LBB1_25308-.Lpost_getpc9069)&4294967295
	s_addc_u32 s15, s15, (.LBB1_25308-.Lpost_getpc9069)>>32
	s_setpc_b64 s[14:15]
.LBB1_10970:
	s_or_b64 exec, exec, s[6:7]
	s_and_saveexec_b64 s[6:7], s[4:5]
	s_cbranch_execz .LBB1_10972
.LBB1_10971:
	v_bfe_u32 v2, v8, 24, 3
	v_ffbh_u32_e32 v12, v2
	v_min_u32_e32 v12, 32, v12
	v_lshrrev_b32_e32 v6, 27, v8
	v_subrev_u32_e32 v13, 28, v12
	v_and_b32_e32 v3, 0x80000000, v8
	v_and_b32_e32 v6, 15, v6
	v_bfe_u32 v7, v8, 27, 4
	v_lshlrev_b32_sdwa v8, v13, v8 dst_sel:DWORD dst_unused:UNUSED_PAD src0_sel:DWORD src1_sel:BYTE_3
	v_sub_u32_e32 v12, 29, v12
	v_and_b32_e32 v8, 7, v8
	v_cmp_eq_u16_e32 vcc, 0, v6
	v_cndmask_b32_e32 v2, v2, v8, vcc
	v_cndmask_b32_e32 v6, v7, v12, vcc
	v_mov_b32_e32 v7, 0x3b800000
	v_lshlrev_b32_e32 v2, 20, v2
	v_lshl_add_u32 v6, v6, 23, v7
	v_or3_b32 v2, v3, v6, v2
.LBB1_10972:
	s_or_b64 exec, exec, s[6:7]
	s_movk_i32 s4, 0x7f
	v_cmp_gt_i16_sdwa s[6:7], v4, s4 src0_sel:BYTE_3 src1_sel:DWORD
	s_mov_b64 s[4:5], 0
                                        ; implicit-def: $sgpr10
	s_and_saveexec_b64 s[8:9], s[6:7]
	s_xor_b64 s[6:7], exec, s[8:9]
	s_cbranch_execz .LBB1_10973
; %bb.46813:
	s_getpc_b64 s[14:15]
.Lpost_getpc9070:
	s_add_u32 s14, s14, (.LBB1_25309-.Lpost_getpc9070)&4294967295
	s_addc_u32 s15, s15, (.LBB1_25309-.Lpost_getpc9070)>>32
	s_setpc_b64 s[14:15]
.LBB1_10973:
	s_or_saveexec_b64 s[6:7], s[6:7]
	v_mov_b32_e32 v3, s10
	s_xor_b64 exec, exec, s[6:7]
	s_cbranch_execz .LBB1_10974
; %bb.46815:
	s_getpc_b64 s[14:15]
.Lpost_getpc9071:
	s_add_u32 s14, s14, (.LBB1_25312-.Lpost_getpc9071)&4294967295
	s_addc_u32 s15, s15, (.LBB1_25312-.Lpost_getpc9071)>>32
	s_setpc_b64 s[14:15]
.LBB1_10974:
	s_or_b64 exec, exec, s[6:7]
	s_and_saveexec_b64 s[6:7], s[4:5]
	s_cbranch_execz .LBB1_10976
.LBB1_10975:
	v_bfe_u32 v3, v4, 24, 3
	v_ffbh_u32_e32 v12, v3
	v_min_u32_e32 v12, 32, v12
	v_lshrrev_b32_e32 v7, 27, v4
	v_subrev_u32_e32 v13, 28, v12
	v_and_b32_e32 v6, 0x80000000, v4
	v_and_b32_e32 v7, 15, v7
	v_bfe_u32 v8, v4, 27, 4
	v_lshlrev_b32_sdwa v4, v13, v4 dst_sel:DWORD dst_unused:UNUSED_PAD src0_sel:DWORD src1_sel:BYTE_3
	v_sub_u32_e32 v12, 29, v12
	v_and_b32_e32 v4, 7, v4
	v_cmp_eq_u16_e32 vcc, 0, v7
	v_cndmask_b32_e32 v3, v3, v4, vcc
	v_cndmask_b32_e32 v4, v8, v12, vcc
	v_mov_b32_e32 v7, 0x3b800000
	v_lshlrev_b32_e32 v3, 20, v3
	v_lshl_add_u32 v4, v4, 23, v7
	v_or3_b32 v3, v6, v4, v3
.LBB1_10976:
	s_or_b64 exec, exec, s[6:7]
	s_nop 0
	v_mfma_f32_16x16x4f32 a[0:3], v2, v3, a[0:3]
	s_movk_i32 s4, 0x7f
	v_cmp_gt_i16_sdwa s[6:7], v9, s4 src0_sel:BYTE_0 src1_sel:DWORD
	s_mov_b64 s[4:5], 0
                                        ; implicit-def: $sgpr10
	s_and_saveexec_b64 s[8:9], s[6:7]
	s_xor_b64 s[6:7], exec, s[8:9]
	s_cbranch_execz .LBB1_10977
; %bb.46817:
	s_getpc_b64 s[14:15]
.Lpost_getpc9072:
	s_add_u32 s14, s14, (.LBB1_25313-.Lpost_getpc9072)&4294967295
	s_addc_u32 s15, s15, (.LBB1_25313-.Lpost_getpc9072)>>32
	s_setpc_b64 s[14:15]
.LBB1_10977:
	s_or_saveexec_b64 s[6:7], s[6:7]
	v_mov_b32_e32 v2, s10
	s_xor_b64 exec, exec, s[6:7]
	s_cbranch_execz .LBB1_10978
; %bb.46819:
	s_getpc_b64 s[14:15]
.Lpost_getpc9073:
	s_add_u32 s14, s14, (.LBB1_25316-.Lpost_getpc9073)&4294967295
	s_addc_u32 s15, s15, (.LBB1_25316-.Lpost_getpc9073)>>32
	s_setpc_b64 s[14:15]
.LBB1_10978:
	s_or_b64 exec, exec, s[6:7]
	s_and_saveexec_b64 s[6:7], s[4:5]
	s_cbranch_execz .LBB1_10980
.LBB1_10979:
	v_mov_b32_e32 v2, 8
	v_and_b32_e32 v3, 7, v9
	v_lshrrev_b32_sdwa v2, v2, v9 dst_sel:BYTE_1 dst_unused:UNUSED_PAD src0_sel:DWORD src1_sel:DWORD
	v_ffbh_u32_e32 v4, v3
	v_or_b32_sdwa v2, v9, v2 dst_sel:DWORD dst_unused:UNUSED_PAD src0_sel:BYTE_0 src1_sel:DWORD
	v_min_u32_e32 v4, 32, v4
	v_lshrrev_b16_e32 v2, 3, v2
	v_subrev_u32_e32 v6, 28, v4
	v_and_b32_e32 v2, 15, v2
	v_lshlrev_b32_e32 v6, v6, v9
	v_sub_u32_e32 v4, 29, v4
	v_and_b32_e32 v6, 7, v6
	v_cmp_eq_u16_e32 vcc, 0, v2
	v_cndmask_b32_e32 v3, v3, v6, vcc
	v_cndmask_b32_e32 v2, v2, v4, vcc
	v_lshlrev_b32_e32 v4, 24, v9
	v_mov_b32_e32 v6, 0x3b800000
	v_lshlrev_b32_e32 v3, 20, v3
	v_and_b32_e32 v4, 0x80000000, v4
	v_lshl_add_u32 v2, v2, 23, v6
	v_or3_b32 v2, v4, v2, v3
.LBB1_10980:
	s_or_b64 exec, exec, s[6:7]
	s_movk_i32 s4, 0x7f
	v_cmp_gt_i16_sdwa s[6:7], v5, s4 src0_sel:BYTE_0 src1_sel:DWORD
	s_mov_b64 s[4:5], 0
                                        ; implicit-def: $sgpr10
	s_and_saveexec_b64 s[8:9], s[6:7]
	s_xor_b64 s[6:7], exec, s[8:9]
	s_cbranch_execz .LBB1_10981
; %bb.46821:
	s_getpc_b64 s[14:15]
.Lpost_getpc9074:
	s_add_u32 s14, s14, (.LBB1_25317-.Lpost_getpc9074)&4294967295
	s_addc_u32 s15, s15, (.LBB1_25317-.Lpost_getpc9074)>>32
	s_setpc_b64 s[14:15]
.LBB1_10981:
	s_or_saveexec_b64 s[6:7], s[6:7]
	v_mov_b32_e32 v3, s10
	s_xor_b64 exec, exec, s[6:7]
	s_cbranch_execz .LBB1_10982
; %bb.46823:
	s_getpc_b64 s[14:15]
.Lpost_getpc9075:
	s_add_u32 s14, s14, (.LBB1_25320-.Lpost_getpc9075)&4294967295
	s_addc_u32 s15, s15, (.LBB1_25320-.Lpost_getpc9075)>>32
	s_setpc_b64 s[14:15]
.LBB1_10982:
	s_or_b64 exec, exec, s[6:7]
	s_and_saveexec_b64 s[6:7], s[4:5]
	s_cbranch_execz .LBB1_10984
.LBB1_10983:
	v_mov_b32_e32 v3, 8
	v_and_b32_e32 v4, 7, v5
	v_lshrrev_b32_sdwa v3, v3, v5 dst_sel:BYTE_1 dst_unused:UNUSED_PAD src0_sel:DWORD src1_sel:DWORD
	v_ffbh_u32_e32 v6, v4
	v_or_b32_sdwa v3, v5, v3 dst_sel:DWORD dst_unused:UNUSED_PAD src0_sel:BYTE_0 src1_sel:DWORD
	v_min_u32_e32 v6, 32, v6
	v_lshrrev_b16_e32 v3, 3, v3
	v_subrev_u32_e32 v7, 28, v6
	v_and_b32_e32 v3, 15, v3
	v_lshlrev_b32_e32 v7, v7, v5
	v_sub_u32_e32 v6, 29, v6
	v_and_b32_e32 v7, 7, v7
	v_cmp_eq_u16_e32 vcc, 0, v3
	v_cndmask_b32_e32 v4, v4, v7, vcc
	v_cndmask_b32_e32 v3, v3, v6, vcc
	v_lshlrev_b32_e32 v6, 24, v5
	v_mov_b32_e32 v7, 0x3b800000
	v_lshlrev_b32_e32 v4, 20, v4
	v_and_b32_e32 v6, 0x80000000, v6
	v_lshl_add_u32 v3, v3, 23, v7
	v_or3_b32 v3, v6, v3, v4
.LBB1_10984:
	s_or_b64 exec, exec, s[6:7]
	s_nop 0
	v_mfma_f32_16x16x4f32 a[0:3], v2, v3, a[0:3]
	v_lshrrev_b32_e32 v3, 8, v9
	s_movk_i32 s4, 0x7f
	v_cmp_gt_i16_sdwa s[6:7], v3, s4 src0_sel:BYTE_0 src1_sel:DWORD
	s_mov_b64 s[4:5], 0
                                        ; implicit-def: $sgpr10
	s_and_saveexec_b64 s[8:9], s[6:7]
	s_xor_b64 s[6:7], exec, s[8:9]
	s_cbranch_execz .LBB1_10985
; %bb.46825:
	s_getpc_b64 s[14:15]
.Lpost_getpc9076:
	s_add_u32 s14, s14, (.LBB1_25321-.Lpost_getpc9076)&4294967295
	s_addc_u32 s15, s15, (.LBB1_25321-.Lpost_getpc9076)>>32
	s_setpc_b64 s[14:15]
.LBB1_10985:
	s_or_saveexec_b64 s[6:7], s[6:7]
	v_mov_b32_e32 v2, s10
	s_xor_b64 exec, exec, s[6:7]
	s_cbranch_execz .LBB1_10986
; %bb.46827:
	s_getpc_b64 s[14:15]
.Lpost_getpc9077:
	s_add_u32 s14, s14, (.LBB1_25324-.Lpost_getpc9077)&4294967295
	s_addc_u32 s15, s15, (.LBB1_25324-.Lpost_getpc9077)>>32
	s_setpc_b64 s[14:15]
.LBB1_10986:
	s_or_b64 exec, exec, s[6:7]
	s_and_saveexec_b64 s[6:7], s[4:5]
	s_cbranch_execz .LBB1_10988
.LBB1_10987:
	v_bfe_u32 v2, v9, 8, 3
	v_ffbh_u32_e32 v6, v2
	v_min_u32_e32 v6, 32, v6
	v_lshrrev_b16_e32 v4, 3, v3
	v_subrev_u32_e32 v7, 28, v6
	v_and_b32_e32 v4, 15, v4
	v_lshlrev_b32_e32 v3, v7, v3
	v_sub_u32_e32 v6, 29, v6
	v_and_b32_e32 v3, 7, v3
	v_cmp_eq_u16_e32 vcc, 0, v4
	v_cndmask_b32_e32 v2, v2, v3, vcc
	v_cndmask_b32_e32 v3, v4, v6, vcc
	v_lshlrev_b32_e32 v4, 16, v9
	v_mov_b32_e32 v6, 0x3b800000
	v_lshlrev_b32_e32 v2, 20, v2
	v_and_b32_e32 v4, 0x80000000, v4
	v_lshl_add_u32 v3, v3, 23, v6
	v_or3_b32 v2, v4, v3, v2
.LBB1_10988:
	s_or_b64 exec, exec, s[6:7]
	v_lshrrev_b32_e32 v3, 8, v5
	s_movk_i32 s4, 0x7f
	v_cmp_gt_i16_sdwa s[6:7], v3, s4 src0_sel:BYTE_0 src1_sel:DWORD
	s_mov_b64 s[4:5], 0
                                        ; implicit-def: $sgpr10
	s_and_saveexec_b64 s[8:9], s[6:7]
	s_xor_b64 s[6:7], exec, s[8:9]
	s_cbranch_execz .LBB1_10989
; %bb.46829:
	s_getpc_b64 s[14:15]
.Lpost_getpc9078:
	s_add_u32 s14, s14, (.LBB1_25325-.Lpost_getpc9078)&4294967295
	s_addc_u32 s15, s15, (.LBB1_25325-.Lpost_getpc9078)>>32
	s_setpc_b64 s[14:15]
.LBB1_10989:
	s_or_saveexec_b64 s[6:7], s[6:7]
	v_mov_b32_e32 v4, s10
	s_xor_b64 exec, exec, s[6:7]
	s_cbranch_execz .LBB1_10990
; %bb.46831:
	s_getpc_b64 s[14:15]
.Lpost_getpc9079:
	s_add_u32 s14, s14, (.LBB1_25328-.Lpost_getpc9079)&4294967295
	s_addc_u32 s15, s15, (.LBB1_25328-.Lpost_getpc9079)>>32
	s_setpc_b64 s[14:15]
.LBB1_10990:
	s_or_b64 exec, exec, s[6:7]
	s_and_saveexec_b64 s[6:7], s[4:5]
	s_cbranch_execz .LBB1_10992
.LBB1_10991:
	v_bfe_u32 v4, v5, 8, 3
	v_ffbh_u32_e32 v7, v4
	v_min_u32_e32 v7, 32, v7
	v_lshrrev_b16_e32 v6, 3, v3
	v_subrev_u32_e32 v8, 28, v7
	v_and_b32_e32 v6, 15, v6
	v_lshlrev_b32_e32 v3, v8, v3
	v_sub_u32_e32 v7, 29, v7
	v_and_b32_e32 v3, 7, v3
	v_cmp_eq_u16_e32 vcc, 0, v6
	v_cndmask_b32_e32 v3, v4, v3, vcc
	v_cndmask_b32_e32 v4, v6, v7, vcc
	v_lshlrev_b32_e32 v6, 16, v5
	v_mov_b32_e32 v7, 0x3b800000
	v_lshlrev_b32_e32 v3, 20, v3
	v_and_b32_e32 v6, 0x80000000, v6
	v_lshl_add_u32 v4, v4, 23, v7
	v_or3_b32 v4, v6, v4, v3
.LBB1_10992:
	s_or_b64 exec, exec, s[6:7]
	s_nop 0
	v_mfma_f32_16x16x4f32 a[0:3], v2, v4, a[0:3]
	s_movk_i32 s4, 0xff
	v_and_b32_sdwa v3, v9, s4 dst_sel:DWORD dst_unused:UNUSED_PAD src0_sel:WORD_1 src1_sel:DWORD
	s_movk_i32 s4, 0x7f
	v_cmp_lt_i16_e32 vcc, s4, v3
	s_mov_b64 s[4:5], 0
                                        ; implicit-def: $sgpr10
	s_and_saveexec_b64 s[6:7], vcc
	s_xor_b64 s[6:7], exec, s[6:7]
	s_cbranch_execz .LBB1_10993
; %bb.46833:
	s_getpc_b64 s[14:15]
.Lpost_getpc9080:
	s_add_u32 s14, s14, (.LBB1_25329-.Lpost_getpc9080)&4294967295
	s_addc_u32 s15, s15, (.LBB1_25329-.Lpost_getpc9080)>>32
	s_setpc_b64 s[14:15]
.LBB1_10993:
	s_or_saveexec_b64 s[6:7], s[6:7]
	v_mov_b32_e32 v2, s10
	s_xor_b64 exec, exec, s[6:7]
	s_cbranch_execz .LBB1_10994
; %bb.46835:
	s_getpc_b64 s[14:15]
.Lpost_getpc9081:
	s_add_u32 s14, s14, (.LBB1_25332-.Lpost_getpc9081)&4294967295
	s_addc_u32 s15, s15, (.LBB1_25332-.Lpost_getpc9081)>>32
	s_setpc_b64 s[14:15]
.LBB1_10994:
	s_or_b64 exec, exec, s[6:7]
	s_and_saveexec_b64 s[6:7], s[4:5]
	s_cbranch_execz .LBB1_10996
.LBB1_10995:
	v_bfe_u32 v2, v9, 16, 3
	v_ffbh_u32_e32 v6, v2
	v_min_u32_e32 v6, 32, v6
	v_lshrrev_b32_e32 v3, 19, v9
	v_subrev_u32_e32 v7, 28, v6
	v_and_b32_e32 v3, 15, v3
	v_lshlrev_b32_sdwa v7, v7, v9 dst_sel:DWORD dst_unused:UNUSED_PAD src0_sel:DWORD src1_sel:WORD_1
	v_bfe_u32 v4, v9, 19, 4
	v_sub_u32_e32 v6, 29, v6
	v_and_b32_e32 v7, 7, v7
	v_cmp_eq_u16_e32 vcc, 0, v3
	v_cndmask_b32_e32 v2, v2, v7, vcc
	v_cndmask_b32_e32 v3, v4, v6, vcc
	v_lshlrev_b32_e32 v4, 8, v9
	v_mov_b32_e32 v6, 0x3b800000
	v_lshlrev_b32_e32 v2, 20, v2
	v_and_b32_e32 v4, 0x80000000, v4
	v_lshl_add_u32 v3, v3, 23, v6
	v_or3_b32 v2, v4, v3, v2
.LBB1_10996:
	s_or_b64 exec, exec, s[6:7]
	s_movk_i32 s4, 0xff
	v_and_b32_sdwa v3, v5, s4 dst_sel:DWORD dst_unused:UNUSED_PAD src0_sel:WORD_1 src1_sel:DWORD
	s_movk_i32 s4, 0x7f
	v_cmp_lt_i16_e32 vcc, s4, v3
	s_mov_b64 s[4:5], 0
                                        ; implicit-def: $sgpr10
	s_and_saveexec_b64 s[6:7], vcc
	s_xor_b64 s[6:7], exec, s[6:7]
	s_cbranch_execz .LBB1_10997
; %bb.46837:
	s_getpc_b64 s[14:15]
.Lpost_getpc9082:
	s_add_u32 s14, s14, (.LBB1_25333-.Lpost_getpc9082)&4294967295
	s_addc_u32 s15, s15, (.LBB1_25333-.Lpost_getpc9082)>>32
	s_setpc_b64 s[14:15]
.LBB1_10997:
	s_or_saveexec_b64 s[6:7], s[6:7]
	v_mov_b32_e32 v4, s10
	s_xor_b64 exec, exec, s[6:7]
	s_cbranch_execz .LBB1_10998
; %bb.46839:
	s_getpc_b64 s[14:15]
.Lpost_getpc9083:
	s_add_u32 s14, s14, (.LBB1_25336-.Lpost_getpc9083)&4294967295
	s_addc_u32 s15, s15, (.LBB1_25336-.Lpost_getpc9083)>>32
	s_setpc_b64 s[14:15]
.LBB1_10998:
	s_or_b64 exec, exec, s[6:7]
	s_and_saveexec_b64 s[6:7], s[4:5]
	s_cbranch_execz .LBB1_11000
.LBB1_10999:
	v_bfe_u32 v3, v5, 16, 3
	v_ffbh_u32_e32 v7, v3
	v_min_u32_e32 v7, 32, v7
	v_lshrrev_b32_e32 v4, 19, v5
	v_subrev_u32_e32 v8, 28, v7
	v_and_b32_e32 v4, 15, v4
	v_lshlrev_b32_sdwa v8, v8, v5 dst_sel:DWORD dst_unused:UNUSED_PAD src0_sel:DWORD src1_sel:WORD_1
	v_bfe_u32 v6, v5, 19, 4
	v_sub_u32_e32 v7, 29, v7
	v_and_b32_e32 v8, 7, v8
	v_cmp_eq_u16_e32 vcc, 0, v4
	v_cndmask_b32_e32 v3, v3, v8, vcc
	v_cndmask_b32_e32 v4, v6, v7, vcc
	v_lshlrev_b32_e32 v6, 8, v5
	v_mov_b32_e32 v7, 0x3b800000
	v_lshlrev_b32_e32 v3, 20, v3
	v_and_b32_e32 v6, 0x80000000, v6
	v_lshl_add_u32 v4, v4, 23, v7
	v_or3_b32 v4, v6, v4, v3
.LBB1_11000:
	s_or_b64 exec, exec, s[6:7]
	s_nop 0
	v_mfma_f32_16x16x4f32 a[0:3], v2, v4, a[0:3]
	s_movk_i32 s4, 0x7f
	v_cmp_gt_i16_sdwa s[6:7], v9, s4 src0_sel:BYTE_3 src1_sel:DWORD
	s_mov_b64 s[4:5], 0
                                        ; implicit-def: $sgpr10
	s_and_saveexec_b64 s[8:9], s[6:7]
	s_xor_b64 s[6:7], exec, s[8:9]
	s_cbranch_execz .LBB1_11001
; %bb.46841:
	s_getpc_b64 s[14:15]
.Lpost_getpc9084:
	s_add_u32 s14, s14, (.LBB1_25337-.Lpost_getpc9084)&4294967295
	s_addc_u32 s15, s15, (.LBB1_25337-.Lpost_getpc9084)>>32
	s_setpc_b64 s[14:15]
.LBB1_11001:
	s_or_saveexec_b64 s[6:7], s[6:7]
	v_mov_b32_e32 v2, s10
	s_xor_b64 exec, exec, s[6:7]
	s_cbranch_execz .LBB1_11002
; %bb.46843:
	s_getpc_b64 s[14:15]
.Lpost_getpc9085:
	s_add_u32 s14, s14, (.LBB1_25340-.Lpost_getpc9085)&4294967295
	s_addc_u32 s15, s15, (.LBB1_25340-.Lpost_getpc9085)>>32
	s_setpc_b64 s[14:15]
.LBB1_11002:
	s_or_b64 exec, exec, s[6:7]
	s_and_saveexec_b64 s[6:7], s[4:5]
	s_cbranch_execz .LBB1_11004
.LBB1_11003:
	v_bfe_u32 v2, v9, 24, 3
	v_ffbh_u32_e32 v7, v2
	v_min_u32_e32 v7, 32, v7
	v_lshrrev_b32_e32 v4, 27, v9
	v_subrev_u32_e32 v8, 28, v7
	v_and_b32_e32 v4, 15, v4
	v_lshlrev_b32_sdwa v8, v8, v9 dst_sel:DWORD dst_unused:UNUSED_PAD src0_sel:DWORD src1_sel:BYTE_3
	v_bfe_u32 v6, v9, 27, 4
	v_sub_u32_e32 v7, 29, v7
	v_and_b32_e32 v8, 7, v8
	v_cmp_eq_u16_e32 vcc, 0, v4
	v_cndmask_b32_e32 v2, v2, v8, vcc
	v_cndmask_b32_e32 v4, v6, v7, vcc
	v_mov_b32_e32 v6, 0x3b800000
	v_and_b32_e32 v3, 0x80000000, v9
	v_lshlrev_b32_e32 v2, 20, v2
	v_lshl_add_u32 v4, v4, 23, v6
	v_or3_b32 v2, v3, v4, v2
.LBB1_11004:
	s_or_b64 exec, exec, s[6:7]
	s_movk_i32 s4, 0x7f
	v_cmp_gt_i16_sdwa s[6:7], v5, s4 src0_sel:BYTE_3 src1_sel:DWORD
	s_mov_b64 s[4:5], 0
                                        ; implicit-def: $sgpr10
	s_and_saveexec_b64 s[8:9], s[6:7]
	s_xor_b64 s[6:7], exec, s[8:9]
	s_cbranch_execz .LBB1_11005
; %bb.46845:
	s_getpc_b64 s[14:15]
.Lpost_getpc9086:
	s_add_u32 s14, s14, (.LBB1_25341-.Lpost_getpc9086)&4294967295
	s_addc_u32 s15, s15, (.LBB1_25341-.Lpost_getpc9086)>>32
	s_setpc_b64 s[14:15]
.LBB1_11005:
	s_or_saveexec_b64 s[6:7], s[6:7]
	v_mov_b32_e32 v3, s10
	s_xor_b64 exec, exec, s[6:7]
	s_cbranch_execz .LBB1_11006
; %bb.46847:
	s_getpc_b64 s[14:15]
.Lpost_getpc9087:
	s_add_u32 s14, s14, (.LBB1_25344-.Lpost_getpc9087)&4294967295
	s_addc_u32 s15, s15, (.LBB1_25344-.Lpost_getpc9087)>>32
	s_setpc_b64 s[14:15]
.LBB1_11006:
	s_or_b64 exec, exec, s[6:7]
	s_and_saveexec_b64 s[6:7], s[4:5]
	s_cbranch_execz .LBB1_11008
.LBB1_11007:
	v_bfe_u32 v3, v5, 24, 3
	v_ffbh_u32_e32 v8, v3
	v_min_u32_e32 v8, 32, v8
	v_lshrrev_b32_e32 v6, 27, v5
	v_subrev_u32_e32 v9, 28, v8
	v_and_b32_e32 v4, 0x80000000, v5
	v_and_b32_e32 v6, 15, v6
	v_bfe_u32 v7, v5, 27, 4
	v_lshlrev_b32_sdwa v5, v9, v5 dst_sel:DWORD dst_unused:UNUSED_PAD src0_sel:DWORD src1_sel:BYTE_3
	v_sub_u32_e32 v8, 29, v8
	v_and_b32_e32 v5, 7, v5
	v_cmp_eq_u16_e32 vcc, 0, v6
	v_cndmask_b32_e32 v3, v3, v5, vcc
	v_cndmask_b32_e32 v5, v7, v8, vcc
	v_mov_b32_e32 v6, 0x3b800000
	v_lshlrev_b32_e32 v3, 20, v3
	v_lshl_add_u32 v5, v5, 23, v6
	v_or3_b32 v3, v4, v5, v3
.LBB1_11008:
	s_or_b64 exec, exec, s[6:7]
	s_nop 0
	v_mfma_f32_16x16x4f32 a[0:3], v2, v3, a[0:3]
	s_movk_i32 s4, 0x7f
                                        ; implicit-def: $sgpr10
	s_nop 7
	s_nop 1
	flat_store_dwordx4 v[10:11], a[0:3] offset:464
	flat_load_dwordx4 v[12:15], v[0:1]
	s_nop 0
	flat_load_dwordx2 v[10:11], v[0:1] offset:16
	s_waitcnt vmcnt(0) lgkmcnt(0)
	flat_load_dwordx4 v[6:9], v[12:13] offset:160
	flat_load_dwordx4 v[2:5], v[14:15] offset:224
	s_waitcnt vmcnt(0) lgkmcnt(0)
	v_cmp_gt_i16_sdwa s[6:7], v6, s4 src0_sel:BYTE_0 src1_sel:DWORD
	s_mov_b64 s[4:5], 0
	s_and_saveexec_b64 s[8:9], s[6:7]
	s_xor_b64 s[6:7], exec, s[8:9]
	s_cbranch_execz .LBB1_11009
; %bb.46849:
	s_getpc_b64 s[14:15]
.Lpost_getpc9088:
	s_add_u32 s14, s14, (.LBB1_25345-.Lpost_getpc9088)&4294967295
	s_addc_u32 s15, s15, (.LBB1_25345-.Lpost_getpc9088)>>32
	s_setpc_b64 s[14:15]
.LBB1_11009:
	s_or_saveexec_b64 s[6:7], s[6:7]
	v_mov_b32_e32 v12, s10
	s_xor_b64 exec, exec, s[6:7]
	s_cbranch_execz .LBB1_11010
; %bb.46851:
	s_getpc_b64 s[14:15]
.Lpost_getpc9089:
	s_add_u32 s14, s14, (.LBB1_25348-.Lpost_getpc9089)&4294967295
	s_addc_u32 s15, s15, (.LBB1_25348-.Lpost_getpc9089)>>32
	s_setpc_b64 s[14:15]
.LBB1_11010:
	s_or_b64 exec, exec, s[6:7]
	s_and_saveexec_b64 s[6:7], s[4:5]
	s_cbranch_execz .LBB1_11012
.LBB1_11011:
	v_and_b32_e32 v12, 7, v6
	v_ffbh_u32_e32 v14, v12
	v_min_u32_e32 v14, 32, v14
	v_lshrrev_b16_e32 v13, 3, v6
	v_subrev_u32_e32 v15, 28, v14
	v_and_b32_e32 v13, 15, v13
	v_lshlrev_b32_e32 v15, v15, v6
	v_sub_u32_e32 v14, 29, v14
	v_and_b32_e32 v15, 7, v15
	v_cmp_eq_u16_e32 vcc, 0, v13
	v_cndmask_b32_e32 v12, v12, v15, vcc
	v_cndmask_b32_e32 v13, v13, v14, vcc
	v_lshlrev_b32_e32 v14, 24, v6
	v_mov_b32_e32 v15, 0x3b800000
	v_lshlrev_b32_e32 v12, 20, v12
	v_and_b32_e32 v14, 0x80000000, v14
	v_lshl_add_u32 v13, v13, 23, v15
	v_or3_b32 v12, v14, v13, v12
.LBB1_11012:
	s_or_b64 exec, exec, s[6:7]
	s_movk_i32 s4, 0x7f
	v_cmp_gt_i16_sdwa s[6:7], v2, s4 src0_sel:BYTE_0 src1_sel:DWORD
	s_mov_b64 s[4:5], 0
                                        ; implicit-def: $sgpr10
	s_and_saveexec_b64 s[8:9], s[6:7]
	s_xor_b64 s[6:7], exec, s[8:9]
	s_cbranch_execz .LBB1_11013
; %bb.46853:
	s_getpc_b64 s[14:15]
.Lpost_getpc9090:
	s_add_u32 s14, s14, (.LBB1_25349-.Lpost_getpc9090)&4294967295
	s_addc_u32 s15, s15, (.LBB1_25349-.Lpost_getpc9090)>>32
	s_setpc_b64 s[14:15]
.LBB1_11013:
	s_or_saveexec_b64 s[6:7], s[6:7]
	v_mov_b32_e32 v13, s10
	s_xor_b64 exec, exec, s[6:7]
	s_cbranch_execz .LBB1_11014
; %bb.46855:
	s_getpc_b64 s[14:15]
.Lpost_getpc9091:
	s_add_u32 s14, s14, (.LBB1_25352-.Lpost_getpc9091)&4294967295
	s_addc_u32 s15, s15, (.LBB1_25352-.Lpost_getpc9091)>>32
	s_setpc_b64 s[14:15]
.LBB1_11014:
	s_or_b64 exec, exec, s[6:7]
	s_and_saveexec_b64 s[6:7], s[4:5]
	s_cbranch_execz .LBB1_11016
.LBB1_11015:
	v_and_b32_e32 v13, 7, v2
	v_ffbh_u32_e32 v15, v13
	v_min_u32_e32 v15, 32, v15
	v_lshrrev_b16_e32 v14, 3, v2
	v_subrev_u32_e32 v16, 28, v15
	v_and_b32_e32 v14, 15, v14
	v_lshlrev_b32_e32 v16, v16, v2
	v_sub_u32_e32 v15, 29, v15
	v_and_b32_e32 v16, 7, v16
	v_cmp_eq_u16_e32 vcc, 0, v14
	v_cndmask_b32_e32 v13, v13, v16, vcc
	v_cndmask_b32_e32 v14, v14, v15, vcc
	v_lshlrev_b32_e32 v15, 24, v2
	v_mov_b32_e32 v16, 0x3b800000
	v_lshlrev_b32_e32 v13, 20, v13
	v_and_b32_e32 v15, 0x80000000, v15
	v_lshl_add_u32 v14, v14, 23, v16
	v_or3_b32 v13, v15, v14, v13
.LBB1_11016:
	s_or_b64 exec, exec, s[6:7]
	flat_load_dwordx4 a[0:3], v[10:11] offset:480
	s_movk_i32 s4, 0x7f
                                        ; implicit-def: $sgpr10
	s_waitcnt vmcnt(0) lgkmcnt(0)
	v_mfma_f32_16x16x4f32 a[0:3], v12, v13, a[0:3]
	v_lshrrev_b32_e32 v13, 8, v6
	v_cmp_gt_i16_sdwa s[6:7], v13, s4 src0_sel:BYTE_0 src1_sel:DWORD
	s_mov_b64 s[4:5], 0
	s_and_saveexec_b64 s[8:9], s[6:7]
	s_xor_b64 s[6:7], exec, s[8:9]
	s_cbranch_execz .LBB1_11017
; %bb.46857:
	s_getpc_b64 s[14:15]
.Lpost_getpc9092:
	s_add_u32 s14, s14, (.LBB1_25353-.Lpost_getpc9092)&4294967295
	s_addc_u32 s15, s15, (.LBB1_25353-.Lpost_getpc9092)>>32
	s_setpc_b64 s[14:15]
.LBB1_11017:
	s_or_saveexec_b64 s[6:7], s[6:7]
	v_mov_b32_e32 v12, s10
	s_xor_b64 exec, exec, s[6:7]
	s_cbranch_execz .LBB1_11018
; %bb.46859:
	s_getpc_b64 s[14:15]
.Lpost_getpc9093:
	s_add_u32 s14, s14, (.LBB1_25356-.Lpost_getpc9093)&4294967295
	s_addc_u32 s15, s15, (.LBB1_25356-.Lpost_getpc9093)>>32
	s_setpc_b64 s[14:15]
.LBB1_11018:
	s_or_b64 exec, exec, s[6:7]
	s_and_saveexec_b64 s[6:7], s[4:5]
	s_cbranch_execz .LBB1_11020
.LBB1_11019:
	v_bfe_u32 v12, v6, 8, 3
	v_ffbh_u32_e32 v15, v12
	v_min_u32_e32 v15, 32, v15
	v_lshrrev_b16_e32 v14, 3, v13
	v_subrev_u32_e32 v16, 28, v15
	v_and_b32_e32 v14, 15, v14
	v_lshlrev_b32_e32 v13, v16, v13
	v_sub_u32_e32 v15, 29, v15
	v_and_b32_e32 v13, 7, v13
	v_cmp_eq_u16_e32 vcc, 0, v14
	v_cndmask_b32_e32 v12, v12, v13, vcc
	v_cndmask_b32_e32 v13, v14, v15, vcc
	v_lshlrev_b32_e32 v14, 16, v6
	v_mov_b32_e32 v15, 0x3b800000
	v_lshlrev_b32_e32 v12, 20, v12
	v_and_b32_e32 v14, 0x80000000, v14
	v_lshl_add_u32 v13, v13, 23, v15
	v_or3_b32 v12, v14, v13, v12
.LBB1_11020:
	s_or_b64 exec, exec, s[6:7]
	v_lshrrev_b32_e32 v13, 8, v2
	s_movk_i32 s4, 0x7f
	v_cmp_gt_i16_sdwa s[6:7], v13, s4 src0_sel:BYTE_0 src1_sel:DWORD
	s_mov_b64 s[4:5], 0
                                        ; implicit-def: $sgpr10
	s_and_saveexec_b64 s[8:9], s[6:7]
	s_xor_b64 s[6:7], exec, s[8:9]
	s_cbranch_execz .LBB1_11021
; %bb.46861:
	s_getpc_b64 s[14:15]
.Lpost_getpc9094:
	s_add_u32 s14, s14, (.LBB1_25357-.Lpost_getpc9094)&4294967295
	s_addc_u32 s15, s15, (.LBB1_25357-.Lpost_getpc9094)>>32
	s_setpc_b64 s[14:15]
.LBB1_11021:
	s_or_saveexec_b64 s[6:7], s[6:7]
	v_mov_b32_e32 v14, s10
	s_xor_b64 exec, exec, s[6:7]
	s_cbranch_execz .LBB1_11022
; %bb.46863:
	s_getpc_b64 s[14:15]
.Lpost_getpc9095:
	s_add_u32 s14, s14, (.LBB1_25360-.Lpost_getpc9095)&4294967295
	s_addc_u32 s15, s15, (.LBB1_25360-.Lpost_getpc9095)>>32
	s_setpc_b64 s[14:15]
.LBB1_11022:
	s_or_b64 exec, exec, s[6:7]
	s_and_saveexec_b64 s[6:7], s[4:5]
	s_cbranch_execz .LBB1_11024
.LBB1_11023:
	v_bfe_u32 v14, v2, 8, 3
	v_ffbh_u32_e32 v16, v14
	v_min_u32_e32 v16, 32, v16
	v_lshrrev_b16_e32 v15, 3, v13
	v_subrev_u32_e32 v17, 28, v16
	v_and_b32_e32 v15, 15, v15
	v_lshlrev_b32_e32 v13, v17, v13
	v_sub_u32_e32 v16, 29, v16
	v_and_b32_e32 v13, 7, v13
	v_cmp_eq_u16_e32 vcc, 0, v15
	v_cndmask_b32_e32 v13, v14, v13, vcc
	v_cndmask_b32_e32 v14, v15, v16, vcc
	v_lshlrev_b32_e32 v15, 16, v2
	v_mov_b32_e32 v16, 0x3b800000
	v_lshlrev_b32_e32 v13, 20, v13
	v_and_b32_e32 v15, 0x80000000, v15
	v_lshl_add_u32 v14, v14, 23, v16
	v_or3_b32 v14, v15, v14, v13
.LBB1_11024:
	s_or_b64 exec, exec, s[6:7]
	s_nop 0
	v_mfma_f32_16x16x4f32 a[0:3], v12, v14, a[0:3]
	s_movk_i32 s4, 0xff
	v_and_b32_sdwa v13, v6, s4 dst_sel:DWORD dst_unused:UNUSED_PAD src0_sel:WORD_1 src1_sel:DWORD
	s_movk_i32 s4, 0x7f
	v_cmp_lt_i16_e32 vcc, s4, v13
	s_mov_b64 s[4:5], 0
                                        ; implicit-def: $sgpr10
	s_and_saveexec_b64 s[6:7], vcc
	s_xor_b64 s[6:7], exec, s[6:7]
	s_cbranch_execz .LBB1_11025
; %bb.46865:
	s_getpc_b64 s[14:15]
.Lpost_getpc9096:
	s_add_u32 s14, s14, (.LBB1_25361-.Lpost_getpc9096)&4294967295
	s_addc_u32 s15, s15, (.LBB1_25361-.Lpost_getpc9096)>>32
	s_setpc_b64 s[14:15]
.LBB1_11025:
	s_or_saveexec_b64 s[6:7], s[6:7]
	v_mov_b32_e32 v12, s10
	s_xor_b64 exec, exec, s[6:7]
	s_cbranch_execz .LBB1_11026
; %bb.46867:
	s_getpc_b64 s[14:15]
.Lpost_getpc9097:
	s_add_u32 s14, s14, (.LBB1_25364-.Lpost_getpc9097)&4294967295
	s_addc_u32 s15, s15, (.LBB1_25364-.Lpost_getpc9097)>>32
	s_setpc_b64 s[14:15]
.LBB1_11026:
	s_or_b64 exec, exec, s[6:7]
	s_and_saveexec_b64 s[6:7], s[4:5]
	s_cbranch_execz .LBB1_11028
.LBB1_11027:
	v_bfe_u32 v12, v6, 16, 3
	v_ffbh_u32_e32 v15, v12
	v_min_u32_e32 v15, 32, v15
	v_lshrrev_b32_e32 v13, 19, v6
	v_subrev_u32_e32 v16, 28, v15
	v_and_b32_e32 v13, 15, v13
	v_lshlrev_b32_sdwa v16, v16, v6 dst_sel:DWORD dst_unused:UNUSED_PAD src0_sel:DWORD src1_sel:WORD_1
	v_bfe_u32 v14, v6, 19, 4
	v_sub_u32_e32 v15, 29, v15
	v_and_b32_e32 v16, 7, v16
	v_cmp_eq_u16_e32 vcc, 0, v13
	v_cndmask_b32_e32 v12, v12, v16, vcc
	v_cndmask_b32_e32 v13, v14, v15, vcc
	v_lshlrev_b32_e32 v14, 8, v6
	v_mov_b32_e32 v15, 0x3b800000
	v_lshlrev_b32_e32 v12, 20, v12
	v_and_b32_e32 v14, 0x80000000, v14
	v_lshl_add_u32 v13, v13, 23, v15
	v_or3_b32 v12, v14, v13, v12
.LBB1_11028:
	s_or_b64 exec, exec, s[6:7]
	s_movk_i32 s4, 0xff
	v_and_b32_sdwa v13, v2, s4 dst_sel:DWORD dst_unused:UNUSED_PAD src0_sel:WORD_1 src1_sel:DWORD
	s_movk_i32 s4, 0x7f
	v_cmp_lt_i16_e32 vcc, s4, v13
	s_mov_b64 s[4:5], 0
                                        ; implicit-def: $sgpr10
	s_and_saveexec_b64 s[6:7], vcc
	s_xor_b64 s[6:7], exec, s[6:7]
	s_cbranch_execz .LBB1_11029
; %bb.46869:
	s_getpc_b64 s[14:15]
.Lpost_getpc9098:
	s_add_u32 s14, s14, (.LBB1_25365-.Lpost_getpc9098)&4294967295
	s_addc_u32 s15, s15, (.LBB1_25365-.Lpost_getpc9098)>>32
	s_setpc_b64 s[14:15]
.LBB1_11029:
	s_or_saveexec_b64 s[6:7], s[6:7]
	v_mov_b32_e32 v14, s10
	s_xor_b64 exec, exec, s[6:7]
	s_cbranch_execz .LBB1_11030
; %bb.46871:
	s_getpc_b64 s[14:15]
.Lpost_getpc9099:
	s_add_u32 s14, s14, (.LBB1_25368-.Lpost_getpc9099)&4294967295
	s_addc_u32 s15, s15, (.LBB1_25368-.Lpost_getpc9099)>>32
	s_setpc_b64 s[14:15]
.LBB1_11030:
	s_or_b64 exec, exec, s[6:7]
	s_and_saveexec_b64 s[6:7], s[4:5]
	s_cbranch_execz .LBB1_11032
.LBB1_11031:
	v_bfe_u32 v13, v2, 16, 3
	v_ffbh_u32_e32 v16, v13
	v_min_u32_e32 v16, 32, v16
	v_lshrrev_b32_e32 v14, 19, v2
	v_subrev_u32_e32 v17, 28, v16
	v_and_b32_e32 v14, 15, v14
	v_lshlrev_b32_sdwa v17, v17, v2 dst_sel:DWORD dst_unused:UNUSED_PAD src0_sel:DWORD src1_sel:WORD_1
	v_bfe_u32 v15, v2, 19, 4
	v_sub_u32_e32 v16, 29, v16
	v_and_b32_e32 v17, 7, v17
	v_cmp_eq_u16_e32 vcc, 0, v14
	v_cndmask_b32_e32 v13, v13, v17, vcc
	v_cndmask_b32_e32 v14, v15, v16, vcc
	v_lshlrev_b32_e32 v15, 8, v2
	v_mov_b32_e32 v16, 0x3b800000
	v_lshlrev_b32_e32 v13, 20, v13
	v_and_b32_e32 v15, 0x80000000, v15
	v_lshl_add_u32 v14, v14, 23, v16
	v_or3_b32 v14, v15, v14, v13
.LBB1_11032:
	s_or_b64 exec, exec, s[6:7]
	s_nop 0
	v_mfma_f32_16x16x4f32 a[0:3], v12, v14, a[0:3]
	s_movk_i32 s4, 0x7f
	v_cmp_gt_i16_sdwa s[6:7], v6, s4 src0_sel:BYTE_3 src1_sel:DWORD
	s_mov_b64 s[4:5], 0
                                        ; implicit-def: $sgpr10
	s_and_saveexec_b64 s[8:9], s[6:7]
	s_xor_b64 s[6:7], exec, s[8:9]
	s_cbranch_execz .LBB1_11033
; %bb.46873:
	s_getpc_b64 s[14:15]
.Lpost_getpc9100:
	s_add_u32 s14, s14, (.LBB1_25369-.Lpost_getpc9100)&4294967295
	s_addc_u32 s15, s15, (.LBB1_25369-.Lpost_getpc9100)>>32
	s_setpc_b64 s[14:15]
.LBB1_11033:
	s_or_saveexec_b64 s[6:7], s[6:7]
	v_mov_b32_e32 v12, s10
	s_xor_b64 exec, exec, s[6:7]
	s_cbranch_execz .LBB1_11034
; %bb.46875:
	s_getpc_b64 s[14:15]
.Lpost_getpc9101:
	s_add_u32 s14, s14, (.LBB1_25372-.Lpost_getpc9101)&4294967295
	s_addc_u32 s15, s15, (.LBB1_25372-.Lpost_getpc9101)>>32
	s_setpc_b64 s[14:15]
.LBB1_11034:
	s_or_b64 exec, exec, s[6:7]
	s_and_saveexec_b64 s[6:7], s[4:5]
	s_cbranch_execz .LBB1_11036
.LBB1_11035:
	v_bfe_u32 v12, v6, 24, 3
	v_ffbh_u32_e32 v16, v12
	v_min_u32_e32 v16, 32, v16
	v_lshrrev_b32_e32 v14, 27, v6
	v_subrev_u32_e32 v17, 28, v16
	v_and_b32_e32 v13, 0x80000000, v6
	v_and_b32_e32 v14, 15, v14
	v_bfe_u32 v15, v6, 27, 4
	v_lshlrev_b32_sdwa v6, v17, v6 dst_sel:DWORD dst_unused:UNUSED_PAD src0_sel:DWORD src1_sel:BYTE_3
	v_sub_u32_e32 v16, 29, v16
	v_and_b32_e32 v6, 7, v6
	v_cmp_eq_u16_e32 vcc, 0, v14
	v_cndmask_b32_e32 v6, v12, v6, vcc
	v_cndmask_b32_e32 v12, v15, v16, vcc
	v_mov_b32_e32 v14, 0x3b800000
	v_lshlrev_b32_e32 v6, 20, v6
	v_lshl_add_u32 v12, v12, 23, v14
	v_or3_b32 v12, v13, v12, v6
.LBB1_11036:
	s_or_b64 exec, exec, s[6:7]
	s_movk_i32 s4, 0x7f
	v_cmp_gt_i16_sdwa s[6:7], v2, s4 src0_sel:BYTE_3 src1_sel:DWORD
	s_mov_b64 s[4:5], 0
                                        ; implicit-def: $sgpr10
	s_and_saveexec_b64 s[8:9], s[6:7]
	s_xor_b64 s[6:7], exec, s[8:9]
	s_cbranch_execz .LBB1_11037
; %bb.46877:
	s_getpc_b64 s[14:15]
.Lpost_getpc9102:
	s_add_u32 s14, s14, (.LBB1_25373-.Lpost_getpc9102)&4294967295
	s_addc_u32 s15, s15, (.LBB1_25373-.Lpost_getpc9102)>>32
	s_setpc_b64 s[14:15]
.LBB1_11037:
	s_or_saveexec_b64 s[6:7], s[6:7]
	v_mov_b32_e32 v6, s10
	s_xor_b64 exec, exec, s[6:7]
	s_cbranch_execz .LBB1_11038
; %bb.46879:
	s_getpc_b64 s[14:15]
.Lpost_getpc9103:
	s_add_u32 s14, s14, (.LBB1_25376-.Lpost_getpc9103)&4294967295
	s_addc_u32 s15, s15, (.LBB1_25376-.Lpost_getpc9103)>>32
	s_setpc_b64 s[14:15]
.LBB1_11038:
	s_or_b64 exec, exec, s[6:7]
	s_and_saveexec_b64 s[6:7], s[4:5]
	s_cbranch_execz .LBB1_11040
.LBB1_11039:
	v_bfe_u32 v6, v2, 24, 3
	v_ffbh_u32_e32 v16, v6
	v_min_u32_e32 v16, 32, v16
	v_lshrrev_b32_e32 v14, 27, v2
	v_subrev_u32_e32 v17, 28, v16
	v_and_b32_e32 v13, 0x80000000, v2
	v_and_b32_e32 v14, 15, v14
	v_bfe_u32 v15, v2, 27, 4
	v_lshlrev_b32_sdwa v2, v17, v2 dst_sel:DWORD dst_unused:UNUSED_PAD src0_sel:DWORD src1_sel:BYTE_3
	v_sub_u32_e32 v16, 29, v16
	v_and_b32_e32 v2, 7, v2
	v_cmp_eq_u16_e32 vcc, 0, v14
	v_cndmask_b32_e32 v2, v6, v2, vcc
	v_cndmask_b32_e32 v6, v15, v16, vcc
	v_mov_b32_e32 v14, 0x3b800000
	v_lshlrev_b32_e32 v2, 20, v2
	v_lshl_add_u32 v6, v6, 23, v14
	v_or3_b32 v6, v13, v6, v2
.LBB1_11040:
	s_or_b64 exec, exec, s[6:7]
	s_nop 0
	v_mfma_f32_16x16x4f32 a[0:3], v12, v6, a[0:3]
	s_movk_i32 s4, 0x7f
	v_cmp_gt_i16_sdwa s[6:7], v7, s4 src0_sel:BYTE_0 src1_sel:DWORD
	s_mov_b64 s[4:5], 0
                                        ; implicit-def: $sgpr10
	s_and_saveexec_b64 s[8:9], s[6:7]
	s_xor_b64 s[6:7], exec, s[8:9]
	s_cbranch_execz .LBB1_11041
; %bb.46881:
	s_getpc_b64 s[14:15]
.Lpost_getpc9104:
	s_add_u32 s14, s14, (.LBB1_25377-.Lpost_getpc9104)&4294967295
	s_addc_u32 s15, s15, (.LBB1_25377-.Lpost_getpc9104)>>32
	s_setpc_b64 s[14:15]
.LBB1_11041:
	s_or_saveexec_b64 s[6:7], s[6:7]
	v_mov_b32_e32 v2, s10
	s_xor_b64 exec, exec, s[6:7]
	s_cbranch_execz .LBB1_11042
; %bb.46883:
	s_getpc_b64 s[14:15]
.Lpost_getpc9105:
	s_add_u32 s14, s14, (.LBB1_25380-.Lpost_getpc9105)&4294967295
	s_addc_u32 s15, s15, (.LBB1_25380-.Lpost_getpc9105)>>32
	s_setpc_b64 s[14:15]
.LBB1_11042:
	s_or_b64 exec, exec, s[6:7]
	s_and_saveexec_b64 s[6:7], s[4:5]
	s_cbranch_execz .LBB1_11044
.LBB1_11043:
	v_and_b32_e32 v2, 7, v7
	v_ffbh_u32_e32 v12, v2
	v_min_u32_e32 v12, 32, v12
	v_lshrrev_b16_e32 v6, 3, v7
	v_subrev_u32_e32 v13, 28, v12
	v_and_b32_e32 v6, 15, v6
	v_lshlrev_b32_e32 v13, v13, v7
	v_sub_u32_e32 v12, 29, v12
	v_and_b32_e32 v13, 7, v13
	v_cmp_eq_u16_e32 vcc, 0, v6
	v_cndmask_b32_e32 v2, v2, v13, vcc
	v_cndmask_b32_e32 v6, v6, v12, vcc
	v_lshlrev_b32_e32 v12, 24, v7
	v_mov_b32_e32 v13, 0x3b800000
	v_lshlrev_b32_e32 v2, 20, v2
	v_and_b32_e32 v12, 0x80000000, v12
	v_lshl_add_u32 v6, v6, 23, v13
	v_or3_b32 v2, v12, v6, v2
.LBB1_11044:
	s_or_b64 exec, exec, s[6:7]
	s_movk_i32 s4, 0x7f
	v_cmp_gt_i16_sdwa s[6:7], v3, s4 src0_sel:BYTE_0 src1_sel:DWORD
	s_mov_b64 s[4:5], 0
                                        ; implicit-def: $sgpr10
	s_and_saveexec_b64 s[8:9], s[6:7]
	s_xor_b64 s[6:7], exec, s[8:9]
	s_cbranch_execz .LBB1_11045
; %bb.46885:
	s_getpc_b64 s[14:15]
.Lpost_getpc9106:
	s_add_u32 s14, s14, (.LBB1_25381-.Lpost_getpc9106)&4294967295
	s_addc_u32 s15, s15, (.LBB1_25381-.Lpost_getpc9106)>>32
	s_setpc_b64 s[14:15]
.LBB1_11045:
	s_or_saveexec_b64 s[6:7], s[6:7]
	v_mov_b32_e32 v6, s10
	s_xor_b64 exec, exec, s[6:7]
	s_cbranch_execz .LBB1_11046
; %bb.46887:
	s_getpc_b64 s[14:15]
.Lpost_getpc9107:
	s_add_u32 s14, s14, (.LBB1_25384-.Lpost_getpc9107)&4294967295
	s_addc_u32 s15, s15, (.LBB1_25384-.Lpost_getpc9107)>>32
	s_setpc_b64 s[14:15]
.LBB1_11046:
	s_or_b64 exec, exec, s[6:7]
	s_and_saveexec_b64 s[6:7], s[4:5]
	s_cbranch_execz .LBB1_11048
.LBB1_11047:
	v_and_b32_e32 v6, 7, v3
	v_ffbh_u32_e32 v13, v6
	v_min_u32_e32 v13, 32, v13
	v_lshrrev_b16_e32 v12, 3, v3
	v_subrev_u32_e32 v14, 28, v13
	v_and_b32_e32 v12, 15, v12
	v_lshlrev_b32_e32 v14, v14, v3
	v_sub_u32_e32 v13, 29, v13
	v_and_b32_e32 v14, 7, v14
	v_cmp_eq_u16_e32 vcc, 0, v12
	v_cndmask_b32_e32 v6, v6, v14, vcc
	v_cndmask_b32_e32 v12, v12, v13, vcc
	v_lshlrev_b32_e32 v13, 24, v3
	v_mov_b32_e32 v14, 0x3b800000
	v_lshlrev_b32_e32 v6, 20, v6
	v_and_b32_e32 v13, 0x80000000, v13
	v_lshl_add_u32 v12, v12, 23, v14
	v_or3_b32 v6, v13, v12, v6
.LBB1_11048:
	s_or_b64 exec, exec, s[6:7]
	s_nop 0
	v_mfma_f32_16x16x4f32 a[0:3], v2, v6, a[0:3]
	v_lshrrev_b32_e32 v6, 8, v7
	s_movk_i32 s4, 0x7f
	v_cmp_gt_i16_sdwa s[6:7], v6, s4 src0_sel:BYTE_0 src1_sel:DWORD
	s_mov_b64 s[4:5], 0
                                        ; implicit-def: $sgpr10
	s_and_saveexec_b64 s[8:9], s[6:7]
	s_xor_b64 s[6:7], exec, s[8:9]
	s_cbranch_execz .LBB1_11049
; %bb.46889:
	s_getpc_b64 s[14:15]
.Lpost_getpc9108:
	s_add_u32 s14, s14, (.LBB1_25385-.Lpost_getpc9108)&4294967295
	s_addc_u32 s15, s15, (.LBB1_25385-.Lpost_getpc9108)>>32
	s_setpc_b64 s[14:15]
.LBB1_11049:
	s_or_saveexec_b64 s[6:7], s[6:7]
	v_mov_b32_e32 v2, s10
	s_xor_b64 exec, exec, s[6:7]
	s_cbranch_execz .LBB1_11050
; %bb.46891:
	s_getpc_b64 s[14:15]
.Lpost_getpc9109:
	s_add_u32 s14, s14, (.LBB1_25388-.Lpost_getpc9109)&4294967295
	s_addc_u32 s15, s15, (.LBB1_25388-.Lpost_getpc9109)>>32
	s_setpc_b64 s[14:15]
.LBB1_11050:
	s_or_b64 exec, exec, s[6:7]
	s_and_saveexec_b64 s[6:7], s[4:5]
	s_cbranch_execz .LBB1_11052
.LBB1_11051:
	v_bfe_u32 v2, v7, 8, 3
	v_ffbh_u32_e32 v13, v2
	v_min_u32_e32 v13, 32, v13
	v_lshrrev_b16_e32 v12, 3, v6
	v_subrev_u32_e32 v14, 28, v13
	v_and_b32_e32 v12, 15, v12
	v_lshlrev_b32_e32 v6, v14, v6
	v_sub_u32_e32 v13, 29, v13
	v_and_b32_e32 v6, 7, v6
	v_cmp_eq_u16_e32 vcc, 0, v12
	v_cndmask_b32_e32 v2, v2, v6, vcc
	v_cndmask_b32_e32 v6, v12, v13, vcc
	v_lshlrev_b32_e32 v12, 16, v7
	v_mov_b32_e32 v13, 0x3b800000
	v_lshlrev_b32_e32 v2, 20, v2
	v_and_b32_e32 v12, 0x80000000, v12
	v_lshl_add_u32 v6, v6, 23, v13
	v_or3_b32 v2, v12, v6, v2
.LBB1_11052:
	s_or_b64 exec, exec, s[6:7]
	v_lshrrev_b32_e32 v6, 8, v3
	s_movk_i32 s4, 0x7f
	v_cmp_gt_i16_sdwa s[6:7], v6, s4 src0_sel:BYTE_0 src1_sel:DWORD
	s_mov_b64 s[4:5], 0
                                        ; implicit-def: $sgpr10
	s_and_saveexec_b64 s[8:9], s[6:7]
	s_xor_b64 s[6:7], exec, s[8:9]
	s_cbranch_execz .LBB1_11053
; %bb.46893:
	s_getpc_b64 s[14:15]
.Lpost_getpc9110:
	s_add_u32 s14, s14, (.LBB1_25389-.Lpost_getpc9110)&4294967295
	s_addc_u32 s15, s15, (.LBB1_25389-.Lpost_getpc9110)>>32
	s_setpc_b64 s[14:15]
.LBB1_11053:
	s_or_saveexec_b64 s[6:7], s[6:7]
	v_mov_b32_e32 v12, s10
	s_xor_b64 exec, exec, s[6:7]
	s_cbranch_execz .LBB1_11054
; %bb.46895:
	s_getpc_b64 s[14:15]
.Lpost_getpc9111:
	s_add_u32 s14, s14, (.LBB1_25392-.Lpost_getpc9111)&4294967295
	s_addc_u32 s15, s15, (.LBB1_25392-.Lpost_getpc9111)>>32
	s_setpc_b64 s[14:15]
.LBB1_11054:
	s_or_b64 exec, exec, s[6:7]
	s_and_saveexec_b64 s[6:7], s[4:5]
	s_cbranch_execz .LBB1_11056
.LBB1_11055:
	v_bfe_u32 v12, v3, 8, 3
	v_ffbh_u32_e32 v14, v12
	v_min_u32_e32 v14, 32, v14
	v_lshrrev_b16_e32 v13, 3, v6
	v_subrev_u32_e32 v15, 28, v14
	v_and_b32_e32 v13, 15, v13
	v_lshlrev_b32_e32 v6, v15, v6
	v_sub_u32_e32 v14, 29, v14
	v_and_b32_e32 v6, 7, v6
	v_cmp_eq_u16_e32 vcc, 0, v13
	v_cndmask_b32_e32 v6, v12, v6, vcc
	v_cndmask_b32_e32 v12, v13, v14, vcc
	v_lshlrev_b32_e32 v13, 16, v3
	v_mov_b32_e32 v14, 0x3b800000
	v_lshlrev_b32_e32 v6, 20, v6
	v_and_b32_e32 v13, 0x80000000, v13
	v_lshl_add_u32 v12, v12, 23, v14
	v_or3_b32 v12, v13, v12, v6
.LBB1_11056:
	s_or_b64 exec, exec, s[6:7]
	s_nop 0
	v_mfma_f32_16x16x4f32 a[0:3], v2, v12, a[0:3]
	s_movk_i32 s4, 0xff
	v_and_b32_sdwa v6, v7, s4 dst_sel:DWORD dst_unused:UNUSED_PAD src0_sel:WORD_1 src1_sel:DWORD
	s_movk_i32 s4, 0x7f
	v_cmp_lt_i16_e32 vcc, s4, v6
	s_mov_b64 s[4:5], 0
                                        ; implicit-def: $sgpr10
	s_and_saveexec_b64 s[6:7], vcc
	s_xor_b64 s[6:7], exec, s[6:7]
	s_cbranch_execz .LBB1_11057
; %bb.46897:
	s_getpc_b64 s[14:15]
.Lpost_getpc9112:
	s_add_u32 s14, s14, (.LBB1_25393-.Lpost_getpc9112)&4294967295
	s_addc_u32 s15, s15, (.LBB1_25393-.Lpost_getpc9112)>>32
	s_setpc_b64 s[14:15]
.LBB1_11057:
	s_or_saveexec_b64 s[6:7], s[6:7]
	v_mov_b32_e32 v2, s10
	s_xor_b64 exec, exec, s[6:7]
	s_cbranch_execz .LBB1_11058
; %bb.46899:
	s_getpc_b64 s[14:15]
.Lpost_getpc9113:
	s_add_u32 s14, s14, (.LBB1_25396-.Lpost_getpc9113)&4294967295
	s_addc_u32 s15, s15, (.LBB1_25396-.Lpost_getpc9113)>>32
	s_setpc_b64 s[14:15]
.LBB1_11058:
	s_or_b64 exec, exec, s[6:7]
	s_and_saveexec_b64 s[6:7], s[4:5]
	s_cbranch_execz .LBB1_11060
.LBB1_11059:
	v_bfe_u32 v2, v7, 16, 3
	v_ffbh_u32_e32 v13, v2
	v_min_u32_e32 v13, 32, v13
	v_lshrrev_b32_e32 v6, 19, v7
	v_subrev_u32_e32 v14, 28, v13
	v_and_b32_e32 v6, 15, v6
	v_lshlrev_b32_sdwa v14, v14, v7 dst_sel:DWORD dst_unused:UNUSED_PAD src0_sel:DWORD src1_sel:WORD_1
	v_bfe_u32 v12, v7, 19, 4
	v_sub_u32_e32 v13, 29, v13
	v_and_b32_e32 v14, 7, v14
	v_cmp_eq_u16_e32 vcc, 0, v6
	v_cndmask_b32_e32 v2, v2, v14, vcc
	v_cndmask_b32_e32 v6, v12, v13, vcc
	v_lshlrev_b32_e32 v12, 8, v7
	v_mov_b32_e32 v13, 0x3b800000
	v_lshlrev_b32_e32 v2, 20, v2
	v_and_b32_e32 v12, 0x80000000, v12
	v_lshl_add_u32 v6, v6, 23, v13
	v_or3_b32 v2, v12, v6, v2
.LBB1_11060:
	s_or_b64 exec, exec, s[6:7]
	s_movk_i32 s4, 0xff
	v_and_b32_sdwa v6, v3, s4 dst_sel:DWORD dst_unused:UNUSED_PAD src0_sel:WORD_1 src1_sel:DWORD
	s_movk_i32 s4, 0x7f
	v_cmp_lt_i16_e32 vcc, s4, v6
	s_mov_b64 s[4:5], 0
                                        ; implicit-def: $sgpr10
	s_and_saveexec_b64 s[6:7], vcc
	s_xor_b64 s[6:7], exec, s[6:7]
	s_cbranch_execz .LBB1_11061
; %bb.46901:
	s_getpc_b64 s[14:15]
.Lpost_getpc9114:
	s_add_u32 s14, s14, (.LBB1_25397-.Lpost_getpc9114)&4294967295
	s_addc_u32 s15, s15, (.LBB1_25397-.Lpost_getpc9114)>>32
	s_setpc_b64 s[14:15]
.LBB1_11061:
	s_or_saveexec_b64 s[6:7], s[6:7]
	v_mov_b32_e32 v12, s10
	s_xor_b64 exec, exec, s[6:7]
	s_cbranch_execz .LBB1_11062
; %bb.46903:
	s_getpc_b64 s[14:15]
.Lpost_getpc9115:
	s_add_u32 s14, s14, (.LBB1_25400-.Lpost_getpc9115)&4294967295
	s_addc_u32 s15, s15, (.LBB1_25400-.Lpost_getpc9115)>>32
	s_setpc_b64 s[14:15]
.LBB1_11062:
	s_or_b64 exec, exec, s[6:7]
	s_and_saveexec_b64 s[6:7], s[4:5]
	s_cbranch_execz .LBB1_11064
.LBB1_11063:
	v_bfe_u32 v6, v3, 16, 3
	v_ffbh_u32_e32 v14, v6
	v_min_u32_e32 v14, 32, v14
	v_lshrrev_b32_e32 v12, 19, v3
	v_subrev_u32_e32 v15, 28, v14
	v_and_b32_e32 v12, 15, v12
	v_lshlrev_b32_sdwa v15, v15, v3 dst_sel:DWORD dst_unused:UNUSED_PAD src0_sel:DWORD src1_sel:WORD_1
	v_bfe_u32 v13, v3, 19, 4
	v_sub_u32_e32 v14, 29, v14
	v_and_b32_e32 v15, 7, v15
	v_cmp_eq_u16_e32 vcc, 0, v12
	v_cndmask_b32_e32 v6, v6, v15, vcc
	v_cndmask_b32_e32 v12, v13, v14, vcc
	v_lshlrev_b32_e32 v13, 8, v3
	v_mov_b32_e32 v14, 0x3b800000
	v_lshlrev_b32_e32 v6, 20, v6
	v_and_b32_e32 v13, 0x80000000, v13
	v_lshl_add_u32 v12, v12, 23, v14
	v_or3_b32 v12, v13, v12, v6
.LBB1_11064:
	s_or_b64 exec, exec, s[6:7]
	s_nop 0
	v_mfma_f32_16x16x4f32 a[0:3], v2, v12, a[0:3]
	s_movk_i32 s4, 0x7f
	v_cmp_gt_i16_sdwa s[6:7], v7, s4 src0_sel:BYTE_3 src1_sel:DWORD
	s_mov_b64 s[4:5], 0
                                        ; implicit-def: $sgpr10
	s_and_saveexec_b64 s[8:9], s[6:7]
	s_xor_b64 s[6:7], exec, s[8:9]
	s_cbranch_execz .LBB1_11065
; %bb.46905:
	s_getpc_b64 s[14:15]
.Lpost_getpc9116:
	s_add_u32 s14, s14, (.LBB1_25401-.Lpost_getpc9116)&4294967295
	s_addc_u32 s15, s15, (.LBB1_25401-.Lpost_getpc9116)>>32
	s_setpc_b64 s[14:15]
.LBB1_11065:
	s_or_saveexec_b64 s[6:7], s[6:7]
	v_mov_b32_e32 v2, s10
	s_xor_b64 exec, exec, s[6:7]
	s_cbranch_execz .LBB1_11066
; %bb.46907:
	s_getpc_b64 s[14:15]
.Lpost_getpc9117:
	s_add_u32 s14, s14, (.LBB1_25404-.Lpost_getpc9117)&4294967295
	s_addc_u32 s15, s15, (.LBB1_25404-.Lpost_getpc9117)>>32
	s_setpc_b64 s[14:15]
.LBB1_11066:
	s_or_b64 exec, exec, s[6:7]
	s_and_saveexec_b64 s[6:7], s[4:5]
	s_cbranch_execz .LBB1_11068
.LBB1_11067:
	v_bfe_u32 v2, v7, 24, 3
	v_ffbh_u32_e32 v14, v2
	v_min_u32_e32 v14, 32, v14
	v_lshrrev_b32_e32 v12, 27, v7
	v_subrev_u32_e32 v15, 28, v14
	v_and_b32_e32 v6, 0x80000000, v7
	v_and_b32_e32 v12, 15, v12
	v_bfe_u32 v13, v7, 27, 4
	v_lshlrev_b32_sdwa v7, v15, v7 dst_sel:DWORD dst_unused:UNUSED_PAD src0_sel:DWORD src1_sel:BYTE_3
	v_sub_u32_e32 v14, 29, v14
	v_and_b32_e32 v7, 7, v7
	v_cmp_eq_u16_e32 vcc, 0, v12
	v_cndmask_b32_e32 v2, v2, v7, vcc
	v_cndmask_b32_e32 v7, v13, v14, vcc
	v_mov_b32_e32 v12, 0x3b800000
	v_lshlrev_b32_e32 v2, 20, v2
	v_lshl_add_u32 v7, v7, 23, v12
	v_or3_b32 v2, v6, v7, v2
.LBB1_11068:
	s_or_b64 exec, exec, s[6:7]
	s_movk_i32 s4, 0x7f
	v_cmp_gt_i16_sdwa s[6:7], v3, s4 src0_sel:BYTE_3 src1_sel:DWORD
	s_mov_b64 s[4:5], 0
                                        ; implicit-def: $sgpr10
	s_and_saveexec_b64 s[8:9], s[6:7]
	s_xor_b64 s[6:7], exec, s[8:9]
	s_cbranch_execz .LBB1_11069
; %bb.46909:
	s_getpc_b64 s[14:15]
.Lpost_getpc9118:
	s_add_u32 s14, s14, (.LBB1_25405-.Lpost_getpc9118)&4294967295
	s_addc_u32 s15, s15, (.LBB1_25405-.Lpost_getpc9118)>>32
	s_setpc_b64 s[14:15]
.LBB1_11069:
	s_or_saveexec_b64 s[6:7], s[6:7]
	v_mov_b32_e32 v6, s10
	s_xor_b64 exec, exec, s[6:7]
	s_cbranch_execz .LBB1_11070
; %bb.46911:
	s_getpc_b64 s[14:15]
.Lpost_getpc9119:
	s_add_u32 s14, s14, (.LBB1_25408-.Lpost_getpc9119)&4294967295
	s_addc_u32 s15, s15, (.LBB1_25408-.Lpost_getpc9119)>>32
	s_setpc_b64 s[14:15]
.LBB1_11070:
	s_or_b64 exec, exec, s[6:7]
	s_and_saveexec_b64 s[6:7], s[4:5]
	s_cbranch_execz .LBB1_11072
.LBB1_11071:
	v_bfe_u32 v6, v3, 24, 3
	v_ffbh_u32_e32 v14, v6
	v_min_u32_e32 v14, 32, v14
	v_lshrrev_b32_e32 v12, 27, v3
	v_subrev_u32_e32 v15, 28, v14
	v_and_b32_e32 v7, 0x80000000, v3
	v_and_b32_e32 v12, 15, v12
	v_bfe_u32 v13, v3, 27, 4
	v_lshlrev_b32_sdwa v3, v15, v3 dst_sel:DWORD dst_unused:UNUSED_PAD src0_sel:DWORD src1_sel:BYTE_3
	v_sub_u32_e32 v14, 29, v14
	v_and_b32_e32 v3, 7, v3
	v_cmp_eq_u16_e32 vcc, 0, v12
	v_cndmask_b32_e32 v3, v6, v3, vcc
	v_cndmask_b32_e32 v6, v13, v14, vcc
	v_mov_b32_e32 v12, 0x3b800000
	v_lshlrev_b32_e32 v3, 20, v3
	v_lshl_add_u32 v6, v6, 23, v12
	v_or3_b32 v6, v7, v6, v3
.LBB1_11072:
	s_or_b64 exec, exec, s[6:7]
	s_nop 0
	v_mfma_f32_16x16x4f32 a[0:3], v2, v6, a[0:3]
	s_movk_i32 s4, 0x7f
	v_cmp_gt_i16_sdwa s[6:7], v8, s4 src0_sel:BYTE_0 src1_sel:DWORD
	s_mov_b64 s[4:5], 0
                                        ; implicit-def: $sgpr10
	s_and_saveexec_b64 s[8:9], s[6:7]
	s_xor_b64 s[6:7], exec, s[8:9]
	s_cbranch_execz .LBB1_11073
; %bb.46913:
	s_getpc_b64 s[14:15]
.Lpost_getpc9120:
	s_add_u32 s14, s14, (.LBB1_25409-.Lpost_getpc9120)&4294967295
	s_addc_u32 s15, s15, (.LBB1_25409-.Lpost_getpc9120)>>32
	s_setpc_b64 s[14:15]
.LBB1_11073:
	s_or_saveexec_b64 s[6:7], s[6:7]
	v_mov_b32_e32 v2, s10
	s_xor_b64 exec, exec, s[6:7]
	s_cbranch_execz .LBB1_11074
; %bb.46915:
	s_getpc_b64 s[14:15]
.Lpost_getpc9121:
	s_add_u32 s14, s14, (.LBB1_25412-.Lpost_getpc9121)&4294967295
	s_addc_u32 s15, s15, (.LBB1_25412-.Lpost_getpc9121)>>32
	s_setpc_b64 s[14:15]
.LBB1_11074:
	s_or_b64 exec, exec, s[6:7]
	s_and_saveexec_b64 s[6:7], s[4:5]
	s_cbranch_execz .LBB1_11076
.LBB1_11075:
	v_and_b32_e32 v2, 7, v8
	v_ffbh_u32_e32 v6, v2
	v_min_u32_e32 v6, 32, v6
	v_lshrrev_b16_e32 v3, 3, v8
	v_subrev_u32_e32 v7, 28, v6
	v_and_b32_e32 v3, 15, v3
	v_lshlrev_b32_e32 v7, v7, v8
	v_sub_u32_e32 v6, 29, v6
	v_and_b32_e32 v7, 7, v7
	v_cmp_eq_u16_e32 vcc, 0, v3
	v_cndmask_b32_e32 v2, v2, v7, vcc
	v_cndmask_b32_e32 v3, v3, v6, vcc
	v_lshlrev_b32_e32 v6, 24, v8
	v_mov_b32_e32 v7, 0x3b800000
	v_lshlrev_b32_e32 v2, 20, v2
	v_and_b32_e32 v6, 0x80000000, v6
	v_lshl_add_u32 v3, v3, 23, v7
	v_or3_b32 v2, v6, v3, v2
.LBB1_11076:
	s_or_b64 exec, exec, s[6:7]
	s_movk_i32 s4, 0x7f
	v_cmp_gt_i16_sdwa s[6:7], v4, s4 src0_sel:BYTE_0 src1_sel:DWORD
	s_mov_b64 s[4:5], 0
                                        ; implicit-def: $sgpr10
	s_and_saveexec_b64 s[8:9], s[6:7]
	s_xor_b64 s[6:7], exec, s[8:9]
	s_cbranch_execz .LBB1_11077
; %bb.46917:
	s_getpc_b64 s[14:15]
.Lpost_getpc9122:
	s_add_u32 s14, s14, (.LBB1_25413-.Lpost_getpc9122)&4294967295
	s_addc_u32 s15, s15, (.LBB1_25413-.Lpost_getpc9122)>>32
	s_setpc_b64 s[14:15]
.LBB1_11077:
	s_or_saveexec_b64 s[6:7], s[6:7]
	v_mov_b32_e32 v3, s10
	s_xor_b64 exec, exec, s[6:7]
	s_cbranch_execz .LBB1_11078
; %bb.46919:
	s_getpc_b64 s[14:15]
.Lpost_getpc9123:
	s_add_u32 s14, s14, (.LBB1_25416-.Lpost_getpc9123)&4294967295
	s_addc_u32 s15, s15, (.LBB1_25416-.Lpost_getpc9123)>>32
	s_setpc_b64 s[14:15]
.LBB1_11078:
	s_or_b64 exec, exec, s[6:7]
	s_and_saveexec_b64 s[6:7], s[4:5]
	s_cbranch_execz .LBB1_11080
.LBB1_11079:
	v_and_b32_e32 v3, 7, v4
	v_ffbh_u32_e32 v7, v3
	v_min_u32_e32 v7, 32, v7
	v_lshrrev_b16_e32 v6, 3, v4
	v_subrev_u32_e32 v12, 28, v7
	v_and_b32_e32 v6, 15, v6
	v_lshlrev_b32_e32 v12, v12, v4
	v_sub_u32_e32 v7, 29, v7
	v_and_b32_e32 v12, 7, v12
	v_cmp_eq_u16_e32 vcc, 0, v6
	v_cndmask_b32_e32 v3, v3, v12, vcc
	v_cndmask_b32_e32 v6, v6, v7, vcc
	v_lshlrev_b32_e32 v7, 24, v4
	v_mov_b32_e32 v12, 0x3b800000
	v_lshlrev_b32_e32 v3, 20, v3
	v_and_b32_e32 v7, 0x80000000, v7
	v_lshl_add_u32 v6, v6, 23, v12
	v_or3_b32 v3, v7, v6, v3
.LBB1_11080:
	s_or_b64 exec, exec, s[6:7]
	s_nop 0
	v_mfma_f32_16x16x4f32 a[0:3], v2, v3, a[0:3]
	v_lshrrev_b32_e32 v3, 8, v8
	s_movk_i32 s4, 0x7f
	v_cmp_gt_i16_sdwa s[6:7], v3, s4 src0_sel:BYTE_0 src1_sel:DWORD
	s_mov_b64 s[4:5], 0
                                        ; implicit-def: $sgpr10
	s_and_saveexec_b64 s[8:9], s[6:7]
	s_xor_b64 s[6:7], exec, s[8:9]
	s_cbranch_execz .LBB1_11081
; %bb.46921:
	s_getpc_b64 s[14:15]
.Lpost_getpc9124:
	s_add_u32 s14, s14, (.LBB1_25417-.Lpost_getpc9124)&4294967295
	s_addc_u32 s15, s15, (.LBB1_25417-.Lpost_getpc9124)>>32
	s_setpc_b64 s[14:15]
.LBB1_11081:
	s_or_saveexec_b64 s[6:7], s[6:7]
	v_mov_b32_e32 v2, s10
	s_xor_b64 exec, exec, s[6:7]
	s_cbranch_execz .LBB1_11082
; %bb.46923:
	s_getpc_b64 s[14:15]
.Lpost_getpc9125:
	s_add_u32 s14, s14, (.LBB1_25420-.Lpost_getpc9125)&4294967295
	s_addc_u32 s15, s15, (.LBB1_25420-.Lpost_getpc9125)>>32
	s_setpc_b64 s[14:15]
.LBB1_11082:
	s_or_b64 exec, exec, s[6:7]
	s_and_saveexec_b64 s[6:7], s[4:5]
	s_cbranch_execz .LBB1_11084
.LBB1_11083:
	v_bfe_u32 v2, v8, 8, 3
	v_ffbh_u32_e32 v7, v2
	v_min_u32_e32 v7, 32, v7
	v_lshrrev_b16_e32 v6, 3, v3
	v_subrev_u32_e32 v12, 28, v7
	v_and_b32_e32 v6, 15, v6
	v_lshlrev_b32_e32 v3, v12, v3
	v_sub_u32_e32 v7, 29, v7
	v_and_b32_e32 v3, 7, v3
	v_cmp_eq_u16_e32 vcc, 0, v6
	v_cndmask_b32_e32 v2, v2, v3, vcc
	v_cndmask_b32_e32 v3, v6, v7, vcc
	v_lshlrev_b32_e32 v6, 16, v8
	v_mov_b32_e32 v7, 0x3b800000
	v_lshlrev_b32_e32 v2, 20, v2
	v_and_b32_e32 v6, 0x80000000, v6
	v_lshl_add_u32 v3, v3, 23, v7
	v_or3_b32 v2, v6, v3, v2
.LBB1_11084:
	s_or_b64 exec, exec, s[6:7]
	v_lshrrev_b32_e32 v3, 8, v4
	s_movk_i32 s4, 0x7f
	v_cmp_gt_i16_sdwa s[6:7], v3, s4 src0_sel:BYTE_0 src1_sel:DWORD
	s_mov_b64 s[4:5], 0
                                        ; implicit-def: $sgpr10
	s_and_saveexec_b64 s[8:9], s[6:7]
	s_xor_b64 s[6:7], exec, s[8:9]
	s_cbranch_execz .LBB1_11085
; %bb.46925:
	s_getpc_b64 s[14:15]
.Lpost_getpc9126:
	s_add_u32 s14, s14, (.LBB1_25421-.Lpost_getpc9126)&4294967295
	s_addc_u32 s15, s15, (.LBB1_25421-.Lpost_getpc9126)>>32
	s_setpc_b64 s[14:15]
.LBB1_11085:
	s_or_saveexec_b64 s[6:7], s[6:7]
	v_mov_b32_e32 v6, s10
	s_xor_b64 exec, exec, s[6:7]
	s_cbranch_execz .LBB1_11086
; %bb.46927:
	s_getpc_b64 s[14:15]
.Lpost_getpc9127:
	s_add_u32 s14, s14, (.LBB1_25424-.Lpost_getpc9127)&4294967295
	s_addc_u32 s15, s15, (.LBB1_25424-.Lpost_getpc9127)>>32
	s_setpc_b64 s[14:15]
.LBB1_11086:
	s_or_b64 exec, exec, s[6:7]
	s_and_saveexec_b64 s[6:7], s[4:5]
	s_cbranch_execz .LBB1_11088
.LBB1_11087:
	v_bfe_u32 v6, v4, 8, 3
	v_ffbh_u32_e32 v12, v6
	v_min_u32_e32 v12, 32, v12
	v_lshrrev_b16_e32 v7, 3, v3
	v_subrev_u32_e32 v13, 28, v12
	v_and_b32_e32 v7, 15, v7
	v_lshlrev_b32_e32 v3, v13, v3
	v_sub_u32_e32 v12, 29, v12
	v_and_b32_e32 v3, 7, v3
	v_cmp_eq_u16_e32 vcc, 0, v7
	v_cndmask_b32_e32 v3, v6, v3, vcc
	v_cndmask_b32_e32 v6, v7, v12, vcc
	v_lshlrev_b32_e32 v7, 16, v4
	v_mov_b32_e32 v12, 0x3b800000
	v_lshlrev_b32_e32 v3, 20, v3
	v_and_b32_e32 v7, 0x80000000, v7
	v_lshl_add_u32 v6, v6, 23, v12
	v_or3_b32 v6, v7, v6, v3
.LBB1_11088:
	s_or_b64 exec, exec, s[6:7]
	s_nop 0
	v_mfma_f32_16x16x4f32 a[0:3], v2, v6, a[0:3]
	s_movk_i32 s4, 0xff
	v_and_b32_sdwa v3, v8, s4 dst_sel:DWORD dst_unused:UNUSED_PAD src0_sel:WORD_1 src1_sel:DWORD
	s_movk_i32 s4, 0x7f
	v_cmp_lt_i16_e32 vcc, s4, v3
	s_mov_b64 s[4:5], 0
                                        ; implicit-def: $sgpr10
	s_and_saveexec_b64 s[6:7], vcc
	s_xor_b64 s[6:7], exec, s[6:7]
	s_cbranch_execz .LBB1_11089
; %bb.46929:
	s_getpc_b64 s[14:15]
.Lpost_getpc9128:
	s_add_u32 s14, s14, (.LBB1_25425-.Lpost_getpc9128)&4294967295
	s_addc_u32 s15, s15, (.LBB1_25425-.Lpost_getpc9128)>>32
	s_setpc_b64 s[14:15]
.LBB1_11089:
	s_or_saveexec_b64 s[6:7], s[6:7]
	v_mov_b32_e32 v2, s10
	s_xor_b64 exec, exec, s[6:7]
	s_cbranch_execz .LBB1_11090
; %bb.46931:
	s_getpc_b64 s[14:15]
.Lpost_getpc9129:
	s_add_u32 s14, s14, (.LBB1_25428-.Lpost_getpc9129)&4294967295
	s_addc_u32 s15, s15, (.LBB1_25428-.Lpost_getpc9129)>>32
	s_setpc_b64 s[14:15]
.LBB1_11090:
	s_or_b64 exec, exec, s[6:7]
	s_and_saveexec_b64 s[6:7], s[4:5]
	s_cbranch_execz .LBB1_11092
.LBB1_11091:
	v_bfe_u32 v2, v8, 16, 3
	v_ffbh_u32_e32 v7, v2
	v_min_u32_e32 v7, 32, v7
	v_lshrrev_b32_e32 v3, 19, v8
	v_subrev_u32_e32 v12, 28, v7
	v_and_b32_e32 v3, 15, v3
	v_lshlrev_b32_sdwa v12, v12, v8 dst_sel:DWORD dst_unused:UNUSED_PAD src0_sel:DWORD src1_sel:WORD_1
	v_bfe_u32 v6, v8, 19, 4
	v_sub_u32_e32 v7, 29, v7
	v_and_b32_e32 v12, 7, v12
	v_cmp_eq_u16_e32 vcc, 0, v3
	v_cndmask_b32_e32 v2, v2, v12, vcc
	v_cndmask_b32_e32 v3, v6, v7, vcc
	v_lshlrev_b32_e32 v6, 8, v8
	v_mov_b32_e32 v7, 0x3b800000
	v_lshlrev_b32_e32 v2, 20, v2
	v_and_b32_e32 v6, 0x80000000, v6
	v_lshl_add_u32 v3, v3, 23, v7
	v_or3_b32 v2, v6, v3, v2
.LBB1_11092:
	s_or_b64 exec, exec, s[6:7]
	s_movk_i32 s4, 0xff
	v_and_b32_sdwa v3, v4, s4 dst_sel:DWORD dst_unused:UNUSED_PAD src0_sel:WORD_1 src1_sel:DWORD
	s_movk_i32 s4, 0x7f
	v_cmp_lt_i16_e32 vcc, s4, v3
	s_mov_b64 s[4:5], 0
                                        ; implicit-def: $sgpr10
	s_and_saveexec_b64 s[6:7], vcc
	s_xor_b64 s[6:7], exec, s[6:7]
	s_cbranch_execz .LBB1_11093
; %bb.46933:
	s_getpc_b64 s[14:15]
.Lpost_getpc9130:
	s_add_u32 s14, s14, (.LBB1_25429-.Lpost_getpc9130)&4294967295
	s_addc_u32 s15, s15, (.LBB1_25429-.Lpost_getpc9130)>>32
	s_setpc_b64 s[14:15]
.LBB1_11093:
	s_or_saveexec_b64 s[6:7], s[6:7]
	v_mov_b32_e32 v6, s10
	s_xor_b64 exec, exec, s[6:7]
	s_cbranch_execz .LBB1_11094
; %bb.46935:
	s_getpc_b64 s[14:15]
.Lpost_getpc9131:
	s_add_u32 s14, s14, (.LBB1_25432-.Lpost_getpc9131)&4294967295
	s_addc_u32 s15, s15, (.LBB1_25432-.Lpost_getpc9131)>>32
	s_setpc_b64 s[14:15]
.LBB1_11094:
	s_or_b64 exec, exec, s[6:7]
	s_and_saveexec_b64 s[6:7], s[4:5]
	s_cbranch_execz .LBB1_11096
.LBB1_11095:
	v_bfe_u32 v3, v4, 16, 3
	v_ffbh_u32_e32 v12, v3
	v_min_u32_e32 v12, 32, v12
	v_lshrrev_b32_e32 v6, 19, v4
	v_subrev_u32_e32 v13, 28, v12
	v_and_b32_e32 v6, 15, v6
	v_lshlrev_b32_sdwa v13, v13, v4 dst_sel:DWORD dst_unused:UNUSED_PAD src0_sel:DWORD src1_sel:WORD_1
	v_bfe_u32 v7, v4, 19, 4
	v_sub_u32_e32 v12, 29, v12
	v_and_b32_e32 v13, 7, v13
	v_cmp_eq_u16_e32 vcc, 0, v6
	v_cndmask_b32_e32 v3, v3, v13, vcc
	v_cndmask_b32_e32 v6, v7, v12, vcc
	v_lshlrev_b32_e32 v7, 8, v4
	v_mov_b32_e32 v12, 0x3b800000
	v_lshlrev_b32_e32 v3, 20, v3
	v_and_b32_e32 v7, 0x80000000, v7
	v_lshl_add_u32 v6, v6, 23, v12
	v_or3_b32 v6, v7, v6, v3
.LBB1_11096:
	s_or_b64 exec, exec, s[6:7]
	s_nop 0
	v_mfma_f32_16x16x4f32 a[0:3], v2, v6, a[0:3]
	s_movk_i32 s4, 0x7f
	v_cmp_gt_i16_sdwa s[6:7], v8, s4 src0_sel:BYTE_3 src1_sel:DWORD
	s_mov_b64 s[4:5], 0
                                        ; implicit-def: $sgpr10
	s_and_saveexec_b64 s[8:9], s[6:7]
	s_xor_b64 s[6:7], exec, s[8:9]
	s_cbranch_execz .LBB1_11097
; %bb.46937:
	s_getpc_b64 s[14:15]
.Lpost_getpc9132:
	s_add_u32 s14, s14, (.LBB1_25433-.Lpost_getpc9132)&4294967295
	s_addc_u32 s15, s15, (.LBB1_25433-.Lpost_getpc9132)>>32
	s_setpc_b64 s[14:15]
.LBB1_11097:
	s_or_saveexec_b64 s[6:7], s[6:7]
	v_mov_b32_e32 v2, s10
	s_xor_b64 exec, exec, s[6:7]
	s_cbranch_execz .LBB1_11098
; %bb.46939:
	s_getpc_b64 s[14:15]
.Lpost_getpc9133:
	s_add_u32 s14, s14, (.LBB1_25436-.Lpost_getpc9133)&4294967295
	s_addc_u32 s15, s15, (.LBB1_25436-.Lpost_getpc9133)>>32
	s_setpc_b64 s[14:15]
.LBB1_11098:
	s_or_b64 exec, exec, s[6:7]
	s_and_saveexec_b64 s[6:7], s[4:5]
	s_cbranch_execz .LBB1_11100
.LBB1_11099:
	v_bfe_u32 v2, v8, 24, 3
	v_ffbh_u32_e32 v12, v2
	v_min_u32_e32 v12, 32, v12
	v_lshrrev_b32_e32 v6, 27, v8
	v_subrev_u32_e32 v13, 28, v12
	v_and_b32_e32 v3, 0x80000000, v8
	v_and_b32_e32 v6, 15, v6
	v_bfe_u32 v7, v8, 27, 4
	v_lshlrev_b32_sdwa v8, v13, v8 dst_sel:DWORD dst_unused:UNUSED_PAD src0_sel:DWORD src1_sel:BYTE_3
	v_sub_u32_e32 v12, 29, v12
	v_and_b32_e32 v8, 7, v8
	v_cmp_eq_u16_e32 vcc, 0, v6
	v_cndmask_b32_e32 v2, v2, v8, vcc
	v_cndmask_b32_e32 v6, v7, v12, vcc
	v_mov_b32_e32 v7, 0x3b800000
	v_lshlrev_b32_e32 v2, 20, v2
	v_lshl_add_u32 v6, v6, 23, v7
	v_or3_b32 v2, v3, v6, v2
.LBB1_11100:
	s_or_b64 exec, exec, s[6:7]
	s_movk_i32 s4, 0x7f
	v_cmp_gt_i16_sdwa s[6:7], v4, s4 src0_sel:BYTE_3 src1_sel:DWORD
	s_mov_b64 s[4:5], 0
                                        ; implicit-def: $sgpr10
	s_and_saveexec_b64 s[8:9], s[6:7]
	s_xor_b64 s[6:7], exec, s[8:9]
	s_cbranch_execz .LBB1_11101
; %bb.46941:
	s_getpc_b64 s[14:15]
.Lpost_getpc9134:
	s_add_u32 s14, s14, (.LBB1_25437-.Lpost_getpc9134)&4294967295
	s_addc_u32 s15, s15, (.LBB1_25437-.Lpost_getpc9134)>>32
	s_setpc_b64 s[14:15]
.LBB1_11101:
	s_or_saveexec_b64 s[6:7], s[6:7]
	v_mov_b32_e32 v3, s10
	s_xor_b64 exec, exec, s[6:7]
	s_cbranch_execz .LBB1_11102
; %bb.46943:
	s_getpc_b64 s[14:15]
.Lpost_getpc9135:
	s_add_u32 s14, s14, (.LBB1_25440-.Lpost_getpc9135)&4294967295
	s_addc_u32 s15, s15, (.LBB1_25440-.Lpost_getpc9135)>>32
	s_setpc_b64 s[14:15]
.LBB1_11102:
	s_or_b64 exec, exec, s[6:7]
	s_and_saveexec_b64 s[6:7], s[4:5]
	s_cbranch_execz .LBB1_11104
.LBB1_11103:
	v_bfe_u32 v3, v4, 24, 3
	v_ffbh_u32_e32 v12, v3
	v_min_u32_e32 v12, 32, v12
	v_lshrrev_b32_e32 v7, 27, v4
	v_subrev_u32_e32 v13, 28, v12
	v_and_b32_e32 v6, 0x80000000, v4
	v_and_b32_e32 v7, 15, v7
	v_bfe_u32 v8, v4, 27, 4
	v_lshlrev_b32_sdwa v4, v13, v4 dst_sel:DWORD dst_unused:UNUSED_PAD src0_sel:DWORD src1_sel:BYTE_3
	v_sub_u32_e32 v12, 29, v12
	v_and_b32_e32 v4, 7, v4
	v_cmp_eq_u16_e32 vcc, 0, v7
	v_cndmask_b32_e32 v3, v3, v4, vcc
	v_cndmask_b32_e32 v4, v8, v12, vcc
	v_mov_b32_e32 v7, 0x3b800000
	v_lshlrev_b32_e32 v3, 20, v3
	v_lshl_add_u32 v4, v4, 23, v7
	v_or3_b32 v3, v6, v4, v3
.LBB1_11104:
	s_or_b64 exec, exec, s[6:7]
	s_nop 0
	v_mfma_f32_16x16x4f32 a[0:3], v2, v3, a[0:3]
	s_movk_i32 s4, 0x7f
	v_cmp_gt_i16_sdwa s[6:7], v9, s4 src0_sel:BYTE_0 src1_sel:DWORD
	s_mov_b64 s[4:5], 0
                                        ; implicit-def: $sgpr10
	s_and_saveexec_b64 s[8:9], s[6:7]
	s_xor_b64 s[6:7], exec, s[8:9]
	s_cbranch_execz .LBB1_11105
; %bb.46945:
	s_getpc_b64 s[14:15]
.Lpost_getpc9136:
	s_add_u32 s14, s14, (.LBB1_25441-.Lpost_getpc9136)&4294967295
	s_addc_u32 s15, s15, (.LBB1_25441-.Lpost_getpc9136)>>32
	s_setpc_b64 s[14:15]
.LBB1_11105:
	s_or_saveexec_b64 s[6:7], s[6:7]
	v_mov_b32_e32 v2, s10
	s_xor_b64 exec, exec, s[6:7]
	s_cbranch_execz .LBB1_11106
; %bb.46947:
	s_getpc_b64 s[14:15]
.Lpost_getpc9137:
	s_add_u32 s14, s14, (.LBB1_25444-.Lpost_getpc9137)&4294967295
	s_addc_u32 s15, s15, (.LBB1_25444-.Lpost_getpc9137)>>32
	s_setpc_b64 s[14:15]
.LBB1_11106:
	s_or_b64 exec, exec, s[6:7]
	s_and_saveexec_b64 s[6:7], s[4:5]
	s_cbranch_execz .LBB1_11108
.LBB1_11107:
	v_mov_b32_e32 v2, 8
	v_and_b32_e32 v3, 7, v9
	v_lshrrev_b32_sdwa v2, v2, v9 dst_sel:BYTE_1 dst_unused:UNUSED_PAD src0_sel:DWORD src1_sel:DWORD
	v_ffbh_u32_e32 v4, v3
	v_or_b32_sdwa v2, v9, v2 dst_sel:DWORD dst_unused:UNUSED_PAD src0_sel:BYTE_0 src1_sel:DWORD
	v_min_u32_e32 v4, 32, v4
	v_lshrrev_b16_e32 v2, 3, v2
	v_subrev_u32_e32 v6, 28, v4
	v_and_b32_e32 v2, 15, v2
	v_lshlrev_b32_e32 v6, v6, v9
	v_sub_u32_e32 v4, 29, v4
	v_and_b32_e32 v6, 7, v6
	v_cmp_eq_u16_e32 vcc, 0, v2
	v_cndmask_b32_e32 v3, v3, v6, vcc
	v_cndmask_b32_e32 v2, v2, v4, vcc
	v_lshlrev_b32_e32 v4, 24, v9
	v_mov_b32_e32 v6, 0x3b800000
	v_lshlrev_b32_e32 v3, 20, v3
	v_and_b32_e32 v4, 0x80000000, v4
	v_lshl_add_u32 v2, v2, 23, v6
	v_or3_b32 v2, v4, v2, v3
.LBB1_11108:
	s_or_b64 exec, exec, s[6:7]
	s_movk_i32 s4, 0x7f
	v_cmp_gt_i16_sdwa s[6:7], v5, s4 src0_sel:BYTE_0 src1_sel:DWORD
	s_mov_b64 s[4:5], 0
                                        ; implicit-def: $sgpr10
	s_and_saveexec_b64 s[8:9], s[6:7]
	s_xor_b64 s[6:7], exec, s[8:9]
	s_cbranch_execz .LBB1_11109
; %bb.46949:
	s_getpc_b64 s[14:15]
.Lpost_getpc9138:
	s_add_u32 s14, s14, (.LBB1_25445-.Lpost_getpc9138)&4294967295
	s_addc_u32 s15, s15, (.LBB1_25445-.Lpost_getpc9138)>>32
	s_setpc_b64 s[14:15]
.LBB1_11109:
	s_or_saveexec_b64 s[6:7], s[6:7]
	v_mov_b32_e32 v3, s10
	s_xor_b64 exec, exec, s[6:7]
	s_cbranch_execz .LBB1_11110
; %bb.46951:
	s_getpc_b64 s[14:15]
.Lpost_getpc9139:
	s_add_u32 s14, s14, (.LBB1_25448-.Lpost_getpc9139)&4294967295
	s_addc_u32 s15, s15, (.LBB1_25448-.Lpost_getpc9139)>>32
	s_setpc_b64 s[14:15]
.LBB1_11110:
	s_or_b64 exec, exec, s[6:7]
	s_and_saveexec_b64 s[6:7], s[4:5]
	s_cbranch_execz .LBB1_11112
.LBB1_11111:
	v_mov_b32_e32 v3, 8
	v_and_b32_e32 v4, 7, v5
	v_lshrrev_b32_sdwa v3, v3, v5 dst_sel:BYTE_1 dst_unused:UNUSED_PAD src0_sel:DWORD src1_sel:DWORD
	v_ffbh_u32_e32 v6, v4
	v_or_b32_sdwa v3, v5, v3 dst_sel:DWORD dst_unused:UNUSED_PAD src0_sel:BYTE_0 src1_sel:DWORD
	v_min_u32_e32 v6, 32, v6
	v_lshrrev_b16_e32 v3, 3, v3
	v_subrev_u32_e32 v7, 28, v6
	v_and_b32_e32 v3, 15, v3
	v_lshlrev_b32_e32 v7, v7, v5
	v_sub_u32_e32 v6, 29, v6
	v_and_b32_e32 v7, 7, v7
	v_cmp_eq_u16_e32 vcc, 0, v3
	v_cndmask_b32_e32 v4, v4, v7, vcc
	v_cndmask_b32_e32 v3, v3, v6, vcc
	v_lshlrev_b32_e32 v6, 24, v5
	v_mov_b32_e32 v7, 0x3b800000
	v_lshlrev_b32_e32 v4, 20, v4
	v_and_b32_e32 v6, 0x80000000, v6
	v_lshl_add_u32 v3, v3, 23, v7
	v_or3_b32 v3, v6, v3, v4
.LBB1_11112:
	s_or_b64 exec, exec, s[6:7]
	s_nop 0
	v_mfma_f32_16x16x4f32 a[0:3], v2, v3, a[0:3]
	v_lshrrev_b32_e32 v3, 8, v9
	s_movk_i32 s4, 0x7f
	v_cmp_gt_i16_sdwa s[6:7], v3, s4 src0_sel:BYTE_0 src1_sel:DWORD
	s_mov_b64 s[4:5], 0
                                        ; implicit-def: $sgpr10
	s_and_saveexec_b64 s[8:9], s[6:7]
	s_xor_b64 s[6:7], exec, s[8:9]
	s_cbranch_execz .LBB1_11113
; %bb.46953:
	s_getpc_b64 s[14:15]
.Lpost_getpc9140:
	s_add_u32 s14, s14, (.LBB1_25449-.Lpost_getpc9140)&4294967295
	s_addc_u32 s15, s15, (.LBB1_25449-.Lpost_getpc9140)>>32
	s_setpc_b64 s[14:15]
.LBB1_11113:
	s_or_saveexec_b64 s[6:7], s[6:7]
	v_mov_b32_e32 v2, s10
	s_xor_b64 exec, exec, s[6:7]
	s_cbranch_execz .LBB1_11114
; %bb.46955:
	s_getpc_b64 s[14:15]
.Lpost_getpc9141:
	s_add_u32 s14, s14, (.LBB1_25452-.Lpost_getpc9141)&4294967295
	s_addc_u32 s15, s15, (.LBB1_25452-.Lpost_getpc9141)>>32
	s_setpc_b64 s[14:15]
.LBB1_11114:
	s_or_b64 exec, exec, s[6:7]
	s_and_saveexec_b64 s[6:7], s[4:5]
	s_cbranch_execz .LBB1_11116
.LBB1_11115:
	v_bfe_u32 v2, v9, 8, 3
	v_ffbh_u32_e32 v6, v2
	v_min_u32_e32 v6, 32, v6
	v_lshrrev_b16_e32 v4, 3, v3
	v_subrev_u32_e32 v7, 28, v6
	v_and_b32_e32 v4, 15, v4
	v_lshlrev_b32_e32 v3, v7, v3
	v_sub_u32_e32 v6, 29, v6
	v_and_b32_e32 v3, 7, v3
	v_cmp_eq_u16_e32 vcc, 0, v4
	v_cndmask_b32_e32 v2, v2, v3, vcc
	v_cndmask_b32_e32 v3, v4, v6, vcc
	v_lshlrev_b32_e32 v4, 16, v9
	v_mov_b32_e32 v6, 0x3b800000
	v_lshlrev_b32_e32 v2, 20, v2
	v_and_b32_e32 v4, 0x80000000, v4
	v_lshl_add_u32 v3, v3, 23, v6
	v_or3_b32 v2, v4, v3, v2
.LBB1_11116:
	s_or_b64 exec, exec, s[6:7]
	v_lshrrev_b32_e32 v3, 8, v5
	s_movk_i32 s4, 0x7f
	v_cmp_gt_i16_sdwa s[6:7], v3, s4 src0_sel:BYTE_0 src1_sel:DWORD
	s_mov_b64 s[4:5], 0
                                        ; implicit-def: $sgpr10
	s_and_saveexec_b64 s[8:9], s[6:7]
	s_xor_b64 s[6:7], exec, s[8:9]
	s_cbranch_execz .LBB1_11117
; %bb.46957:
	s_getpc_b64 s[14:15]
.Lpost_getpc9142:
	s_add_u32 s14, s14, (.LBB1_25453-.Lpost_getpc9142)&4294967295
	s_addc_u32 s15, s15, (.LBB1_25453-.Lpost_getpc9142)>>32
	s_setpc_b64 s[14:15]
.LBB1_11117:
	s_or_saveexec_b64 s[6:7], s[6:7]
	v_mov_b32_e32 v4, s10
	s_xor_b64 exec, exec, s[6:7]
	s_cbranch_execz .LBB1_11118
; %bb.46959:
	s_getpc_b64 s[14:15]
.Lpost_getpc9143:
	s_add_u32 s14, s14, (.LBB1_25456-.Lpost_getpc9143)&4294967295
	s_addc_u32 s15, s15, (.LBB1_25456-.Lpost_getpc9143)>>32
	s_setpc_b64 s[14:15]
.LBB1_11118:
	s_or_b64 exec, exec, s[6:7]
	s_and_saveexec_b64 s[6:7], s[4:5]
	s_cbranch_execz .LBB1_11120
.LBB1_11119:
	v_bfe_u32 v4, v5, 8, 3
	v_ffbh_u32_e32 v7, v4
	v_min_u32_e32 v7, 32, v7
	v_lshrrev_b16_e32 v6, 3, v3
	v_subrev_u32_e32 v8, 28, v7
	v_and_b32_e32 v6, 15, v6
	v_lshlrev_b32_e32 v3, v8, v3
	v_sub_u32_e32 v7, 29, v7
	v_and_b32_e32 v3, 7, v3
	v_cmp_eq_u16_e32 vcc, 0, v6
	v_cndmask_b32_e32 v3, v4, v3, vcc
	v_cndmask_b32_e32 v4, v6, v7, vcc
	v_lshlrev_b32_e32 v6, 16, v5
	v_mov_b32_e32 v7, 0x3b800000
	v_lshlrev_b32_e32 v3, 20, v3
	v_and_b32_e32 v6, 0x80000000, v6
	v_lshl_add_u32 v4, v4, 23, v7
	v_or3_b32 v4, v6, v4, v3
.LBB1_11120:
	s_or_b64 exec, exec, s[6:7]
	s_nop 0
	v_mfma_f32_16x16x4f32 a[0:3], v2, v4, a[0:3]
	s_movk_i32 s4, 0xff
	v_and_b32_sdwa v3, v9, s4 dst_sel:DWORD dst_unused:UNUSED_PAD src0_sel:WORD_1 src1_sel:DWORD
	s_movk_i32 s4, 0x7f
	v_cmp_lt_i16_e32 vcc, s4, v3
	s_mov_b64 s[4:5], 0
                                        ; implicit-def: $sgpr10
	s_and_saveexec_b64 s[6:7], vcc
	s_xor_b64 s[6:7], exec, s[6:7]
	s_cbranch_execz .LBB1_11121
; %bb.46961:
	s_getpc_b64 s[14:15]
.Lpost_getpc9144:
	s_add_u32 s14, s14, (.LBB1_25457-.Lpost_getpc9144)&4294967295
	s_addc_u32 s15, s15, (.LBB1_25457-.Lpost_getpc9144)>>32
	s_setpc_b64 s[14:15]
.LBB1_11121:
	s_or_saveexec_b64 s[6:7], s[6:7]
	v_mov_b32_e32 v2, s10
	s_xor_b64 exec, exec, s[6:7]
	s_cbranch_execz .LBB1_11122
; %bb.46963:
	s_getpc_b64 s[14:15]
.Lpost_getpc9145:
	s_add_u32 s14, s14, (.LBB1_25460-.Lpost_getpc9145)&4294967295
	s_addc_u32 s15, s15, (.LBB1_25460-.Lpost_getpc9145)>>32
	s_setpc_b64 s[14:15]
.LBB1_11122:
	s_or_b64 exec, exec, s[6:7]
	s_and_saveexec_b64 s[6:7], s[4:5]
	s_cbranch_execz .LBB1_11124
.LBB1_11123:
	v_bfe_u32 v2, v9, 16, 3
	v_ffbh_u32_e32 v6, v2
	v_min_u32_e32 v6, 32, v6
	v_lshrrev_b32_e32 v3, 19, v9
	v_subrev_u32_e32 v7, 28, v6
	v_and_b32_e32 v3, 15, v3
	v_lshlrev_b32_sdwa v7, v7, v9 dst_sel:DWORD dst_unused:UNUSED_PAD src0_sel:DWORD src1_sel:WORD_1
	v_bfe_u32 v4, v9, 19, 4
	v_sub_u32_e32 v6, 29, v6
	v_and_b32_e32 v7, 7, v7
	v_cmp_eq_u16_e32 vcc, 0, v3
	v_cndmask_b32_e32 v2, v2, v7, vcc
	v_cndmask_b32_e32 v3, v4, v6, vcc
	v_lshlrev_b32_e32 v4, 8, v9
	v_mov_b32_e32 v6, 0x3b800000
	v_lshlrev_b32_e32 v2, 20, v2
	v_and_b32_e32 v4, 0x80000000, v4
	v_lshl_add_u32 v3, v3, 23, v6
	v_or3_b32 v2, v4, v3, v2
.LBB1_11124:
	s_or_b64 exec, exec, s[6:7]
	s_movk_i32 s4, 0xff
	v_and_b32_sdwa v3, v5, s4 dst_sel:DWORD dst_unused:UNUSED_PAD src0_sel:WORD_1 src1_sel:DWORD
	s_movk_i32 s4, 0x7f
	v_cmp_lt_i16_e32 vcc, s4, v3
	s_mov_b64 s[4:5], 0
                                        ; implicit-def: $sgpr10
	s_and_saveexec_b64 s[6:7], vcc
	s_xor_b64 s[6:7], exec, s[6:7]
	s_cbranch_execz .LBB1_11125
; %bb.46965:
	s_getpc_b64 s[14:15]
.Lpost_getpc9146:
	s_add_u32 s14, s14, (.LBB1_25461-.Lpost_getpc9146)&4294967295
	s_addc_u32 s15, s15, (.LBB1_25461-.Lpost_getpc9146)>>32
	s_setpc_b64 s[14:15]
.LBB1_11125:
	s_or_saveexec_b64 s[6:7], s[6:7]
	v_mov_b32_e32 v4, s10
	s_xor_b64 exec, exec, s[6:7]
	s_cbranch_execz .LBB1_11126
; %bb.46967:
	s_getpc_b64 s[14:15]
.Lpost_getpc9147:
	s_add_u32 s14, s14, (.LBB1_25464-.Lpost_getpc9147)&4294967295
	s_addc_u32 s15, s15, (.LBB1_25464-.Lpost_getpc9147)>>32
	s_setpc_b64 s[14:15]
.LBB1_11126:
	s_or_b64 exec, exec, s[6:7]
	s_and_saveexec_b64 s[6:7], s[4:5]
	s_cbranch_execz .LBB1_11128
.LBB1_11127:
	v_bfe_u32 v3, v5, 16, 3
	v_ffbh_u32_e32 v7, v3
	v_min_u32_e32 v7, 32, v7
	v_lshrrev_b32_e32 v4, 19, v5
	v_subrev_u32_e32 v8, 28, v7
	v_and_b32_e32 v4, 15, v4
	v_lshlrev_b32_sdwa v8, v8, v5 dst_sel:DWORD dst_unused:UNUSED_PAD src0_sel:DWORD src1_sel:WORD_1
	v_bfe_u32 v6, v5, 19, 4
	v_sub_u32_e32 v7, 29, v7
	v_and_b32_e32 v8, 7, v8
	v_cmp_eq_u16_e32 vcc, 0, v4
	v_cndmask_b32_e32 v3, v3, v8, vcc
	v_cndmask_b32_e32 v4, v6, v7, vcc
	v_lshlrev_b32_e32 v6, 8, v5
	v_mov_b32_e32 v7, 0x3b800000
	v_lshlrev_b32_e32 v3, 20, v3
	v_and_b32_e32 v6, 0x80000000, v6
	v_lshl_add_u32 v4, v4, 23, v7
	v_or3_b32 v4, v6, v4, v3
.LBB1_11128:
	s_or_b64 exec, exec, s[6:7]
	s_nop 0
	v_mfma_f32_16x16x4f32 a[0:3], v2, v4, a[0:3]
	s_movk_i32 s4, 0x7f
	v_cmp_gt_i16_sdwa s[6:7], v9, s4 src0_sel:BYTE_3 src1_sel:DWORD
	s_mov_b64 s[4:5], 0
                                        ; implicit-def: $sgpr10
	s_and_saveexec_b64 s[8:9], s[6:7]
	s_xor_b64 s[6:7], exec, s[8:9]
	s_cbranch_execz .LBB1_11129
; %bb.46969:
	s_getpc_b64 s[14:15]
.Lpost_getpc9148:
	s_add_u32 s14, s14, (.LBB1_25465-.Lpost_getpc9148)&4294967295
	s_addc_u32 s15, s15, (.LBB1_25465-.Lpost_getpc9148)>>32
	s_setpc_b64 s[14:15]
.LBB1_11129:
	s_or_saveexec_b64 s[6:7], s[6:7]
	v_mov_b32_e32 v2, s10
	s_xor_b64 exec, exec, s[6:7]
	s_cbranch_execz .LBB1_11130
; %bb.46971:
	s_getpc_b64 s[14:15]
.Lpost_getpc9149:
	s_add_u32 s14, s14, (.LBB1_25468-.Lpost_getpc9149)&4294967295
	s_addc_u32 s15, s15, (.LBB1_25468-.Lpost_getpc9149)>>32
	s_setpc_b64 s[14:15]
.LBB1_11130:
	s_or_b64 exec, exec, s[6:7]
	s_and_saveexec_b64 s[6:7], s[4:5]
	s_cbranch_execz .LBB1_11132
.LBB1_11131:
	v_bfe_u32 v2, v9, 24, 3
	v_ffbh_u32_e32 v7, v2
	v_min_u32_e32 v7, 32, v7
	v_lshrrev_b32_e32 v4, 27, v9
	v_subrev_u32_e32 v8, 28, v7
	v_and_b32_e32 v4, 15, v4
	v_lshlrev_b32_sdwa v8, v8, v9 dst_sel:DWORD dst_unused:UNUSED_PAD src0_sel:DWORD src1_sel:BYTE_3
	v_bfe_u32 v6, v9, 27, 4
	v_sub_u32_e32 v7, 29, v7
	v_and_b32_e32 v8, 7, v8
	v_cmp_eq_u16_e32 vcc, 0, v4
	v_cndmask_b32_e32 v2, v2, v8, vcc
	v_cndmask_b32_e32 v4, v6, v7, vcc
	v_mov_b32_e32 v6, 0x3b800000
	v_and_b32_e32 v3, 0x80000000, v9
	v_lshlrev_b32_e32 v2, 20, v2
	v_lshl_add_u32 v4, v4, 23, v6
	v_or3_b32 v2, v3, v4, v2
.LBB1_11132:
	s_or_b64 exec, exec, s[6:7]
	s_movk_i32 s4, 0x7f
	v_cmp_gt_i16_sdwa s[6:7], v5, s4 src0_sel:BYTE_3 src1_sel:DWORD
	s_mov_b64 s[4:5], 0
                                        ; implicit-def: $sgpr10
	s_and_saveexec_b64 s[8:9], s[6:7]
	s_xor_b64 s[6:7], exec, s[8:9]
	s_cbranch_execz .LBB1_11133
; %bb.46973:
	s_getpc_b64 s[14:15]
.Lpost_getpc9150:
	s_add_u32 s14, s14, (.LBB1_25469-.Lpost_getpc9150)&4294967295
	s_addc_u32 s15, s15, (.LBB1_25469-.Lpost_getpc9150)>>32
	s_setpc_b64 s[14:15]
.LBB1_11133:
	s_or_saveexec_b64 s[6:7], s[6:7]
	v_mov_b32_e32 v3, s10
	s_xor_b64 exec, exec, s[6:7]
	s_cbranch_execz .LBB1_11134
; %bb.46975:
	s_getpc_b64 s[14:15]
.Lpost_getpc9151:
	s_add_u32 s14, s14, (.LBB1_25472-.Lpost_getpc9151)&4294967295
	s_addc_u32 s15, s15, (.LBB1_25472-.Lpost_getpc9151)>>32
	s_setpc_b64 s[14:15]
.LBB1_11134:
	s_or_b64 exec, exec, s[6:7]
	s_and_saveexec_b64 s[6:7], s[4:5]
	s_cbranch_execz .LBB1_11136
.LBB1_11135:
	v_bfe_u32 v3, v5, 24, 3
	v_ffbh_u32_e32 v8, v3
	v_min_u32_e32 v8, 32, v8
	v_lshrrev_b32_e32 v6, 27, v5
	v_subrev_u32_e32 v9, 28, v8
	v_and_b32_e32 v4, 0x80000000, v5
	v_and_b32_e32 v6, 15, v6
	v_bfe_u32 v7, v5, 27, 4
	v_lshlrev_b32_sdwa v5, v9, v5 dst_sel:DWORD dst_unused:UNUSED_PAD src0_sel:DWORD src1_sel:BYTE_3
	v_sub_u32_e32 v8, 29, v8
	v_and_b32_e32 v5, 7, v5
	v_cmp_eq_u16_e32 vcc, 0, v6
	v_cndmask_b32_e32 v3, v3, v5, vcc
	v_cndmask_b32_e32 v5, v7, v8, vcc
	v_mov_b32_e32 v6, 0x3b800000
	v_lshlrev_b32_e32 v3, 20, v3
	v_lshl_add_u32 v5, v5, 23, v6
	v_or3_b32 v3, v4, v5, v3
.LBB1_11136:
	s_or_b64 exec, exec, s[6:7]
	s_nop 0
	v_mfma_f32_16x16x4f32 a[0:3], v2, v3, a[0:3]
	s_movk_i32 s4, 0x7f
                                        ; implicit-def: $sgpr10
	s_nop 7
	s_nop 1
	flat_store_dwordx4 v[10:11], a[0:3] offset:480
	flat_load_dwordx4 v[12:15], v[0:1]
	s_nop 0
	flat_load_dwordx2 v[10:11], v[0:1] offset:16
	s_waitcnt vmcnt(0) lgkmcnt(0)
	flat_load_dwordx4 v[6:9], v[12:13] offset:160
	flat_load_dwordx4 v[2:5], v[14:15] offset:240
	s_waitcnt vmcnt(0) lgkmcnt(0)
	v_cmp_gt_i16_sdwa s[6:7], v6, s4 src0_sel:BYTE_0 src1_sel:DWORD
	s_mov_b64 s[4:5], 0
	s_and_saveexec_b64 s[8:9], s[6:7]
	s_xor_b64 s[6:7], exec, s[8:9]
	s_cbranch_execz .LBB1_11137
; %bb.46977:
	s_getpc_b64 s[14:15]
.Lpost_getpc9152:
	s_add_u32 s14, s14, (.LBB1_25473-.Lpost_getpc9152)&4294967295
	s_addc_u32 s15, s15, (.LBB1_25473-.Lpost_getpc9152)>>32
	s_setpc_b64 s[14:15]
.LBB1_11137:
	s_or_saveexec_b64 s[6:7], s[6:7]
	v_mov_b32_e32 v12, s10
	s_xor_b64 exec, exec, s[6:7]
	s_cbranch_execz .LBB1_11138
; %bb.46979:
	s_getpc_b64 s[14:15]
.Lpost_getpc9153:
	s_add_u32 s14, s14, (.LBB1_25476-.Lpost_getpc9153)&4294967295
	s_addc_u32 s15, s15, (.LBB1_25476-.Lpost_getpc9153)>>32
	s_setpc_b64 s[14:15]
.LBB1_11138:
	s_or_b64 exec, exec, s[6:7]
	s_and_saveexec_b64 s[6:7], s[4:5]
	s_cbranch_execz .LBB1_11140
.LBB1_11139:
	v_and_b32_e32 v12, 7, v6
	v_ffbh_u32_e32 v14, v12
	v_min_u32_e32 v14, 32, v14
	v_lshrrev_b16_e32 v13, 3, v6
	v_subrev_u32_e32 v15, 28, v14
	v_and_b32_e32 v13, 15, v13
	v_lshlrev_b32_e32 v15, v15, v6
	v_sub_u32_e32 v14, 29, v14
	v_and_b32_e32 v15, 7, v15
	v_cmp_eq_u16_e32 vcc, 0, v13
	v_cndmask_b32_e32 v12, v12, v15, vcc
	v_cndmask_b32_e32 v13, v13, v14, vcc
	v_lshlrev_b32_e32 v14, 24, v6
	v_mov_b32_e32 v15, 0x3b800000
	v_lshlrev_b32_e32 v12, 20, v12
	v_and_b32_e32 v14, 0x80000000, v14
	v_lshl_add_u32 v13, v13, 23, v15
	v_or3_b32 v12, v14, v13, v12
.LBB1_11140:
	s_or_b64 exec, exec, s[6:7]
	s_movk_i32 s4, 0x7f
	v_cmp_gt_i16_sdwa s[6:7], v2, s4 src0_sel:BYTE_0 src1_sel:DWORD
	s_mov_b64 s[4:5], 0
                                        ; implicit-def: $sgpr10
	s_and_saveexec_b64 s[8:9], s[6:7]
	s_xor_b64 s[6:7], exec, s[8:9]
	s_cbranch_execz .LBB1_11141
; %bb.46981:
	s_getpc_b64 s[14:15]
.Lpost_getpc9154:
	s_add_u32 s14, s14, (.LBB1_25477-.Lpost_getpc9154)&4294967295
	s_addc_u32 s15, s15, (.LBB1_25477-.Lpost_getpc9154)>>32
	s_setpc_b64 s[14:15]
.LBB1_11141:
	s_or_saveexec_b64 s[6:7], s[6:7]
	v_mov_b32_e32 v13, s10
	s_xor_b64 exec, exec, s[6:7]
	s_cbranch_execz .LBB1_11142
; %bb.46983:
	s_getpc_b64 s[14:15]
.Lpost_getpc9155:
	s_add_u32 s14, s14, (.LBB1_25480-.Lpost_getpc9155)&4294967295
	s_addc_u32 s15, s15, (.LBB1_25480-.Lpost_getpc9155)>>32
	s_setpc_b64 s[14:15]
.LBB1_11142:
	s_or_b64 exec, exec, s[6:7]
	s_and_saveexec_b64 s[6:7], s[4:5]
	s_cbranch_execz .LBB1_11144
.LBB1_11143:
	v_and_b32_e32 v13, 7, v2
	v_ffbh_u32_e32 v15, v13
	v_min_u32_e32 v15, 32, v15
	v_lshrrev_b16_e32 v14, 3, v2
	v_subrev_u32_e32 v16, 28, v15
	v_and_b32_e32 v14, 15, v14
	v_lshlrev_b32_e32 v16, v16, v2
	v_sub_u32_e32 v15, 29, v15
	v_and_b32_e32 v16, 7, v16
	v_cmp_eq_u16_e32 vcc, 0, v14
	v_cndmask_b32_e32 v13, v13, v16, vcc
	v_cndmask_b32_e32 v14, v14, v15, vcc
	v_lshlrev_b32_e32 v15, 24, v2
	v_mov_b32_e32 v16, 0x3b800000
	v_lshlrev_b32_e32 v13, 20, v13
	v_and_b32_e32 v15, 0x80000000, v15
	v_lshl_add_u32 v14, v14, 23, v16
	v_or3_b32 v13, v15, v14, v13
.LBB1_11144:
	s_or_b64 exec, exec, s[6:7]
	flat_load_dwordx4 a[0:3], v[10:11] offset:496
	s_movk_i32 s4, 0x7f
                                        ; implicit-def: $sgpr10
	s_waitcnt vmcnt(0) lgkmcnt(0)
	v_mfma_f32_16x16x4f32 a[0:3], v12, v13, a[0:3]
	v_lshrrev_b32_e32 v13, 8, v6
	v_cmp_gt_i16_sdwa s[6:7], v13, s4 src0_sel:BYTE_0 src1_sel:DWORD
	s_mov_b64 s[4:5], 0
	s_and_saveexec_b64 s[8:9], s[6:7]
	s_xor_b64 s[6:7], exec, s[8:9]
	s_cbranch_execz .LBB1_11145
; %bb.46985:
	s_getpc_b64 s[14:15]
.Lpost_getpc9156:
	s_add_u32 s14, s14, (.LBB1_25481-.Lpost_getpc9156)&4294967295
	s_addc_u32 s15, s15, (.LBB1_25481-.Lpost_getpc9156)>>32
	s_setpc_b64 s[14:15]
.LBB1_11145:
	s_or_saveexec_b64 s[6:7], s[6:7]
	v_mov_b32_e32 v12, s10
	s_xor_b64 exec, exec, s[6:7]
	s_cbranch_execz .LBB1_11146
; %bb.46987:
	s_getpc_b64 s[14:15]
.Lpost_getpc9157:
	s_add_u32 s14, s14, (.LBB1_25484-.Lpost_getpc9157)&4294967295
	s_addc_u32 s15, s15, (.LBB1_25484-.Lpost_getpc9157)>>32
	s_setpc_b64 s[14:15]
.LBB1_11146:
	s_or_b64 exec, exec, s[6:7]
	s_and_saveexec_b64 s[6:7], s[4:5]
	s_cbranch_execz .LBB1_11148
.LBB1_11147:
	v_bfe_u32 v12, v6, 8, 3
	v_ffbh_u32_e32 v15, v12
	v_min_u32_e32 v15, 32, v15
	v_lshrrev_b16_e32 v14, 3, v13
	v_subrev_u32_e32 v16, 28, v15
	v_and_b32_e32 v14, 15, v14
	v_lshlrev_b32_e32 v13, v16, v13
	v_sub_u32_e32 v15, 29, v15
	v_and_b32_e32 v13, 7, v13
	v_cmp_eq_u16_e32 vcc, 0, v14
	v_cndmask_b32_e32 v12, v12, v13, vcc
	v_cndmask_b32_e32 v13, v14, v15, vcc
	v_lshlrev_b32_e32 v14, 16, v6
	v_mov_b32_e32 v15, 0x3b800000
	v_lshlrev_b32_e32 v12, 20, v12
	v_and_b32_e32 v14, 0x80000000, v14
	v_lshl_add_u32 v13, v13, 23, v15
	v_or3_b32 v12, v14, v13, v12
.LBB1_11148:
	s_or_b64 exec, exec, s[6:7]
	v_lshrrev_b32_e32 v13, 8, v2
	s_movk_i32 s4, 0x7f
	v_cmp_gt_i16_sdwa s[6:7], v13, s4 src0_sel:BYTE_0 src1_sel:DWORD
	s_mov_b64 s[4:5], 0
                                        ; implicit-def: $sgpr10
	s_and_saveexec_b64 s[8:9], s[6:7]
	s_xor_b64 s[6:7], exec, s[8:9]
	s_cbranch_execz .LBB1_11149
; %bb.46989:
	s_getpc_b64 s[14:15]
.Lpost_getpc9158:
	s_add_u32 s14, s14, (.LBB1_25485-.Lpost_getpc9158)&4294967295
	s_addc_u32 s15, s15, (.LBB1_25485-.Lpost_getpc9158)>>32
	s_setpc_b64 s[14:15]
.LBB1_11149:
	s_or_saveexec_b64 s[6:7], s[6:7]
	v_mov_b32_e32 v14, s10
	s_xor_b64 exec, exec, s[6:7]
	s_cbranch_execz .LBB1_11150
; %bb.46991:
	s_getpc_b64 s[14:15]
.Lpost_getpc9159:
	s_add_u32 s14, s14, (.LBB1_25488-.Lpost_getpc9159)&4294967295
	s_addc_u32 s15, s15, (.LBB1_25488-.Lpost_getpc9159)>>32
	s_setpc_b64 s[14:15]
.LBB1_11150:
	s_or_b64 exec, exec, s[6:7]
	s_and_saveexec_b64 s[6:7], s[4:5]
	s_cbranch_execz .LBB1_11152
.LBB1_11151:
	v_bfe_u32 v14, v2, 8, 3
	v_ffbh_u32_e32 v16, v14
	v_min_u32_e32 v16, 32, v16
	v_lshrrev_b16_e32 v15, 3, v13
	v_subrev_u32_e32 v17, 28, v16
	v_and_b32_e32 v15, 15, v15
	v_lshlrev_b32_e32 v13, v17, v13
	v_sub_u32_e32 v16, 29, v16
	v_and_b32_e32 v13, 7, v13
	v_cmp_eq_u16_e32 vcc, 0, v15
	v_cndmask_b32_e32 v13, v14, v13, vcc
	v_cndmask_b32_e32 v14, v15, v16, vcc
	v_lshlrev_b32_e32 v15, 16, v2
	v_mov_b32_e32 v16, 0x3b800000
	v_lshlrev_b32_e32 v13, 20, v13
	v_and_b32_e32 v15, 0x80000000, v15
	v_lshl_add_u32 v14, v14, 23, v16
	v_or3_b32 v14, v15, v14, v13
.LBB1_11152:
	s_or_b64 exec, exec, s[6:7]
	s_nop 0
	v_mfma_f32_16x16x4f32 a[0:3], v12, v14, a[0:3]
	s_movk_i32 s4, 0xff
	v_and_b32_sdwa v13, v6, s4 dst_sel:DWORD dst_unused:UNUSED_PAD src0_sel:WORD_1 src1_sel:DWORD
	s_movk_i32 s4, 0x7f
	v_cmp_lt_i16_e32 vcc, s4, v13
	s_mov_b64 s[4:5], 0
                                        ; implicit-def: $sgpr10
	s_and_saveexec_b64 s[6:7], vcc
	s_xor_b64 s[6:7], exec, s[6:7]
	s_cbranch_execz .LBB1_11153
; %bb.46993:
	s_getpc_b64 s[14:15]
.Lpost_getpc9160:
	s_add_u32 s14, s14, (.LBB1_25489-.Lpost_getpc9160)&4294967295
	s_addc_u32 s15, s15, (.LBB1_25489-.Lpost_getpc9160)>>32
	s_setpc_b64 s[14:15]
.LBB1_11153:
	s_or_saveexec_b64 s[6:7], s[6:7]
	v_mov_b32_e32 v12, s10
	s_xor_b64 exec, exec, s[6:7]
	s_cbranch_execz .LBB1_11154
; %bb.46995:
	s_getpc_b64 s[14:15]
.Lpost_getpc9161:
	s_add_u32 s14, s14, (.LBB1_25492-.Lpost_getpc9161)&4294967295
	s_addc_u32 s15, s15, (.LBB1_25492-.Lpost_getpc9161)>>32
	s_setpc_b64 s[14:15]
.LBB1_11154:
	s_or_b64 exec, exec, s[6:7]
	s_and_saveexec_b64 s[6:7], s[4:5]
	s_cbranch_execz .LBB1_11156
.LBB1_11155:
	v_bfe_u32 v12, v6, 16, 3
	v_ffbh_u32_e32 v15, v12
	v_min_u32_e32 v15, 32, v15
	v_lshrrev_b32_e32 v13, 19, v6
	v_subrev_u32_e32 v16, 28, v15
	v_and_b32_e32 v13, 15, v13
	v_lshlrev_b32_sdwa v16, v16, v6 dst_sel:DWORD dst_unused:UNUSED_PAD src0_sel:DWORD src1_sel:WORD_1
	v_bfe_u32 v14, v6, 19, 4
	v_sub_u32_e32 v15, 29, v15
	v_and_b32_e32 v16, 7, v16
	v_cmp_eq_u16_e32 vcc, 0, v13
	v_cndmask_b32_e32 v12, v12, v16, vcc
	v_cndmask_b32_e32 v13, v14, v15, vcc
	v_lshlrev_b32_e32 v14, 8, v6
	v_mov_b32_e32 v15, 0x3b800000
	v_lshlrev_b32_e32 v12, 20, v12
	v_and_b32_e32 v14, 0x80000000, v14
	v_lshl_add_u32 v13, v13, 23, v15
	v_or3_b32 v12, v14, v13, v12
.LBB1_11156:
	s_or_b64 exec, exec, s[6:7]
	s_movk_i32 s4, 0xff
	v_and_b32_sdwa v13, v2, s4 dst_sel:DWORD dst_unused:UNUSED_PAD src0_sel:WORD_1 src1_sel:DWORD
	s_movk_i32 s4, 0x7f
	v_cmp_lt_i16_e32 vcc, s4, v13
	s_mov_b64 s[4:5], 0
                                        ; implicit-def: $sgpr10
	s_and_saveexec_b64 s[6:7], vcc
	s_xor_b64 s[6:7], exec, s[6:7]
	s_cbranch_execz .LBB1_11157
; %bb.46997:
	s_getpc_b64 s[14:15]
.Lpost_getpc9162:
	s_add_u32 s14, s14, (.LBB1_25493-.Lpost_getpc9162)&4294967295
	s_addc_u32 s15, s15, (.LBB1_25493-.Lpost_getpc9162)>>32
	s_setpc_b64 s[14:15]
.LBB1_11157:
	s_or_saveexec_b64 s[6:7], s[6:7]
	v_mov_b32_e32 v14, s10
	s_xor_b64 exec, exec, s[6:7]
	s_cbranch_execz .LBB1_11158
; %bb.46999:
	s_getpc_b64 s[14:15]
.Lpost_getpc9163:
	s_add_u32 s14, s14, (.LBB1_25496-.Lpost_getpc9163)&4294967295
	s_addc_u32 s15, s15, (.LBB1_25496-.Lpost_getpc9163)>>32
	s_setpc_b64 s[14:15]
.LBB1_11158:
	s_or_b64 exec, exec, s[6:7]
	s_and_saveexec_b64 s[6:7], s[4:5]
	s_cbranch_execz .LBB1_11160
.LBB1_11159:
	v_bfe_u32 v13, v2, 16, 3
	v_ffbh_u32_e32 v16, v13
	v_min_u32_e32 v16, 32, v16
	v_lshrrev_b32_e32 v14, 19, v2
	v_subrev_u32_e32 v17, 28, v16
	v_and_b32_e32 v14, 15, v14
	v_lshlrev_b32_sdwa v17, v17, v2 dst_sel:DWORD dst_unused:UNUSED_PAD src0_sel:DWORD src1_sel:WORD_1
	v_bfe_u32 v15, v2, 19, 4
	v_sub_u32_e32 v16, 29, v16
	v_and_b32_e32 v17, 7, v17
	v_cmp_eq_u16_e32 vcc, 0, v14
	v_cndmask_b32_e32 v13, v13, v17, vcc
	v_cndmask_b32_e32 v14, v15, v16, vcc
	v_lshlrev_b32_e32 v15, 8, v2
	v_mov_b32_e32 v16, 0x3b800000
	v_lshlrev_b32_e32 v13, 20, v13
	v_and_b32_e32 v15, 0x80000000, v15
	v_lshl_add_u32 v14, v14, 23, v16
	v_or3_b32 v14, v15, v14, v13
.LBB1_11160:
	s_or_b64 exec, exec, s[6:7]
	s_nop 0
	v_mfma_f32_16x16x4f32 a[0:3], v12, v14, a[0:3]
	s_movk_i32 s4, 0x7f
	v_cmp_gt_i16_sdwa s[6:7], v6, s4 src0_sel:BYTE_3 src1_sel:DWORD
	s_mov_b64 s[4:5], 0
                                        ; implicit-def: $sgpr10
	s_and_saveexec_b64 s[8:9], s[6:7]
	s_xor_b64 s[6:7], exec, s[8:9]
	s_cbranch_execz .LBB1_11161
; %bb.47001:
	s_getpc_b64 s[14:15]
.Lpost_getpc9164:
	s_add_u32 s14, s14, (.LBB1_25497-.Lpost_getpc9164)&4294967295
	s_addc_u32 s15, s15, (.LBB1_25497-.Lpost_getpc9164)>>32
	s_setpc_b64 s[14:15]
.LBB1_11161:
	s_or_saveexec_b64 s[6:7], s[6:7]
	v_mov_b32_e32 v12, s10
	s_xor_b64 exec, exec, s[6:7]
	s_cbranch_execz .LBB1_11162
; %bb.47003:
	s_getpc_b64 s[14:15]
.Lpost_getpc9165:
	s_add_u32 s14, s14, (.LBB1_25500-.Lpost_getpc9165)&4294967295
	s_addc_u32 s15, s15, (.LBB1_25500-.Lpost_getpc9165)>>32
	s_setpc_b64 s[14:15]
.LBB1_11162:
	s_or_b64 exec, exec, s[6:7]
	s_and_saveexec_b64 s[6:7], s[4:5]
	s_cbranch_execz .LBB1_11164
.LBB1_11163:
	v_bfe_u32 v12, v6, 24, 3
	v_ffbh_u32_e32 v16, v12
	v_min_u32_e32 v16, 32, v16
	v_lshrrev_b32_e32 v14, 27, v6
	v_subrev_u32_e32 v17, 28, v16
	v_and_b32_e32 v13, 0x80000000, v6
	v_and_b32_e32 v14, 15, v14
	v_bfe_u32 v15, v6, 27, 4
	v_lshlrev_b32_sdwa v6, v17, v6 dst_sel:DWORD dst_unused:UNUSED_PAD src0_sel:DWORD src1_sel:BYTE_3
	v_sub_u32_e32 v16, 29, v16
	v_and_b32_e32 v6, 7, v6
	v_cmp_eq_u16_e32 vcc, 0, v14
	v_cndmask_b32_e32 v6, v12, v6, vcc
	v_cndmask_b32_e32 v12, v15, v16, vcc
	v_mov_b32_e32 v14, 0x3b800000
	v_lshlrev_b32_e32 v6, 20, v6
	v_lshl_add_u32 v12, v12, 23, v14
	v_or3_b32 v12, v13, v12, v6
.LBB1_11164:
	s_or_b64 exec, exec, s[6:7]
	s_movk_i32 s4, 0x7f
	v_cmp_gt_i16_sdwa s[6:7], v2, s4 src0_sel:BYTE_3 src1_sel:DWORD
	s_mov_b64 s[4:5], 0
                                        ; implicit-def: $sgpr10
	s_and_saveexec_b64 s[8:9], s[6:7]
	s_xor_b64 s[6:7], exec, s[8:9]
	s_cbranch_execz .LBB1_11165
; %bb.47005:
	s_getpc_b64 s[14:15]
.Lpost_getpc9166:
	s_add_u32 s14, s14, (.LBB1_25501-.Lpost_getpc9166)&4294967295
	s_addc_u32 s15, s15, (.LBB1_25501-.Lpost_getpc9166)>>32
	s_setpc_b64 s[14:15]
.LBB1_11165:
	s_or_saveexec_b64 s[6:7], s[6:7]
	v_mov_b32_e32 v6, s10
	s_xor_b64 exec, exec, s[6:7]
	s_cbranch_execz .LBB1_11166
; %bb.47007:
	s_getpc_b64 s[14:15]
.Lpost_getpc9167:
	s_add_u32 s14, s14, (.LBB1_25504-.Lpost_getpc9167)&4294967295
	s_addc_u32 s15, s15, (.LBB1_25504-.Lpost_getpc9167)>>32
	s_setpc_b64 s[14:15]
.LBB1_11166:
	s_or_b64 exec, exec, s[6:7]
	s_and_saveexec_b64 s[6:7], s[4:5]
	s_cbranch_execz .LBB1_11168
.LBB1_11167:
	v_bfe_u32 v6, v2, 24, 3
	v_ffbh_u32_e32 v16, v6
	v_min_u32_e32 v16, 32, v16
	v_lshrrev_b32_e32 v14, 27, v2
	v_subrev_u32_e32 v17, 28, v16
	v_and_b32_e32 v13, 0x80000000, v2
	v_and_b32_e32 v14, 15, v14
	v_bfe_u32 v15, v2, 27, 4
	v_lshlrev_b32_sdwa v2, v17, v2 dst_sel:DWORD dst_unused:UNUSED_PAD src0_sel:DWORD src1_sel:BYTE_3
	v_sub_u32_e32 v16, 29, v16
	v_and_b32_e32 v2, 7, v2
	v_cmp_eq_u16_e32 vcc, 0, v14
	v_cndmask_b32_e32 v2, v6, v2, vcc
	v_cndmask_b32_e32 v6, v15, v16, vcc
	v_mov_b32_e32 v14, 0x3b800000
	v_lshlrev_b32_e32 v2, 20, v2
	v_lshl_add_u32 v6, v6, 23, v14
	v_or3_b32 v6, v13, v6, v2
.LBB1_11168:
	s_or_b64 exec, exec, s[6:7]
	s_nop 0
	v_mfma_f32_16x16x4f32 a[0:3], v12, v6, a[0:3]
	s_movk_i32 s4, 0x7f
	v_cmp_gt_i16_sdwa s[6:7], v7, s4 src0_sel:BYTE_0 src1_sel:DWORD
	s_mov_b64 s[4:5], 0
                                        ; implicit-def: $sgpr10
	s_and_saveexec_b64 s[8:9], s[6:7]
	s_xor_b64 s[6:7], exec, s[8:9]
	s_cbranch_execz .LBB1_11169
; %bb.47009:
	s_getpc_b64 s[14:15]
.Lpost_getpc9168:
	s_add_u32 s14, s14, (.LBB1_25505-.Lpost_getpc9168)&4294967295
	s_addc_u32 s15, s15, (.LBB1_25505-.Lpost_getpc9168)>>32
	s_setpc_b64 s[14:15]
.LBB1_11169:
	s_or_saveexec_b64 s[6:7], s[6:7]
	v_mov_b32_e32 v2, s10
	s_xor_b64 exec, exec, s[6:7]
	s_cbranch_execz .LBB1_11170
; %bb.47011:
	s_getpc_b64 s[14:15]
.Lpost_getpc9169:
	s_add_u32 s14, s14, (.LBB1_25508-.Lpost_getpc9169)&4294967295
	s_addc_u32 s15, s15, (.LBB1_25508-.Lpost_getpc9169)>>32
	s_setpc_b64 s[14:15]
.LBB1_11170:
	s_or_b64 exec, exec, s[6:7]
	s_and_saveexec_b64 s[6:7], s[4:5]
	s_cbranch_execz .LBB1_11172
.LBB1_11171:
	v_and_b32_e32 v2, 7, v7
	v_ffbh_u32_e32 v12, v2
	v_min_u32_e32 v12, 32, v12
	v_lshrrev_b16_e32 v6, 3, v7
	v_subrev_u32_e32 v13, 28, v12
	v_and_b32_e32 v6, 15, v6
	v_lshlrev_b32_e32 v13, v13, v7
	v_sub_u32_e32 v12, 29, v12
	v_and_b32_e32 v13, 7, v13
	v_cmp_eq_u16_e32 vcc, 0, v6
	v_cndmask_b32_e32 v2, v2, v13, vcc
	v_cndmask_b32_e32 v6, v6, v12, vcc
	v_lshlrev_b32_e32 v12, 24, v7
	v_mov_b32_e32 v13, 0x3b800000
	v_lshlrev_b32_e32 v2, 20, v2
	v_and_b32_e32 v12, 0x80000000, v12
	v_lshl_add_u32 v6, v6, 23, v13
	v_or3_b32 v2, v12, v6, v2
.LBB1_11172:
	s_or_b64 exec, exec, s[6:7]
	s_movk_i32 s4, 0x7f
	v_cmp_gt_i16_sdwa s[6:7], v3, s4 src0_sel:BYTE_0 src1_sel:DWORD
	s_mov_b64 s[4:5], 0
                                        ; implicit-def: $sgpr10
	s_and_saveexec_b64 s[8:9], s[6:7]
	s_xor_b64 s[6:7], exec, s[8:9]
	s_cbranch_execz .LBB1_11173
; %bb.47013:
	s_getpc_b64 s[14:15]
.Lpost_getpc9170:
	s_add_u32 s14, s14, (.LBB1_25509-.Lpost_getpc9170)&4294967295
	s_addc_u32 s15, s15, (.LBB1_25509-.Lpost_getpc9170)>>32
	s_setpc_b64 s[14:15]
.LBB1_11173:
	s_or_saveexec_b64 s[6:7], s[6:7]
	v_mov_b32_e32 v6, s10
	s_xor_b64 exec, exec, s[6:7]
	s_cbranch_execz .LBB1_11174
; %bb.47015:
	s_getpc_b64 s[14:15]
.Lpost_getpc9171:
	s_add_u32 s14, s14, (.LBB1_25512-.Lpost_getpc9171)&4294967295
	s_addc_u32 s15, s15, (.LBB1_25512-.Lpost_getpc9171)>>32
	s_setpc_b64 s[14:15]
.LBB1_11174:
	s_or_b64 exec, exec, s[6:7]
	s_and_saveexec_b64 s[6:7], s[4:5]
	s_cbranch_execz .LBB1_11176
.LBB1_11175:
	v_and_b32_e32 v6, 7, v3
	v_ffbh_u32_e32 v13, v6
	v_min_u32_e32 v13, 32, v13
	v_lshrrev_b16_e32 v12, 3, v3
	v_subrev_u32_e32 v14, 28, v13
	v_and_b32_e32 v12, 15, v12
	v_lshlrev_b32_e32 v14, v14, v3
	v_sub_u32_e32 v13, 29, v13
	v_and_b32_e32 v14, 7, v14
	v_cmp_eq_u16_e32 vcc, 0, v12
	v_cndmask_b32_e32 v6, v6, v14, vcc
	v_cndmask_b32_e32 v12, v12, v13, vcc
	v_lshlrev_b32_e32 v13, 24, v3
	v_mov_b32_e32 v14, 0x3b800000
	v_lshlrev_b32_e32 v6, 20, v6
	v_and_b32_e32 v13, 0x80000000, v13
	v_lshl_add_u32 v12, v12, 23, v14
	v_or3_b32 v6, v13, v12, v6
.LBB1_11176:
	s_or_b64 exec, exec, s[6:7]
	s_nop 0
	v_mfma_f32_16x16x4f32 a[0:3], v2, v6, a[0:3]
	v_lshrrev_b32_e32 v6, 8, v7
	s_movk_i32 s4, 0x7f
	v_cmp_gt_i16_sdwa s[6:7], v6, s4 src0_sel:BYTE_0 src1_sel:DWORD
	s_mov_b64 s[4:5], 0
                                        ; implicit-def: $sgpr10
	s_and_saveexec_b64 s[8:9], s[6:7]
	s_xor_b64 s[6:7], exec, s[8:9]
	s_cbranch_execz .LBB1_11177
; %bb.47017:
	s_getpc_b64 s[14:15]
.Lpost_getpc9172:
	s_add_u32 s14, s14, (.LBB1_25513-.Lpost_getpc9172)&4294967295
	s_addc_u32 s15, s15, (.LBB1_25513-.Lpost_getpc9172)>>32
	s_setpc_b64 s[14:15]
.LBB1_11177:
	s_or_saveexec_b64 s[6:7], s[6:7]
	v_mov_b32_e32 v2, s10
	s_xor_b64 exec, exec, s[6:7]
	s_cbranch_execz .LBB1_11178
; %bb.47019:
	s_getpc_b64 s[14:15]
.Lpost_getpc9173:
	s_add_u32 s14, s14, (.LBB1_25516-.Lpost_getpc9173)&4294967295
	s_addc_u32 s15, s15, (.LBB1_25516-.Lpost_getpc9173)>>32
	s_setpc_b64 s[14:15]
.LBB1_11178:
	s_or_b64 exec, exec, s[6:7]
	s_and_saveexec_b64 s[6:7], s[4:5]
	s_cbranch_execz .LBB1_11180
.LBB1_11179:
	v_bfe_u32 v2, v7, 8, 3
	v_ffbh_u32_e32 v13, v2
	v_min_u32_e32 v13, 32, v13
	v_lshrrev_b16_e32 v12, 3, v6
	v_subrev_u32_e32 v14, 28, v13
	v_and_b32_e32 v12, 15, v12
	v_lshlrev_b32_e32 v6, v14, v6
	v_sub_u32_e32 v13, 29, v13
	v_and_b32_e32 v6, 7, v6
	v_cmp_eq_u16_e32 vcc, 0, v12
	v_cndmask_b32_e32 v2, v2, v6, vcc
	v_cndmask_b32_e32 v6, v12, v13, vcc
	v_lshlrev_b32_e32 v12, 16, v7
	v_mov_b32_e32 v13, 0x3b800000
	v_lshlrev_b32_e32 v2, 20, v2
	v_and_b32_e32 v12, 0x80000000, v12
	v_lshl_add_u32 v6, v6, 23, v13
	v_or3_b32 v2, v12, v6, v2
.LBB1_11180:
	s_or_b64 exec, exec, s[6:7]
	v_lshrrev_b32_e32 v6, 8, v3
	s_movk_i32 s4, 0x7f
	v_cmp_gt_i16_sdwa s[6:7], v6, s4 src0_sel:BYTE_0 src1_sel:DWORD
	s_mov_b64 s[4:5], 0
                                        ; implicit-def: $sgpr10
	s_and_saveexec_b64 s[8:9], s[6:7]
	s_xor_b64 s[6:7], exec, s[8:9]
	s_cbranch_execz .LBB1_11181
; %bb.47021:
	s_getpc_b64 s[14:15]
.Lpost_getpc9174:
	s_add_u32 s14, s14, (.LBB1_25517-.Lpost_getpc9174)&4294967295
	s_addc_u32 s15, s15, (.LBB1_25517-.Lpost_getpc9174)>>32
	s_setpc_b64 s[14:15]
.LBB1_11181:
	s_or_saveexec_b64 s[6:7], s[6:7]
	v_mov_b32_e32 v12, s10
	s_xor_b64 exec, exec, s[6:7]
	s_cbranch_execz .LBB1_11182
; %bb.47023:
	s_getpc_b64 s[14:15]
.Lpost_getpc9175:
	s_add_u32 s14, s14, (.LBB1_25520-.Lpost_getpc9175)&4294967295
	s_addc_u32 s15, s15, (.LBB1_25520-.Lpost_getpc9175)>>32
	s_setpc_b64 s[14:15]
.LBB1_11182:
	s_or_b64 exec, exec, s[6:7]
	s_and_saveexec_b64 s[6:7], s[4:5]
	s_cbranch_execz .LBB1_11184
.LBB1_11183:
	v_bfe_u32 v12, v3, 8, 3
	v_ffbh_u32_e32 v14, v12
	v_min_u32_e32 v14, 32, v14
	v_lshrrev_b16_e32 v13, 3, v6
	v_subrev_u32_e32 v15, 28, v14
	v_and_b32_e32 v13, 15, v13
	v_lshlrev_b32_e32 v6, v15, v6
	v_sub_u32_e32 v14, 29, v14
	v_and_b32_e32 v6, 7, v6
	v_cmp_eq_u16_e32 vcc, 0, v13
	v_cndmask_b32_e32 v6, v12, v6, vcc
	v_cndmask_b32_e32 v12, v13, v14, vcc
	v_lshlrev_b32_e32 v13, 16, v3
	v_mov_b32_e32 v14, 0x3b800000
	v_lshlrev_b32_e32 v6, 20, v6
	v_and_b32_e32 v13, 0x80000000, v13
	v_lshl_add_u32 v12, v12, 23, v14
	v_or3_b32 v12, v13, v12, v6
.LBB1_11184:
	s_or_b64 exec, exec, s[6:7]
	s_nop 0
	v_mfma_f32_16x16x4f32 a[0:3], v2, v12, a[0:3]
	s_movk_i32 s4, 0xff
	v_and_b32_sdwa v6, v7, s4 dst_sel:DWORD dst_unused:UNUSED_PAD src0_sel:WORD_1 src1_sel:DWORD
	s_movk_i32 s4, 0x7f
	v_cmp_lt_i16_e32 vcc, s4, v6
	s_mov_b64 s[4:5], 0
                                        ; implicit-def: $sgpr10
	s_and_saveexec_b64 s[6:7], vcc
	s_xor_b64 s[6:7], exec, s[6:7]
	s_cbranch_execz .LBB1_11185
; %bb.47025:
	s_getpc_b64 s[14:15]
.Lpost_getpc9176:
	s_add_u32 s14, s14, (.LBB1_25521-.Lpost_getpc9176)&4294967295
	s_addc_u32 s15, s15, (.LBB1_25521-.Lpost_getpc9176)>>32
	s_setpc_b64 s[14:15]
.LBB1_11185:
	s_or_saveexec_b64 s[6:7], s[6:7]
	v_mov_b32_e32 v2, s10
	s_xor_b64 exec, exec, s[6:7]
	s_cbranch_execz .LBB1_11186
; %bb.47027:
	s_getpc_b64 s[14:15]
.Lpost_getpc9177:
	s_add_u32 s14, s14, (.LBB1_25524-.Lpost_getpc9177)&4294967295
	s_addc_u32 s15, s15, (.LBB1_25524-.Lpost_getpc9177)>>32
	s_setpc_b64 s[14:15]
.LBB1_11186:
	s_or_b64 exec, exec, s[6:7]
	s_and_saveexec_b64 s[6:7], s[4:5]
	s_cbranch_execz .LBB1_11188
.LBB1_11187:
	v_bfe_u32 v2, v7, 16, 3
	v_ffbh_u32_e32 v13, v2
	v_min_u32_e32 v13, 32, v13
	v_lshrrev_b32_e32 v6, 19, v7
	v_subrev_u32_e32 v14, 28, v13
	v_and_b32_e32 v6, 15, v6
	v_lshlrev_b32_sdwa v14, v14, v7 dst_sel:DWORD dst_unused:UNUSED_PAD src0_sel:DWORD src1_sel:WORD_1
	v_bfe_u32 v12, v7, 19, 4
	v_sub_u32_e32 v13, 29, v13
	v_and_b32_e32 v14, 7, v14
	v_cmp_eq_u16_e32 vcc, 0, v6
	v_cndmask_b32_e32 v2, v2, v14, vcc
	v_cndmask_b32_e32 v6, v12, v13, vcc
	v_lshlrev_b32_e32 v12, 8, v7
	v_mov_b32_e32 v13, 0x3b800000
	v_lshlrev_b32_e32 v2, 20, v2
	v_and_b32_e32 v12, 0x80000000, v12
	v_lshl_add_u32 v6, v6, 23, v13
	v_or3_b32 v2, v12, v6, v2
.LBB1_11188:
	s_or_b64 exec, exec, s[6:7]
	s_movk_i32 s4, 0xff
	v_and_b32_sdwa v6, v3, s4 dst_sel:DWORD dst_unused:UNUSED_PAD src0_sel:WORD_1 src1_sel:DWORD
	s_movk_i32 s4, 0x7f
	v_cmp_lt_i16_e32 vcc, s4, v6
	s_mov_b64 s[4:5], 0
                                        ; implicit-def: $sgpr10
	s_and_saveexec_b64 s[6:7], vcc
	s_xor_b64 s[6:7], exec, s[6:7]
	s_cbranch_execz .LBB1_11189
; %bb.47029:
	s_getpc_b64 s[14:15]
.Lpost_getpc9178:
	s_add_u32 s14, s14, (.LBB1_25525-.Lpost_getpc9178)&4294967295
	s_addc_u32 s15, s15, (.LBB1_25525-.Lpost_getpc9178)>>32
	s_setpc_b64 s[14:15]
.LBB1_11189:
	s_or_saveexec_b64 s[6:7], s[6:7]
	v_mov_b32_e32 v12, s10
	s_xor_b64 exec, exec, s[6:7]
	s_cbranch_execz .LBB1_11190
; %bb.47031:
	s_getpc_b64 s[14:15]
.Lpost_getpc9179:
	s_add_u32 s14, s14, (.LBB1_25528-.Lpost_getpc9179)&4294967295
	s_addc_u32 s15, s15, (.LBB1_25528-.Lpost_getpc9179)>>32
	s_setpc_b64 s[14:15]
.LBB1_11190:
	s_or_b64 exec, exec, s[6:7]
	s_and_saveexec_b64 s[6:7], s[4:5]
	s_cbranch_execz .LBB1_11192
.LBB1_11191:
	v_bfe_u32 v6, v3, 16, 3
	v_ffbh_u32_e32 v14, v6
	v_min_u32_e32 v14, 32, v14
	v_lshrrev_b32_e32 v12, 19, v3
	v_subrev_u32_e32 v15, 28, v14
	v_and_b32_e32 v12, 15, v12
	v_lshlrev_b32_sdwa v15, v15, v3 dst_sel:DWORD dst_unused:UNUSED_PAD src0_sel:DWORD src1_sel:WORD_1
	v_bfe_u32 v13, v3, 19, 4
	v_sub_u32_e32 v14, 29, v14
	v_and_b32_e32 v15, 7, v15
	v_cmp_eq_u16_e32 vcc, 0, v12
	v_cndmask_b32_e32 v6, v6, v15, vcc
	v_cndmask_b32_e32 v12, v13, v14, vcc
	v_lshlrev_b32_e32 v13, 8, v3
	v_mov_b32_e32 v14, 0x3b800000
	v_lshlrev_b32_e32 v6, 20, v6
	v_and_b32_e32 v13, 0x80000000, v13
	v_lshl_add_u32 v12, v12, 23, v14
	v_or3_b32 v12, v13, v12, v6
.LBB1_11192:
	s_or_b64 exec, exec, s[6:7]
	s_nop 0
	v_mfma_f32_16x16x4f32 a[0:3], v2, v12, a[0:3]
	s_movk_i32 s4, 0x7f
	v_cmp_gt_i16_sdwa s[6:7], v7, s4 src0_sel:BYTE_3 src1_sel:DWORD
	s_mov_b64 s[4:5], 0
                                        ; implicit-def: $sgpr10
	s_and_saveexec_b64 s[8:9], s[6:7]
	s_xor_b64 s[6:7], exec, s[8:9]
	s_cbranch_execz .LBB1_11193
; %bb.47033:
	s_getpc_b64 s[14:15]
.Lpost_getpc9180:
	s_add_u32 s14, s14, (.LBB1_25529-.Lpost_getpc9180)&4294967295
	s_addc_u32 s15, s15, (.LBB1_25529-.Lpost_getpc9180)>>32
	s_setpc_b64 s[14:15]
.LBB1_11193:
	s_or_saveexec_b64 s[6:7], s[6:7]
	v_mov_b32_e32 v2, s10
	s_xor_b64 exec, exec, s[6:7]
	s_cbranch_execz .LBB1_11194
; %bb.47035:
	s_getpc_b64 s[14:15]
.Lpost_getpc9181:
	s_add_u32 s14, s14, (.LBB1_25532-.Lpost_getpc9181)&4294967295
	s_addc_u32 s15, s15, (.LBB1_25532-.Lpost_getpc9181)>>32
	s_setpc_b64 s[14:15]
.LBB1_11194:
	s_or_b64 exec, exec, s[6:7]
	s_and_saveexec_b64 s[6:7], s[4:5]
	s_cbranch_execz .LBB1_11196
.LBB1_11195:
	v_bfe_u32 v2, v7, 24, 3
	v_ffbh_u32_e32 v14, v2
	v_min_u32_e32 v14, 32, v14
	v_lshrrev_b32_e32 v12, 27, v7
	v_subrev_u32_e32 v15, 28, v14
	v_and_b32_e32 v6, 0x80000000, v7
	v_and_b32_e32 v12, 15, v12
	v_bfe_u32 v13, v7, 27, 4
	v_lshlrev_b32_sdwa v7, v15, v7 dst_sel:DWORD dst_unused:UNUSED_PAD src0_sel:DWORD src1_sel:BYTE_3
	v_sub_u32_e32 v14, 29, v14
	v_and_b32_e32 v7, 7, v7
	v_cmp_eq_u16_e32 vcc, 0, v12
	v_cndmask_b32_e32 v2, v2, v7, vcc
	v_cndmask_b32_e32 v7, v13, v14, vcc
	v_mov_b32_e32 v12, 0x3b800000
	v_lshlrev_b32_e32 v2, 20, v2
	v_lshl_add_u32 v7, v7, 23, v12
	v_or3_b32 v2, v6, v7, v2
.LBB1_11196:
	s_or_b64 exec, exec, s[6:7]
	s_movk_i32 s4, 0x7f
	v_cmp_gt_i16_sdwa s[6:7], v3, s4 src0_sel:BYTE_3 src1_sel:DWORD
	s_mov_b64 s[4:5], 0
                                        ; implicit-def: $sgpr10
	s_and_saveexec_b64 s[8:9], s[6:7]
	s_xor_b64 s[6:7], exec, s[8:9]
	s_cbranch_execz .LBB1_11197
; %bb.47037:
	s_getpc_b64 s[14:15]
.Lpost_getpc9182:
	s_add_u32 s14, s14, (.LBB1_25533-.Lpost_getpc9182)&4294967295
	s_addc_u32 s15, s15, (.LBB1_25533-.Lpost_getpc9182)>>32
	s_setpc_b64 s[14:15]
.LBB1_11197:
	s_or_saveexec_b64 s[6:7], s[6:7]
	v_mov_b32_e32 v6, s10
	s_xor_b64 exec, exec, s[6:7]
	s_cbranch_execz .LBB1_11198
; %bb.47039:
	s_getpc_b64 s[14:15]
.Lpost_getpc9183:
	s_add_u32 s14, s14, (.LBB1_25536-.Lpost_getpc9183)&4294967295
	s_addc_u32 s15, s15, (.LBB1_25536-.Lpost_getpc9183)>>32
	s_setpc_b64 s[14:15]
.LBB1_11198:
	s_or_b64 exec, exec, s[6:7]
	s_and_saveexec_b64 s[6:7], s[4:5]
	s_cbranch_execz .LBB1_11200
.LBB1_11199:
	v_bfe_u32 v6, v3, 24, 3
	v_ffbh_u32_e32 v14, v6
	v_min_u32_e32 v14, 32, v14
	v_lshrrev_b32_e32 v12, 27, v3
	v_subrev_u32_e32 v15, 28, v14
	v_and_b32_e32 v7, 0x80000000, v3
	v_and_b32_e32 v12, 15, v12
	v_bfe_u32 v13, v3, 27, 4
	v_lshlrev_b32_sdwa v3, v15, v3 dst_sel:DWORD dst_unused:UNUSED_PAD src0_sel:DWORD src1_sel:BYTE_3
	v_sub_u32_e32 v14, 29, v14
	v_and_b32_e32 v3, 7, v3
	v_cmp_eq_u16_e32 vcc, 0, v12
	v_cndmask_b32_e32 v3, v6, v3, vcc
	v_cndmask_b32_e32 v6, v13, v14, vcc
	v_mov_b32_e32 v12, 0x3b800000
	v_lshlrev_b32_e32 v3, 20, v3
	v_lshl_add_u32 v6, v6, 23, v12
	v_or3_b32 v6, v7, v6, v3
.LBB1_11200:
	s_or_b64 exec, exec, s[6:7]
	s_nop 0
	v_mfma_f32_16x16x4f32 a[0:3], v2, v6, a[0:3]
	s_movk_i32 s4, 0x7f
	v_cmp_gt_i16_sdwa s[6:7], v8, s4 src0_sel:BYTE_0 src1_sel:DWORD
	s_mov_b64 s[4:5], 0
                                        ; implicit-def: $sgpr10
	s_and_saveexec_b64 s[8:9], s[6:7]
	s_xor_b64 s[6:7], exec, s[8:9]
	s_cbranch_execz .LBB1_11201
; %bb.47041:
	s_getpc_b64 s[14:15]
.Lpost_getpc9184:
	s_add_u32 s14, s14, (.LBB1_25537-.Lpost_getpc9184)&4294967295
	s_addc_u32 s15, s15, (.LBB1_25537-.Lpost_getpc9184)>>32
	s_setpc_b64 s[14:15]
.LBB1_11201:
	s_or_saveexec_b64 s[6:7], s[6:7]
	v_mov_b32_e32 v2, s10
	s_xor_b64 exec, exec, s[6:7]
	s_cbranch_execz .LBB1_11202
; %bb.47043:
	s_getpc_b64 s[14:15]
.Lpost_getpc9185:
	s_add_u32 s14, s14, (.LBB1_25540-.Lpost_getpc9185)&4294967295
	s_addc_u32 s15, s15, (.LBB1_25540-.Lpost_getpc9185)>>32
	s_setpc_b64 s[14:15]
.LBB1_11202:
	s_or_b64 exec, exec, s[6:7]
	s_and_saveexec_b64 s[6:7], s[4:5]
	s_cbranch_execz .LBB1_11204
.LBB1_11203:
	v_and_b32_e32 v2, 7, v8
	v_ffbh_u32_e32 v6, v2
	v_min_u32_e32 v6, 32, v6
	v_lshrrev_b16_e32 v3, 3, v8
	v_subrev_u32_e32 v7, 28, v6
	v_and_b32_e32 v3, 15, v3
	v_lshlrev_b32_e32 v7, v7, v8
	v_sub_u32_e32 v6, 29, v6
	v_and_b32_e32 v7, 7, v7
	v_cmp_eq_u16_e32 vcc, 0, v3
	v_cndmask_b32_e32 v2, v2, v7, vcc
	v_cndmask_b32_e32 v3, v3, v6, vcc
	v_lshlrev_b32_e32 v6, 24, v8
	v_mov_b32_e32 v7, 0x3b800000
	v_lshlrev_b32_e32 v2, 20, v2
	v_and_b32_e32 v6, 0x80000000, v6
	v_lshl_add_u32 v3, v3, 23, v7
	v_or3_b32 v2, v6, v3, v2
.LBB1_11204:
	s_or_b64 exec, exec, s[6:7]
	s_movk_i32 s4, 0x7f
	v_cmp_gt_i16_sdwa s[6:7], v4, s4 src0_sel:BYTE_0 src1_sel:DWORD
	s_mov_b64 s[4:5], 0
                                        ; implicit-def: $sgpr10
	s_and_saveexec_b64 s[8:9], s[6:7]
	s_xor_b64 s[6:7], exec, s[8:9]
	s_cbranch_execz .LBB1_11205
; %bb.47045:
	s_getpc_b64 s[14:15]
.Lpost_getpc9186:
	s_add_u32 s14, s14, (.LBB1_25541-.Lpost_getpc9186)&4294967295
	s_addc_u32 s15, s15, (.LBB1_25541-.Lpost_getpc9186)>>32
	s_setpc_b64 s[14:15]
.LBB1_11205:
	s_or_saveexec_b64 s[6:7], s[6:7]
	v_mov_b32_e32 v3, s10
	s_xor_b64 exec, exec, s[6:7]
	s_cbranch_execz .LBB1_11206
; %bb.47047:
	s_getpc_b64 s[14:15]
.Lpost_getpc9187:
	s_add_u32 s14, s14, (.LBB1_25544-.Lpost_getpc9187)&4294967295
	s_addc_u32 s15, s15, (.LBB1_25544-.Lpost_getpc9187)>>32
	s_setpc_b64 s[14:15]
.LBB1_11206:
	s_or_b64 exec, exec, s[6:7]
	s_and_saveexec_b64 s[6:7], s[4:5]
	s_cbranch_execz .LBB1_11208
.LBB1_11207:
	v_and_b32_e32 v3, 7, v4
	v_ffbh_u32_e32 v7, v3
	v_min_u32_e32 v7, 32, v7
	v_lshrrev_b16_e32 v6, 3, v4
	v_subrev_u32_e32 v12, 28, v7
	v_and_b32_e32 v6, 15, v6
	v_lshlrev_b32_e32 v12, v12, v4
	v_sub_u32_e32 v7, 29, v7
	v_and_b32_e32 v12, 7, v12
	v_cmp_eq_u16_e32 vcc, 0, v6
	v_cndmask_b32_e32 v3, v3, v12, vcc
	v_cndmask_b32_e32 v6, v6, v7, vcc
	v_lshlrev_b32_e32 v7, 24, v4
	v_mov_b32_e32 v12, 0x3b800000
	v_lshlrev_b32_e32 v3, 20, v3
	v_and_b32_e32 v7, 0x80000000, v7
	v_lshl_add_u32 v6, v6, 23, v12
	v_or3_b32 v3, v7, v6, v3
.LBB1_11208:
	s_or_b64 exec, exec, s[6:7]
	s_nop 0
	v_mfma_f32_16x16x4f32 a[0:3], v2, v3, a[0:3]
	v_lshrrev_b32_e32 v3, 8, v8
	s_movk_i32 s4, 0x7f
	v_cmp_gt_i16_sdwa s[6:7], v3, s4 src0_sel:BYTE_0 src1_sel:DWORD
	s_mov_b64 s[4:5], 0
                                        ; implicit-def: $sgpr10
	s_and_saveexec_b64 s[8:9], s[6:7]
	s_xor_b64 s[6:7], exec, s[8:9]
	s_cbranch_execz .LBB1_11209
; %bb.47049:
	s_getpc_b64 s[14:15]
.Lpost_getpc9188:
	s_add_u32 s14, s14, (.LBB1_25545-.Lpost_getpc9188)&4294967295
	s_addc_u32 s15, s15, (.LBB1_25545-.Lpost_getpc9188)>>32
	s_setpc_b64 s[14:15]
.LBB1_11209:
	s_or_saveexec_b64 s[6:7], s[6:7]
	v_mov_b32_e32 v2, s10
	s_xor_b64 exec, exec, s[6:7]
	s_cbranch_execz .LBB1_11210
; %bb.47051:
	s_getpc_b64 s[14:15]
.Lpost_getpc9189:
	s_add_u32 s14, s14, (.LBB1_25548-.Lpost_getpc9189)&4294967295
	s_addc_u32 s15, s15, (.LBB1_25548-.Lpost_getpc9189)>>32
	s_setpc_b64 s[14:15]
.LBB1_11210:
	s_or_b64 exec, exec, s[6:7]
	s_and_saveexec_b64 s[6:7], s[4:5]
	s_cbranch_execz .LBB1_11212
.LBB1_11211:
	v_bfe_u32 v2, v8, 8, 3
	v_ffbh_u32_e32 v7, v2
	v_min_u32_e32 v7, 32, v7
	v_lshrrev_b16_e32 v6, 3, v3
	v_subrev_u32_e32 v12, 28, v7
	v_and_b32_e32 v6, 15, v6
	v_lshlrev_b32_e32 v3, v12, v3
	v_sub_u32_e32 v7, 29, v7
	v_and_b32_e32 v3, 7, v3
	v_cmp_eq_u16_e32 vcc, 0, v6
	v_cndmask_b32_e32 v2, v2, v3, vcc
	v_cndmask_b32_e32 v3, v6, v7, vcc
	v_lshlrev_b32_e32 v6, 16, v8
	v_mov_b32_e32 v7, 0x3b800000
	v_lshlrev_b32_e32 v2, 20, v2
	v_and_b32_e32 v6, 0x80000000, v6
	v_lshl_add_u32 v3, v3, 23, v7
	v_or3_b32 v2, v6, v3, v2
.LBB1_11212:
	s_or_b64 exec, exec, s[6:7]
	v_lshrrev_b32_e32 v3, 8, v4
	s_movk_i32 s4, 0x7f
	v_cmp_gt_i16_sdwa s[6:7], v3, s4 src0_sel:BYTE_0 src1_sel:DWORD
	s_mov_b64 s[4:5], 0
                                        ; implicit-def: $sgpr10
	s_and_saveexec_b64 s[8:9], s[6:7]
	s_xor_b64 s[6:7], exec, s[8:9]
	s_cbranch_execz .LBB1_11213
; %bb.47053:
	s_getpc_b64 s[14:15]
.Lpost_getpc9190:
	s_add_u32 s14, s14, (.LBB1_25549-.Lpost_getpc9190)&4294967295
	s_addc_u32 s15, s15, (.LBB1_25549-.Lpost_getpc9190)>>32
	s_setpc_b64 s[14:15]
.LBB1_11213:
	s_or_saveexec_b64 s[6:7], s[6:7]
	v_mov_b32_e32 v6, s10
	s_xor_b64 exec, exec, s[6:7]
	s_cbranch_execz .LBB1_11214
; %bb.47055:
	s_getpc_b64 s[14:15]
.Lpost_getpc9191:
	s_add_u32 s14, s14, (.LBB1_25552-.Lpost_getpc9191)&4294967295
	s_addc_u32 s15, s15, (.LBB1_25552-.Lpost_getpc9191)>>32
	s_setpc_b64 s[14:15]
.LBB1_11214:
	s_or_b64 exec, exec, s[6:7]
	s_and_saveexec_b64 s[6:7], s[4:5]
	s_cbranch_execz .LBB1_11216
.LBB1_11215:
	v_bfe_u32 v6, v4, 8, 3
	v_ffbh_u32_e32 v12, v6
	v_min_u32_e32 v12, 32, v12
	v_lshrrev_b16_e32 v7, 3, v3
	v_subrev_u32_e32 v13, 28, v12
	v_and_b32_e32 v7, 15, v7
	v_lshlrev_b32_e32 v3, v13, v3
	v_sub_u32_e32 v12, 29, v12
	v_and_b32_e32 v3, 7, v3
	v_cmp_eq_u16_e32 vcc, 0, v7
	v_cndmask_b32_e32 v3, v6, v3, vcc
	v_cndmask_b32_e32 v6, v7, v12, vcc
	v_lshlrev_b32_e32 v7, 16, v4
	v_mov_b32_e32 v12, 0x3b800000
	v_lshlrev_b32_e32 v3, 20, v3
	v_and_b32_e32 v7, 0x80000000, v7
	v_lshl_add_u32 v6, v6, 23, v12
	v_or3_b32 v6, v7, v6, v3
.LBB1_11216:
	s_or_b64 exec, exec, s[6:7]
	s_nop 0
	v_mfma_f32_16x16x4f32 a[0:3], v2, v6, a[0:3]
	s_movk_i32 s4, 0xff
	v_and_b32_sdwa v3, v8, s4 dst_sel:DWORD dst_unused:UNUSED_PAD src0_sel:WORD_1 src1_sel:DWORD
	s_movk_i32 s4, 0x7f
	v_cmp_lt_i16_e32 vcc, s4, v3
	s_mov_b64 s[4:5], 0
                                        ; implicit-def: $sgpr10
	s_and_saveexec_b64 s[6:7], vcc
	s_xor_b64 s[6:7], exec, s[6:7]
	s_cbranch_execz .LBB1_11217
; %bb.47057:
	s_getpc_b64 s[14:15]
.Lpost_getpc9192:
	s_add_u32 s14, s14, (.LBB1_25553-.Lpost_getpc9192)&4294967295
	s_addc_u32 s15, s15, (.LBB1_25553-.Lpost_getpc9192)>>32
	s_setpc_b64 s[14:15]
.LBB1_11217:
	s_or_saveexec_b64 s[6:7], s[6:7]
	v_mov_b32_e32 v2, s10
	s_xor_b64 exec, exec, s[6:7]
	s_cbranch_execz .LBB1_11218
; %bb.47059:
	s_getpc_b64 s[14:15]
.Lpost_getpc9193:
	s_add_u32 s14, s14, (.LBB1_25556-.Lpost_getpc9193)&4294967295
	s_addc_u32 s15, s15, (.LBB1_25556-.Lpost_getpc9193)>>32
	s_setpc_b64 s[14:15]
.LBB1_11218:
	s_or_b64 exec, exec, s[6:7]
	s_and_saveexec_b64 s[6:7], s[4:5]
	s_cbranch_execz .LBB1_11220
.LBB1_11219:
	v_bfe_u32 v2, v8, 16, 3
	v_ffbh_u32_e32 v7, v2
	v_min_u32_e32 v7, 32, v7
	v_lshrrev_b32_e32 v3, 19, v8
	v_subrev_u32_e32 v12, 28, v7
	v_and_b32_e32 v3, 15, v3
	v_lshlrev_b32_sdwa v12, v12, v8 dst_sel:DWORD dst_unused:UNUSED_PAD src0_sel:DWORD src1_sel:WORD_1
	v_bfe_u32 v6, v8, 19, 4
	v_sub_u32_e32 v7, 29, v7
	v_and_b32_e32 v12, 7, v12
	v_cmp_eq_u16_e32 vcc, 0, v3
	v_cndmask_b32_e32 v2, v2, v12, vcc
	v_cndmask_b32_e32 v3, v6, v7, vcc
	v_lshlrev_b32_e32 v6, 8, v8
	v_mov_b32_e32 v7, 0x3b800000
	v_lshlrev_b32_e32 v2, 20, v2
	v_and_b32_e32 v6, 0x80000000, v6
	v_lshl_add_u32 v3, v3, 23, v7
	v_or3_b32 v2, v6, v3, v2
.LBB1_11220:
	s_or_b64 exec, exec, s[6:7]
	s_movk_i32 s4, 0xff
	v_and_b32_sdwa v3, v4, s4 dst_sel:DWORD dst_unused:UNUSED_PAD src0_sel:WORD_1 src1_sel:DWORD
	s_movk_i32 s4, 0x7f
	v_cmp_lt_i16_e32 vcc, s4, v3
	s_mov_b64 s[4:5], 0
                                        ; implicit-def: $sgpr10
	s_and_saveexec_b64 s[6:7], vcc
	s_xor_b64 s[6:7], exec, s[6:7]
	s_cbranch_execz .LBB1_11221
; %bb.47061:
	s_getpc_b64 s[14:15]
.Lpost_getpc9194:
	s_add_u32 s14, s14, (.LBB1_25557-.Lpost_getpc9194)&4294967295
	s_addc_u32 s15, s15, (.LBB1_25557-.Lpost_getpc9194)>>32
	s_setpc_b64 s[14:15]
.LBB1_11221:
	s_or_saveexec_b64 s[6:7], s[6:7]
	v_mov_b32_e32 v6, s10
	s_xor_b64 exec, exec, s[6:7]
	s_cbranch_execz .LBB1_11222
; %bb.47063:
	s_getpc_b64 s[14:15]
.Lpost_getpc9195:
	s_add_u32 s14, s14, (.LBB1_25560-.Lpost_getpc9195)&4294967295
	s_addc_u32 s15, s15, (.LBB1_25560-.Lpost_getpc9195)>>32
	s_setpc_b64 s[14:15]
.LBB1_11222:
	s_or_b64 exec, exec, s[6:7]
	s_and_saveexec_b64 s[6:7], s[4:5]
	s_cbranch_execz .LBB1_11224
.LBB1_11223:
	v_bfe_u32 v3, v4, 16, 3
	v_ffbh_u32_e32 v12, v3
	v_min_u32_e32 v12, 32, v12
	v_lshrrev_b32_e32 v6, 19, v4
	v_subrev_u32_e32 v13, 28, v12
	v_and_b32_e32 v6, 15, v6
	v_lshlrev_b32_sdwa v13, v13, v4 dst_sel:DWORD dst_unused:UNUSED_PAD src0_sel:DWORD src1_sel:WORD_1
	v_bfe_u32 v7, v4, 19, 4
	v_sub_u32_e32 v12, 29, v12
	v_and_b32_e32 v13, 7, v13
	v_cmp_eq_u16_e32 vcc, 0, v6
	v_cndmask_b32_e32 v3, v3, v13, vcc
	v_cndmask_b32_e32 v6, v7, v12, vcc
	v_lshlrev_b32_e32 v7, 8, v4
	v_mov_b32_e32 v12, 0x3b800000
	v_lshlrev_b32_e32 v3, 20, v3
	v_and_b32_e32 v7, 0x80000000, v7
	v_lshl_add_u32 v6, v6, 23, v12
	v_or3_b32 v6, v7, v6, v3
.LBB1_11224:
	s_or_b64 exec, exec, s[6:7]
	s_nop 0
	v_mfma_f32_16x16x4f32 a[0:3], v2, v6, a[0:3]
	s_movk_i32 s4, 0x7f
	v_cmp_gt_i16_sdwa s[6:7], v8, s4 src0_sel:BYTE_3 src1_sel:DWORD
	s_mov_b64 s[4:5], 0
                                        ; implicit-def: $sgpr10
	s_and_saveexec_b64 s[8:9], s[6:7]
	s_xor_b64 s[6:7], exec, s[8:9]
	s_cbranch_execz .LBB1_11225
; %bb.47065:
	s_getpc_b64 s[14:15]
.Lpost_getpc9196:
	s_add_u32 s14, s14, (.LBB1_25561-.Lpost_getpc9196)&4294967295
	s_addc_u32 s15, s15, (.LBB1_25561-.Lpost_getpc9196)>>32
	s_setpc_b64 s[14:15]
.LBB1_11225:
	s_or_saveexec_b64 s[6:7], s[6:7]
	v_mov_b32_e32 v2, s10
	s_xor_b64 exec, exec, s[6:7]
	s_cbranch_execz .LBB1_11226
; %bb.47067:
	s_getpc_b64 s[14:15]
.Lpost_getpc9197:
	s_add_u32 s14, s14, (.LBB1_25564-.Lpost_getpc9197)&4294967295
	s_addc_u32 s15, s15, (.LBB1_25564-.Lpost_getpc9197)>>32
	s_setpc_b64 s[14:15]
.LBB1_11226:
	s_or_b64 exec, exec, s[6:7]
	s_and_saveexec_b64 s[6:7], s[4:5]
	s_cbranch_execz .LBB1_11228
.LBB1_11227:
	v_bfe_u32 v2, v8, 24, 3
	v_ffbh_u32_e32 v12, v2
	v_min_u32_e32 v12, 32, v12
	v_lshrrev_b32_e32 v6, 27, v8
	v_subrev_u32_e32 v13, 28, v12
	v_and_b32_e32 v3, 0x80000000, v8
	v_and_b32_e32 v6, 15, v6
	v_bfe_u32 v7, v8, 27, 4
	v_lshlrev_b32_sdwa v8, v13, v8 dst_sel:DWORD dst_unused:UNUSED_PAD src0_sel:DWORD src1_sel:BYTE_3
	v_sub_u32_e32 v12, 29, v12
	v_and_b32_e32 v8, 7, v8
	v_cmp_eq_u16_e32 vcc, 0, v6
	v_cndmask_b32_e32 v2, v2, v8, vcc
	v_cndmask_b32_e32 v6, v7, v12, vcc
	v_mov_b32_e32 v7, 0x3b800000
	v_lshlrev_b32_e32 v2, 20, v2
	v_lshl_add_u32 v6, v6, 23, v7
	v_or3_b32 v2, v3, v6, v2
.LBB1_11228:
	s_or_b64 exec, exec, s[6:7]
	s_movk_i32 s4, 0x7f
	v_cmp_gt_i16_sdwa s[6:7], v4, s4 src0_sel:BYTE_3 src1_sel:DWORD
	s_mov_b64 s[4:5], 0
                                        ; implicit-def: $sgpr10
	s_and_saveexec_b64 s[8:9], s[6:7]
	s_xor_b64 s[6:7], exec, s[8:9]
	s_cbranch_execz .LBB1_11229
; %bb.47069:
	s_getpc_b64 s[14:15]
.Lpost_getpc9198:
	s_add_u32 s14, s14, (.LBB1_25565-.Lpost_getpc9198)&4294967295
	s_addc_u32 s15, s15, (.LBB1_25565-.Lpost_getpc9198)>>32
	s_setpc_b64 s[14:15]
.LBB1_11229:
	s_or_saveexec_b64 s[6:7], s[6:7]
	v_mov_b32_e32 v3, s10
	s_xor_b64 exec, exec, s[6:7]
	s_cbranch_execz .LBB1_11230
; %bb.47071:
	s_getpc_b64 s[14:15]
.Lpost_getpc9199:
	s_add_u32 s14, s14, (.LBB1_25568-.Lpost_getpc9199)&4294967295
	s_addc_u32 s15, s15, (.LBB1_25568-.Lpost_getpc9199)>>32
	s_setpc_b64 s[14:15]
.LBB1_11230:
	s_or_b64 exec, exec, s[6:7]
	s_and_saveexec_b64 s[6:7], s[4:5]
	s_cbranch_execz .LBB1_11232
.LBB1_11231:
	v_bfe_u32 v3, v4, 24, 3
	v_ffbh_u32_e32 v12, v3
	v_min_u32_e32 v12, 32, v12
	v_lshrrev_b32_e32 v7, 27, v4
	v_subrev_u32_e32 v13, 28, v12
	v_and_b32_e32 v6, 0x80000000, v4
	v_and_b32_e32 v7, 15, v7
	v_bfe_u32 v8, v4, 27, 4
	v_lshlrev_b32_sdwa v4, v13, v4 dst_sel:DWORD dst_unused:UNUSED_PAD src0_sel:DWORD src1_sel:BYTE_3
	v_sub_u32_e32 v12, 29, v12
	v_and_b32_e32 v4, 7, v4
	v_cmp_eq_u16_e32 vcc, 0, v7
	v_cndmask_b32_e32 v3, v3, v4, vcc
	v_cndmask_b32_e32 v4, v8, v12, vcc
	v_mov_b32_e32 v7, 0x3b800000
	v_lshlrev_b32_e32 v3, 20, v3
	v_lshl_add_u32 v4, v4, 23, v7
	v_or3_b32 v3, v6, v4, v3
.LBB1_11232:
	s_or_b64 exec, exec, s[6:7]
	s_nop 0
	v_mfma_f32_16x16x4f32 a[0:3], v2, v3, a[0:3]
	s_movk_i32 s4, 0x7f
	v_cmp_gt_i16_sdwa s[6:7], v9, s4 src0_sel:BYTE_0 src1_sel:DWORD
	s_mov_b64 s[4:5], 0
                                        ; implicit-def: $sgpr10
	s_and_saveexec_b64 s[8:9], s[6:7]
	s_xor_b64 s[6:7], exec, s[8:9]
	s_cbranch_execz .LBB1_11233
; %bb.47073:
	s_getpc_b64 s[14:15]
.Lpost_getpc9200:
	s_add_u32 s14, s14, (.LBB1_25569-.Lpost_getpc9200)&4294967295
	s_addc_u32 s15, s15, (.LBB1_25569-.Lpost_getpc9200)>>32
	s_setpc_b64 s[14:15]
.LBB1_11233:
	s_or_saveexec_b64 s[6:7], s[6:7]
	v_mov_b32_e32 v2, s10
	s_xor_b64 exec, exec, s[6:7]
	s_cbranch_execz .LBB1_11234
; %bb.47075:
	s_getpc_b64 s[14:15]
.Lpost_getpc9201:
	s_add_u32 s14, s14, (.LBB1_25572-.Lpost_getpc9201)&4294967295
	s_addc_u32 s15, s15, (.LBB1_25572-.Lpost_getpc9201)>>32
	s_setpc_b64 s[14:15]
.LBB1_11234:
	s_or_b64 exec, exec, s[6:7]
	s_and_saveexec_b64 s[6:7], s[4:5]
	s_cbranch_execz .LBB1_11236
.LBB1_11235:
	v_mov_b32_e32 v2, 8
	v_and_b32_e32 v3, 7, v9
	v_lshrrev_b32_sdwa v2, v2, v9 dst_sel:BYTE_1 dst_unused:UNUSED_PAD src0_sel:DWORD src1_sel:DWORD
	v_ffbh_u32_e32 v4, v3
	v_or_b32_sdwa v2, v9, v2 dst_sel:DWORD dst_unused:UNUSED_PAD src0_sel:BYTE_0 src1_sel:DWORD
	v_min_u32_e32 v4, 32, v4
	v_lshrrev_b16_e32 v2, 3, v2
	v_subrev_u32_e32 v6, 28, v4
	v_and_b32_e32 v2, 15, v2
	v_lshlrev_b32_e32 v6, v6, v9
	v_sub_u32_e32 v4, 29, v4
	v_and_b32_e32 v6, 7, v6
	v_cmp_eq_u16_e32 vcc, 0, v2
	v_cndmask_b32_e32 v3, v3, v6, vcc
	v_cndmask_b32_e32 v2, v2, v4, vcc
	v_lshlrev_b32_e32 v4, 24, v9
	v_mov_b32_e32 v6, 0x3b800000
	v_lshlrev_b32_e32 v3, 20, v3
	v_and_b32_e32 v4, 0x80000000, v4
	v_lshl_add_u32 v2, v2, 23, v6
	v_or3_b32 v2, v4, v2, v3
.LBB1_11236:
	s_or_b64 exec, exec, s[6:7]
	s_movk_i32 s4, 0x7f
	v_cmp_gt_i16_sdwa s[6:7], v5, s4 src0_sel:BYTE_0 src1_sel:DWORD
	s_mov_b64 s[4:5], 0
                                        ; implicit-def: $sgpr10
	s_and_saveexec_b64 s[8:9], s[6:7]
	s_xor_b64 s[6:7], exec, s[8:9]
	s_cbranch_execz .LBB1_11237
; %bb.47077:
	s_getpc_b64 s[14:15]
.Lpost_getpc9202:
	s_add_u32 s14, s14, (.LBB1_25573-.Lpost_getpc9202)&4294967295
	s_addc_u32 s15, s15, (.LBB1_25573-.Lpost_getpc9202)>>32
	s_setpc_b64 s[14:15]
.LBB1_11237:
	s_or_saveexec_b64 s[6:7], s[6:7]
	v_mov_b32_e32 v3, s10
	s_xor_b64 exec, exec, s[6:7]
	s_cbranch_execz .LBB1_11238
; %bb.47079:
	s_getpc_b64 s[14:15]
.Lpost_getpc9203:
	s_add_u32 s14, s14, (.LBB1_25576-.Lpost_getpc9203)&4294967295
	s_addc_u32 s15, s15, (.LBB1_25576-.Lpost_getpc9203)>>32
	s_setpc_b64 s[14:15]
.LBB1_11238:
	s_or_b64 exec, exec, s[6:7]
	s_and_saveexec_b64 s[6:7], s[4:5]
	s_cbranch_execz .LBB1_11240
.LBB1_11239:
	v_mov_b32_e32 v3, 8
	v_and_b32_e32 v4, 7, v5
	v_lshrrev_b32_sdwa v3, v3, v5 dst_sel:BYTE_1 dst_unused:UNUSED_PAD src0_sel:DWORD src1_sel:DWORD
	v_ffbh_u32_e32 v6, v4
	v_or_b32_sdwa v3, v5, v3 dst_sel:DWORD dst_unused:UNUSED_PAD src0_sel:BYTE_0 src1_sel:DWORD
	v_min_u32_e32 v6, 32, v6
	v_lshrrev_b16_e32 v3, 3, v3
	v_subrev_u32_e32 v7, 28, v6
	v_and_b32_e32 v3, 15, v3
	v_lshlrev_b32_e32 v7, v7, v5
	v_sub_u32_e32 v6, 29, v6
	v_and_b32_e32 v7, 7, v7
	v_cmp_eq_u16_e32 vcc, 0, v3
	v_cndmask_b32_e32 v4, v4, v7, vcc
	v_cndmask_b32_e32 v3, v3, v6, vcc
	v_lshlrev_b32_e32 v6, 24, v5
	v_mov_b32_e32 v7, 0x3b800000
	v_lshlrev_b32_e32 v4, 20, v4
	v_and_b32_e32 v6, 0x80000000, v6
	v_lshl_add_u32 v3, v3, 23, v7
	v_or3_b32 v3, v6, v3, v4
.LBB1_11240:
	s_or_b64 exec, exec, s[6:7]
	s_nop 0
	v_mfma_f32_16x16x4f32 a[0:3], v2, v3, a[0:3]
	v_lshrrev_b32_e32 v3, 8, v9
	s_movk_i32 s4, 0x7f
	v_cmp_gt_i16_sdwa s[6:7], v3, s4 src0_sel:BYTE_0 src1_sel:DWORD
	s_mov_b64 s[4:5], 0
                                        ; implicit-def: $sgpr10
	s_and_saveexec_b64 s[8:9], s[6:7]
	s_xor_b64 s[6:7], exec, s[8:9]
	s_cbranch_execz .LBB1_11241
; %bb.47081:
	s_getpc_b64 s[14:15]
.Lpost_getpc9204:
	s_add_u32 s14, s14, (.LBB1_25577-.Lpost_getpc9204)&4294967295
	s_addc_u32 s15, s15, (.LBB1_25577-.Lpost_getpc9204)>>32
	s_setpc_b64 s[14:15]
.LBB1_11241:
	s_or_saveexec_b64 s[6:7], s[6:7]
	v_mov_b32_e32 v2, s10
	s_xor_b64 exec, exec, s[6:7]
	s_cbranch_execz .LBB1_11242
; %bb.47083:
	s_getpc_b64 s[14:15]
.Lpost_getpc9205:
	s_add_u32 s14, s14, (.LBB1_25580-.Lpost_getpc9205)&4294967295
	s_addc_u32 s15, s15, (.LBB1_25580-.Lpost_getpc9205)>>32
	s_setpc_b64 s[14:15]
.LBB1_11242:
	s_or_b64 exec, exec, s[6:7]
	s_and_saveexec_b64 s[6:7], s[4:5]
	s_cbranch_execz .LBB1_11244
.LBB1_11243:
	v_bfe_u32 v2, v9, 8, 3
	v_ffbh_u32_e32 v6, v2
	v_min_u32_e32 v6, 32, v6
	v_lshrrev_b16_e32 v4, 3, v3
	v_subrev_u32_e32 v7, 28, v6
	v_and_b32_e32 v4, 15, v4
	v_lshlrev_b32_e32 v3, v7, v3
	v_sub_u32_e32 v6, 29, v6
	v_and_b32_e32 v3, 7, v3
	v_cmp_eq_u16_e32 vcc, 0, v4
	v_cndmask_b32_e32 v2, v2, v3, vcc
	v_cndmask_b32_e32 v3, v4, v6, vcc
	v_lshlrev_b32_e32 v4, 16, v9
	v_mov_b32_e32 v6, 0x3b800000
	v_lshlrev_b32_e32 v2, 20, v2
	v_and_b32_e32 v4, 0x80000000, v4
	v_lshl_add_u32 v3, v3, 23, v6
	v_or3_b32 v2, v4, v3, v2
.LBB1_11244:
	s_or_b64 exec, exec, s[6:7]
	v_lshrrev_b32_e32 v3, 8, v5
	s_movk_i32 s4, 0x7f
	v_cmp_gt_i16_sdwa s[6:7], v3, s4 src0_sel:BYTE_0 src1_sel:DWORD
	s_mov_b64 s[4:5], 0
                                        ; implicit-def: $sgpr10
	s_and_saveexec_b64 s[8:9], s[6:7]
	s_xor_b64 s[6:7], exec, s[8:9]
	s_cbranch_execz .LBB1_11245
; %bb.47085:
	s_getpc_b64 s[14:15]
.Lpost_getpc9206:
	s_add_u32 s14, s14, (.LBB1_25581-.Lpost_getpc9206)&4294967295
	s_addc_u32 s15, s15, (.LBB1_25581-.Lpost_getpc9206)>>32
	s_setpc_b64 s[14:15]
.LBB1_11245:
	s_or_saveexec_b64 s[6:7], s[6:7]
	v_mov_b32_e32 v4, s10
	s_xor_b64 exec, exec, s[6:7]
	s_cbranch_execz .LBB1_11246
; %bb.47087:
	s_getpc_b64 s[14:15]
.Lpost_getpc9207:
	s_add_u32 s14, s14, (.LBB1_25584-.Lpost_getpc9207)&4294967295
	s_addc_u32 s15, s15, (.LBB1_25584-.Lpost_getpc9207)>>32
	s_setpc_b64 s[14:15]
.LBB1_11246:
	s_or_b64 exec, exec, s[6:7]
	s_and_saveexec_b64 s[6:7], s[4:5]
	s_cbranch_execz .LBB1_11248
.LBB1_11247:
	v_bfe_u32 v4, v5, 8, 3
	v_ffbh_u32_e32 v7, v4
	v_min_u32_e32 v7, 32, v7
	v_lshrrev_b16_e32 v6, 3, v3
	v_subrev_u32_e32 v8, 28, v7
	v_and_b32_e32 v6, 15, v6
	v_lshlrev_b32_e32 v3, v8, v3
	v_sub_u32_e32 v7, 29, v7
	v_and_b32_e32 v3, 7, v3
	v_cmp_eq_u16_e32 vcc, 0, v6
	v_cndmask_b32_e32 v3, v4, v3, vcc
	v_cndmask_b32_e32 v4, v6, v7, vcc
	v_lshlrev_b32_e32 v6, 16, v5
	v_mov_b32_e32 v7, 0x3b800000
	v_lshlrev_b32_e32 v3, 20, v3
	v_and_b32_e32 v6, 0x80000000, v6
	v_lshl_add_u32 v4, v4, 23, v7
	v_or3_b32 v4, v6, v4, v3
.LBB1_11248:
	s_or_b64 exec, exec, s[6:7]
	s_nop 0
	v_mfma_f32_16x16x4f32 a[0:3], v2, v4, a[0:3]
	s_movk_i32 s4, 0xff
	v_and_b32_sdwa v3, v9, s4 dst_sel:DWORD dst_unused:UNUSED_PAD src0_sel:WORD_1 src1_sel:DWORD
	s_movk_i32 s4, 0x7f
	v_cmp_lt_i16_e32 vcc, s4, v3
	s_mov_b64 s[4:5], 0
                                        ; implicit-def: $sgpr10
	s_and_saveexec_b64 s[6:7], vcc
	s_xor_b64 s[6:7], exec, s[6:7]
	s_cbranch_execz .LBB1_11249
; %bb.47089:
	s_getpc_b64 s[14:15]
.Lpost_getpc9208:
	s_add_u32 s14, s14, (.LBB1_25585-.Lpost_getpc9208)&4294967295
	s_addc_u32 s15, s15, (.LBB1_25585-.Lpost_getpc9208)>>32
	s_setpc_b64 s[14:15]
.LBB1_11249:
	s_or_saveexec_b64 s[6:7], s[6:7]
	v_mov_b32_e32 v2, s10
	s_xor_b64 exec, exec, s[6:7]
	s_cbranch_execz .LBB1_11250
; %bb.47091:
	s_getpc_b64 s[14:15]
.Lpost_getpc9209:
	s_add_u32 s14, s14, (.LBB1_25588-.Lpost_getpc9209)&4294967295
	s_addc_u32 s15, s15, (.LBB1_25588-.Lpost_getpc9209)>>32
	s_setpc_b64 s[14:15]
.LBB1_11250:
	s_or_b64 exec, exec, s[6:7]
	s_and_saveexec_b64 s[6:7], s[4:5]
	s_cbranch_execz .LBB1_11252
.LBB1_11251:
	v_bfe_u32 v2, v9, 16, 3
	v_ffbh_u32_e32 v6, v2
	v_min_u32_e32 v6, 32, v6
	v_lshrrev_b32_e32 v3, 19, v9
	v_subrev_u32_e32 v7, 28, v6
	v_and_b32_e32 v3, 15, v3
	v_lshlrev_b32_sdwa v7, v7, v9 dst_sel:DWORD dst_unused:UNUSED_PAD src0_sel:DWORD src1_sel:WORD_1
	v_bfe_u32 v4, v9, 19, 4
	v_sub_u32_e32 v6, 29, v6
	v_and_b32_e32 v7, 7, v7
	v_cmp_eq_u16_e32 vcc, 0, v3
	v_cndmask_b32_e32 v2, v2, v7, vcc
	v_cndmask_b32_e32 v3, v4, v6, vcc
	v_lshlrev_b32_e32 v4, 8, v9
	v_mov_b32_e32 v6, 0x3b800000
	v_lshlrev_b32_e32 v2, 20, v2
	v_and_b32_e32 v4, 0x80000000, v4
	v_lshl_add_u32 v3, v3, 23, v6
	v_or3_b32 v2, v4, v3, v2
.LBB1_11252:
	s_or_b64 exec, exec, s[6:7]
	s_movk_i32 s4, 0xff
	v_and_b32_sdwa v3, v5, s4 dst_sel:DWORD dst_unused:UNUSED_PAD src0_sel:WORD_1 src1_sel:DWORD
	s_movk_i32 s4, 0x7f
	v_cmp_lt_i16_e32 vcc, s4, v3
	s_mov_b64 s[4:5], 0
                                        ; implicit-def: $sgpr10
	s_and_saveexec_b64 s[6:7], vcc
	s_xor_b64 s[6:7], exec, s[6:7]
	s_cbranch_execz .LBB1_11253
; %bb.47093:
	s_getpc_b64 s[14:15]
.Lpost_getpc9210:
	s_add_u32 s14, s14, (.LBB1_25589-.Lpost_getpc9210)&4294967295
	s_addc_u32 s15, s15, (.LBB1_25589-.Lpost_getpc9210)>>32
	s_setpc_b64 s[14:15]
.LBB1_11253:
	s_or_saveexec_b64 s[6:7], s[6:7]
	v_mov_b32_e32 v4, s10
	s_xor_b64 exec, exec, s[6:7]
	s_cbranch_execz .LBB1_11254
; %bb.47095:
	s_getpc_b64 s[14:15]
.Lpost_getpc9211:
	s_add_u32 s14, s14, (.LBB1_25592-.Lpost_getpc9211)&4294967295
	s_addc_u32 s15, s15, (.LBB1_25592-.Lpost_getpc9211)>>32
	s_setpc_b64 s[14:15]
.LBB1_11254:
	s_or_b64 exec, exec, s[6:7]
	s_and_saveexec_b64 s[6:7], s[4:5]
	s_cbranch_execz .LBB1_11256
.LBB1_11255:
	v_bfe_u32 v3, v5, 16, 3
	v_ffbh_u32_e32 v7, v3
	v_min_u32_e32 v7, 32, v7
	v_lshrrev_b32_e32 v4, 19, v5
	v_subrev_u32_e32 v8, 28, v7
	v_and_b32_e32 v4, 15, v4
	v_lshlrev_b32_sdwa v8, v8, v5 dst_sel:DWORD dst_unused:UNUSED_PAD src0_sel:DWORD src1_sel:WORD_1
	v_bfe_u32 v6, v5, 19, 4
	v_sub_u32_e32 v7, 29, v7
	v_and_b32_e32 v8, 7, v8
	v_cmp_eq_u16_e32 vcc, 0, v4
	v_cndmask_b32_e32 v3, v3, v8, vcc
	v_cndmask_b32_e32 v4, v6, v7, vcc
	v_lshlrev_b32_e32 v6, 8, v5
	v_mov_b32_e32 v7, 0x3b800000
	v_lshlrev_b32_e32 v3, 20, v3
	v_and_b32_e32 v6, 0x80000000, v6
	v_lshl_add_u32 v4, v4, 23, v7
	v_or3_b32 v4, v6, v4, v3
.LBB1_11256:
	s_or_b64 exec, exec, s[6:7]
	s_nop 0
	v_mfma_f32_16x16x4f32 a[0:3], v2, v4, a[0:3]
	s_movk_i32 s4, 0x7f
	v_cmp_gt_i16_sdwa s[6:7], v9, s4 src0_sel:BYTE_3 src1_sel:DWORD
	s_mov_b64 s[4:5], 0
                                        ; implicit-def: $sgpr10
	s_and_saveexec_b64 s[8:9], s[6:7]
	s_xor_b64 s[6:7], exec, s[8:9]
	s_cbranch_execz .LBB1_11257
; %bb.47097:
	s_getpc_b64 s[14:15]
.Lpost_getpc9212:
	s_add_u32 s14, s14, (.LBB1_25593-.Lpost_getpc9212)&4294967295
	s_addc_u32 s15, s15, (.LBB1_25593-.Lpost_getpc9212)>>32
	s_setpc_b64 s[14:15]
.LBB1_11257:
	s_or_saveexec_b64 s[6:7], s[6:7]
	v_mov_b32_e32 v2, s10
	s_xor_b64 exec, exec, s[6:7]
	s_cbranch_execz .LBB1_11258
; %bb.47099:
	s_getpc_b64 s[14:15]
.Lpost_getpc9213:
	s_add_u32 s14, s14, (.LBB1_25596-.Lpost_getpc9213)&4294967295
	s_addc_u32 s15, s15, (.LBB1_25596-.Lpost_getpc9213)>>32
	s_setpc_b64 s[14:15]
.LBB1_11258:
	s_or_b64 exec, exec, s[6:7]
	s_and_saveexec_b64 s[6:7], s[4:5]
	s_cbranch_execz .LBB1_11260
.LBB1_11259:
	v_bfe_u32 v2, v9, 24, 3
	v_ffbh_u32_e32 v7, v2
	v_min_u32_e32 v7, 32, v7
	v_lshrrev_b32_e32 v4, 27, v9
	v_subrev_u32_e32 v8, 28, v7
	v_and_b32_e32 v4, 15, v4
	v_lshlrev_b32_sdwa v8, v8, v9 dst_sel:DWORD dst_unused:UNUSED_PAD src0_sel:DWORD src1_sel:BYTE_3
	v_bfe_u32 v6, v9, 27, 4
	v_sub_u32_e32 v7, 29, v7
	v_and_b32_e32 v8, 7, v8
	v_cmp_eq_u16_e32 vcc, 0, v4
	v_cndmask_b32_e32 v2, v2, v8, vcc
	v_cndmask_b32_e32 v4, v6, v7, vcc
	v_mov_b32_e32 v6, 0x3b800000
	v_and_b32_e32 v3, 0x80000000, v9
	v_lshlrev_b32_e32 v2, 20, v2
	v_lshl_add_u32 v4, v4, 23, v6
	v_or3_b32 v2, v3, v4, v2
.LBB1_11260:
	s_or_b64 exec, exec, s[6:7]
	s_movk_i32 s4, 0x7f
	v_cmp_gt_i16_sdwa s[6:7], v5, s4 src0_sel:BYTE_3 src1_sel:DWORD
	s_mov_b64 s[4:5], 0
                                        ; implicit-def: $sgpr10
	s_and_saveexec_b64 s[8:9], s[6:7]
	s_xor_b64 s[6:7], exec, s[8:9]
	s_cbranch_execz .LBB1_11261
; %bb.47101:
	s_getpc_b64 s[14:15]
.Lpost_getpc9214:
	s_add_u32 s14, s14, (.LBB1_25597-.Lpost_getpc9214)&4294967295
	s_addc_u32 s15, s15, (.LBB1_25597-.Lpost_getpc9214)>>32
	s_setpc_b64 s[14:15]
.LBB1_11261:
	s_or_saveexec_b64 s[6:7], s[6:7]
	v_mov_b32_e32 v3, s10
	s_xor_b64 exec, exec, s[6:7]
	s_cbranch_execz .LBB1_11262
; %bb.47103:
	s_getpc_b64 s[14:15]
.Lpost_getpc9215:
	s_add_u32 s14, s14, (.LBB1_25600-.Lpost_getpc9215)&4294967295
	s_addc_u32 s15, s15, (.LBB1_25600-.Lpost_getpc9215)>>32
	s_setpc_b64 s[14:15]
.LBB1_11262:
	s_or_b64 exec, exec, s[6:7]
	s_and_saveexec_b64 s[6:7], s[4:5]
	s_cbranch_execz .LBB1_11264
.LBB1_11263:
	v_bfe_u32 v3, v5, 24, 3
	v_ffbh_u32_e32 v8, v3
	v_min_u32_e32 v8, 32, v8
	v_lshrrev_b32_e32 v6, 27, v5
	v_subrev_u32_e32 v9, 28, v8
	v_and_b32_e32 v4, 0x80000000, v5
	v_and_b32_e32 v6, 15, v6
	v_bfe_u32 v7, v5, 27, 4
	v_lshlrev_b32_sdwa v5, v9, v5 dst_sel:DWORD dst_unused:UNUSED_PAD src0_sel:DWORD src1_sel:BYTE_3
	v_sub_u32_e32 v8, 29, v8
	v_and_b32_e32 v5, 7, v5
	v_cmp_eq_u16_e32 vcc, 0, v6
	v_cndmask_b32_e32 v3, v3, v5, vcc
	v_cndmask_b32_e32 v5, v7, v8, vcc
	v_mov_b32_e32 v6, 0x3b800000
	v_lshlrev_b32_e32 v3, 20, v3
	v_lshl_add_u32 v5, v5, 23, v6
	v_or3_b32 v3, v4, v5, v3
.LBB1_11264:
	s_or_b64 exec, exec, s[6:7]
	s_nop 0
	v_mfma_f32_16x16x4f32 a[0:3], v2, v3, a[0:3]
	s_movk_i32 s4, 0x7f
                                        ; implicit-def: $sgpr10
	s_nop 7
	s_nop 1
	flat_store_dwordx4 v[10:11], a[0:3] offset:496
	flat_load_dwordx4 v[12:15], v[0:1]
	s_nop 0
	flat_load_dwordx2 v[10:11], v[0:1] offset:16
	s_waitcnt vmcnt(0) lgkmcnt(0)
	flat_load_dwordx4 v[6:9], v[12:13] offset:176
	flat_load_dwordx4 v[2:5], v[14:15] offset:128
	s_waitcnt vmcnt(0) lgkmcnt(0)
	v_cmp_gt_i16_sdwa s[6:7], v6, s4 src0_sel:BYTE_0 src1_sel:DWORD
	s_mov_b64 s[4:5], 0
	s_and_saveexec_b64 s[8:9], s[6:7]
	s_xor_b64 s[6:7], exec, s[8:9]
	s_cbranch_execz .LBB1_11265
; %bb.47105:
	s_getpc_b64 s[14:15]
.Lpost_getpc9216:
	s_add_u32 s14, s14, (.LBB1_25601-.Lpost_getpc9216)&4294967295
	s_addc_u32 s15, s15, (.LBB1_25601-.Lpost_getpc9216)>>32
	s_setpc_b64 s[14:15]
.LBB1_11265:
	s_or_saveexec_b64 s[6:7], s[6:7]
	v_mov_b32_e32 v12, s10
	s_xor_b64 exec, exec, s[6:7]
	s_cbranch_execz .LBB1_11266
; %bb.47107:
	s_getpc_b64 s[14:15]
.Lpost_getpc9217:
	s_add_u32 s14, s14, (.LBB1_25604-.Lpost_getpc9217)&4294967295
	s_addc_u32 s15, s15, (.LBB1_25604-.Lpost_getpc9217)>>32
	s_setpc_b64 s[14:15]
.LBB1_11266:
	s_or_b64 exec, exec, s[6:7]
	s_and_saveexec_b64 s[6:7], s[4:5]
	s_cbranch_execz .LBB1_11268
.LBB1_11267:
	v_and_b32_e32 v12, 7, v6
	v_ffbh_u32_e32 v14, v12
	v_min_u32_e32 v14, 32, v14
	v_lshrrev_b16_e32 v13, 3, v6
	v_subrev_u32_e32 v15, 28, v14
	v_and_b32_e32 v13, 15, v13
	v_lshlrev_b32_e32 v15, v15, v6
	v_sub_u32_e32 v14, 29, v14
	v_and_b32_e32 v15, 7, v15
	v_cmp_eq_u16_e32 vcc, 0, v13
	v_cndmask_b32_e32 v12, v12, v15, vcc
	v_cndmask_b32_e32 v13, v13, v14, vcc
	v_lshlrev_b32_e32 v14, 24, v6
	v_mov_b32_e32 v15, 0x3b800000
	v_lshlrev_b32_e32 v12, 20, v12
	v_and_b32_e32 v14, 0x80000000, v14
	v_lshl_add_u32 v13, v13, 23, v15
	v_or3_b32 v12, v14, v13, v12
.LBB1_11268:
	s_or_b64 exec, exec, s[6:7]
	s_movk_i32 s4, 0x7f
	v_cmp_gt_i16_sdwa s[6:7], v2, s4 src0_sel:BYTE_0 src1_sel:DWORD
	s_mov_b64 s[4:5], 0
                                        ; implicit-def: $sgpr10
	s_and_saveexec_b64 s[8:9], s[6:7]
	s_xor_b64 s[6:7], exec, s[8:9]
	s_cbranch_execz .LBB1_11269
; %bb.47109:
	s_getpc_b64 s[14:15]
.Lpost_getpc9218:
	s_add_u32 s14, s14, (.LBB1_25605-.Lpost_getpc9218)&4294967295
	s_addc_u32 s15, s15, (.LBB1_25605-.Lpost_getpc9218)>>32
	s_setpc_b64 s[14:15]
.LBB1_11269:
	s_or_saveexec_b64 s[6:7], s[6:7]
	v_mov_b32_e32 v13, s10
	s_xor_b64 exec, exec, s[6:7]
	s_cbranch_execz .LBB1_11270
; %bb.47111:
	s_getpc_b64 s[14:15]
.Lpost_getpc9219:
	s_add_u32 s14, s14, (.LBB1_25608-.Lpost_getpc9219)&4294967295
	s_addc_u32 s15, s15, (.LBB1_25608-.Lpost_getpc9219)>>32
	s_setpc_b64 s[14:15]
.LBB1_11270:
	s_or_b64 exec, exec, s[6:7]
	s_and_saveexec_b64 s[6:7], s[4:5]
	s_cbranch_execz .LBB1_11272
.LBB1_11271:
	v_and_b32_e32 v13, 7, v2
	v_ffbh_u32_e32 v15, v13
	v_min_u32_e32 v15, 32, v15
	v_lshrrev_b16_e32 v14, 3, v2
	v_subrev_u32_e32 v16, 28, v15
	v_and_b32_e32 v14, 15, v14
	v_lshlrev_b32_e32 v16, v16, v2
	v_sub_u32_e32 v15, 29, v15
	v_and_b32_e32 v16, 7, v16
	v_cmp_eq_u16_e32 vcc, 0, v14
	v_cndmask_b32_e32 v13, v13, v16, vcc
	v_cndmask_b32_e32 v14, v14, v15, vcc
	v_lshlrev_b32_e32 v15, 24, v2
	v_mov_b32_e32 v16, 0x3b800000
	v_lshlrev_b32_e32 v13, 20, v13
	v_and_b32_e32 v15, 0x80000000, v15
	v_lshl_add_u32 v14, v14, 23, v16
	v_or3_b32 v13, v15, v14, v13
.LBB1_11272:
	s_or_b64 exec, exec, s[6:7]
	flat_load_dwordx4 a[0:3], v[10:11] offset:512
	s_movk_i32 s4, 0x7f
                                        ; implicit-def: $sgpr10
	s_waitcnt vmcnt(0) lgkmcnt(0)
	v_mfma_f32_16x16x4f32 a[0:3], v12, v13, a[0:3]
	v_lshrrev_b32_e32 v13, 8, v6
	v_cmp_gt_i16_sdwa s[6:7], v13, s4 src0_sel:BYTE_0 src1_sel:DWORD
	s_mov_b64 s[4:5], 0
	s_and_saveexec_b64 s[8:9], s[6:7]
	s_xor_b64 s[6:7], exec, s[8:9]
	s_cbranch_execz .LBB1_11273
; %bb.47113:
	s_getpc_b64 s[14:15]
.Lpost_getpc9220:
	s_add_u32 s14, s14, (.LBB1_25609-.Lpost_getpc9220)&4294967295
	s_addc_u32 s15, s15, (.LBB1_25609-.Lpost_getpc9220)>>32
	s_setpc_b64 s[14:15]
.LBB1_11273:
	s_or_saveexec_b64 s[6:7], s[6:7]
	v_mov_b32_e32 v12, s10
	s_xor_b64 exec, exec, s[6:7]
	s_cbranch_execz .LBB1_11274
; %bb.47115:
	s_getpc_b64 s[14:15]
.Lpost_getpc9221:
	s_add_u32 s14, s14, (.LBB1_25612-.Lpost_getpc9221)&4294967295
	s_addc_u32 s15, s15, (.LBB1_25612-.Lpost_getpc9221)>>32
	s_setpc_b64 s[14:15]
.LBB1_11274:
	s_or_b64 exec, exec, s[6:7]
	s_and_saveexec_b64 s[6:7], s[4:5]
	s_cbranch_execz .LBB1_11276
.LBB1_11275:
	v_bfe_u32 v12, v6, 8, 3
	v_ffbh_u32_e32 v15, v12
	v_min_u32_e32 v15, 32, v15
	v_lshrrev_b16_e32 v14, 3, v13
	v_subrev_u32_e32 v16, 28, v15
	v_and_b32_e32 v14, 15, v14
	v_lshlrev_b32_e32 v13, v16, v13
	v_sub_u32_e32 v15, 29, v15
	v_and_b32_e32 v13, 7, v13
	v_cmp_eq_u16_e32 vcc, 0, v14
	v_cndmask_b32_e32 v12, v12, v13, vcc
	v_cndmask_b32_e32 v13, v14, v15, vcc
	v_lshlrev_b32_e32 v14, 16, v6
	v_mov_b32_e32 v15, 0x3b800000
	v_lshlrev_b32_e32 v12, 20, v12
	v_and_b32_e32 v14, 0x80000000, v14
	v_lshl_add_u32 v13, v13, 23, v15
	v_or3_b32 v12, v14, v13, v12
.LBB1_11276:
	s_or_b64 exec, exec, s[6:7]
	v_lshrrev_b32_e32 v13, 8, v2
	s_movk_i32 s4, 0x7f
	v_cmp_gt_i16_sdwa s[6:7], v13, s4 src0_sel:BYTE_0 src1_sel:DWORD
	s_mov_b64 s[4:5], 0
                                        ; implicit-def: $sgpr10
	s_and_saveexec_b64 s[8:9], s[6:7]
	s_xor_b64 s[6:7], exec, s[8:9]
	s_cbranch_execz .LBB1_11277
; %bb.47117:
	s_getpc_b64 s[14:15]
.Lpost_getpc9222:
	s_add_u32 s14, s14, (.LBB1_25613-.Lpost_getpc9222)&4294967295
	s_addc_u32 s15, s15, (.LBB1_25613-.Lpost_getpc9222)>>32
	s_setpc_b64 s[14:15]
.LBB1_11277:
	s_or_saveexec_b64 s[6:7], s[6:7]
	v_mov_b32_e32 v14, s10
	s_xor_b64 exec, exec, s[6:7]
	s_cbranch_execz .LBB1_11278
; %bb.47119:
	s_getpc_b64 s[14:15]
.Lpost_getpc9223:
	s_add_u32 s14, s14, (.LBB1_25616-.Lpost_getpc9223)&4294967295
	s_addc_u32 s15, s15, (.LBB1_25616-.Lpost_getpc9223)>>32
	s_setpc_b64 s[14:15]
.LBB1_11278:
	s_or_b64 exec, exec, s[6:7]
	s_and_saveexec_b64 s[6:7], s[4:5]
	s_cbranch_execz .LBB1_11280
.LBB1_11279:
	v_bfe_u32 v14, v2, 8, 3
	v_ffbh_u32_e32 v16, v14
	v_min_u32_e32 v16, 32, v16
	v_lshrrev_b16_e32 v15, 3, v13
	v_subrev_u32_e32 v17, 28, v16
	v_and_b32_e32 v15, 15, v15
	v_lshlrev_b32_e32 v13, v17, v13
	v_sub_u32_e32 v16, 29, v16
	v_and_b32_e32 v13, 7, v13
	v_cmp_eq_u16_e32 vcc, 0, v15
	v_cndmask_b32_e32 v13, v14, v13, vcc
	v_cndmask_b32_e32 v14, v15, v16, vcc
	v_lshlrev_b32_e32 v15, 16, v2
	v_mov_b32_e32 v16, 0x3b800000
	v_lshlrev_b32_e32 v13, 20, v13
	v_and_b32_e32 v15, 0x80000000, v15
	v_lshl_add_u32 v14, v14, 23, v16
	v_or3_b32 v14, v15, v14, v13
.LBB1_11280:
	s_or_b64 exec, exec, s[6:7]
	s_nop 0
	v_mfma_f32_16x16x4f32 a[0:3], v12, v14, a[0:3]
	s_movk_i32 s4, 0xff
	v_and_b32_sdwa v13, v6, s4 dst_sel:DWORD dst_unused:UNUSED_PAD src0_sel:WORD_1 src1_sel:DWORD
	s_movk_i32 s4, 0x7f
	v_cmp_lt_i16_e32 vcc, s4, v13
	s_mov_b64 s[4:5], 0
                                        ; implicit-def: $sgpr10
	s_and_saveexec_b64 s[6:7], vcc
	s_xor_b64 s[6:7], exec, s[6:7]
	s_cbranch_execz .LBB1_11281
; %bb.47121:
	s_getpc_b64 s[14:15]
.Lpost_getpc9224:
	s_add_u32 s14, s14, (.LBB1_25617-.Lpost_getpc9224)&4294967295
	s_addc_u32 s15, s15, (.LBB1_25617-.Lpost_getpc9224)>>32
	s_setpc_b64 s[14:15]
.LBB1_11281:
	s_or_saveexec_b64 s[6:7], s[6:7]
	v_mov_b32_e32 v12, s10
	s_xor_b64 exec, exec, s[6:7]
	s_cbranch_execz .LBB1_11282
; %bb.47123:
	s_getpc_b64 s[14:15]
.Lpost_getpc9225:
	s_add_u32 s14, s14, (.LBB1_25620-.Lpost_getpc9225)&4294967295
	s_addc_u32 s15, s15, (.LBB1_25620-.Lpost_getpc9225)>>32
	s_setpc_b64 s[14:15]
.LBB1_11282:
	s_or_b64 exec, exec, s[6:7]
	s_and_saveexec_b64 s[6:7], s[4:5]
	s_cbranch_execz .LBB1_11284
.LBB1_11283:
	v_bfe_u32 v12, v6, 16, 3
	v_ffbh_u32_e32 v15, v12
	v_min_u32_e32 v15, 32, v15
	v_lshrrev_b32_e32 v13, 19, v6
	v_subrev_u32_e32 v16, 28, v15
	v_and_b32_e32 v13, 15, v13
	v_lshlrev_b32_sdwa v16, v16, v6 dst_sel:DWORD dst_unused:UNUSED_PAD src0_sel:DWORD src1_sel:WORD_1
	v_bfe_u32 v14, v6, 19, 4
	v_sub_u32_e32 v15, 29, v15
	v_and_b32_e32 v16, 7, v16
	v_cmp_eq_u16_e32 vcc, 0, v13
	v_cndmask_b32_e32 v12, v12, v16, vcc
	v_cndmask_b32_e32 v13, v14, v15, vcc
	v_lshlrev_b32_e32 v14, 8, v6
	v_mov_b32_e32 v15, 0x3b800000
	v_lshlrev_b32_e32 v12, 20, v12
	v_and_b32_e32 v14, 0x80000000, v14
	v_lshl_add_u32 v13, v13, 23, v15
	v_or3_b32 v12, v14, v13, v12
.LBB1_11284:
	s_or_b64 exec, exec, s[6:7]
	s_movk_i32 s4, 0xff
	v_and_b32_sdwa v13, v2, s4 dst_sel:DWORD dst_unused:UNUSED_PAD src0_sel:WORD_1 src1_sel:DWORD
	s_movk_i32 s4, 0x7f
	v_cmp_lt_i16_e32 vcc, s4, v13
	s_mov_b64 s[4:5], 0
                                        ; implicit-def: $sgpr10
	s_and_saveexec_b64 s[6:7], vcc
	s_xor_b64 s[6:7], exec, s[6:7]
	s_cbranch_execz .LBB1_11285
; %bb.47125:
	s_getpc_b64 s[14:15]
.Lpost_getpc9226:
	s_add_u32 s14, s14, (.LBB1_25621-.Lpost_getpc9226)&4294967295
	s_addc_u32 s15, s15, (.LBB1_25621-.Lpost_getpc9226)>>32
	s_setpc_b64 s[14:15]
.LBB1_11285:
	s_or_saveexec_b64 s[6:7], s[6:7]
	v_mov_b32_e32 v14, s10
	s_xor_b64 exec, exec, s[6:7]
	s_cbranch_execz .LBB1_11286
; %bb.47127:
	s_getpc_b64 s[14:15]
.Lpost_getpc9227:
	s_add_u32 s14, s14, (.LBB1_25624-.Lpost_getpc9227)&4294967295
	s_addc_u32 s15, s15, (.LBB1_25624-.Lpost_getpc9227)>>32
	s_setpc_b64 s[14:15]
.LBB1_11286:
	s_or_b64 exec, exec, s[6:7]
	s_and_saveexec_b64 s[6:7], s[4:5]
	s_cbranch_execz .LBB1_11288
.LBB1_11287:
	v_bfe_u32 v13, v2, 16, 3
	v_ffbh_u32_e32 v16, v13
	v_min_u32_e32 v16, 32, v16
	v_lshrrev_b32_e32 v14, 19, v2
	v_subrev_u32_e32 v17, 28, v16
	v_and_b32_e32 v14, 15, v14
	v_lshlrev_b32_sdwa v17, v17, v2 dst_sel:DWORD dst_unused:UNUSED_PAD src0_sel:DWORD src1_sel:WORD_1
	v_bfe_u32 v15, v2, 19, 4
	v_sub_u32_e32 v16, 29, v16
	v_and_b32_e32 v17, 7, v17
	v_cmp_eq_u16_e32 vcc, 0, v14
	v_cndmask_b32_e32 v13, v13, v17, vcc
	v_cndmask_b32_e32 v14, v15, v16, vcc
	v_lshlrev_b32_e32 v15, 8, v2
	v_mov_b32_e32 v16, 0x3b800000
	v_lshlrev_b32_e32 v13, 20, v13
	v_and_b32_e32 v15, 0x80000000, v15
	v_lshl_add_u32 v14, v14, 23, v16
	v_or3_b32 v14, v15, v14, v13
.LBB1_11288:
	s_or_b64 exec, exec, s[6:7]
	s_nop 0
	v_mfma_f32_16x16x4f32 a[0:3], v12, v14, a[0:3]
	s_movk_i32 s4, 0x7f
	v_cmp_gt_i16_sdwa s[6:7], v6, s4 src0_sel:BYTE_3 src1_sel:DWORD
	s_mov_b64 s[4:5], 0
                                        ; implicit-def: $sgpr10
	s_and_saveexec_b64 s[8:9], s[6:7]
	s_xor_b64 s[6:7], exec, s[8:9]
	s_cbranch_execz .LBB1_11289
; %bb.47129:
	s_getpc_b64 s[14:15]
.Lpost_getpc9228:
	s_add_u32 s14, s14, (.LBB1_25625-.Lpost_getpc9228)&4294967295
	s_addc_u32 s15, s15, (.LBB1_25625-.Lpost_getpc9228)>>32
	s_setpc_b64 s[14:15]
.LBB1_11289:
	s_or_saveexec_b64 s[6:7], s[6:7]
	v_mov_b32_e32 v12, s10
	s_xor_b64 exec, exec, s[6:7]
	s_cbranch_execz .LBB1_11290
; %bb.47131:
	s_getpc_b64 s[14:15]
.Lpost_getpc9229:
	s_add_u32 s14, s14, (.LBB1_25628-.Lpost_getpc9229)&4294967295
	s_addc_u32 s15, s15, (.LBB1_25628-.Lpost_getpc9229)>>32
	s_setpc_b64 s[14:15]
.LBB1_11290:
	s_or_b64 exec, exec, s[6:7]
	s_and_saveexec_b64 s[6:7], s[4:5]
	s_cbranch_execz .LBB1_11292
.LBB1_11291:
	v_bfe_u32 v12, v6, 24, 3
	v_ffbh_u32_e32 v16, v12
	v_min_u32_e32 v16, 32, v16
	v_lshrrev_b32_e32 v14, 27, v6
	v_subrev_u32_e32 v17, 28, v16
	v_and_b32_e32 v13, 0x80000000, v6
	v_and_b32_e32 v14, 15, v14
	v_bfe_u32 v15, v6, 27, 4
	v_lshlrev_b32_sdwa v6, v17, v6 dst_sel:DWORD dst_unused:UNUSED_PAD src0_sel:DWORD src1_sel:BYTE_3
	v_sub_u32_e32 v16, 29, v16
	v_and_b32_e32 v6, 7, v6
	v_cmp_eq_u16_e32 vcc, 0, v14
	v_cndmask_b32_e32 v6, v12, v6, vcc
	v_cndmask_b32_e32 v12, v15, v16, vcc
	v_mov_b32_e32 v14, 0x3b800000
	v_lshlrev_b32_e32 v6, 20, v6
	v_lshl_add_u32 v12, v12, 23, v14
	v_or3_b32 v12, v13, v12, v6
.LBB1_11292:
	s_or_b64 exec, exec, s[6:7]
	s_movk_i32 s4, 0x7f
	v_cmp_gt_i16_sdwa s[6:7], v2, s4 src0_sel:BYTE_3 src1_sel:DWORD
	s_mov_b64 s[4:5], 0
                                        ; implicit-def: $sgpr10
	s_and_saveexec_b64 s[8:9], s[6:7]
	s_xor_b64 s[6:7], exec, s[8:9]
	s_cbranch_execz .LBB1_11293
; %bb.47133:
	s_getpc_b64 s[14:15]
.Lpost_getpc9230:
	s_add_u32 s14, s14, (.LBB1_25629-.Lpost_getpc9230)&4294967295
	s_addc_u32 s15, s15, (.LBB1_25629-.Lpost_getpc9230)>>32
	s_setpc_b64 s[14:15]
.LBB1_11293:
	s_or_saveexec_b64 s[6:7], s[6:7]
	v_mov_b32_e32 v6, s10
	s_xor_b64 exec, exec, s[6:7]
	s_cbranch_execz .LBB1_11294
; %bb.47135:
	s_getpc_b64 s[14:15]
.Lpost_getpc9231:
	s_add_u32 s14, s14, (.LBB1_25632-.Lpost_getpc9231)&4294967295
	s_addc_u32 s15, s15, (.LBB1_25632-.Lpost_getpc9231)>>32
	s_setpc_b64 s[14:15]
.LBB1_11294:
	s_or_b64 exec, exec, s[6:7]
	s_and_saveexec_b64 s[6:7], s[4:5]
	s_cbranch_execz .LBB1_11296
.LBB1_11295:
	v_bfe_u32 v6, v2, 24, 3
	v_ffbh_u32_e32 v16, v6
	v_min_u32_e32 v16, 32, v16
	v_lshrrev_b32_e32 v14, 27, v2
	v_subrev_u32_e32 v17, 28, v16
	v_and_b32_e32 v13, 0x80000000, v2
	v_and_b32_e32 v14, 15, v14
	v_bfe_u32 v15, v2, 27, 4
	v_lshlrev_b32_sdwa v2, v17, v2 dst_sel:DWORD dst_unused:UNUSED_PAD src0_sel:DWORD src1_sel:BYTE_3
	v_sub_u32_e32 v16, 29, v16
	v_and_b32_e32 v2, 7, v2
	v_cmp_eq_u16_e32 vcc, 0, v14
	v_cndmask_b32_e32 v2, v6, v2, vcc
	v_cndmask_b32_e32 v6, v15, v16, vcc
	v_mov_b32_e32 v14, 0x3b800000
	v_lshlrev_b32_e32 v2, 20, v2
	v_lshl_add_u32 v6, v6, 23, v14
	v_or3_b32 v6, v13, v6, v2
.LBB1_11296:
	s_or_b64 exec, exec, s[6:7]
	s_nop 0
	v_mfma_f32_16x16x4f32 a[0:3], v12, v6, a[0:3]
	s_movk_i32 s4, 0x7f
	v_cmp_gt_i16_sdwa s[6:7], v7, s4 src0_sel:BYTE_0 src1_sel:DWORD
	s_mov_b64 s[4:5], 0
                                        ; implicit-def: $sgpr10
	s_and_saveexec_b64 s[8:9], s[6:7]
	s_xor_b64 s[6:7], exec, s[8:9]
	s_cbranch_execz .LBB1_11297
; %bb.47137:
	s_getpc_b64 s[14:15]
.Lpost_getpc9232:
	s_add_u32 s14, s14, (.LBB1_25633-.Lpost_getpc9232)&4294967295
	s_addc_u32 s15, s15, (.LBB1_25633-.Lpost_getpc9232)>>32
	s_setpc_b64 s[14:15]
.LBB1_11297:
	s_or_saveexec_b64 s[6:7], s[6:7]
	v_mov_b32_e32 v2, s10
	s_xor_b64 exec, exec, s[6:7]
	s_cbranch_execz .LBB1_11298
; %bb.47139:
	s_getpc_b64 s[14:15]
.Lpost_getpc9233:
	s_add_u32 s14, s14, (.LBB1_25636-.Lpost_getpc9233)&4294967295
	s_addc_u32 s15, s15, (.LBB1_25636-.Lpost_getpc9233)>>32
	s_setpc_b64 s[14:15]
.LBB1_11298:
	s_or_b64 exec, exec, s[6:7]
	s_and_saveexec_b64 s[6:7], s[4:5]
	s_cbranch_execz .LBB1_11300
.LBB1_11299:
	v_and_b32_e32 v2, 7, v7
	v_ffbh_u32_e32 v12, v2
	v_min_u32_e32 v12, 32, v12
	v_lshrrev_b16_e32 v6, 3, v7
	v_subrev_u32_e32 v13, 28, v12
	v_and_b32_e32 v6, 15, v6
	v_lshlrev_b32_e32 v13, v13, v7
	v_sub_u32_e32 v12, 29, v12
	v_and_b32_e32 v13, 7, v13
	v_cmp_eq_u16_e32 vcc, 0, v6
	v_cndmask_b32_e32 v2, v2, v13, vcc
	v_cndmask_b32_e32 v6, v6, v12, vcc
	v_lshlrev_b32_e32 v12, 24, v7
	v_mov_b32_e32 v13, 0x3b800000
	v_lshlrev_b32_e32 v2, 20, v2
	v_and_b32_e32 v12, 0x80000000, v12
	v_lshl_add_u32 v6, v6, 23, v13
	v_or3_b32 v2, v12, v6, v2
.LBB1_11300:
	s_or_b64 exec, exec, s[6:7]
	s_movk_i32 s4, 0x7f
	v_cmp_gt_i16_sdwa s[6:7], v3, s4 src0_sel:BYTE_0 src1_sel:DWORD
	s_mov_b64 s[4:5], 0
                                        ; implicit-def: $sgpr10
	s_and_saveexec_b64 s[8:9], s[6:7]
	s_xor_b64 s[6:7], exec, s[8:9]
	s_cbranch_execz .LBB1_11301
; %bb.47141:
	s_getpc_b64 s[14:15]
.Lpost_getpc9234:
	s_add_u32 s14, s14, (.LBB1_25637-.Lpost_getpc9234)&4294967295
	s_addc_u32 s15, s15, (.LBB1_25637-.Lpost_getpc9234)>>32
	s_setpc_b64 s[14:15]
.LBB1_11301:
	s_or_saveexec_b64 s[6:7], s[6:7]
	v_mov_b32_e32 v6, s10
	s_xor_b64 exec, exec, s[6:7]
	s_cbranch_execz .LBB1_11302
; %bb.47143:
	s_getpc_b64 s[14:15]
.Lpost_getpc9235:
	s_add_u32 s14, s14, (.LBB1_25640-.Lpost_getpc9235)&4294967295
	s_addc_u32 s15, s15, (.LBB1_25640-.Lpost_getpc9235)>>32
	s_setpc_b64 s[14:15]
.LBB1_11302:
	s_or_b64 exec, exec, s[6:7]
	s_and_saveexec_b64 s[6:7], s[4:5]
	s_cbranch_execz .LBB1_11304
.LBB1_11303:
	v_and_b32_e32 v6, 7, v3
	v_ffbh_u32_e32 v13, v6
	v_min_u32_e32 v13, 32, v13
	v_lshrrev_b16_e32 v12, 3, v3
	v_subrev_u32_e32 v14, 28, v13
	v_and_b32_e32 v12, 15, v12
	v_lshlrev_b32_e32 v14, v14, v3
	v_sub_u32_e32 v13, 29, v13
	v_and_b32_e32 v14, 7, v14
	v_cmp_eq_u16_e32 vcc, 0, v12
	v_cndmask_b32_e32 v6, v6, v14, vcc
	v_cndmask_b32_e32 v12, v12, v13, vcc
	v_lshlrev_b32_e32 v13, 24, v3
	v_mov_b32_e32 v14, 0x3b800000
	v_lshlrev_b32_e32 v6, 20, v6
	v_and_b32_e32 v13, 0x80000000, v13
	v_lshl_add_u32 v12, v12, 23, v14
	v_or3_b32 v6, v13, v12, v6
.LBB1_11304:
	s_or_b64 exec, exec, s[6:7]
	s_nop 0
	v_mfma_f32_16x16x4f32 a[0:3], v2, v6, a[0:3]
	v_lshrrev_b32_e32 v6, 8, v7
	s_movk_i32 s4, 0x7f
	v_cmp_gt_i16_sdwa s[6:7], v6, s4 src0_sel:BYTE_0 src1_sel:DWORD
	s_mov_b64 s[4:5], 0
                                        ; implicit-def: $sgpr10
	s_and_saveexec_b64 s[8:9], s[6:7]
	s_xor_b64 s[6:7], exec, s[8:9]
	s_cbranch_execz .LBB1_11305
; %bb.47145:
	s_getpc_b64 s[14:15]
.Lpost_getpc9236:
	s_add_u32 s14, s14, (.LBB1_25641-.Lpost_getpc9236)&4294967295
	s_addc_u32 s15, s15, (.LBB1_25641-.Lpost_getpc9236)>>32
	s_setpc_b64 s[14:15]
.LBB1_11305:
	s_or_saveexec_b64 s[6:7], s[6:7]
	v_mov_b32_e32 v2, s10
	s_xor_b64 exec, exec, s[6:7]
	s_cbranch_execz .LBB1_11306
; %bb.47147:
	s_getpc_b64 s[14:15]
.Lpost_getpc9237:
	s_add_u32 s14, s14, (.LBB1_25644-.Lpost_getpc9237)&4294967295
	s_addc_u32 s15, s15, (.LBB1_25644-.Lpost_getpc9237)>>32
	s_setpc_b64 s[14:15]
.LBB1_11306:
	s_or_b64 exec, exec, s[6:7]
	s_and_saveexec_b64 s[6:7], s[4:5]
	s_cbranch_execz .LBB1_11308
.LBB1_11307:
	v_bfe_u32 v2, v7, 8, 3
	v_ffbh_u32_e32 v13, v2
	v_min_u32_e32 v13, 32, v13
	v_lshrrev_b16_e32 v12, 3, v6
	v_subrev_u32_e32 v14, 28, v13
	v_and_b32_e32 v12, 15, v12
	v_lshlrev_b32_e32 v6, v14, v6
	v_sub_u32_e32 v13, 29, v13
	v_and_b32_e32 v6, 7, v6
	v_cmp_eq_u16_e32 vcc, 0, v12
	v_cndmask_b32_e32 v2, v2, v6, vcc
	v_cndmask_b32_e32 v6, v12, v13, vcc
	v_lshlrev_b32_e32 v12, 16, v7
	v_mov_b32_e32 v13, 0x3b800000
	v_lshlrev_b32_e32 v2, 20, v2
	v_and_b32_e32 v12, 0x80000000, v12
	v_lshl_add_u32 v6, v6, 23, v13
	v_or3_b32 v2, v12, v6, v2
.LBB1_11308:
	s_or_b64 exec, exec, s[6:7]
	v_lshrrev_b32_e32 v6, 8, v3
	s_movk_i32 s4, 0x7f
	v_cmp_gt_i16_sdwa s[6:7], v6, s4 src0_sel:BYTE_0 src1_sel:DWORD
	s_mov_b64 s[4:5], 0
                                        ; implicit-def: $sgpr10
	s_and_saveexec_b64 s[8:9], s[6:7]
	s_xor_b64 s[6:7], exec, s[8:9]
	s_cbranch_execz .LBB1_11309
; %bb.47149:
	s_getpc_b64 s[14:15]
.Lpost_getpc9238:
	s_add_u32 s14, s14, (.LBB1_25645-.Lpost_getpc9238)&4294967295
	s_addc_u32 s15, s15, (.LBB1_25645-.Lpost_getpc9238)>>32
	s_setpc_b64 s[14:15]
.LBB1_11309:
	s_or_saveexec_b64 s[6:7], s[6:7]
	v_mov_b32_e32 v12, s10
	s_xor_b64 exec, exec, s[6:7]
	s_cbranch_execz .LBB1_11310
; %bb.47151:
	s_getpc_b64 s[14:15]
.Lpost_getpc9239:
	s_add_u32 s14, s14, (.LBB1_25648-.Lpost_getpc9239)&4294967295
	s_addc_u32 s15, s15, (.LBB1_25648-.Lpost_getpc9239)>>32
	s_setpc_b64 s[14:15]
.LBB1_11310:
	s_or_b64 exec, exec, s[6:7]
	s_and_saveexec_b64 s[6:7], s[4:5]
	s_cbranch_execz .LBB1_11312
.LBB1_11311:
	v_bfe_u32 v12, v3, 8, 3
	v_ffbh_u32_e32 v14, v12
	v_min_u32_e32 v14, 32, v14
	v_lshrrev_b16_e32 v13, 3, v6
	v_subrev_u32_e32 v15, 28, v14
	v_and_b32_e32 v13, 15, v13
	v_lshlrev_b32_e32 v6, v15, v6
	v_sub_u32_e32 v14, 29, v14
	v_and_b32_e32 v6, 7, v6
	v_cmp_eq_u16_e32 vcc, 0, v13
	v_cndmask_b32_e32 v6, v12, v6, vcc
	v_cndmask_b32_e32 v12, v13, v14, vcc
	v_lshlrev_b32_e32 v13, 16, v3
	v_mov_b32_e32 v14, 0x3b800000
	v_lshlrev_b32_e32 v6, 20, v6
	v_and_b32_e32 v13, 0x80000000, v13
	v_lshl_add_u32 v12, v12, 23, v14
	v_or3_b32 v12, v13, v12, v6
.LBB1_11312:
	s_or_b64 exec, exec, s[6:7]
	s_nop 0
	v_mfma_f32_16x16x4f32 a[0:3], v2, v12, a[0:3]
	s_movk_i32 s4, 0xff
	v_and_b32_sdwa v6, v7, s4 dst_sel:DWORD dst_unused:UNUSED_PAD src0_sel:WORD_1 src1_sel:DWORD
	s_movk_i32 s4, 0x7f
	v_cmp_lt_i16_e32 vcc, s4, v6
	s_mov_b64 s[4:5], 0
                                        ; implicit-def: $sgpr10
	s_and_saveexec_b64 s[6:7], vcc
	s_xor_b64 s[6:7], exec, s[6:7]
	s_cbranch_execz .LBB1_11313
; %bb.47153:
	s_getpc_b64 s[14:15]
.Lpost_getpc9240:
	s_add_u32 s14, s14, (.LBB1_25649-.Lpost_getpc9240)&4294967295
	s_addc_u32 s15, s15, (.LBB1_25649-.Lpost_getpc9240)>>32
	s_setpc_b64 s[14:15]
.LBB1_11313:
	s_or_saveexec_b64 s[6:7], s[6:7]
	v_mov_b32_e32 v2, s10
	s_xor_b64 exec, exec, s[6:7]
	s_cbranch_execz .LBB1_11314
; %bb.47155:
	s_getpc_b64 s[14:15]
.Lpost_getpc9241:
	s_add_u32 s14, s14, (.LBB1_25652-.Lpost_getpc9241)&4294967295
	s_addc_u32 s15, s15, (.LBB1_25652-.Lpost_getpc9241)>>32
	s_setpc_b64 s[14:15]
.LBB1_11314:
	s_or_b64 exec, exec, s[6:7]
	s_and_saveexec_b64 s[6:7], s[4:5]
	s_cbranch_execz .LBB1_11316
.LBB1_11315:
	v_bfe_u32 v2, v7, 16, 3
	v_ffbh_u32_e32 v13, v2
	v_min_u32_e32 v13, 32, v13
	v_lshrrev_b32_e32 v6, 19, v7
	v_subrev_u32_e32 v14, 28, v13
	v_and_b32_e32 v6, 15, v6
	v_lshlrev_b32_sdwa v14, v14, v7 dst_sel:DWORD dst_unused:UNUSED_PAD src0_sel:DWORD src1_sel:WORD_1
	v_bfe_u32 v12, v7, 19, 4
	v_sub_u32_e32 v13, 29, v13
	v_and_b32_e32 v14, 7, v14
	v_cmp_eq_u16_e32 vcc, 0, v6
	v_cndmask_b32_e32 v2, v2, v14, vcc
	v_cndmask_b32_e32 v6, v12, v13, vcc
	v_lshlrev_b32_e32 v12, 8, v7
	v_mov_b32_e32 v13, 0x3b800000
	v_lshlrev_b32_e32 v2, 20, v2
	v_and_b32_e32 v12, 0x80000000, v12
	v_lshl_add_u32 v6, v6, 23, v13
	v_or3_b32 v2, v12, v6, v2
.LBB1_11316:
	s_or_b64 exec, exec, s[6:7]
	s_movk_i32 s4, 0xff
	v_and_b32_sdwa v6, v3, s4 dst_sel:DWORD dst_unused:UNUSED_PAD src0_sel:WORD_1 src1_sel:DWORD
	s_movk_i32 s4, 0x7f
	v_cmp_lt_i16_e32 vcc, s4, v6
	s_mov_b64 s[4:5], 0
                                        ; implicit-def: $sgpr10
	s_and_saveexec_b64 s[6:7], vcc
	s_xor_b64 s[6:7], exec, s[6:7]
	s_cbranch_execz .LBB1_11317
; %bb.47157:
	s_getpc_b64 s[14:15]
.Lpost_getpc9242:
	s_add_u32 s14, s14, (.LBB1_25653-.Lpost_getpc9242)&4294967295
	s_addc_u32 s15, s15, (.LBB1_25653-.Lpost_getpc9242)>>32
	s_setpc_b64 s[14:15]
.LBB1_11317:
	s_or_saveexec_b64 s[6:7], s[6:7]
	v_mov_b32_e32 v12, s10
	s_xor_b64 exec, exec, s[6:7]
	s_cbranch_execz .LBB1_11318
; %bb.47159:
	s_getpc_b64 s[14:15]
.Lpost_getpc9243:
	s_add_u32 s14, s14, (.LBB1_25656-.Lpost_getpc9243)&4294967295
	s_addc_u32 s15, s15, (.LBB1_25656-.Lpost_getpc9243)>>32
	s_setpc_b64 s[14:15]
.LBB1_11318:
	s_or_b64 exec, exec, s[6:7]
	s_and_saveexec_b64 s[6:7], s[4:5]
	s_cbranch_execz .LBB1_11320
.LBB1_11319:
	v_bfe_u32 v6, v3, 16, 3
	v_ffbh_u32_e32 v14, v6
	v_min_u32_e32 v14, 32, v14
	v_lshrrev_b32_e32 v12, 19, v3
	v_subrev_u32_e32 v15, 28, v14
	v_and_b32_e32 v12, 15, v12
	v_lshlrev_b32_sdwa v15, v15, v3 dst_sel:DWORD dst_unused:UNUSED_PAD src0_sel:DWORD src1_sel:WORD_1
	v_bfe_u32 v13, v3, 19, 4
	v_sub_u32_e32 v14, 29, v14
	v_and_b32_e32 v15, 7, v15
	v_cmp_eq_u16_e32 vcc, 0, v12
	v_cndmask_b32_e32 v6, v6, v15, vcc
	v_cndmask_b32_e32 v12, v13, v14, vcc
	v_lshlrev_b32_e32 v13, 8, v3
	v_mov_b32_e32 v14, 0x3b800000
	v_lshlrev_b32_e32 v6, 20, v6
	v_and_b32_e32 v13, 0x80000000, v13
	v_lshl_add_u32 v12, v12, 23, v14
	v_or3_b32 v12, v13, v12, v6
.LBB1_11320:
	s_or_b64 exec, exec, s[6:7]
	s_nop 0
	v_mfma_f32_16x16x4f32 a[0:3], v2, v12, a[0:3]
	s_movk_i32 s4, 0x7f
	v_cmp_gt_i16_sdwa s[6:7], v7, s4 src0_sel:BYTE_3 src1_sel:DWORD
	s_mov_b64 s[4:5], 0
                                        ; implicit-def: $sgpr10
	s_and_saveexec_b64 s[8:9], s[6:7]
	s_xor_b64 s[6:7], exec, s[8:9]
	s_cbranch_execz .LBB1_11321
; %bb.47161:
	s_getpc_b64 s[14:15]
.Lpost_getpc9244:
	s_add_u32 s14, s14, (.LBB1_25657-.Lpost_getpc9244)&4294967295
	s_addc_u32 s15, s15, (.LBB1_25657-.Lpost_getpc9244)>>32
	s_setpc_b64 s[14:15]
.LBB1_11321:
	s_or_saveexec_b64 s[6:7], s[6:7]
	v_mov_b32_e32 v2, s10
	s_xor_b64 exec, exec, s[6:7]
	s_cbranch_execz .LBB1_11322
; %bb.47163:
	s_getpc_b64 s[14:15]
.Lpost_getpc9245:
	s_add_u32 s14, s14, (.LBB1_25660-.Lpost_getpc9245)&4294967295
	s_addc_u32 s15, s15, (.LBB1_25660-.Lpost_getpc9245)>>32
	s_setpc_b64 s[14:15]
.LBB1_11322:
	s_or_b64 exec, exec, s[6:7]
	s_and_saveexec_b64 s[6:7], s[4:5]
	s_cbranch_execz .LBB1_11324
.LBB1_11323:
	v_bfe_u32 v2, v7, 24, 3
	v_ffbh_u32_e32 v14, v2
	v_min_u32_e32 v14, 32, v14
	v_lshrrev_b32_e32 v12, 27, v7
	v_subrev_u32_e32 v15, 28, v14
	v_and_b32_e32 v6, 0x80000000, v7
	v_and_b32_e32 v12, 15, v12
	v_bfe_u32 v13, v7, 27, 4
	v_lshlrev_b32_sdwa v7, v15, v7 dst_sel:DWORD dst_unused:UNUSED_PAD src0_sel:DWORD src1_sel:BYTE_3
	v_sub_u32_e32 v14, 29, v14
	v_and_b32_e32 v7, 7, v7
	v_cmp_eq_u16_e32 vcc, 0, v12
	v_cndmask_b32_e32 v2, v2, v7, vcc
	v_cndmask_b32_e32 v7, v13, v14, vcc
	v_mov_b32_e32 v12, 0x3b800000
	v_lshlrev_b32_e32 v2, 20, v2
	v_lshl_add_u32 v7, v7, 23, v12
	v_or3_b32 v2, v6, v7, v2
.LBB1_11324:
	s_or_b64 exec, exec, s[6:7]
	s_movk_i32 s4, 0x7f
	v_cmp_gt_i16_sdwa s[6:7], v3, s4 src0_sel:BYTE_3 src1_sel:DWORD
	s_mov_b64 s[4:5], 0
                                        ; implicit-def: $sgpr10
	s_and_saveexec_b64 s[8:9], s[6:7]
	s_xor_b64 s[6:7], exec, s[8:9]
	s_cbranch_execz .LBB1_11325
; %bb.47165:
	s_getpc_b64 s[14:15]
.Lpost_getpc9246:
	s_add_u32 s14, s14, (.LBB1_25661-.Lpost_getpc9246)&4294967295
	s_addc_u32 s15, s15, (.LBB1_25661-.Lpost_getpc9246)>>32
	s_setpc_b64 s[14:15]
.LBB1_11325:
	s_or_saveexec_b64 s[6:7], s[6:7]
	v_mov_b32_e32 v6, s10
	s_xor_b64 exec, exec, s[6:7]
	s_cbranch_execz .LBB1_11326
; %bb.47167:
	s_getpc_b64 s[14:15]
.Lpost_getpc9247:
	s_add_u32 s14, s14, (.LBB1_25664-.Lpost_getpc9247)&4294967295
	s_addc_u32 s15, s15, (.LBB1_25664-.Lpost_getpc9247)>>32
	s_setpc_b64 s[14:15]
.LBB1_11326:
	s_or_b64 exec, exec, s[6:7]
	s_and_saveexec_b64 s[6:7], s[4:5]
	s_cbranch_execz .LBB1_11328
.LBB1_11327:
	v_bfe_u32 v6, v3, 24, 3
	v_ffbh_u32_e32 v14, v6
	v_min_u32_e32 v14, 32, v14
	v_lshrrev_b32_e32 v12, 27, v3
	v_subrev_u32_e32 v15, 28, v14
	v_and_b32_e32 v7, 0x80000000, v3
	v_and_b32_e32 v12, 15, v12
	v_bfe_u32 v13, v3, 27, 4
	v_lshlrev_b32_sdwa v3, v15, v3 dst_sel:DWORD dst_unused:UNUSED_PAD src0_sel:DWORD src1_sel:BYTE_3
	v_sub_u32_e32 v14, 29, v14
	v_and_b32_e32 v3, 7, v3
	v_cmp_eq_u16_e32 vcc, 0, v12
	v_cndmask_b32_e32 v3, v6, v3, vcc
	v_cndmask_b32_e32 v6, v13, v14, vcc
	v_mov_b32_e32 v12, 0x3b800000
	v_lshlrev_b32_e32 v3, 20, v3
	v_lshl_add_u32 v6, v6, 23, v12
	v_or3_b32 v6, v7, v6, v3
.LBB1_11328:
	s_or_b64 exec, exec, s[6:7]
	s_nop 0
	v_mfma_f32_16x16x4f32 a[0:3], v2, v6, a[0:3]
	s_movk_i32 s4, 0x7f
	v_cmp_gt_i16_sdwa s[6:7], v8, s4 src0_sel:BYTE_0 src1_sel:DWORD
	s_mov_b64 s[4:5], 0
                                        ; implicit-def: $sgpr10
	s_and_saveexec_b64 s[8:9], s[6:7]
	s_xor_b64 s[6:7], exec, s[8:9]
	s_cbranch_execz .LBB1_11329
; %bb.47169:
	s_getpc_b64 s[14:15]
.Lpost_getpc9248:
	s_add_u32 s14, s14, (.LBB1_25665-.Lpost_getpc9248)&4294967295
	s_addc_u32 s15, s15, (.LBB1_25665-.Lpost_getpc9248)>>32
	s_setpc_b64 s[14:15]
.LBB1_11329:
	s_or_saveexec_b64 s[6:7], s[6:7]
	v_mov_b32_e32 v2, s10
	s_xor_b64 exec, exec, s[6:7]
	s_cbranch_execz .LBB1_11330
; %bb.47171:
	s_getpc_b64 s[14:15]
.Lpost_getpc9249:
	s_add_u32 s14, s14, (.LBB1_25668-.Lpost_getpc9249)&4294967295
	s_addc_u32 s15, s15, (.LBB1_25668-.Lpost_getpc9249)>>32
	s_setpc_b64 s[14:15]
.LBB1_11330:
	s_or_b64 exec, exec, s[6:7]
	s_and_saveexec_b64 s[6:7], s[4:5]
	s_cbranch_execz .LBB1_11332
.LBB1_11331:
	v_and_b32_e32 v2, 7, v8
	v_ffbh_u32_e32 v6, v2
	v_min_u32_e32 v6, 32, v6
	v_lshrrev_b16_e32 v3, 3, v8
	v_subrev_u32_e32 v7, 28, v6
	v_and_b32_e32 v3, 15, v3
	v_lshlrev_b32_e32 v7, v7, v8
	v_sub_u32_e32 v6, 29, v6
	v_and_b32_e32 v7, 7, v7
	v_cmp_eq_u16_e32 vcc, 0, v3
	v_cndmask_b32_e32 v2, v2, v7, vcc
	v_cndmask_b32_e32 v3, v3, v6, vcc
	v_lshlrev_b32_e32 v6, 24, v8
	v_mov_b32_e32 v7, 0x3b800000
	v_lshlrev_b32_e32 v2, 20, v2
	v_and_b32_e32 v6, 0x80000000, v6
	v_lshl_add_u32 v3, v3, 23, v7
	v_or3_b32 v2, v6, v3, v2
.LBB1_11332:
	s_or_b64 exec, exec, s[6:7]
	s_movk_i32 s4, 0x7f
	v_cmp_gt_i16_sdwa s[6:7], v4, s4 src0_sel:BYTE_0 src1_sel:DWORD
	s_mov_b64 s[4:5], 0
                                        ; implicit-def: $sgpr10
	s_and_saveexec_b64 s[8:9], s[6:7]
	s_xor_b64 s[6:7], exec, s[8:9]
	s_cbranch_execz .LBB1_11333
; %bb.47173:
	s_getpc_b64 s[14:15]
.Lpost_getpc9250:
	s_add_u32 s14, s14, (.LBB1_25669-.Lpost_getpc9250)&4294967295
	s_addc_u32 s15, s15, (.LBB1_25669-.Lpost_getpc9250)>>32
	s_setpc_b64 s[14:15]
.LBB1_11333:
	s_or_saveexec_b64 s[6:7], s[6:7]
	v_mov_b32_e32 v3, s10
	s_xor_b64 exec, exec, s[6:7]
	s_cbranch_execz .LBB1_11334
; %bb.47175:
	s_getpc_b64 s[14:15]
.Lpost_getpc9251:
	s_add_u32 s14, s14, (.LBB1_25672-.Lpost_getpc9251)&4294967295
	s_addc_u32 s15, s15, (.LBB1_25672-.Lpost_getpc9251)>>32
	s_setpc_b64 s[14:15]
.LBB1_11334:
	s_or_b64 exec, exec, s[6:7]
	s_and_saveexec_b64 s[6:7], s[4:5]
	s_cbranch_execz .LBB1_11336
.LBB1_11335:
	v_and_b32_e32 v3, 7, v4
	v_ffbh_u32_e32 v7, v3
	v_min_u32_e32 v7, 32, v7
	v_lshrrev_b16_e32 v6, 3, v4
	v_subrev_u32_e32 v12, 28, v7
	v_and_b32_e32 v6, 15, v6
	v_lshlrev_b32_e32 v12, v12, v4
	v_sub_u32_e32 v7, 29, v7
	v_and_b32_e32 v12, 7, v12
	v_cmp_eq_u16_e32 vcc, 0, v6
	v_cndmask_b32_e32 v3, v3, v12, vcc
	v_cndmask_b32_e32 v6, v6, v7, vcc
	v_lshlrev_b32_e32 v7, 24, v4
	v_mov_b32_e32 v12, 0x3b800000
	v_lshlrev_b32_e32 v3, 20, v3
	v_and_b32_e32 v7, 0x80000000, v7
	v_lshl_add_u32 v6, v6, 23, v12
	v_or3_b32 v3, v7, v6, v3
.LBB1_11336:
	s_or_b64 exec, exec, s[6:7]
	s_nop 0
	v_mfma_f32_16x16x4f32 a[0:3], v2, v3, a[0:3]
	v_lshrrev_b32_e32 v3, 8, v8
	s_movk_i32 s4, 0x7f
	v_cmp_gt_i16_sdwa s[6:7], v3, s4 src0_sel:BYTE_0 src1_sel:DWORD
	s_mov_b64 s[4:5], 0
                                        ; implicit-def: $sgpr10
	s_and_saveexec_b64 s[8:9], s[6:7]
	s_xor_b64 s[6:7], exec, s[8:9]
	s_cbranch_execz .LBB1_11337
; %bb.47177:
	s_getpc_b64 s[14:15]
.Lpost_getpc9252:
	s_add_u32 s14, s14, (.LBB1_25673-.Lpost_getpc9252)&4294967295
	s_addc_u32 s15, s15, (.LBB1_25673-.Lpost_getpc9252)>>32
	s_setpc_b64 s[14:15]
.LBB1_11337:
	s_or_saveexec_b64 s[6:7], s[6:7]
	v_mov_b32_e32 v2, s10
	s_xor_b64 exec, exec, s[6:7]
	s_cbranch_execz .LBB1_11338
; %bb.47179:
	s_getpc_b64 s[14:15]
.Lpost_getpc9253:
	s_add_u32 s14, s14, (.LBB1_25676-.Lpost_getpc9253)&4294967295
	s_addc_u32 s15, s15, (.LBB1_25676-.Lpost_getpc9253)>>32
	s_setpc_b64 s[14:15]
.LBB1_11338:
	s_or_b64 exec, exec, s[6:7]
	s_and_saveexec_b64 s[6:7], s[4:5]
	s_cbranch_execz .LBB1_11340
.LBB1_11339:
	v_bfe_u32 v2, v8, 8, 3
	v_ffbh_u32_e32 v7, v2
	v_min_u32_e32 v7, 32, v7
	v_lshrrev_b16_e32 v6, 3, v3
	v_subrev_u32_e32 v12, 28, v7
	v_and_b32_e32 v6, 15, v6
	v_lshlrev_b32_e32 v3, v12, v3
	v_sub_u32_e32 v7, 29, v7
	v_and_b32_e32 v3, 7, v3
	v_cmp_eq_u16_e32 vcc, 0, v6
	v_cndmask_b32_e32 v2, v2, v3, vcc
	v_cndmask_b32_e32 v3, v6, v7, vcc
	v_lshlrev_b32_e32 v6, 16, v8
	v_mov_b32_e32 v7, 0x3b800000
	v_lshlrev_b32_e32 v2, 20, v2
	v_and_b32_e32 v6, 0x80000000, v6
	v_lshl_add_u32 v3, v3, 23, v7
	v_or3_b32 v2, v6, v3, v2
.LBB1_11340:
	s_or_b64 exec, exec, s[6:7]
	v_lshrrev_b32_e32 v3, 8, v4
	s_movk_i32 s4, 0x7f
	v_cmp_gt_i16_sdwa s[6:7], v3, s4 src0_sel:BYTE_0 src1_sel:DWORD
	s_mov_b64 s[4:5], 0
                                        ; implicit-def: $sgpr10
	s_and_saveexec_b64 s[8:9], s[6:7]
	s_xor_b64 s[6:7], exec, s[8:9]
	s_cbranch_execz .LBB1_11341
; %bb.47181:
	s_getpc_b64 s[14:15]
.Lpost_getpc9254:
	s_add_u32 s14, s14, (.LBB1_25677-.Lpost_getpc9254)&4294967295
	s_addc_u32 s15, s15, (.LBB1_25677-.Lpost_getpc9254)>>32
	s_setpc_b64 s[14:15]
.LBB1_11341:
	s_or_saveexec_b64 s[6:7], s[6:7]
	v_mov_b32_e32 v6, s10
	s_xor_b64 exec, exec, s[6:7]
	s_cbranch_execz .LBB1_11342
; %bb.47183:
	s_getpc_b64 s[14:15]
.Lpost_getpc9255:
	s_add_u32 s14, s14, (.LBB1_25680-.Lpost_getpc9255)&4294967295
	s_addc_u32 s15, s15, (.LBB1_25680-.Lpost_getpc9255)>>32
	s_setpc_b64 s[14:15]
.LBB1_11342:
	s_or_b64 exec, exec, s[6:7]
	s_and_saveexec_b64 s[6:7], s[4:5]
	s_cbranch_execz .LBB1_11344
.LBB1_11343:
	v_bfe_u32 v6, v4, 8, 3
	v_ffbh_u32_e32 v12, v6
	v_min_u32_e32 v12, 32, v12
	v_lshrrev_b16_e32 v7, 3, v3
	v_subrev_u32_e32 v13, 28, v12
	v_and_b32_e32 v7, 15, v7
	v_lshlrev_b32_e32 v3, v13, v3
	v_sub_u32_e32 v12, 29, v12
	v_and_b32_e32 v3, 7, v3
	v_cmp_eq_u16_e32 vcc, 0, v7
	v_cndmask_b32_e32 v3, v6, v3, vcc
	v_cndmask_b32_e32 v6, v7, v12, vcc
	v_lshlrev_b32_e32 v7, 16, v4
	v_mov_b32_e32 v12, 0x3b800000
	v_lshlrev_b32_e32 v3, 20, v3
	v_and_b32_e32 v7, 0x80000000, v7
	v_lshl_add_u32 v6, v6, 23, v12
	v_or3_b32 v6, v7, v6, v3
.LBB1_11344:
	s_or_b64 exec, exec, s[6:7]
	s_nop 0
	v_mfma_f32_16x16x4f32 a[0:3], v2, v6, a[0:3]
	s_movk_i32 s4, 0xff
	v_and_b32_sdwa v3, v8, s4 dst_sel:DWORD dst_unused:UNUSED_PAD src0_sel:WORD_1 src1_sel:DWORD
	s_movk_i32 s4, 0x7f
	v_cmp_lt_i16_e32 vcc, s4, v3
	s_mov_b64 s[4:5], 0
                                        ; implicit-def: $sgpr10
	s_and_saveexec_b64 s[6:7], vcc
	s_xor_b64 s[6:7], exec, s[6:7]
	s_cbranch_execz .LBB1_11345
; %bb.47185:
	s_getpc_b64 s[14:15]
.Lpost_getpc9256:
	s_add_u32 s14, s14, (.LBB1_25681-.Lpost_getpc9256)&4294967295
	s_addc_u32 s15, s15, (.LBB1_25681-.Lpost_getpc9256)>>32
	s_setpc_b64 s[14:15]
.LBB1_11345:
	s_or_saveexec_b64 s[6:7], s[6:7]
	v_mov_b32_e32 v2, s10
	s_xor_b64 exec, exec, s[6:7]
	s_cbranch_execz .LBB1_11346
; %bb.47187:
	s_getpc_b64 s[14:15]
.Lpost_getpc9257:
	s_add_u32 s14, s14, (.LBB1_25684-.Lpost_getpc9257)&4294967295
	s_addc_u32 s15, s15, (.LBB1_25684-.Lpost_getpc9257)>>32
	s_setpc_b64 s[14:15]
.LBB1_11346:
	s_or_b64 exec, exec, s[6:7]
	s_and_saveexec_b64 s[6:7], s[4:5]
	s_cbranch_execz .LBB1_11348
.LBB1_11347:
	v_bfe_u32 v2, v8, 16, 3
	v_ffbh_u32_e32 v7, v2
	v_min_u32_e32 v7, 32, v7
	v_lshrrev_b32_e32 v3, 19, v8
	v_subrev_u32_e32 v12, 28, v7
	v_and_b32_e32 v3, 15, v3
	v_lshlrev_b32_sdwa v12, v12, v8 dst_sel:DWORD dst_unused:UNUSED_PAD src0_sel:DWORD src1_sel:WORD_1
	v_bfe_u32 v6, v8, 19, 4
	v_sub_u32_e32 v7, 29, v7
	v_and_b32_e32 v12, 7, v12
	v_cmp_eq_u16_e32 vcc, 0, v3
	v_cndmask_b32_e32 v2, v2, v12, vcc
	v_cndmask_b32_e32 v3, v6, v7, vcc
	v_lshlrev_b32_e32 v6, 8, v8
	v_mov_b32_e32 v7, 0x3b800000
	v_lshlrev_b32_e32 v2, 20, v2
	v_and_b32_e32 v6, 0x80000000, v6
	v_lshl_add_u32 v3, v3, 23, v7
	v_or3_b32 v2, v6, v3, v2
.LBB1_11348:
	s_or_b64 exec, exec, s[6:7]
	s_movk_i32 s4, 0xff
	v_and_b32_sdwa v3, v4, s4 dst_sel:DWORD dst_unused:UNUSED_PAD src0_sel:WORD_1 src1_sel:DWORD
	s_movk_i32 s4, 0x7f
	v_cmp_lt_i16_e32 vcc, s4, v3
	s_mov_b64 s[4:5], 0
                                        ; implicit-def: $sgpr10
	s_and_saveexec_b64 s[6:7], vcc
	s_xor_b64 s[6:7], exec, s[6:7]
	s_cbranch_execz .LBB1_11349
; %bb.47189:
	s_getpc_b64 s[14:15]
.Lpost_getpc9258:
	s_add_u32 s14, s14, (.LBB1_25685-.Lpost_getpc9258)&4294967295
	s_addc_u32 s15, s15, (.LBB1_25685-.Lpost_getpc9258)>>32
	s_setpc_b64 s[14:15]
.LBB1_11349:
	s_or_saveexec_b64 s[6:7], s[6:7]
	v_mov_b32_e32 v6, s10
	s_xor_b64 exec, exec, s[6:7]
	s_cbranch_execz .LBB1_11350
; %bb.47191:
	s_getpc_b64 s[14:15]
.Lpost_getpc9259:
	s_add_u32 s14, s14, (.LBB1_25688-.Lpost_getpc9259)&4294967295
	s_addc_u32 s15, s15, (.LBB1_25688-.Lpost_getpc9259)>>32
	s_setpc_b64 s[14:15]
.LBB1_11350:
	s_or_b64 exec, exec, s[6:7]
	s_and_saveexec_b64 s[6:7], s[4:5]
	s_cbranch_execz .LBB1_11352
.LBB1_11351:
	v_bfe_u32 v3, v4, 16, 3
	v_ffbh_u32_e32 v12, v3
	v_min_u32_e32 v12, 32, v12
	v_lshrrev_b32_e32 v6, 19, v4
	v_subrev_u32_e32 v13, 28, v12
	v_and_b32_e32 v6, 15, v6
	v_lshlrev_b32_sdwa v13, v13, v4 dst_sel:DWORD dst_unused:UNUSED_PAD src0_sel:DWORD src1_sel:WORD_1
	v_bfe_u32 v7, v4, 19, 4
	v_sub_u32_e32 v12, 29, v12
	v_and_b32_e32 v13, 7, v13
	v_cmp_eq_u16_e32 vcc, 0, v6
	v_cndmask_b32_e32 v3, v3, v13, vcc
	v_cndmask_b32_e32 v6, v7, v12, vcc
	v_lshlrev_b32_e32 v7, 8, v4
	v_mov_b32_e32 v12, 0x3b800000
	v_lshlrev_b32_e32 v3, 20, v3
	v_and_b32_e32 v7, 0x80000000, v7
	v_lshl_add_u32 v6, v6, 23, v12
	v_or3_b32 v6, v7, v6, v3
.LBB1_11352:
	s_or_b64 exec, exec, s[6:7]
	s_nop 0
	v_mfma_f32_16x16x4f32 a[0:3], v2, v6, a[0:3]
	s_movk_i32 s4, 0x7f
	v_cmp_gt_i16_sdwa s[6:7], v8, s4 src0_sel:BYTE_3 src1_sel:DWORD
	s_mov_b64 s[4:5], 0
                                        ; implicit-def: $sgpr10
	s_and_saveexec_b64 s[8:9], s[6:7]
	s_xor_b64 s[6:7], exec, s[8:9]
	s_cbranch_execz .LBB1_11353
; %bb.47193:
	s_getpc_b64 s[14:15]
.Lpost_getpc9260:
	s_add_u32 s14, s14, (.LBB1_25689-.Lpost_getpc9260)&4294967295
	s_addc_u32 s15, s15, (.LBB1_25689-.Lpost_getpc9260)>>32
	s_setpc_b64 s[14:15]
.LBB1_11353:
	s_or_saveexec_b64 s[6:7], s[6:7]
	v_mov_b32_e32 v2, s10
	s_xor_b64 exec, exec, s[6:7]
	s_cbranch_execz .LBB1_11354
; %bb.47195:
	s_getpc_b64 s[14:15]
.Lpost_getpc9261:
	s_add_u32 s14, s14, (.LBB1_25692-.Lpost_getpc9261)&4294967295
	s_addc_u32 s15, s15, (.LBB1_25692-.Lpost_getpc9261)>>32
	s_setpc_b64 s[14:15]
.LBB1_11354:
	s_or_b64 exec, exec, s[6:7]
	s_and_saveexec_b64 s[6:7], s[4:5]
	s_cbranch_execz .LBB1_11356
.LBB1_11355:
	v_bfe_u32 v2, v8, 24, 3
	v_ffbh_u32_e32 v12, v2
	v_min_u32_e32 v12, 32, v12
	v_lshrrev_b32_e32 v6, 27, v8
	v_subrev_u32_e32 v13, 28, v12
	v_and_b32_e32 v3, 0x80000000, v8
	v_and_b32_e32 v6, 15, v6
	v_bfe_u32 v7, v8, 27, 4
	v_lshlrev_b32_sdwa v8, v13, v8 dst_sel:DWORD dst_unused:UNUSED_PAD src0_sel:DWORD src1_sel:BYTE_3
	v_sub_u32_e32 v12, 29, v12
	v_and_b32_e32 v8, 7, v8
	v_cmp_eq_u16_e32 vcc, 0, v6
	v_cndmask_b32_e32 v2, v2, v8, vcc
	v_cndmask_b32_e32 v6, v7, v12, vcc
	v_mov_b32_e32 v7, 0x3b800000
	v_lshlrev_b32_e32 v2, 20, v2
	v_lshl_add_u32 v6, v6, 23, v7
	v_or3_b32 v2, v3, v6, v2
.LBB1_11356:
	s_or_b64 exec, exec, s[6:7]
	s_movk_i32 s4, 0x7f
	v_cmp_gt_i16_sdwa s[6:7], v4, s4 src0_sel:BYTE_3 src1_sel:DWORD
	s_mov_b64 s[4:5], 0
                                        ; implicit-def: $sgpr10
	s_and_saveexec_b64 s[8:9], s[6:7]
	s_xor_b64 s[6:7], exec, s[8:9]
	s_cbranch_execz .LBB1_11357
; %bb.47197:
	s_getpc_b64 s[14:15]
.Lpost_getpc9262:
	s_add_u32 s14, s14, (.LBB1_25693-.Lpost_getpc9262)&4294967295
	s_addc_u32 s15, s15, (.LBB1_25693-.Lpost_getpc9262)>>32
	s_setpc_b64 s[14:15]
.LBB1_11357:
	s_or_saveexec_b64 s[6:7], s[6:7]
	v_mov_b32_e32 v3, s10
	s_xor_b64 exec, exec, s[6:7]
	s_cbranch_execz .LBB1_11358
; %bb.47199:
	s_getpc_b64 s[14:15]
.Lpost_getpc9263:
	s_add_u32 s14, s14, (.LBB1_25696-.Lpost_getpc9263)&4294967295
	s_addc_u32 s15, s15, (.LBB1_25696-.Lpost_getpc9263)>>32
	s_setpc_b64 s[14:15]
.LBB1_11358:
	s_or_b64 exec, exec, s[6:7]
	s_and_saveexec_b64 s[6:7], s[4:5]
	s_cbranch_execz .LBB1_11360
.LBB1_11359:
	v_bfe_u32 v3, v4, 24, 3
	v_ffbh_u32_e32 v12, v3
	v_min_u32_e32 v12, 32, v12
	v_lshrrev_b32_e32 v7, 27, v4
	v_subrev_u32_e32 v13, 28, v12
	v_and_b32_e32 v6, 0x80000000, v4
	v_and_b32_e32 v7, 15, v7
	v_bfe_u32 v8, v4, 27, 4
	v_lshlrev_b32_sdwa v4, v13, v4 dst_sel:DWORD dst_unused:UNUSED_PAD src0_sel:DWORD src1_sel:BYTE_3
	v_sub_u32_e32 v12, 29, v12
	v_and_b32_e32 v4, 7, v4
	v_cmp_eq_u16_e32 vcc, 0, v7
	v_cndmask_b32_e32 v3, v3, v4, vcc
	v_cndmask_b32_e32 v4, v8, v12, vcc
	v_mov_b32_e32 v7, 0x3b800000
	v_lshlrev_b32_e32 v3, 20, v3
	v_lshl_add_u32 v4, v4, 23, v7
	v_or3_b32 v3, v6, v4, v3
.LBB1_11360:
	s_or_b64 exec, exec, s[6:7]
	s_nop 0
	v_mfma_f32_16x16x4f32 a[0:3], v2, v3, a[0:3]
	s_movk_i32 s4, 0x7f
	v_cmp_gt_i16_sdwa s[6:7], v9, s4 src0_sel:BYTE_0 src1_sel:DWORD
	s_mov_b64 s[4:5], 0
                                        ; implicit-def: $sgpr10
	s_and_saveexec_b64 s[8:9], s[6:7]
	s_xor_b64 s[6:7], exec, s[8:9]
	s_cbranch_execz .LBB1_11361
; %bb.47201:
	s_getpc_b64 s[14:15]
.Lpost_getpc9264:
	s_add_u32 s14, s14, (.LBB1_25697-.Lpost_getpc9264)&4294967295
	s_addc_u32 s15, s15, (.LBB1_25697-.Lpost_getpc9264)>>32
	s_setpc_b64 s[14:15]
.LBB1_11361:
	s_or_saveexec_b64 s[6:7], s[6:7]
	v_mov_b32_e32 v2, s10
	s_xor_b64 exec, exec, s[6:7]
	s_cbranch_execz .LBB1_11362
; %bb.47203:
	s_getpc_b64 s[14:15]
.Lpost_getpc9265:
	s_add_u32 s14, s14, (.LBB1_25700-.Lpost_getpc9265)&4294967295
	s_addc_u32 s15, s15, (.LBB1_25700-.Lpost_getpc9265)>>32
	s_setpc_b64 s[14:15]
.LBB1_11362:
	s_or_b64 exec, exec, s[6:7]
	s_and_saveexec_b64 s[6:7], s[4:5]
	s_cbranch_execz .LBB1_11364
.LBB1_11363:
	v_mov_b32_e32 v2, 8
	v_and_b32_e32 v3, 7, v9
	v_lshrrev_b32_sdwa v2, v2, v9 dst_sel:BYTE_1 dst_unused:UNUSED_PAD src0_sel:DWORD src1_sel:DWORD
	v_ffbh_u32_e32 v4, v3
	v_or_b32_sdwa v2, v9, v2 dst_sel:DWORD dst_unused:UNUSED_PAD src0_sel:BYTE_0 src1_sel:DWORD
	v_min_u32_e32 v4, 32, v4
	v_lshrrev_b16_e32 v2, 3, v2
	v_subrev_u32_e32 v6, 28, v4
	v_and_b32_e32 v2, 15, v2
	v_lshlrev_b32_e32 v6, v6, v9
	v_sub_u32_e32 v4, 29, v4
	v_and_b32_e32 v6, 7, v6
	v_cmp_eq_u16_e32 vcc, 0, v2
	v_cndmask_b32_e32 v3, v3, v6, vcc
	v_cndmask_b32_e32 v2, v2, v4, vcc
	v_lshlrev_b32_e32 v4, 24, v9
	v_mov_b32_e32 v6, 0x3b800000
	v_lshlrev_b32_e32 v3, 20, v3
	v_and_b32_e32 v4, 0x80000000, v4
	v_lshl_add_u32 v2, v2, 23, v6
	v_or3_b32 v2, v4, v2, v3
.LBB1_11364:
	s_or_b64 exec, exec, s[6:7]
	s_movk_i32 s4, 0x7f
	v_cmp_gt_i16_sdwa s[6:7], v5, s4 src0_sel:BYTE_0 src1_sel:DWORD
	s_mov_b64 s[4:5], 0
                                        ; implicit-def: $sgpr10
	s_and_saveexec_b64 s[8:9], s[6:7]
	s_xor_b64 s[6:7], exec, s[8:9]
	s_cbranch_execz .LBB1_11365
; %bb.47205:
	s_getpc_b64 s[14:15]
.Lpost_getpc9266:
	s_add_u32 s14, s14, (.LBB1_25701-.Lpost_getpc9266)&4294967295
	s_addc_u32 s15, s15, (.LBB1_25701-.Lpost_getpc9266)>>32
	s_setpc_b64 s[14:15]
.LBB1_11365:
	s_or_saveexec_b64 s[6:7], s[6:7]
	v_mov_b32_e32 v3, s10
	s_xor_b64 exec, exec, s[6:7]
	s_cbranch_execz .LBB1_11366
; %bb.47207:
	s_getpc_b64 s[14:15]
.Lpost_getpc9267:
	s_add_u32 s14, s14, (.LBB1_25704-.Lpost_getpc9267)&4294967295
	s_addc_u32 s15, s15, (.LBB1_25704-.Lpost_getpc9267)>>32
	s_setpc_b64 s[14:15]
.LBB1_11366:
	s_or_b64 exec, exec, s[6:7]
	s_and_saveexec_b64 s[6:7], s[4:5]
	s_cbranch_execz .LBB1_11368
.LBB1_11367:
	v_mov_b32_e32 v3, 8
	v_and_b32_e32 v4, 7, v5
	v_lshrrev_b32_sdwa v3, v3, v5 dst_sel:BYTE_1 dst_unused:UNUSED_PAD src0_sel:DWORD src1_sel:DWORD
	v_ffbh_u32_e32 v6, v4
	v_or_b32_sdwa v3, v5, v3 dst_sel:DWORD dst_unused:UNUSED_PAD src0_sel:BYTE_0 src1_sel:DWORD
	v_min_u32_e32 v6, 32, v6
	v_lshrrev_b16_e32 v3, 3, v3
	v_subrev_u32_e32 v7, 28, v6
	v_and_b32_e32 v3, 15, v3
	v_lshlrev_b32_e32 v7, v7, v5
	v_sub_u32_e32 v6, 29, v6
	v_and_b32_e32 v7, 7, v7
	v_cmp_eq_u16_e32 vcc, 0, v3
	v_cndmask_b32_e32 v4, v4, v7, vcc
	v_cndmask_b32_e32 v3, v3, v6, vcc
	v_lshlrev_b32_e32 v6, 24, v5
	v_mov_b32_e32 v7, 0x3b800000
	v_lshlrev_b32_e32 v4, 20, v4
	v_and_b32_e32 v6, 0x80000000, v6
	v_lshl_add_u32 v3, v3, 23, v7
	v_or3_b32 v3, v6, v3, v4
.LBB1_11368:
	s_or_b64 exec, exec, s[6:7]
	s_nop 0
	v_mfma_f32_16x16x4f32 a[0:3], v2, v3, a[0:3]
	v_lshrrev_b32_e32 v3, 8, v9
	s_movk_i32 s4, 0x7f
	v_cmp_gt_i16_sdwa s[6:7], v3, s4 src0_sel:BYTE_0 src1_sel:DWORD
	s_mov_b64 s[4:5], 0
                                        ; implicit-def: $sgpr10
	s_and_saveexec_b64 s[8:9], s[6:7]
	s_xor_b64 s[6:7], exec, s[8:9]
	s_cbranch_execz .LBB1_11369
; %bb.47209:
	s_getpc_b64 s[14:15]
.Lpost_getpc9268:
	s_add_u32 s14, s14, (.LBB1_25705-.Lpost_getpc9268)&4294967295
	s_addc_u32 s15, s15, (.LBB1_25705-.Lpost_getpc9268)>>32
	s_setpc_b64 s[14:15]
.LBB1_11369:
	s_or_saveexec_b64 s[6:7], s[6:7]
	v_mov_b32_e32 v2, s10
	s_xor_b64 exec, exec, s[6:7]
	s_cbranch_execz .LBB1_11370
; %bb.47211:
	s_getpc_b64 s[14:15]
.Lpost_getpc9269:
	s_add_u32 s14, s14, (.LBB1_25708-.Lpost_getpc9269)&4294967295
	s_addc_u32 s15, s15, (.LBB1_25708-.Lpost_getpc9269)>>32
	s_setpc_b64 s[14:15]
.LBB1_11370:
	s_or_b64 exec, exec, s[6:7]
	s_and_saveexec_b64 s[6:7], s[4:5]
	s_cbranch_execz .LBB1_11372
.LBB1_11371:
	v_bfe_u32 v2, v9, 8, 3
	v_ffbh_u32_e32 v6, v2
	v_min_u32_e32 v6, 32, v6
	v_lshrrev_b16_e32 v4, 3, v3
	v_subrev_u32_e32 v7, 28, v6
	v_and_b32_e32 v4, 15, v4
	v_lshlrev_b32_e32 v3, v7, v3
	v_sub_u32_e32 v6, 29, v6
	v_and_b32_e32 v3, 7, v3
	v_cmp_eq_u16_e32 vcc, 0, v4
	v_cndmask_b32_e32 v2, v2, v3, vcc
	v_cndmask_b32_e32 v3, v4, v6, vcc
	v_lshlrev_b32_e32 v4, 16, v9
	v_mov_b32_e32 v6, 0x3b800000
	v_lshlrev_b32_e32 v2, 20, v2
	v_and_b32_e32 v4, 0x80000000, v4
	v_lshl_add_u32 v3, v3, 23, v6
	v_or3_b32 v2, v4, v3, v2
.LBB1_11372:
	s_or_b64 exec, exec, s[6:7]
	v_lshrrev_b32_e32 v3, 8, v5
	s_movk_i32 s4, 0x7f
	v_cmp_gt_i16_sdwa s[6:7], v3, s4 src0_sel:BYTE_0 src1_sel:DWORD
	s_mov_b64 s[4:5], 0
                                        ; implicit-def: $sgpr10
	s_and_saveexec_b64 s[8:9], s[6:7]
	s_xor_b64 s[6:7], exec, s[8:9]
	s_cbranch_execz .LBB1_11373
; %bb.47213:
	s_getpc_b64 s[14:15]
.Lpost_getpc9270:
	s_add_u32 s14, s14, (.LBB1_25709-.Lpost_getpc9270)&4294967295
	s_addc_u32 s15, s15, (.LBB1_25709-.Lpost_getpc9270)>>32
	s_setpc_b64 s[14:15]
.LBB1_11373:
	s_or_saveexec_b64 s[6:7], s[6:7]
	v_mov_b32_e32 v4, s10
	s_xor_b64 exec, exec, s[6:7]
	s_cbranch_execz .LBB1_11374
; %bb.47215:
	s_getpc_b64 s[14:15]
.Lpost_getpc9271:
	s_add_u32 s14, s14, (.LBB1_25712-.Lpost_getpc9271)&4294967295
	s_addc_u32 s15, s15, (.LBB1_25712-.Lpost_getpc9271)>>32
	s_setpc_b64 s[14:15]
.LBB1_11374:
	s_or_b64 exec, exec, s[6:7]
	s_and_saveexec_b64 s[6:7], s[4:5]
	s_cbranch_execz .LBB1_11376
.LBB1_11375:
	v_bfe_u32 v4, v5, 8, 3
	v_ffbh_u32_e32 v7, v4
	v_min_u32_e32 v7, 32, v7
	v_lshrrev_b16_e32 v6, 3, v3
	v_subrev_u32_e32 v8, 28, v7
	v_and_b32_e32 v6, 15, v6
	v_lshlrev_b32_e32 v3, v8, v3
	v_sub_u32_e32 v7, 29, v7
	v_and_b32_e32 v3, 7, v3
	v_cmp_eq_u16_e32 vcc, 0, v6
	v_cndmask_b32_e32 v3, v4, v3, vcc
	v_cndmask_b32_e32 v4, v6, v7, vcc
	v_lshlrev_b32_e32 v6, 16, v5
	v_mov_b32_e32 v7, 0x3b800000
	v_lshlrev_b32_e32 v3, 20, v3
	v_and_b32_e32 v6, 0x80000000, v6
	v_lshl_add_u32 v4, v4, 23, v7
	v_or3_b32 v4, v6, v4, v3
.LBB1_11376:
	s_or_b64 exec, exec, s[6:7]
	s_nop 0
	v_mfma_f32_16x16x4f32 a[0:3], v2, v4, a[0:3]
	s_movk_i32 s4, 0xff
	v_and_b32_sdwa v3, v9, s4 dst_sel:DWORD dst_unused:UNUSED_PAD src0_sel:WORD_1 src1_sel:DWORD
	s_movk_i32 s4, 0x7f
	v_cmp_lt_i16_e32 vcc, s4, v3
	s_mov_b64 s[4:5], 0
                                        ; implicit-def: $sgpr10
	s_and_saveexec_b64 s[6:7], vcc
	s_xor_b64 s[6:7], exec, s[6:7]
	s_cbranch_execz .LBB1_11377
; %bb.47217:
	s_getpc_b64 s[14:15]
.Lpost_getpc9272:
	s_add_u32 s14, s14, (.LBB1_25713-.Lpost_getpc9272)&4294967295
	s_addc_u32 s15, s15, (.LBB1_25713-.Lpost_getpc9272)>>32
	s_setpc_b64 s[14:15]
.LBB1_11377:
	s_or_saveexec_b64 s[6:7], s[6:7]
	v_mov_b32_e32 v2, s10
	s_xor_b64 exec, exec, s[6:7]
	s_cbranch_execz .LBB1_11378
; %bb.47219:
	s_getpc_b64 s[14:15]
.Lpost_getpc9273:
	s_add_u32 s14, s14, (.LBB1_25716-.Lpost_getpc9273)&4294967295
	s_addc_u32 s15, s15, (.LBB1_25716-.Lpost_getpc9273)>>32
	s_setpc_b64 s[14:15]
.LBB1_11378:
	s_or_b64 exec, exec, s[6:7]
	s_and_saveexec_b64 s[6:7], s[4:5]
	s_cbranch_execz .LBB1_11380
.LBB1_11379:
	v_bfe_u32 v2, v9, 16, 3
	v_ffbh_u32_e32 v6, v2
	v_min_u32_e32 v6, 32, v6
	v_lshrrev_b32_e32 v3, 19, v9
	v_subrev_u32_e32 v7, 28, v6
	v_and_b32_e32 v3, 15, v3
	v_lshlrev_b32_sdwa v7, v7, v9 dst_sel:DWORD dst_unused:UNUSED_PAD src0_sel:DWORD src1_sel:WORD_1
	v_bfe_u32 v4, v9, 19, 4
	v_sub_u32_e32 v6, 29, v6
	v_and_b32_e32 v7, 7, v7
	v_cmp_eq_u16_e32 vcc, 0, v3
	v_cndmask_b32_e32 v2, v2, v7, vcc
	v_cndmask_b32_e32 v3, v4, v6, vcc
	v_lshlrev_b32_e32 v4, 8, v9
	v_mov_b32_e32 v6, 0x3b800000
	v_lshlrev_b32_e32 v2, 20, v2
	v_and_b32_e32 v4, 0x80000000, v4
	v_lshl_add_u32 v3, v3, 23, v6
	v_or3_b32 v2, v4, v3, v2
.LBB1_11380:
	s_or_b64 exec, exec, s[6:7]
	s_movk_i32 s4, 0xff
	v_and_b32_sdwa v3, v5, s4 dst_sel:DWORD dst_unused:UNUSED_PAD src0_sel:WORD_1 src1_sel:DWORD
	s_movk_i32 s4, 0x7f
	v_cmp_lt_i16_e32 vcc, s4, v3
	s_mov_b64 s[4:5], 0
                                        ; implicit-def: $sgpr10
	s_and_saveexec_b64 s[6:7], vcc
	s_xor_b64 s[6:7], exec, s[6:7]
	s_cbranch_execz .LBB1_11381
; %bb.47221:
	s_getpc_b64 s[14:15]
.Lpost_getpc9274:
	s_add_u32 s14, s14, (.LBB1_25717-.Lpost_getpc9274)&4294967295
	s_addc_u32 s15, s15, (.LBB1_25717-.Lpost_getpc9274)>>32
	s_setpc_b64 s[14:15]
.LBB1_11381:
	s_or_saveexec_b64 s[6:7], s[6:7]
	v_mov_b32_e32 v4, s10
	s_xor_b64 exec, exec, s[6:7]
	s_cbranch_execz .LBB1_11382
; %bb.47223:
	s_getpc_b64 s[14:15]
.Lpost_getpc9275:
	s_add_u32 s14, s14, (.LBB1_25720-.Lpost_getpc9275)&4294967295
	s_addc_u32 s15, s15, (.LBB1_25720-.Lpost_getpc9275)>>32
	s_setpc_b64 s[14:15]
.LBB1_11382:
	s_or_b64 exec, exec, s[6:7]
	s_and_saveexec_b64 s[6:7], s[4:5]
	s_cbranch_execz .LBB1_11384
.LBB1_11383:
	v_bfe_u32 v3, v5, 16, 3
	v_ffbh_u32_e32 v7, v3
	v_min_u32_e32 v7, 32, v7
	v_lshrrev_b32_e32 v4, 19, v5
	v_subrev_u32_e32 v8, 28, v7
	v_and_b32_e32 v4, 15, v4
	v_lshlrev_b32_sdwa v8, v8, v5 dst_sel:DWORD dst_unused:UNUSED_PAD src0_sel:DWORD src1_sel:WORD_1
	v_bfe_u32 v6, v5, 19, 4
	v_sub_u32_e32 v7, 29, v7
	v_and_b32_e32 v8, 7, v8
	v_cmp_eq_u16_e32 vcc, 0, v4
	v_cndmask_b32_e32 v3, v3, v8, vcc
	v_cndmask_b32_e32 v4, v6, v7, vcc
	v_lshlrev_b32_e32 v6, 8, v5
	v_mov_b32_e32 v7, 0x3b800000
	v_lshlrev_b32_e32 v3, 20, v3
	v_and_b32_e32 v6, 0x80000000, v6
	v_lshl_add_u32 v4, v4, 23, v7
	v_or3_b32 v4, v6, v4, v3
.LBB1_11384:
	s_or_b64 exec, exec, s[6:7]
	s_nop 0
	v_mfma_f32_16x16x4f32 a[0:3], v2, v4, a[0:3]
	s_movk_i32 s4, 0x7f
	v_cmp_gt_i16_sdwa s[6:7], v9, s4 src0_sel:BYTE_3 src1_sel:DWORD
	s_mov_b64 s[4:5], 0
                                        ; implicit-def: $sgpr10
	s_and_saveexec_b64 s[8:9], s[6:7]
	s_xor_b64 s[6:7], exec, s[8:9]
	s_cbranch_execz .LBB1_11385
; %bb.47225:
	s_getpc_b64 s[14:15]
.Lpost_getpc9276:
	s_add_u32 s14, s14, (.LBB1_25721-.Lpost_getpc9276)&4294967295
	s_addc_u32 s15, s15, (.LBB1_25721-.Lpost_getpc9276)>>32
	s_setpc_b64 s[14:15]
.LBB1_11385:
	s_or_saveexec_b64 s[6:7], s[6:7]
	v_mov_b32_e32 v2, s10
	s_xor_b64 exec, exec, s[6:7]
	s_cbranch_execz .LBB1_11386
; %bb.47227:
	s_getpc_b64 s[14:15]
.Lpost_getpc9277:
	s_add_u32 s14, s14, (.LBB1_25724-.Lpost_getpc9277)&4294967295
	s_addc_u32 s15, s15, (.LBB1_25724-.Lpost_getpc9277)>>32
	s_setpc_b64 s[14:15]
.LBB1_11386:
	s_or_b64 exec, exec, s[6:7]
	s_and_saveexec_b64 s[6:7], s[4:5]
	s_cbranch_execz .LBB1_11388
.LBB1_11387:
	v_bfe_u32 v2, v9, 24, 3
	v_ffbh_u32_e32 v7, v2
	v_min_u32_e32 v7, 32, v7
	v_lshrrev_b32_e32 v4, 27, v9
	v_subrev_u32_e32 v8, 28, v7
	v_and_b32_e32 v4, 15, v4
	v_lshlrev_b32_sdwa v8, v8, v9 dst_sel:DWORD dst_unused:UNUSED_PAD src0_sel:DWORD src1_sel:BYTE_3
	v_bfe_u32 v6, v9, 27, 4
	v_sub_u32_e32 v7, 29, v7
	v_and_b32_e32 v8, 7, v8
	v_cmp_eq_u16_e32 vcc, 0, v4
	v_cndmask_b32_e32 v2, v2, v8, vcc
	v_cndmask_b32_e32 v4, v6, v7, vcc
	v_mov_b32_e32 v6, 0x3b800000
	v_and_b32_e32 v3, 0x80000000, v9
	v_lshlrev_b32_e32 v2, 20, v2
	v_lshl_add_u32 v4, v4, 23, v6
	v_or3_b32 v2, v3, v4, v2
.LBB1_11388:
	s_or_b64 exec, exec, s[6:7]
	s_movk_i32 s4, 0x7f
	v_cmp_gt_i16_sdwa s[6:7], v5, s4 src0_sel:BYTE_3 src1_sel:DWORD
	s_mov_b64 s[4:5], 0
                                        ; implicit-def: $sgpr10
	s_and_saveexec_b64 s[8:9], s[6:7]
	s_xor_b64 s[6:7], exec, s[8:9]
	s_cbranch_execz .LBB1_11389
; %bb.47229:
	s_getpc_b64 s[14:15]
.Lpost_getpc9278:
	s_add_u32 s14, s14, (.LBB1_25725-.Lpost_getpc9278)&4294967295
	s_addc_u32 s15, s15, (.LBB1_25725-.Lpost_getpc9278)>>32
	s_setpc_b64 s[14:15]
.LBB1_11389:
	s_or_saveexec_b64 s[6:7], s[6:7]
	v_mov_b32_e32 v3, s10
	s_xor_b64 exec, exec, s[6:7]
	s_cbranch_execz .LBB1_11390
; %bb.47231:
	s_getpc_b64 s[14:15]
.Lpost_getpc9279:
	s_add_u32 s14, s14, (.LBB1_25728-.Lpost_getpc9279)&4294967295
	s_addc_u32 s15, s15, (.LBB1_25728-.Lpost_getpc9279)>>32
	s_setpc_b64 s[14:15]
.LBB1_11390:
	s_or_b64 exec, exec, s[6:7]
	s_and_saveexec_b64 s[6:7], s[4:5]
	s_cbranch_execz .LBB1_11392
.LBB1_11391:
	v_bfe_u32 v3, v5, 24, 3
	v_ffbh_u32_e32 v8, v3
	v_min_u32_e32 v8, 32, v8
	v_lshrrev_b32_e32 v6, 27, v5
	v_subrev_u32_e32 v9, 28, v8
	v_and_b32_e32 v4, 0x80000000, v5
	v_and_b32_e32 v6, 15, v6
	v_bfe_u32 v7, v5, 27, 4
	v_lshlrev_b32_sdwa v5, v9, v5 dst_sel:DWORD dst_unused:UNUSED_PAD src0_sel:DWORD src1_sel:BYTE_3
	v_sub_u32_e32 v8, 29, v8
	v_and_b32_e32 v5, 7, v5
	v_cmp_eq_u16_e32 vcc, 0, v6
	v_cndmask_b32_e32 v3, v3, v5, vcc
	v_cndmask_b32_e32 v5, v7, v8, vcc
	v_mov_b32_e32 v6, 0x3b800000
	v_lshlrev_b32_e32 v3, 20, v3
	v_lshl_add_u32 v5, v5, 23, v6
	v_or3_b32 v3, v4, v5, v3
.LBB1_11392:
	s_or_b64 exec, exec, s[6:7]
	s_nop 0
	v_mfma_f32_16x16x4f32 a[0:3], v2, v3, a[0:3]
	s_movk_i32 s4, 0x7f
                                        ; implicit-def: $sgpr10
	s_nop 7
	s_nop 1
	flat_store_dwordx4 v[10:11], a[0:3] offset:512
	flat_load_dwordx4 v[12:15], v[0:1]
	s_nop 0
	flat_load_dwordx2 v[10:11], v[0:1] offset:16
	s_waitcnt vmcnt(0) lgkmcnt(0)
	flat_load_dwordx4 v[6:9], v[12:13] offset:176
	flat_load_dwordx4 v[2:5], v[14:15] offset:144
	s_waitcnt vmcnt(0) lgkmcnt(0)
	v_cmp_gt_i16_sdwa s[6:7], v6, s4 src0_sel:BYTE_0 src1_sel:DWORD
	s_mov_b64 s[4:5], 0
	s_and_saveexec_b64 s[8:9], s[6:7]
	s_xor_b64 s[6:7], exec, s[8:9]
	s_cbranch_execz .LBB1_11393
; %bb.47233:
	s_getpc_b64 s[14:15]
.Lpost_getpc9280:
	s_add_u32 s14, s14, (.LBB1_25729-.Lpost_getpc9280)&4294967295
	s_addc_u32 s15, s15, (.LBB1_25729-.Lpost_getpc9280)>>32
	s_setpc_b64 s[14:15]
.LBB1_11393:
	s_or_saveexec_b64 s[6:7], s[6:7]
	v_mov_b32_e32 v12, s10
	s_xor_b64 exec, exec, s[6:7]
	s_cbranch_execz .LBB1_11394
; %bb.47235:
	s_getpc_b64 s[14:15]
.Lpost_getpc9281:
	s_add_u32 s14, s14, (.LBB1_25732-.Lpost_getpc9281)&4294967295
	s_addc_u32 s15, s15, (.LBB1_25732-.Lpost_getpc9281)>>32
	s_setpc_b64 s[14:15]
.LBB1_11394:
	s_or_b64 exec, exec, s[6:7]
	s_and_saveexec_b64 s[6:7], s[4:5]
	s_cbranch_execz .LBB1_11396
.LBB1_11395:
	v_and_b32_e32 v12, 7, v6
	v_ffbh_u32_e32 v14, v12
	v_min_u32_e32 v14, 32, v14
	v_lshrrev_b16_e32 v13, 3, v6
	v_subrev_u32_e32 v15, 28, v14
	v_and_b32_e32 v13, 15, v13
	v_lshlrev_b32_e32 v15, v15, v6
	v_sub_u32_e32 v14, 29, v14
	v_and_b32_e32 v15, 7, v15
	v_cmp_eq_u16_e32 vcc, 0, v13
	v_cndmask_b32_e32 v12, v12, v15, vcc
	v_cndmask_b32_e32 v13, v13, v14, vcc
	v_lshlrev_b32_e32 v14, 24, v6
	v_mov_b32_e32 v15, 0x3b800000
	v_lshlrev_b32_e32 v12, 20, v12
	v_and_b32_e32 v14, 0x80000000, v14
	v_lshl_add_u32 v13, v13, 23, v15
	v_or3_b32 v12, v14, v13, v12
.LBB1_11396:
	s_or_b64 exec, exec, s[6:7]
	s_movk_i32 s4, 0x7f
	v_cmp_gt_i16_sdwa s[6:7], v2, s4 src0_sel:BYTE_0 src1_sel:DWORD
	s_mov_b64 s[4:5], 0
                                        ; implicit-def: $sgpr10
	s_and_saveexec_b64 s[8:9], s[6:7]
	s_xor_b64 s[6:7], exec, s[8:9]
	s_cbranch_execz .LBB1_11397
; %bb.47237:
	s_getpc_b64 s[14:15]
.Lpost_getpc9282:
	s_add_u32 s14, s14, (.LBB1_25733-.Lpost_getpc9282)&4294967295
	s_addc_u32 s15, s15, (.LBB1_25733-.Lpost_getpc9282)>>32
	s_setpc_b64 s[14:15]
.LBB1_11397:
	s_or_saveexec_b64 s[6:7], s[6:7]
	v_mov_b32_e32 v13, s10
	s_xor_b64 exec, exec, s[6:7]
	s_cbranch_execz .LBB1_11398
; %bb.47239:
	s_getpc_b64 s[14:15]
.Lpost_getpc9283:
	s_add_u32 s14, s14, (.LBB1_25736-.Lpost_getpc9283)&4294967295
	s_addc_u32 s15, s15, (.LBB1_25736-.Lpost_getpc9283)>>32
	s_setpc_b64 s[14:15]
.LBB1_11398:
	s_or_b64 exec, exec, s[6:7]
	s_and_saveexec_b64 s[6:7], s[4:5]
	s_cbranch_execz .LBB1_11400
.LBB1_11399:
	v_and_b32_e32 v13, 7, v2
	v_ffbh_u32_e32 v15, v13
	v_min_u32_e32 v15, 32, v15
	v_lshrrev_b16_e32 v14, 3, v2
	v_subrev_u32_e32 v16, 28, v15
	v_and_b32_e32 v14, 15, v14
	v_lshlrev_b32_e32 v16, v16, v2
	v_sub_u32_e32 v15, 29, v15
	v_and_b32_e32 v16, 7, v16
	v_cmp_eq_u16_e32 vcc, 0, v14
	v_cndmask_b32_e32 v13, v13, v16, vcc
	v_cndmask_b32_e32 v14, v14, v15, vcc
	v_lshlrev_b32_e32 v15, 24, v2
	v_mov_b32_e32 v16, 0x3b800000
	v_lshlrev_b32_e32 v13, 20, v13
	v_and_b32_e32 v15, 0x80000000, v15
	v_lshl_add_u32 v14, v14, 23, v16
	v_or3_b32 v13, v15, v14, v13
.LBB1_11400:
	s_or_b64 exec, exec, s[6:7]
	flat_load_dwordx4 a[0:3], v[10:11] offset:528
	s_movk_i32 s4, 0x7f
                                        ; implicit-def: $sgpr10
	s_waitcnt vmcnt(0) lgkmcnt(0)
	v_mfma_f32_16x16x4f32 a[0:3], v12, v13, a[0:3]
	v_lshrrev_b32_e32 v13, 8, v6
	v_cmp_gt_i16_sdwa s[6:7], v13, s4 src0_sel:BYTE_0 src1_sel:DWORD
	s_mov_b64 s[4:5], 0
	s_and_saveexec_b64 s[8:9], s[6:7]
	s_xor_b64 s[6:7], exec, s[8:9]
	s_cbranch_execz .LBB1_11401
; %bb.47241:
	s_getpc_b64 s[14:15]
.Lpost_getpc9284:
	s_add_u32 s14, s14, (.LBB1_25737-.Lpost_getpc9284)&4294967295
	s_addc_u32 s15, s15, (.LBB1_25737-.Lpost_getpc9284)>>32
	s_setpc_b64 s[14:15]
.LBB1_11401:
	s_or_saveexec_b64 s[6:7], s[6:7]
	v_mov_b32_e32 v12, s10
	s_xor_b64 exec, exec, s[6:7]
	s_cbranch_execz .LBB1_11402
; %bb.47243:
	s_getpc_b64 s[14:15]
.Lpost_getpc9285:
	s_add_u32 s14, s14, (.LBB1_25740-.Lpost_getpc9285)&4294967295
	s_addc_u32 s15, s15, (.LBB1_25740-.Lpost_getpc9285)>>32
	s_setpc_b64 s[14:15]
.LBB1_11402:
	s_or_b64 exec, exec, s[6:7]
	s_and_saveexec_b64 s[6:7], s[4:5]
	s_cbranch_execz .LBB1_11404
.LBB1_11403:
	v_bfe_u32 v12, v6, 8, 3
	v_ffbh_u32_e32 v15, v12
	v_min_u32_e32 v15, 32, v15
	v_lshrrev_b16_e32 v14, 3, v13
	v_subrev_u32_e32 v16, 28, v15
	v_and_b32_e32 v14, 15, v14
	v_lshlrev_b32_e32 v13, v16, v13
	v_sub_u32_e32 v15, 29, v15
	v_and_b32_e32 v13, 7, v13
	v_cmp_eq_u16_e32 vcc, 0, v14
	v_cndmask_b32_e32 v12, v12, v13, vcc
	v_cndmask_b32_e32 v13, v14, v15, vcc
	v_lshlrev_b32_e32 v14, 16, v6
	v_mov_b32_e32 v15, 0x3b800000
	v_lshlrev_b32_e32 v12, 20, v12
	v_and_b32_e32 v14, 0x80000000, v14
	v_lshl_add_u32 v13, v13, 23, v15
	v_or3_b32 v12, v14, v13, v12
.LBB1_11404:
	s_or_b64 exec, exec, s[6:7]
	v_lshrrev_b32_e32 v13, 8, v2
	s_movk_i32 s4, 0x7f
	v_cmp_gt_i16_sdwa s[6:7], v13, s4 src0_sel:BYTE_0 src1_sel:DWORD
	s_mov_b64 s[4:5], 0
                                        ; implicit-def: $sgpr10
	s_and_saveexec_b64 s[8:9], s[6:7]
	s_xor_b64 s[6:7], exec, s[8:9]
	s_cbranch_execz .LBB1_11405
; %bb.47245:
	s_getpc_b64 s[14:15]
.Lpost_getpc9286:
	s_add_u32 s14, s14, (.LBB1_25741-.Lpost_getpc9286)&4294967295
	s_addc_u32 s15, s15, (.LBB1_25741-.Lpost_getpc9286)>>32
	s_setpc_b64 s[14:15]
.LBB1_11405:
	s_or_saveexec_b64 s[6:7], s[6:7]
	v_mov_b32_e32 v14, s10
	s_xor_b64 exec, exec, s[6:7]
	s_cbranch_execz .LBB1_11406
; %bb.47247:
	s_getpc_b64 s[14:15]
.Lpost_getpc9287:
	s_add_u32 s14, s14, (.LBB1_25744-.Lpost_getpc9287)&4294967295
	s_addc_u32 s15, s15, (.LBB1_25744-.Lpost_getpc9287)>>32
	s_setpc_b64 s[14:15]
.LBB1_11406:
	s_or_b64 exec, exec, s[6:7]
	s_and_saveexec_b64 s[6:7], s[4:5]
	s_cbranch_execz .LBB1_11408
.LBB1_11407:
	v_bfe_u32 v14, v2, 8, 3
	v_ffbh_u32_e32 v16, v14
	v_min_u32_e32 v16, 32, v16
	v_lshrrev_b16_e32 v15, 3, v13
	v_subrev_u32_e32 v17, 28, v16
	v_and_b32_e32 v15, 15, v15
	v_lshlrev_b32_e32 v13, v17, v13
	v_sub_u32_e32 v16, 29, v16
	v_and_b32_e32 v13, 7, v13
	v_cmp_eq_u16_e32 vcc, 0, v15
	v_cndmask_b32_e32 v13, v14, v13, vcc
	v_cndmask_b32_e32 v14, v15, v16, vcc
	v_lshlrev_b32_e32 v15, 16, v2
	v_mov_b32_e32 v16, 0x3b800000
	v_lshlrev_b32_e32 v13, 20, v13
	v_and_b32_e32 v15, 0x80000000, v15
	v_lshl_add_u32 v14, v14, 23, v16
	v_or3_b32 v14, v15, v14, v13
.LBB1_11408:
	s_or_b64 exec, exec, s[6:7]
	s_nop 0
	v_mfma_f32_16x16x4f32 a[0:3], v12, v14, a[0:3]
	s_movk_i32 s4, 0xff
	v_and_b32_sdwa v13, v6, s4 dst_sel:DWORD dst_unused:UNUSED_PAD src0_sel:WORD_1 src1_sel:DWORD
	s_movk_i32 s4, 0x7f
	v_cmp_lt_i16_e32 vcc, s4, v13
	s_mov_b64 s[4:5], 0
                                        ; implicit-def: $sgpr10
	s_and_saveexec_b64 s[6:7], vcc
	s_xor_b64 s[6:7], exec, s[6:7]
	s_cbranch_execz .LBB1_11409
; %bb.47249:
	s_getpc_b64 s[14:15]
.Lpost_getpc9288:
	s_add_u32 s14, s14, (.LBB1_25745-.Lpost_getpc9288)&4294967295
	s_addc_u32 s15, s15, (.LBB1_25745-.Lpost_getpc9288)>>32
	s_setpc_b64 s[14:15]
.LBB1_11409:
	s_or_saveexec_b64 s[6:7], s[6:7]
	v_mov_b32_e32 v12, s10
	s_xor_b64 exec, exec, s[6:7]
	s_cbranch_execz .LBB1_11410
; %bb.47251:
	s_getpc_b64 s[14:15]
.Lpost_getpc9289:
	s_add_u32 s14, s14, (.LBB1_25748-.Lpost_getpc9289)&4294967295
	s_addc_u32 s15, s15, (.LBB1_25748-.Lpost_getpc9289)>>32
	s_setpc_b64 s[14:15]
.LBB1_11410:
	s_or_b64 exec, exec, s[6:7]
	s_and_saveexec_b64 s[6:7], s[4:5]
	s_cbranch_execz .LBB1_11412
.LBB1_11411:
	v_bfe_u32 v12, v6, 16, 3
	v_ffbh_u32_e32 v15, v12
	v_min_u32_e32 v15, 32, v15
	v_lshrrev_b32_e32 v13, 19, v6
	v_subrev_u32_e32 v16, 28, v15
	v_and_b32_e32 v13, 15, v13
	v_lshlrev_b32_sdwa v16, v16, v6 dst_sel:DWORD dst_unused:UNUSED_PAD src0_sel:DWORD src1_sel:WORD_1
	v_bfe_u32 v14, v6, 19, 4
	v_sub_u32_e32 v15, 29, v15
	v_and_b32_e32 v16, 7, v16
	v_cmp_eq_u16_e32 vcc, 0, v13
	v_cndmask_b32_e32 v12, v12, v16, vcc
	v_cndmask_b32_e32 v13, v14, v15, vcc
	v_lshlrev_b32_e32 v14, 8, v6
	v_mov_b32_e32 v15, 0x3b800000
	v_lshlrev_b32_e32 v12, 20, v12
	v_and_b32_e32 v14, 0x80000000, v14
	v_lshl_add_u32 v13, v13, 23, v15
	v_or3_b32 v12, v14, v13, v12
.LBB1_11412:
	s_or_b64 exec, exec, s[6:7]
	s_movk_i32 s4, 0xff
	v_and_b32_sdwa v13, v2, s4 dst_sel:DWORD dst_unused:UNUSED_PAD src0_sel:WORD_1 src1_sel:DWORD
	s_movk_i32 s4, 0x7f
	v_cmp_lt_i16_e32 vcc, s4, v13
	s_mov_b64 s[4:5], 0
                                        ; implicit-def: $sgpr10
	s_and_saveexec_b64 s[6:7], vcc
	s_xor_b64 s[6:7], exec, s[6:7]
	s_cbranch_execz .LBB1_11413
; %bb.47253:
	s_getpc_b64 s[14:15]
.Lpost_getpc9290:
	s_add_u32 s14, s14, (.LBB1_25749-.Lpost_getpc9290)&4294967295
	s_addc_u32 s15, s15, (.LBB1_25749-.Lpost_getpc9290)>>32
	s_setpc_b64 s[14:15]
.LBB1_11413:
	s_or_saveexec_b64 s[6:7], s[6:7]
	v_mov_b32_e32 v14, s10
	s_xor_b64 exec, exec, s[6:7]
	s_cbranch_execz .LBB1_11414
; %bb.47255:
	s_getpc_b64 s[14:15]
.Lpost_getpc9291:
	s_add_u32 s14, s14, (.LBB1_25752-.Lpost_getpc9291)&4294967295
	s_addc_u32 s15, s15, (.LBB1_25752-.Lpost_getpc9291)>>32
	s_setpc_b64 s[14:15]
.LBB1_11414:
	s_or_b64 exec, exec, s[6:7]
	s_and_saveexec_b64 s[6:7], s[4:5]
	s_cbranch_execz .LBB1_11416
.LBB1_11415:
	v_bfe_u32 v13, v2, 16, 3
	v_ffbh_u32_e32 v16, v13
	v_min_u32_e32 v16, 32, v16
	v_lshrrev_b32_e32 v14, 19, v2
	v_subrev_u32_e32 v17, 28, v16
	v_and_b32_e32 v14, 15, v14
	v_lshlrev_b32_sdwa v17, v17, v2 dst_sel:DWORD dst_unused:UNUSED_PAD src0_sel:DWORD src1_sel:WORD_1
	v_bfe_u32 v15, v2, 19, 4
	v_sub_u32_e32 v16, 29, v16
	v_and_b32_e32 v17, 7, v17
	v_cmp_eq_u16_e32 vcc, 0, v14
	v_cndmask_b32_e32 v13, v13, v17, vcc
	v_cndmask_b32_e32 v14, v15, v16, vcc
	v_lshlrev_b32_e32 v15, 8, v2
	v_mov_b32_e32 v16, 0x3b800000
	v_lshlrev_b32_e32 v13, 20, v13
	v_and_b32_e32 v15, 0x80000000, v15
	v_lshl_add_u32 v14, v14, 23, v16
	v_or3_b32 v14, v15, v14, v13
.LBB1_11416:
	s_or_b64 exec, exec, s[6:7]
	s_nop 0
	v_mfma_f32_16x16x4f32 a[0:3], v12, v14, a[0:3]
	s_movk_i32 s4, 0x7f
	v_cmp_gt_i16_sdwa s[6:7], v6, s4 src0_sel:BYTE_3 src1_sel:DWORD
	s_mov_b64 s[4:5], 0
                                        ; implicit-def: $sgpr10
	s_and_saveexec_b64 s[8:9], s[6:7]
	s_xor_b64 s[6:7], exec, s[8:9]
	s_cbranch_execz .LBB1_11417
; %bb.47257:
	s_getpc_b64 s[14:15]
.Lpost_getpc9292:
	s_add_u32 s14, s14, (.LBB1_25753-.Lpost_getpc9292)&4294967295
	s_addc_u32 s15, s15, (.LBB1_25753-.Lpost_getpc9292)>>32
	s_setpc_b64 s[14:15]
.LBB1_11417:
	s_or_saveexec_b64 s[6:7], s[6:7]
	v_mov_b32_e32 v12, s10
	s_xor_b64 exec, exec, s[6:7]
	s_cbranch_execz .LBB1_11418
; %bb.47259:
	s_getpc_b64 s[14:15]
.Lpost_getpc9293:
	s_add_u32 s14, s14, (.LBB1_25756-.Lpost_getpc9293)&4294967295
	s_addc_u32 s15, s15, (.LBB1_25756-.Lpost_getpc9293)>>32
	s_setpc_b64 s[14:15]
.LBB1_11418:
	s_or_b64 exec, exec, s[6:7]
	s_and_saveexec_b64 s[6:7], s[4:5]
	s_cbranch_execz .LBB1_11420
.LBB1_11419:
	v_bfe_u32 v12, v6, 24, 3
	v_ffbh_u32_e32 v16, v12
	v_min_u32_e32 v16, 32, v16
	v_lshrrev_b32_e32 v14, 27, v6
	v_subrev_u32_e32 v17, 28, v16
	v_and_b32_e32 v13, 0x80000000, v6
	v_and_b32_e32 v14, 15, v14
	v_bfe_u32 v15, v6, 27, 4
	v_lshlrev_b32_sdwa v6, v17, v6 dst_sel:DWORD dst_unused:UNUSED_PAD src0_sel:DWORD src1_sel:BYTE_3
	v_sub_u32_e32 v16, 29, v16
	v_and_b32_e32 v6, 7, v6
	v_cmp_eq_u16_e32 vcc, 0, v14
	v_cndmask_b32_e32 v6, v12, v6, vcc
	v_cndmask_b32_e32 v12, v15, v16, vcc
	v_mov_b32_e32 v14, 0x3b800000
	v_lshlrev_b32_e32 v6, 20, v6
	v_lshl_add_u32 v12, v12, 23, v14
	v_or3_b32 v12, v13, v12, v6
.LBB1_11420:
	s_or_b64 exec, exec, s[6:7]
	s_movk_i32 s4, 0x7f
	v_cmp_gt_i16_sdwa s[6:7], v2, s4 src0_sel:BYTE_3 src1_sel:DWORD
	s_mov_b64 s[4:5], 0
                                        ; implicit-def: $sgpr10
	s_and_saveexec_b64 s[8:9], s[6:7]
	s_xor_b64 s[6:7], exec, s[8:9]
	s_cbranch_execz .LBB1_11421
; %bb.47261:
	s_getpc_b64 s[14:15]
.Lpost_getpc9294:
	s_add_u32 s14, s14, (.LBB1_25757-.Lpost_getpc9294)&4294967295
	s_addc_u32 s15, s15, (.LBB1_25757-.Lpost_getpc9294)>>32
	s_setpc_b64 s[14:15]
.LBB1_11421:
	s_or_saveexec_b64 s[6:7], s[6:7]
	v_mov_b32_e32 v6, s10
	s_xor_b64 exec, exec, s[6:7]
	s_cbranch_execz .LBB1_11422
; %bb.47263:
	s_getpc_b64 s[14:15]
.Lpost_getpc9295:
	s_add_u32 s14, s14, (.LBB1_25760-.Lpost_getpc9295)&4294967295
	s_addc_u32 s15, s15, (.LBB1_25760-.Lpost_getpc9295)>>32
	s_setpc_b64 s[14:15]
.LBB1_11422:
	s_or_b64 exec, exec, s[6:7]
	s_and_saveexec_b64 s[6:7], s[4:5]
	s_cbranch_execz .LBB1_11424
.LBB1_11423:
	v_bfe_u32 v6, v2, 24, 3
	v_ffbh_u32_e32 v16, v6
	v_min_u32_e32 v16, 32, v16
	v_lshrrev_b32_e32 v14, 27, v2
	v_subrev_u32_e32 v17, 28, v16
	v_and_b32_e32 v13, 0x80000000, v2
	v_and_b32_e32 v14, 15, v14
	v_bfe_u32 v15, v2, 27, 4
	v_lshlrev_b32_sdwa v2, v17, v2 dst_sel:DWORD dst_unused:UNUSED_PAD src0_sel:DWORD src1_sel:BYTE_3
	v_sub_u32_e32 v16, 29, v16
	v_and_b32_e32 v2, 7, v2
	v_cmp_eq_u16_e32 vcc, 0, v14
	v_cndmask_b32_e32 v2, v6, v2, vcc
	v_cndmask_b32_e32 v6, v15, v16, vcc
	v_mov_b32_e32 v14, 0x3b800000
	v_lshlrev_b32_e32 v2, 20, v2
	v_lshl_add_u32 v6, v6, 23, v14
	v_or3_b32 v6, v13, v6, v2
.LBB1_11424:
	s_or_b64 exec, exec, s[6:7]
	s_nop 0
	v_mfma_f32_16x16x4f32 a[0:3], v12, v6, a[0:3]
	s_movk_i32 s4, 0x7f
	v_cmp_gt_i16_sdwa s[6:7], v7, s4 src0_sel:BYTE_0 src1_sel:DWORD
	s_mov_b64 s[4:5], 0
                                        ; implicit-def: $sgpr10
	s_and_saveexec_b64 s[8:9], s[6:7]
	s_xor_b64 s[6:7], exec, s[8:9]
	s_cbranch_execz .LBB1_11425
; %bb.47265:
	s_getpc_b64 s[14:15]
.Lpost_getpc9296:
	s_add_u32 s14, s14, (.LBB1_25761-.Lpost_getpc9296)&4294967295
	s_addc_u32 s15, s15, (.LBB1_25761-.Lpost_getpc9296)>>32
	s_setpc_b64 s[14:15]
.LBB1_11425:
	s_or_saveexec_b64 s[6:7], s[6:7]
	v_mov_b32_e32 v2, s10
	s_xor_b64 exec, exec, s[6:7]
	s_cbranch_execz .LBB1_11426
; %bb.47267:
	s_getpc_b64 s[14:15]
.Lpost_getpc9297:
	s_add_u32 s14, s14, (.LBB1_25764-.Lpost_getpc9297)&4294967295
	s_addc_u32 s15, s15, (.LBB1_25764-.Lpost_getpc9297)>>32
	s_setpc_b64 s[14:15]
.LBB1_11426:
	s_or_b64 exec, exec, s[6:7]
	s_and_saveexec_b64 s[6:7], s[4:5]
	s_cbranch_execz .LBB1_11428
.LBB1_11427:
	v_and_b32_e32 v2, 7, v7
	v_ffbh_u32_e32 v12, v2
	v_min_u32_e32 v12, 32, v12
	v_lshrrev_b16_e32 v6, 3, v7
	v_subrev_u32_e32 v13, 28, v12
	v_and_b32_e32 v6, 15, v6
	v_lshlrev_b32_e32 v13, v13, v7
	v_sub_u32_e32 v12, 29, v12
	v_and_b32_e32 v13, 7, v13
	v_cmp_eq_u16_e32 vcc, 0, v6
	v_cndmask_b32_e32 v2, v2, v13, vcc
	v_cndmask_b32_e32 v6, v6, v12, vcc
	v_lshlrev_b32_e32 v12, 24, v7
	v_mov_b32_e32 v13, 0x3b800000
	v_lshlrev_b32_e32 v2, 20, v2
	v_and_b32_e32 v12, 0x80000000, v12
	v_lshl_add_u32 v6, v6, 23, v13
	v_or3_b32 v2, v12, v6, v2
.LBB1_11428:
	s_or_b64 exec, exec, s[6:7]
	s_movk_i32 s4, 0x7f
	v_cmp_gt_i16_sdwa s[6:7], v3, s4 src0_sel:BYTE_0 src1_sel:DWORD
	s_mov_b64 s[4:5], 0
                                        ; implicit-def: $sgpr10
	s_and_saveexec_b64 s[8:9], s[6:7]
	s_xor_b64 s[6:7], exec, s[8:9]
	s_cbranch_execz .LBB1_11429
; %bb.47269:
	s_getpc_b64 s[14:15]
.Lpost_getpc9298:
	s_add_u32 s14, s14, (.LBB1_25765-.Lpost_getpc9298)&4294967295
	s_addc_u32 s15, s15, (.LBB1_25765-.Lpost_getpc9298)>>32
	s_setpc_b64 s[14:15]
.LBB1_11429:
	s_or_saveexec_b64 s[6:7], s[6:7]
	v_mov_b32_e32 v6, s10
	s_xor_b64 exec, exec, s[6:7]
	s_cbranch_execz .LBB1_11430
; %bb.47271:
	s_getpc_b64 s[14:15]
.Lpost_getpc9299:
	s_add_u32 s14, s14, (.LBB1_25768-.Lpost_getpc9299)&4294967295
	s_addc_u32 s15, s15, (.LBB1_25768-.Lpost_getpc9299)>>32
	s_setpc_b64 s[14:15]
.LBB1_11430:
	s_or_b64 exec, exec, s[6:7]
	s_and_saveexec_b64 s[6:7], s[4:5]
	s_cbranch_execz .LBB1_11432
.LBB1_11431:
	v_and_b32_e32 v6, 7, v3
	v_ffbh_u32_e32 v13, v6
	v_min_u32_e32 v13, 32, v13
	v_lshrrev_b16_e32 v12, 3, v3
	v_subrev_u32_e32 v14, 28, v13
	v_and_b32_e32 v12, 15, v12
	v_lshlrev_b32_e32 v14, v14, v3
	v_sub_u32_e32 v13, 29, v13
	v_and_b32_e32 v14, 7, v14
	v_cmp_eq_u16_e32 vcc, 0, v12
	v_cndmask_b32_e32 v6, v6, v14, vcc
	v_cndmask_b32_e32 v12, v12, v13, vcc
	v_lshlrev_b32_e32 v13, 24, v3
	v_mov_b32_e32 v14, 0x3b800000
	v_lshlrev_b32_e32 v6, 20, v6
	v_and_b32_e32 v13, 0x80000000, v13
	v_lshl_add_u32 v12, v12, 23, v14
	v_or3_b32 v6, v13, v12, v6
.LBB1_11432:
	s_or_b64 exec, exec, s[6:7]
	s_nop 0
	v_mfma_f32_16x16x4f32 a[0:3], v2, v6, a[0:3]
	v_lshrrev_b32_e32 v6, 8, v7
	s_movk_i32 s4, 0x7f
	v_cmp_gt_i16_sdwa s[6:7], v6, s4 src0_sel:BYTE_0 src1_sel:DWORD
	s_mov_b64 s[4:5], 0
                                        ; implicit-def: $sgpr10
	s_and_saveexec_b64 s[8:9], s[6:7]
	s_xor_b64 s[6:7], exec, s[8:9]
	s_cbranch_execz .LBB1_11433
; %bb.47273:
	s_getpc_b64 s[14:15]
.Lpost_getpc9300:
	s_add_u32 s14, s14, (.LBB1_25769-.Lpost_getpc9300)&4294967295
	s_addc_u32 s15, s15, (.LBB1_25769-.Lpost_getpc9300)>>32
	s_setpc_b64 s[14:15]
.LBB1_11433:
	s_or_saveexec_b64 s[6:7], s[6:7]
	v_mov_b32_e32 v2, s10
	s_xor_b64 exec, exec, s[6:7]
	s_cbranch_execz .LBB1_11434
; %bb.47275:
	s_getpc_b64 s[14:15]
.Lpost_getpc9301:
	s_add_u32 s14, s14, (.LBB1_25772-.Lpost_getpc9301)&4294967295
	s_addc_u32 s15, s15, (.LBB1_25772-.Lpost_getpc9301)>>32
	s_setpc_b64 s[14:15]
.LBB1_11434:
	s_or_b64 exec, exec, s[6:7]
	s_and_saveexec_b64 s[6:7], s[4:5]
	s_cbranch_execz .LBB1_11436
.LBB1_11435:
	v_bfe_u32 v2, v7, 8, 3
	v_ffbh_u32_e32 v13, v2
	v_min_u32_e32 v13, 32, v13
	v_lshrrev_b16_e32 v12, 3, v6
	v_subrev_u32_e32 v14, 28, v13
	v_and_b32_e32 v12, 15, v12
	v_lshlrev_b32_e32 v6, v14, v6
	v_sub_u32_e32 v13, 29, v13
	v_and_b32_e32 v6, 7, v6
	v_cmp_eq_u16_e32 vcc, 0, v12
	v_cndmask_b32_e32 v2, v2, v6, vcc
	v_cndmask_b32_e32 v6, v12, v13, vcc
	v_lshlrev_b32_e32 v12, 16, v7
	v_mov_b32_e32 v13, 0x3b800000
	v_lshlrev_b32_e32 v2, 20, v2
	v_and_b32_e32 v12, 0x80000000, v12
	v_lshl_add_u32 v6, v6, 23, v13
	v_or3_b32 v2, v12, v6, v2
.LBB1_11436:
	s_or_b64 exec, exec, s[6:7]
	v_lshrrev_b32_e32 v6, 8, v3
	s_movk_i32 s4, 0x7f
	v_cmp_gt_i16_sdwa s[6:7], v6, s4 src0_sel:BYTE_0 src1_sel:DWORD
	s_mov_b64 s[4:5], 0
                                        ; implicit-def: $sgpr10
	s_and_saveexec_b64 s[8:9], s[6:7]
	s_xor_b64 s[6:7], exec, s[8:9]
	s_cbranch_execz .LBB1_11437
; %bb.47277:
	s_getpc_b64 s[14:15]
.Lpost_getpc9302:
	s_add_u32 s14, s14, (.LBB1_25773-.Lpost_getpc9302)&4294967295
	s_addc_u32 s15, s15, (.LBB1_25773-.Lpost_getpc9302)>>32
	s_setpc_b64 s[14:15]
.LBB1_11437:
	s_or_saveexec_b64 s[6:7], s[6:7]
	v_mov_b32_e32 v12, s10
	s_xor_b64 exec, exec, s[6:7]
	s_cbranch_execz .LBB1_11438
; %bb.47279:
	s_getpc_b64 s[14:15]
.Lpost_getpc9303:
	s_add_u32 s14, s14, (.LBB1_25776-.Lpost_getpc9303)&4294967295
	s_addc_u32 s15, s15, (.LBB1_25776-.Lpost_getpc9303)>>32
	s_setpc_b64 s[14:15]
.LBB1_11438:
	s_or_b64 exec, exec, s[6:7]
	s_and_saveexec_b64 s[6:7], s[4:5]
	s_cbranch_execz .LBB1_11440
.LBB1_11439:
	v_bfe_u32 v12, v3, 8, 3
	v_ffbh_u32_e32 v14, v12
	v_min_u32_e32 v14, 32, v14
	v_lshrrev_b16_e32 v13, 3, v6
	v_subrev_u32_e32 v15, 28, v14
	v_and_b32_e32 v13, 15, v13
	v_lshlrev_b32_e32 v6, v15, v6
	v_sub_u32_e32 v14, 29, v14
	v_and_b32_e32 v6, 7, v6
	v_cmp_eq_u16_e32 vcc, 0, v13
	v_cndmask_b32_e32 v6, v12, v6, vcc
	v_cndmask_b32_e32 v12, v13, v14, vcc
	v_lshlrev_b32_e32 v13, 16, v3
	v_mov_b32_e32 v14, 0x3b800000
	v_lshlrev_b32_e32 v6, 20, v6
	v_and_b32_e32 v13, 0x80000000, v13
	v_lshl_add_u32 v12, v12, 23, v14
	v_or3_b32 v12, v13, v12, v6
.LBB1_11440:
	s_or_b64 exec, exec, s[6:7]
	s_nop 0
	v_mfma_f32_16x16x4f32 a[0:3], v2, v12, a[0:3]
	s_movk_i32 s4, 0xff
	v_and_b32_sdwa v6, v7, s4 dst_sel:DWORD dst_unused:UNUSED_PAD src0_sel:WORD_1 src1_sel:DWORD
	s_movk_i32 s4, 0x7f
	v_cmp_lt_i16_e32 vcc, s4, v6
	s_mov_b64 s[4:5], 0
                                        ; implicit-def: $sgpr10
	s_and_saveexec_b64 s[6:7], vcc
	s_xor_b64 s[6:7], exec, s[6:7]
	s_cbranch_execz .LBB1_11441
; %bb.47281:
	s_getpc_b64 s[14:15]
.Lpost_getpc9304:
	s_add_u32 s14, s14, (.LBB1_25777-.Lpost_getpc9304)&4294967295
	s_addc_u32 s15, s15, (.LBB1_25777-.Lpost_getpc9304)>>32
	s_setpc_b64 s[14:15]
.LBB1_11441:
	s_or_saveexec_b64 s[6:7], s[6:7]
	v_mov_b32_e32 v2, s10
	s_xor_b64 exec, exec, s[6:7]
	s_cbranch_execz .LBB1_11442
; %bb.47283:
	s_getpc_b64 s[14:15]
.Lpost_getpc9305:
	s_add_u32 s14, s14, (.LBB1_25780-.Lpost_getpc9305)&4294967295
	s_addc_u32 s15, s15, (.LBB1_25780-.Lpost_getpc9305)>>32
	s_setpc_b64 s[14:15]
.LBB1_11442:
	s_or_b64 exec, exec, s[6:7]
	s_and_saveexec_b64 s[6:7], s[4:5]
	s_cbranch_execz .LBB1_11444
.LBB1_11443:
	v_bfe_u32 v2, v7, 16, 3
	v_ffbh_u32_e32 v13, v2
	v_min_u32_e32 v13, 32, v13
	v_lshrrev_b32_e32 v6, 19, v7
	v_subrev_u32_e32 v14, 28, v13
	v_and_b32_e32 v6, 15, v6
	v_lshlrev_b32_sdwa v14, v14, v7 dst_sel:DWORD dst_unused:UNUSED_PAD src0_sel:DWORD src1_sel:WORD_1
	v_bfe_u32 v12, v7, 19, 4
	v_sub_u32_e32 v13, 29, v13
	v_and_b32_e32 v14, 7, v14
	v_cmp_eq_u16_e32 vcc, 0, v6
	v_cndmask_b32_e32 v2, v2, v14, vcc
	v_cndmask_b32_e32 v6, v12, v13, vcc
	v_lshlrev_b32_e32 v12, 8, v7
	v_mov_b32_e32 v13, 0x3b800000
	v_lshlrev_b32_e32 v2, 20, v2
	v_and_b32_e32 v12, 0x80000000, v12
	v_lshl_add_u32 v6, v6, 23, v13
	v_or3_b32 v2, v12, v6, v2
.LBB1_11444:
	s_or_b64 exec, exec, s[6:7]
	s_movk_i32 s4, 0xff
	v_and_b32_sdwa v6, v3, s4 dst_sel:DWORD dst_unused:UNUSED_PAD src0_sel:WORD_1 src1_sel:DWORD
	s_movk_i32 s4, 0x7f
	v_cmp_lt_i16_e32 vcc, s4, v6
	s_mov_b64 s[4:5], 0
                                        ; implicit-def: $sgpr10
	s_and_saveexec_b64 s[6:7], vcc
	s_xor_b64 s[6:7], exec, s[6:7]
	s_cbranch_execz .LBB1_11445
; %bb.47285:
	s_getpc_b64 s[14:15]
.Lpost_getpc9306:
	s_add_u32 s14, s14, (.LBB1_25781-.Lpost_getpc9306)&4294967295
	s_addc_u32 s15, s15, (.LBB1_25781-.Lpost_getpc9306)>>32
	s_setpc_b64 s[14:15]
.LBB1_11445:
	s_or_saveexec_b64 s[6:7], s[6:7]
	v_mov_b32_e32 v12, s10
	s_xor_b64 exec, exec, s[6:7]
	s_cbranch_execz .LBB1_11446
; %bb.47287:
	s_getpc_b64 s[14:15]
.Lpost_getpc9307:
	s_add_u32 s14, s14, (.LBB1_25784-.Lpost_getpc9307)&4294967295
	s_addc_u32 s15, s15, (.LBB1_25784-.Lpost_getpc9307)>>32
	s_setpc_b64 s[14:15]
.LBB1_11446:
	s_or_b64 exec, exec, s[6:7]
	s_and_saveexec_b64 s[6:7], s[4:5]
	s_cbranch_execz .LBB1_11448
.LBB1_11447:
	v_bfe_u32 v6, v3, 16, 3
	v_ffbh_u32_e32 v14, v6
	v_min_u32_e32 v14, 32, v14
	v_lshrrev_b32_e32 v12, 19, v3
	v_subrev_u32_e32 v15, 28, v14
	v_and_b32_e32 v12, 15, v12
	v_lshlrev_b32_sdwa v15, v15, v3 dst_sel:DWORD dst_unused:UNUSED_PAD src0_sel:DWORD src1_sel:WORD_1
	v_bfe_u32 v13, v3, 19, 4
	v_sub_u32_e32 v14, 29, v14
	v_and_b32_e32 v15, 7, v15
	v_cmp_eq_u16_e32 vcc, 0, v12
	v_cndmask_b32_e32 v6, v6, v15, vcc
	v_cndmask_b32_e32 v12, v13, v14, vcc
	v_lshlrev_b32_e32 v13, 8, v3
	v_mov_b32_e32 v14, 0x3b800000
	v_lshlrev_b32_e32 v6, 20, v6
	v_and_b32_e32 v13, 0x80000000, v13
	v_lshl_add_u32 v12, v12, 23, v14
	v_or3_b32 v12, v13, v12, v6
.LBB1_11448:
	s_or_b64 exec, exec, s[6:7]
	s_nop 0
	v_mfma_f32_16x16x4f32 a[0:3], v2, v12, a[0:3]
	s_movk_i32 s4, 0x7f
	v_cmp_gt_i16_sdwa s[6:7], v7, s4 src0_sel:BYTE_3 src1_sel:DWORD
	s_mov_b64 s[4:5], 0
                                        ; implicit-def: $sgpr10
	s_and_saveexec_b64 s[8:9], s[6:7]
	s_xor_b64 s[6:7], exec, s[8:9]
	s_cbranch_execz .LBB1_11449
; %bb.47289:
	s_getpc_b64 s[14:15]
.Lpost_getpc9308:
	s_add_u32 s14, s14, (.LBB1_25785-.Lpost_getpc9308)&4294967295
	s_addc_u32 s15, s15, (.LBB1_25785-.Lpost_getpc9308)>>32
	s_setpc_b64 s[14:15]
.LBB1_11449:
	s_or_saveexec_b64 s[6:7], s[6:7]
	v_mov_b32_e32 v2, s10
	s_xor_b64 exec, exec, s[6:7]
	s_cbranch_execz .LBB1_11450
; %bb.47291:
	s_getpc_b64 s[14:15]
.Lpost_getpc9309:
	s_add_u32 s14, s14, (.LBB1_25788-.Lpost_getpc9309)&4294967295
	s_addc_u32 s15, s15, (.LBB1_25788-.Lpost_getpc9309)>>32
	s_setpc_b64 s[14:15]
.LBB1_11450:
	s_or_b64 exec, exec, s[6:7]
	s_and_saveexec_b64 s[6:7], s[4:5]
	s_cbranch_execz .LBB1_11452
.LBB1_11451:
	v_bfe_u32 v2, v7, 24, 3
	v_ffbh_u32_e32 v14, v2
	v_min_u32_e32 v14, 32, v14
	v_lshrrev_b32_e32 v12, 27, v7
	v_subrev_u32_e32 v15, 28, v14
	v_and_b32_e32 v6, 0x80000000, v7
	v_and_b32_e32 v12, 15, v12
	v_bfe_u32 v13, v7, 27, 4
	v_lshlrev_b32_sdwa v7, v15, v7 dst_sel:DWORD dst_unused:UNUSED_PAD src0_sel:DWORD src1_sel:BYTE_3
	v_sub_u32_e32 v14, 29, v14
	v_and_b32_e32 v7, 7, v7
	v_cmp_eq_u16_e32 vcc, 0, v12
	v_cndmask_b32_e32 v2, v2, v7, vcc
	v_cndmask_b32_e32 v7, v13, v14, vcc
	v_mov_b32_e32 v12, 0x3b800000
	v_lshlrev_b32_e32 v2, 20, v2
	v_lshl_add_u32 v7, v7, 23, v12
	v_or3_b32 v2, v6, v7, v2
.LBB1_11452:
	s_or_b64 exec, exec, s[6:7]
	s_movk_i32 s4, 0x7f
	v_cmp_gt_i16_sdwa s[6:7], v3, s4 src0_sel:BYTE_3 src1_sel:DWORD
	s_mov_b64 s[4:5], 0
                                        ; implicit-def: $sgpr10
	s_and_saveexec_b64 s[8:9], s[6:7]
	s_xor_b64 s[6:7], exec, s[8:9]
	s_cbranch_execz .LBB1_11453
; %bb.47293:
	s_getpc_b64 s[14:15]
.Lpost_getpc9310:
	s_add_u32 s14, s14, (.LBB1_25789-.Lpost_getpc9310)&4294967295
	s_addc_u32 s15, s15, (.LBB1_25789-.Lpost_getpc9310)>>32
	s_setpc_b64 s[14:15]
.LBB1_11453:
	s_or_saveexec_b64 s[6:7], s[6:7]
	v_mov_b32_e32 v6, s10
	s_xor_b64 exec, exec, s[6:7]
	s_cbranch_execz .LBB1_11454
; %bb.47295:
	s_getpc_b64 s[14:15]
.Lpost_getpc9311:
	s_add_u32 s14, s14, (.LBB1_25792-.Lpost_getpc9311)&4294967295
	s_addc_u32 s15, s15, (.LBB1_25792-.Lpost_getpc9311)>>32
	s_setpc_b64 s[14:15]
.LBB1_11454:
	s_or_b64 exec, exec, s[6:7]
	s_and_saveexec_b64 s[6:7], s[4:5]
	s_cbranch_execz .LBB1_11456
.LBB1_11455:
	v_bfe_u32 v6, v3, 24, 3
	v_ffbh_u32_e32 v14, v6
	v_min_u32_e32 v14, 32, v14
	v_lshrrev_b32_e32 v12, 27, v3
	v_subrev_u32_e32 v15, 28, v14
	v_and_b32_e32 v7, 0x80000000, v3
	v_and_b32_e32 v12, 15, v12
	v_bfe_u32 v13, v3, 27, 4
	v_lshlrev_b32_sdwa v3, v15, v3 dst_sel:DWORD dst_unused:UNUSED_PAD src0_sel:DWORD src1_sel:BYTE_3
	v_sub_u32_e32 v14, 29, v14
	v_and_b32_e32 v3, 7, v3
	v_cmp_eq_u16_e32 vcc, 0, v12
	v_cndmask_b32_e32 v3, v6, v3, vcc
	v_cndmask_b32_e32 v6, v13, v14, vcc
	v_mov_b32_e32 v12, 0x3b800000
	v_lshlrev_b32_e32 v3, 20, v3
	v_lshl_add_u32 v6, v6, 23, v12
	v_or3_b32 v6, v7, v6, v3
.LBB1_11456:
	s_or_b64 exec, exec, s[6:7]
	s_nop 0
	v_mfma_f32_16x16x4f32 a[0:3], v2, v6, a[0:3]
	s_movk_i32 s4, 0x7f
	v_cmp_gt_i16_sdwa s[6:7], v8, s4 src0_sel:BYTE_0 src1_sel:DWORD
	s_mov_b64 s[4:5], 0
                                        ; implicit-def: $sgpr10
	s_and_saveexec_b64 s[8:9], s[6:7]
	s_xor_b64 s[6:7], exec, s[8:9]
	s_cbranch_execz .LBB1_11457
; %bb.47297:
	s_getpc_b64 s[14:15]
.Lpost_getpc9312:
	s_add_u32 s14, s14, (.LBB1_25793-.Lpost_getpc9312)&4294967295
	s_addc_u32 s15, s15, (.LBB1_25793-.Lpost_getpc9312)>>32
	s_setpc_b64 s[14:15]
.LBB1_11457:
	s_or_saveexec_b64 s[6:7], s[6:7]
	v_mov_b32_e32 v2, s10
	s_xor_b64 exec, exec, s[6:7]
	s_cbranch_execz .LBB1_11458
; %bb.47299:
	s_getpc_b64 s[14:15]
.Lpost_getpc9313:
	s_add_u32 s14, s14, (.LBB1_25796-.Lpost_getpc9313)&4294967295
	s_addc_u32 s15, s15, (.LBB1_25796-.Lpost_getpc9313)>>32
	s_setpc_b64 s[14:15]
.LBB1_11458:
	s_or_b64 exec, exec, s[6:7]
	s_and_saveexec_b64 s[6:7], s[4:5]
	s_cbranch_execz .LBB1_11460
.LBB1_11459:
	v_and_b32_e32 v2, 7, v8
	v_ffbh_u32_e32 v6, v2
	v_min_u32_e32 v6, 32, v6
	v_lshrrev_b16_e32 v3, 3, v8
	v_subrev_u32_e32 v7, 28, v6
	v_and_b32_e32 v3, 15, v3
	v_lshlrev_b32_e32 v7, v7, v8
	v_sub_u32_e32 v6, 29, v6
	v_and_b32_e32 v7, 7, v7
	v_cmp_eq_u16_e32 vcc, 0, v3
	v_cndmask_b32_e32 v2, v2, v7, vcc
	v_cndmask_b32_e32 v3, v3, v6, vcc
	v_lshlrev_b32_e32 v6, 24, v8
	v_mov_b32_e32 v7, 0x3b800000
	v_lshlrev_b32_e32 v2, 20, v2
	v_and_b32_e32 v6, 0x80000000, v6
	v_lshl_add_u32 v3, v3, 23, v7
	v_or3_b32 v2, v6, v3, v2
.LBB1_11460:
	s_or_b64 exec, exec, s[6:7]
	s_movk_i32 s4, 0x7f
	v_cmp_gt_i16_sdwa s[6:7], v4, s4 src0_sel:BYTE_0 src1_sel:DWORD
	s_mov_b64 s[4:5], 0
                                        ; implicit-def: $sgpr10
	s_and_saveexec_b64 s[8:9], s[6:7]
	s_xor_b64 s[6:7], exec, s[8:9]
	s_cbranch_execz .LBB1_11461
; %bb.47301:
	s_getpc_b64 s[14:15]
.Lpost_getpc9314:
	s_add_u32 s14, s14, (.LBB1_25797-.Lpost_getpc9314)&4294967295
	s_addc_u32 s15, s15, (.LBB1_25797-.Lpost_getpc9314)>>32
	s_setpc_b64 s[14:15]
.LBB1_11461:
	s_or_saveexec_b64 s[6:7], s[6:7]
	v_mov_b32_e32 v3, s10
	s_xor_b64 exec, exec, s[6:7]
	s_cbranch_execz .LBB1_11462
; %bb.47303:
	s_getpc_b64 s[14:15]
.Lpost_getpc9315:
	s_add_u32 s14, s14, (.LBB1_25800-.Lpost_getpc9315)&4294967295
	s_addc_u32 s15, s15, (.LBB1_25800-.Lpost_getpc9315)>>32
	s_setpc_b64 s[14:15]
.LBB1_11462:
	s_or_b64 exec, exec, s[6:7]
	s_and_saveexec_b64 s[6:7], s[4:5]
	s_cbranch_execz .LBB1_11464
.LBB1_11463:
	v_and_b32_e32 v3, 7, v4
	v_ffbh_u32_e32 v7, v3
	v_min_u32_e32 v7, 32, v7
	v_lshrrev_b16_e32 v6, 3, v4
	v_subrev_u32_e32 v12, 28, v7
	v_and_b32_e32 v6, 15, v6
	v_lshlrev_b32_e32 v12, v12, v4
	v_sub_u32_e32 v7, 29, v7
	v_and_b32_e32 v12, 7, v12
	v_cmp_eq_u16_e32 vcc, 0, v6
	v_cndmask_b32_e32 v3, v3, v12, vcc
	v_cndmask_b32_e32 v6, v6, v7, vcc
	v_lshlrev_b32_e32 v7, 24, v4
	v_mov_b32_e32 v12, 0x3b800000
	v_lshlrev_b32_e32 v3, 20, v3
	v_and_b32_e32 v7, 0x80000000, v7
	v_lshl_add_u32 v6, v6, 23, v12
	v_or3_b32 v3, v7, v6, v3
.LBB1_11464:
	s_or_b64 exec, exec, s[6:7]
	s_nop 0
	v_mfma_f32_16x16x4f32 a[0:3], v2, v3, a[0:3]
	v_lshrrev_b32_e32 v3, 8, v8
	s_movk_i32 s4, 0x7f
	v_cmp_gt_i16_sdwa s[6:7], v3, s4 src0_sel:BYTE_0 src1_sel:DWORD
	s_mov_b64 s[4:5], 0
                                        ; implicit-def: $sgpr10
	s_and_saveexec_b64 s[8:9], s[6:7]
	s_xor_b64 s[6:7], exec, s[8:9]
	s_cbranch_execz .LBB1_11465
; %bb.47305:
	s_getpc_b64 s[14:15]
.Lpost_getpc9316:
	s_add_u32 s14, s14, (.LBB1_25801-.Lpost_getpc9316)&4294967295
	s_addc_u32 s15, s15, (.LBB1_25801-.Lpost_getpc9316)>>32
	s_setpc_b64 s[14:15]
.LBB1_11465:
	s_or_saveexec_b64 s[6:7], s[6:7]
	v_mov_b32_e32 v2, s10
	s_xor_b64 exec, exec, s[6:7]
	s_cbranch_execz .LBB1_11466
; %bb.47307:
	s_getpc_b64 s[14:15]
.Lpost_getpc9317:
	s_add_u32 s14, s14, (.LBB1_25804-.Lpost_getpc9317)&4294967295
	s_addc_u32 s15, s15, (.LBB1_25804-.Lpost_getpc9317)>>32
	s_setpc_b64 s[14:15]
.LBB1_11466:
	s_or_b64 exec, exec, s[6:7]
	s_and_saveexec_b64 s[6:7], s[4:5]
	s_cbranch_execz .LBB1_11468
.LBB1_11467:
	v_bfe_u32 v2, v8, 8, 3
	v_ffbh_u32_e32 v7, v2
	v_min_u32_e32 v7, 32, v7
	v_lshrrev_b16_e32 v6, 3, v3
	v_subrev_u32_e32 v12, 28, v7
	v_and_b32_e32 v6, 15, v6
	v_lshlrev_b32_e32 v3, v12, v3
	v_sub_u32_e32 v7, 29, v7
	v_and_b32_e32 v3, 7, v3
	v_cmp_eq_u16_e32 vcc, 0, v6
	v_cndmask_b32_e32 v2, v2, v3, vcc
	v_cndmask_b32_e32 v3, v6, v7, vcc
	v_lshlrev_b32_e32 v6, 16, v8
	v_mov_b32_e32 v7, 0x3b800000
	v_lshlrev_b32_e32 v2, 20, v2
	v_and_b32_e32 v6, 0x80000000, v6
	v_lshl_add_u32 v3, v3, 23, v7
	v_or3_b32 v2, v6, v3, v2
.LBB1_11468:
	s_or_b64 exec, exec, s[6:7]
	v_lshrrev_b32_e32 v3, 8, v4
	s_movk_i32 s4, 0x7f
	v_cmp_gt_i16_sdwa s[6:7], v3, s4 src0_sel:BYTE_0 src1_sel:DWORD
	s_mov_b64 s[4:5], 0
                                        ; implicit-def: $sgpr10
	s_and_saveexec_b64 s[8:9], s[6:7]
	s_xor_b64 s[6:7], exec, s[8:9]
	s_cbranch_execz .LBB1_11469
; %bb.47309:
	s_getpc_b64 s[14:15]
.Lpost_getpc9318:
	s_add_u32 s14, s14, (.LBB1_25805-.Lpost_getpc9318)&4294967295
	s_addc_u32 s15, s15, (.LBB1_25805-.Lpost_getpc9318)>>32
	s_setpc_b64 s[14:15]
.LBB1_11469:
	s_or_saveexec_b64 s[6:7], s[6:7]
	v_mov_b32_e32 v6, s10
	s_xor_b64 exec, exec, s[6:7]
	s_cbranch_execz .LBB1_11470
; %bb.47311:
	s_getpc_b64 s[14:15]
.Lpost_getpc9319:
	s_add_u32 s14, s14, (.LBB1_25808-.Lpost_getpc9319)&4294967295
	s_addc_u32 s15, s15, (.LBB1_25808-.Lpost_getpc9319)>>32
	s_setpc_b64 s[14:15]
.LBB1_11470:
	s_or_b64 exec, exec, s[6:7]
	s_and_saveexec_b64 s[6:7], s[4:5]
	s_cbranch_execz .LBB1_11472
.LBB1_11471:
	v_bfe_u32 v6, v4, 8, 3
	v_ffbh_u32_e32 v12, v6
	v_min_u32_e32 v12, 32, v12
	v_lshrrev_b16_e32 v7, 3, v3
	v_subrev_u32_e32 v13, 28, v12
	v_and_b32_e32 v7, 15, v7
	v_lshlrev_b32_e32 v3, v13, v3
	v_sub_u32_e32 v12, 29, v12
	v_and_b32_e32 v3, 7, v3
	v_cmp_eq_u16_e32 vcc, 0, v7
	v_cndmask_b32_e32 v3, v6, v3, vcc
	v_cndmask_b32_e32 v6, v7, v12, vcc
	v_lshlrev_b32_e32 v7, 16, v4
	v_mov_b32_e32 v12, 0x3b800000
	v_lshlrev_b32_e32 v3, 20, v3
	v_and_b32_e32 v7, 0x80000000, v7
	v_lshl_add_u32 v6, v6, 23, v12
	v_or3_b32 v6, v7, v6, v3
.LBB1_11472:
	s_or_b64 exec, exec, s[6:7]
	s_nop 0
	v_mfma_f32_16x16x4f32 a[0:3], v2, v6, a[0:3]
	s_movk_i32 s4, 0xff
	v_and_b32_sdwa v3, v8, s4 dst_sel:DWORD dst_unused:UNUSED_PAD src0_sel:WORD_1 src1_sel:DWORD
	s_movk_i32 s4, 0x7f
	v_cmp_lt_i16_e32 vcc, s4, v3
	s_mov_b64 s[4:5], 0
                                        ; implicit-def: $sgpr10
	s_and_saveexec_b64 s[6:7], vcc
	s_xor_b64 s[6:7], exec, s[6:7]
	s_cbranch_execz .LBB1_11473
; %bb.47313:
	s_getpc_b64 s[14:15]
.Lpost_getpc9320:
	s_add_u32 s14, s14, (.LBB1_25809-.Lpost_getpc9320)&4294967295
	s_addc_u32 s15, s15, (.LBB1_25809-.Lpost_getpc9320)>>32
	s_setpc_b64 s[14:15]
.LBB1_11473:
	s_or_saveexec_b64 s[6:7], s[6:7]
	v_mov_b32_e32 v2, s10
	s_xor_b64 exec, exec, s[6:7]
	s_cbranch_execz .LBB1_11474
; %bb.47315:
	s_getpc_b64 s[14:15]
.Lpost_getpc9321:
	s_add_u32 s14, s14, (.LBB1_25812-.Lpost_getpc9321)&4294967295
	s_addc_u32 s15, s15, (.LBB1_25812-.Lpost_getpc9321)>>32
	s_setpc_b64 s[14:15]
.LBB1_11474:
	s_or_b64 exec, exec, s[6:7]
	s_and_saveexec_b64 s[6:7], s[4:5]
	s_cbranch_execz .LBB1_11476
.LBB1_11475:
	v_bfe_u32 v2, v8, 16, 3
	v_ffbh_u32_e32 v7, v2
	v_min_u32_e32 v7, 32, v7
	v_lshrrev_b32_e32 v3, 19, v8
	v_subrev_u32_e32 v12, 28, v7
	v_and_b32_e32 v3, 15, v3
	v_lshlrev_b32_sdwa v12, v12, v8 dst_sel:DWORD dst_unused:UNUSED_PAD src0_sel:DWORD src1_sel:WORD_1
	v_bfe_u32 v6, v8, 19, 4
	v_sub_u32_e32 v7, 29, v7
	v_and_b32_e32 v12, 7, v12
	v_cmp_eq_u16_e32 vcc, 0, v3
	v_cndmask_b32_e32 v2, v2, v12, vcc
	v_cndmask_b32_e32 v3, v6, v7, vcc
	v_lshlrev_b32_e32 v6, 8, v8
	v_mov_b32_e32 v7, 0x3b800000
	v_lshlrev_b32_e32 v2, 20, v2
	v_and_b32_e32 v6, 0x80000000, v6
	v_lshl_add_u32 v3, v3, 23, v7
	v_or3_b32 v2, v6, v3, v2
.LBB1_11476:
	s_or_b64 exec, exec, s[6:7]
	s_movk_i32 s4, 0xff
	v_and_b32_sdwa v3, v4, s4 dst_sel:DWORD dst_unused:UNUSED_PAD src0_sel:WORD_1 src1_sel:DWORD
	s_movk_i32 s4, 0x7f
	v_cmp_lt_i16_e32 vcc, s4, v3
	s_mov_b64 s[4:5], 0
                                        ; implicit-def: $sgpr10
	s_and_saveexec_b64 s[6:7], vcc
	s_xor_b64 s[6:7], exec, s[6:7]
	s_cbranch_execz .LBB1_11477
; %bb.47317:
	s_getpc_b64 s[14:15]
.Lpost_getpc9322:
	s_add_u32 s14, s14, (.LBB1_25813-.Lpost_getpc9322)&4294967295
	s_addc_u32 s15, s15, (.LBB1_25813-.Lpost_getpc9322)>>32
	s_setpc_b64 s[14:15]
.LBB1_11477:
	s_or_saveexec_b64 s[6:7], s[6:7]
	v_mov_b32_e32 v6, s10
	s_xor_b64 exec, exec, s[6:7]
	s_cbranch_execz .LBB1_11478
; %bb.47319:
	s_getpc_b64 s[14:15]
.Lpost_getpc9323:
	s_add_u32 s14, s14, (.LBB1_25816-.Lpost_getpc9323)&4294967295
	s_addc_u32 s15, s15, (.LBB1_25816-.Lpost_getpc9323)>>32
	s_setpc_b64 s[14:15]
.LBB1_11478:
	s_or_b64 exec, exec, s[6:7]
	s_and_saveexec_b64 s[6:7], s[4:5]
	s_cbranch_execz .LBB1_11480
.LBB1_11479:
	v_bfe_u32 v3, v4, 16, 3
	v_ffbh_u32_e32 v12, v3
	v_min_u32_e32 v12, 32, v12
	v_lshrrev_b32_e32 v6, 19, v4
	v_subrev_u32_e32 v13, 28, v12
	v_and_b32_e32 v6, 15, v6
	v_lshlrev_b32_sdwa v13, v13, v4 dst_sel:DWORD dst_unused:UNUSED_PAD src0_sel:DWORD src1_sel:WORD_1
	v_bfe_u32 v7, v4, 19, 4
	v_sub_u32_e32 v12, 29, v12
	v_and_b32_e32 v13, 7, v13
	v_cmp_eq_u16_e32 vcc, 0, v6
	v_cndmask_b32_e32 v3, v3, v13, vcc
	v_cndmask_b32_e32 v6, v7, v12, vcc
	v_lshlrev_b32_e32 v7, 8, v4
	v_mov_b32_e32 v12, 0x3b800000
	v_lshlrev_b32_e32 v3, 20, v3
	v_and_b32_e32 v7, 0x80000000, v7
	v_lshl_add_u32 v6, v6, 23, v12
	v_or3_b32 v6, v7, v6, v3
.LBB1_11480:
	s_or_b64 exec, exec, s[6:7]
	s_nop 0
	v_mfma_f32_16x16x4f32 a[0:3], v2, v6, a[0:3]
	s_movk_i32 s4, 0x7f
	v_cmp_gt_i16_sdwa s[6:7], v8, s4 src0_sel:BYTE_3 src1_sel:DWORD
	s_mov_b64 s[4:5], 0
                                        ; implicit-def: $sgpr10
	s_and_saveexec_b64 s[8:9], s[6:7]
	s_xor_b64 s[6:7], exec, s[8:9]
	s_cbranch_execz .LBB1_11481
; %bb.47321:
	s_getpc_b64 s[14:15]
.Lpost_getpc9324:
	s_add_u32 s14, s14, (.LBB1_25817-.Lpost_getpc9324)&4294967295
	s_addc_u32 s15, s15, (.LBB1_25817-.Lpost_getpc9324)>>32
	s_setpc_b64 s[14:15]
.LBB1_11481:
	s_or_saveexec_b64 s[6:7], s[6:7]
	v_mov_b32_e32 v2, s10
	s_xor_b64 exec, exec, s[6:7]
	s_cbranch_execz .LBB1_11482
; %bb.47323:
	s_getpc_b64 s[14:15]
.Lpost_getpc9325:
	s_add_u32 s14, s14, (.LBB1_25820-.Lpost_getpc9325)&4294967295
	s_addc_u32 s15, s15, (.LBB1_25820-.Lpost_getpc9325)>>32
	s_setpc_b64 s[14:15]
.LBB1_11482:
	s_or_b64 exec, exec, s[6:7]
	s_and_saveexec_b64 s[6:7], s[4:5]
	s_cbranch_execz .LBB1_11484
.LBB1_11483:
	v_bfe_u32 v2, v8, 24, 3
	v_ffbh_u32_e32 v12, v2
	v_min_u32_e32 v12, 32, v12
	v_lshrrev_b32_e32 v6, 27, v8
	v_subrev_u32_e32 v13, 28, v12
	v_and_b32_e32 v3, 0x80000000, v8
	v_and_b32_e32 v6, 15, v6
	v_bfe_u32 v7, v8, 27, 4
	v_lshlrev_b32_sdwa v8, v13, v8 dst_sel:DWORD dst_unused:UNUSED_PAD src0_sel:DWORD src1_sel:BYTE_3
	v_sub_u32_e32 v12, 29, v12
	v_and_b32_e32 v8, 7, v8
	v_cmp_eq_u16_e32 vcc, 0, v6
	v_cndmask_b32_e32 v2, v2, v8, vcc
	v_cndmask_b32_e32 v6, v7, v12, vcc
	v_mov_b32_e32 v7, 0x3b800000
	v_lshlrev_b32_e32 v2, 20, v2
	v_lshl_add_u32 v6, v6, 23, v7
	v_or3_b32 v2, v3, v6, v2
.LBB1_11484:
	s_or_b64 exec, exec, s[6:7]
	s_movk_i32 s4, 0x7f
	v_cmp_gt_i16_sdwa s[6:7], v4, s4 src0_sel:BYTE_3 src1_sel:DWORD
	s_mov_b64 s[4:5], 0
                                        ; implicit-def: $sgpr10
	s_and_saveexec_b64 s[8:9], s[6:7]
	s_xor_b64 s[6:7], exec, s[8:9]
	s_cbranch_execz .LBB1_11485
; %bb.47325:
	s_getpc_b64 s[14:15]
.Lpost_getpc9326:
	s_add_u32 s14, s14, (.LBB1_25821-.Lpost_getpc9326)&4294967295
	s_addc_u32 s15, s15, (.LBB1_25821-.Lpost_getpc9326)>>32
	s_setpc_b64 s[14:15]
.LBB1_11485:
	s_or_saveexec_b64 s[6:7], s[6:7]
	v_mov_b32_e32 v3, s10
	s_xor_b64 exec, exec, s[6:7]
	s_cbranch_execz .LBB1_11486
; %bb.47327:
	s_getpc_b64 s[14:15]
.Lpost_getpc9327:
	s_add_u32 s14, s14, (.LBB1_25824-.Lpost_getpc9327)&4294967295
	s_addc_u32 s15, s15, (.LBB1_25824-.Lpost_getpc9327)>>32
	s_setpc_b64 s[14:15]
.LBB1_11486:
	s_or_b64 exec, exec, s[6:7]
	s_and_saveexec_b64 s[6:7], s[4:5]
	s_cbranch_execz .LBB1_11488
.LBB1_11487:
	v_bfe_u32 v3, v4, 24, 3
	v_ffbh_u32_e32 v12, v3
	v_min_u32_e32 v12, 32, v12
	v_lshrrev_b32_e32 v7, 27, v4
	v_subrev_u32_e32 v13, 28, v12
	v_and_b32_e32 v6, 0x80000000, v4
	v_and_b32_e32 v7, 15, v7
	v_bfe_u32 v8, v4, 27, 4
	v_lshlrev_b32_sdwa v4, v13, v4 dst_sel:DWORD dst_unused:UNUSED_PAD src0_sel:DWORD src1_sel:BYTE_3
	v_sub_u32_e32 v12, 29, v12
	v_and_b32_e32 v4, 7, v4
	v_cmp_eq_u16_e32 vcc, 0, v7
	v_cndmask_b32_e32 v3, v3, v4, vcc
	v_cndmask_b32_e32 v4, v8, v12, vcc
	v_mov_b32_e32 v7, 0x3b800000
	v_lshlrev_b32_e32 v3, 20, v3
	v_lshl_add_u32 v4, v4, 23, v7
	v_or3_b32 v3, v6, v4, v3
.LBB1_11488:
	s_or_b64 exec, exec, s[6:7]
	s_nop 0
	v_mfma_f32_16x16x4f32 a[0:3], v2, v3, a[0:3]
	s_movk_i32 s4, 0x7f
	v_cmp_gt_i16_sdwa s[6:7], v9, s4 src0_sel:BYTE_0 src1_sel:DWORD
	s_mov_b64 s[4:5], 0
                                        ; implicit-def: $sgpr10
	s_and_saveexec_b64 s[8:9], s[6:7]
	s_xor_b64 s[6:7], exec, s[8:9]
	s_cbranch_execz .LBB1_11489
; %bb.47329:
	s_getpc_b64 s[14:15]
.Lpost_getpc9328:
	s_add_u32 s14, s14, (.LBB1_25825-.Lpost_getpc9328)&4294967295
	s_addc_u32 s15, s15, (.LBB1_25825-.Lpost_getpc9328)>>32
	s_setpc_b64 s[14:15]
.LBB1_11489:
	s_or_saveexec_b64 s[6:7], s[6:7]
	v_mov_b32_e32 v2, s10
	s_xor_b64 exec, exec, s[6:7]
	s_cbranch_execz .LBB1_11490
; %bb.47331:
	s_getpc_b64 s[14:15]
.Lpost_getpc9329:
	s_add_u32 s14, s14, (.LBB1_25828-.Lpost_getpc9329)&4294967295
	s_addc_u32 s15, s15, (.LBB1_25828-.Lpost_getpc9329)>>32
	s_setpc_b64 s[14:15]
.LBB1_11490:
	s_or_b64 exec, exec, s[6:7]
	s_and_saveexec_b64 s[6:7], s[4:5]
	s_cbranch_execz .LBB1_11492
.LBB1_11491:
	v_mov_b32_e32 v2, 8
	v_and_b32_e32 v3, 7, v9
	v_lshrrev_b32_sdwa v2, v2, v9 dst_sel:BYTE_1 dst_unused:UNUSED_PAD src0_sel:DWORD src1_sel:DWORD
	v_ffbh_u32_e32 v4, v3
	v_or_b32_sdwa v2, v9, v2 dst_sel:DWORD dst_unused:UNUSED_PAD src0_sel:BYTE_0 src1_sel:DWORD
	v_min_u32_e32 v4, 32, v4
	v_lshrrev_b16_e32 v2, 3, v2
	v_subrev_u32_e32 v6, 28, v4
	v_and_b32_e32 v2, 15, v2
	v_lshlrev_b32_e32 v6, v6, v9
	v_sub_u32_e32 v4, 29, v4
	v_and_b32_e32 v6, 7, v6
	v_cmp_eq_u16_e32 vcc, 0, v2
	v_cndmask_b32_e32 v3, v3, v6, vcc
	v_cndmask_b32_e32 v2, v2, v4, vcc
	v_lshlrev_b32_e32 v4, 24, v9
	v_mov_b32_e32 v6, 0x3b800000
	v_lshlrev_b32_e32 v3, 20, v3
	v_and_b32_e32 v4, 0x80000000, v4
	v_lshl_add_u32 v2, v2, 23, v6
	v_or3_b32 v2, v4, v2, v3
.LBB1_11492:
	s_or_b64 exec, exec, s[6:7]
	s_movk_i32 s4, 0x7f
	v_cmp_gt_i16_sdwa s[6:7], v5, s4 src0_sel:BYTE_0 src1_sel:DWORD
	s_mov_b64 s[4:5], 0
                                        ; implicit-def: $sgpr10
	s_and_saveexec_b64 s[8:9], s[6:7]
	s_xor_b64 s[6:7], exec, s[8:9]
	s_cbranch_execz .LBB1_11493
; %bb.47333:
	s_getpc_b64 s[14:15]
.Lpost_getpc9330:
	s_add_u32 s14, s14, (.LBB1_25829-.Lpost_getpc9330)&4294967295
	s_addc_u32 s15, s15, (.LBB1_25829-.Lpost_getpc9330)>>32
	s_setpc_b64 s[14:15]
.LBB1_11493:
	s_or_saveexec_b64 s[6:7], s[6:7]
	v_mov_b32_e32 v3, s10
	s_xor_b64 exec, exec, s[6:7]
	s_cbranch_execz .LBB1_11494
; %bb.47335:
	s_getpc_b64 s[14:15]
.Lpost_getpc9331:
	s_add_u32 s14, s14, (.LBB1_25832-.Lpost_getpc9331)&4294967295
	s_addc_u32 s15, s15, (.LBB1_25832-.Lpost_getpc9331)>>32
	s_setpc_b64 s[14:15]
.LBB1_11494:
	s_or_b64 exec, exec, s[6:7]
	s_and_saveexec_b64 s[6:7], s[4:5]
	s_cbranch_execz .LBB1_11496
.LBB1_11495:
	v_mov_b32_e32 v3, 8
	v_and_b32_e32 v4, 7, v5
	v_lshrrev_b32_sdwa v3, v3, v5 dst_sel:BYTE_1 dst_unused:UNUSED_PAD src0_sel:DWORD src1_sel:DWORD
	v_ffbh_u32_e32 v6, v4
	v_or_b32_sdwa v3, v5, v3 dst_sel:DWORD dst_unused:UNUSED_PAD src0_sel:BYTE_0 src1_sel:DWORD
	v_min_u32_e32 v6, 32, v6
	v_lshrrev_b16_e32 v3, 3, v3
	v_subrev_u32_e32 v7, 28, v6
	v_and_b32_e32 v3, 15, v3
	v_lshlrev_b32_e32 v7, v7, v5
	v_sub_u32_e32 v6, 29, v6
	v_and_b32_e32 v7, 7, v7
	v_cmp_eq_u16_e32 vcc, 0, v3
	v_cndmask_b32_e32 v4, v4, v7, vcc
	v_cndmask_b32_e32 v3, v3, v6, vcc
	v_lshlrev_b32_e32 v6, 24, v5
	v_mov_b32_e32 v7, 0x3b800000
	v_lshlrev_b32_e32 v4, 20, v4
	v_and_b32_e32 v6, 0x80000000, v6
	v_lshl_add_u32 v3, v3, 23, v7
	v_or3_b32 v3, v6, v3, v4
.LBB1_11496:
	s_or_b64 exec, exec, s[6:7]
	s_nop 0
	v_mfma_f32_16x16x4f32 a[0:3], v2, v3, a[0:3]
	v_lshrrev_b32_e32 v3, 8, v9
	s_movk_i32 s4, 0x7f
	v_cmp_gt_i16_sdwa s[6:7], v3, s4 src0_sel:BYTE_0 src1_sel:DWORD
	s_mov_b64 s[4:5], 0
                                        ; implicit-def: $sgpr10
	s_and_saveexec_b64 s[8:9], s[6:7]
	s_xor_b64 s[6:7], exec, s[8:9]
	s_cbranch_execz .LBB1_11497
; %bb.47337:
	s_getpc_b64 s[14:15]
.Lpost_getpc9332:
	s_add_u32 s14, s14, (.LBB1_25833-.Lpost_getpc9332)&4294967295
	s_addc_u32 s15, s15, (.LBB1_25833-.Lpost_getpc9332)>>32
	s_setpc_b64 s[14:15]
.LBB1_11497:
	s_or_saveexec_b64 s[6:7], s[6:7]
	v_mov_b32_e32 v2, s10
	s_xor_b64 exec, exec, s[6:7]
	s_cbranch_execz .LBB1_11498
; %bb.47339:
	s_getpc_b64 s[14:15]
.Lpost_getpc9333:
	s_add_u32 s14, s14, (.LBB1_25836-.Lpost_getpc9333)&4294967295
	s_addc_u32 s15, s15, (.LBB1_25836-.Lpost_getpc9333)>>32
	s_setpc_b64 s[14:15]
.LBB1_11498:
	s_or_b64 exec, exec, s[6:7]
	s_and_saveexec_b64 s[6:7], s[4:5]
	s_cbranch_execz .LBB1_11500
.LBB1_11499:
	v_bfe_u32 v2, v9, 8, 3
	v_ffbh_u32_e32 v6, v2
	v_min_u32_e32 v6, 32, v6
	v_lshrrev_b16_e32 v4, 3, v3
	v_subrev_u32_e32 v7, 28, v6
	v_and_b32_e32 v4, 15, v4
	v_lshlrev_b32_e32 v3, v7, v3
	v_sub_u32_e32 v6, 29, v6
	v_and_b32_e32 v3, 7, v3
	v_cmp_eq_u16_e32 vcc, 0, v4
	v_cndmask_b32_e32 v2, v2, v3, vcc
	v_cndmask_b32_e32 v3, v4, v6, vcc
	v_lshlrev_b32_e32 v4, 16, v9
	v_mov_b32_e32 v6, 0x3b800000
	v_lshlrev_b32_e32 v2, 20, v2
	v_and_b32_e32 v4, 0x80000000, v4
	v_lshl_add_u32 v3, v3, 23, v6
	v_or3_b32 v2, v4, v3, v2
.LBB1_11500:
	s_or_b64 exec, exec, s[6:7]
	v_lshrrev_b32_e32 v3, 8, v5
	s_movk_i32 s4, 0x7f
	v_cmp_gt_i16_sdwa s[6:7], v3, s4 src0_sel:BYTE_0 src1_sel:DWORD
	s_mov_b64 s[4:5], 0
                                        ; implicit-def: $sgpr10
	s_and_saveexec_b64 s[8:9], s[6:7]
	s_xor_b64 s[6:7], exec, s[8:9]
	s_cbranch_execz .LBB1_11501
; %bb.47341:
	s_getpc_b64 s[14:15]
.Lpost_getpc9334:
	s_add_u32 s14, s14, (.LBB1_25837-.Lpost_getpc9334)&4294967295
	s_addc_u32 s15, s15, (.LBB1_25837-.Lpost_getpc9334)>>32
	s_setpc_b64 s[14:15]
.LBB1_11501:
	s_or_saveexec_b64 s[6:7], s[6:7]
	v_mov_b32_e32 v4, s10
	s_xor_b64 exec, exec, s[6:7]
	s_cbranch_execz .LBB1_11502
; %bb.47343:
	s_getpc_b64 s[14:15]
.Lpost_getpc9335:
	s_add_u32 s14, s14, (.LBB1_25840-.Lpost_getpc9335)&4294967295
	s_addc_u32 s15, s15, (.LBB1_25840-.Lpost_getpc9335)>>32
	s_setpc_b64 s[14:15]
.LBB1_11502:
	s_or_b64 exec, exec, s[6:7]
	s_and_saveexec_b64 s[6:7], s[4:5]
	s_cbranch_execz .LBB1_11504
.LBB1_11503:
	v_bfe_u32 v4, v5, 8, 3
	v_ffbh_u32_e32 v7, v4
	v_min_u32_e32 v7, 32, v7
	v_lshrrev_b16_e32 v6, 3, v3
	v_subrev_u32_e32 v8, 28, v7
	v_and_b32_e32 v6, 15, v6
	v_lshlrev_b32_e32 v3, v8, v3
	v_sub_u32_e32 v7, 29, v7
	v_and_b32_e32 v3, 7, v3
	v_cmp_eq_u16_e32 vcc, 0, v6
	v_cndmask_b32_e32 v3, v4, v3, vcc
	v_cndmask_b32_e32 v4, v6, v7, vcc
	v_lshlrev_b32_e32 v6, 16, v5
	v_mov_b32_e32 v7, 0x3b800000
	v_lshlrev_b32_e32 v3, 20, v3
	v_and_b32_e32 v6, 0x80000000, v6
	v_lshl_add_u32 v4, v4, 23, v7
	v_or3_b32 v4, v6, v4, v3
.LBB1_11504:
	s_or_b64 exec, exec, s[6:7]
	s_nop 0
	v_mfma_f32_16x16x4f32 a[0:3], v2, v4, a[0:3]
	s_movk_i32 s4, 0xff
	v_and_b32_sdwa v3, v9, s4 dst_sel:DWORD dst_unused:UNUSED_PAD src0_sel:WORD_1 src1_sel:DWORD
	s_movk_i32 s4, 0x7f
	v_cmp_lt_i16_e32 vcc, s4, v3
	s_mov_b64 s[4:5], 0
                                        ; implicit-def: $sgpr10
	s_and_saveexec_b64 s[6:7], vcc
	s_xor_b64 s[6:7], exec, s[6:7]
	s_cbranch_execz .LBB1_11505
; %bb.47345:
	s_getpc_b64 s[14:15]
.Lpost_getpc9336:
	s_add_u32 s14, s14, (.LBB1_25841-.Lpost_getpc9336)&4294967295
	s_addc_u32 s15, s15, (.LBB1_25841-.Lpost_getpc9336)>>32
	s_setpc_b64 s[14:15]
.LBB1_11505:
	s_or_saveexec_b64 s[6:7], s[6:7]
	v_mov_b32_e32 v2, s10
	s_xor_b64 exec, exec, s[6:7]
	s_cbranch_execz .LBB1_11506
; %bb.47347:
	s_getpc_b64 s[14:15]
.Lpost_getpc9337:
	s_add_u32 s14, s14, (.LBB1_25844-.Lpost_getpc9337)&4294967295
	s_addc_u32 s15, s15, (.LBB1_25844-.Lpost_getpc9337)>>32
	s_setpc_b64 s[14:15]
.LBB1_11506:
	s_or_b64 exec, exec, s[6:7]
	s_and_saveexec_b64 s[6:7], s[4:5]
	s_cbranch_execz .LBB1_11508
.LBB1_11507:
	v_bfe_u32 v2, v9, 16, 3
	v_ffbh_u32_e32 v6, v2
	v_min_u32_e32 v6, 32, v6
	v_lshrrev_b32_e32 v3, 19, v9
	v_subrev_u32_e32 v7, 28, v6
	v_and_b32_e32 v3, 15, v3
	v_lshlrev_b32_sdwa v7, v7, v9 dst_sel:DWORD dst_unused:UNUSED_PAD src0_sel:DWORD src1_sel:WORD_1
	v_bfe_u32 v4, v9, 19, 4
	v_sub_u32_e32 v6, 29, v6
	v_and_b32_e32 v7, 7, v7
	v_cmp_eq_u16_e32 vcc, 0, v3
	v_cndmask_b32_e32 v2, v2, v7, vcc
	v_cndmask_b32_e32 v3, v4, v6, vcc
	v_lshlrev_b32_e32 v4, 8, v9
	v_mov_b32_e32 v6, 0x3b800000
	v_lshlrev_b32_e32 v2, 20, v2
	v_and_b32_e32 v4, 0x80000000, v4
	v_lshl_add_u32 v3, v3, 23, v6
	v_or3_b32 v2, v4, v3, v2
.LBB1_11508:
	s_or_b64 exec, exec, s[6:7]
	s_movk_i32 s4, 0xff
	v_and_b32_sdwa v3, v5, s4 dst_sel:DWORD dst_unused:UNUSED_PAD src0_sel:WORD_1 src1_sel:DWORD
	s_movk_i32 s4, 0x7f
	v_cmp_lt_i16_e32 vcc, s4, v3
	s_mov_b64 s[4:5], 0
                                        ; implicit-def: $sgpr10
	s_and_saveexec_b64 s[6:7], vcc
	s_xor_b64 s[6:7], exec, s[6:7]
	s_cbranch_execz .LBB1_11509
; %bb.47349:
	s_getpc_b64 s[14:15]
.Lpost_getpc9338:
	s_add_u32 s14, s14, (.LBB1_25845-.Lpost_getpc9338)&4294967295
	s_addc_u32 s15, s15, (.LBB1_25845-.Lpost_getpc9338)>>32
	s_setpc_b64 s[14:15]
.LBB1_11509:
	s_or_saveexec_b64 s[6:7], s[6:7]
	v_mov_b32_e32 v4, s10
	s_xor_b64 exec, exec, s[6:7]
	s_cbranch_execz .LBB1_11510
; %bb.47351:
	s_getpc_b64 s[14:15]
.Lpost_getpc9339:
	s_add_u32 s14, s14, (.LBB1_25848-.Lpost_getpc9339)&4294967295
	s_addc_u32 s15, s15, (.LBB1_25848-.Lpost_getpc9339)>>32
	s_setpc_b64 s[14:15]
.LBB1_11510:
	s_or_b64 exec, exec, s[6:7]
	s_and_saveexec_b64 s[6:7], s[4:5]
	s_cbranch_execz .LBB1_11512
.LBB1_11511:
	v_bfe_u32 v3, v5, 16, 3
	v_ffbh_u32_e32 v7, v3
	v_min_u32_e32 v7, 32, v7
	v_lshrrev_b32_e32 v4, 19, v5
	v_subrev_u32_e32 v8, 28, v7
	v_and_b32_e32 v4, 15, v4
	v_lshlrev_b32_sdwa v8, v8, v5 dst_sel:DWORD dst_unused:UNUSED_PAD src0_sel:DWORD src1_sel:WORD_1
	v_bfe_u32 v6, v5, 19, 4
	v_sub_u32_e32 v7, 29, v7
	v_and_b32_e32 v8, 7, v8
	v_cmp_eq_u16_e32 vcc, 0, v4
	v_cndmask_b32_e32 v3, v3, v8, vcc
	v_cndmask_b32_e32 v4, v6, v7, vcc
	v_lshlrev_b32_e32 v6, 8, v5
	v_mov_b32_e32 v7, 0x3b800000
	v_lshlrev_b32_e32 v3, 20, v3
	v_and_b32_e32 v6, 0x80000000, v6
	v_lshl_add_u32 v4, v4, 23, v7
	v_or3_b32 v4, v6, v4, v3
.LBB1_11512:
	s_or_b64 exec, exec, s[6:7]
	s_nop 0
	v_mfma_f32_16x16x4f32 a[0:3], v2, v4, a[0:3]
	s_movk_i32 s4, 0x7f
	v_cmp_gt_i16_sdwa s[6:7], v9, s4 src0_sel:BYTE_3 src1_sel:DWORD
	s_mov_b64 s[4:5], 0
                                        ; implicit-def: $sgpr10
	s_and_saveexec_b64 s[8:9], s[6:7]
	s_xor_b64 s[6:7], exec, s[8:9]
	s_cbranch_execz .LBB1_11513
; %bb.47353:
	s_getpc_b64 s[14:15]
.Lpost_getpc9340:
	s_add_u32 s14, s14, (.LBB1_25849-.Lpost_getpc9340)&4294967295
	s_addc_u32 s15, s15, (.LBB1_25849-.Lpost_getpc9340)>>32
	s_setpc_b64 s[14:15]
.LBB1_11513:
	s_or_saveexec_b64 s[6:7], s[6:7]
	v_mov_b32_e32 v2, s10
	s_xor_b64 exec, exec, s[6:7]
	s_cbranch_execz .LBB1_11514
; %bb.47355:
	s_getpc_b64 s[14:15]
.Lpost_getpc9341:
	s_add_u32 s14, s14, (.LBB1_25852-.Lpost_getpc9341)&4294967295
	s_addc_u32 s15, s15, (.LBB1_25852-.Lpost_getpc9341)>>32
	s_setpc_b64 s[14:15]
.LBB1_11514:
	s_or_b64 exec, exec, s[6:7]
	s_and_saveexec_b64 s[6:7], s[4:5]
	s_cbranch_execz .LBB1_11516
.LBB1_11515:
	v_bfe_u32 v2, v9, 24, 3
	v_ffbh_u32_e32 v7, v2
	v_min_u32_e32 v7, 32, v7
	v_lshrrev_b32_e32 v4, 27, v9
	v_subrev_u32_e32 v8, 28, v7
	v_and_b32_e32 v4, 15, v4
	v_lshlrev_b32_sdwa v8, v8, v9 dst_sel:DWORD dst_unused:UNUSED_PAD src0_sel:DWORD src1_sel:BYTE_3
	v_bfe_u32 v6, v9, 27, 4
	v_sub_u32_e32 v7, 29, v7
	v_and_b32_e32 v8, 7, v8
	v_cmp_eq_u16_e32 vcc, 0, v4
	v_cndmask_b32_e32 v2, v2, v8, vcc
	v_cndmask_b32_e32 v4, v6, v7, vcc
	v_mov_b32_e32 v6, 0x3b800000
	v_and_b32_e32 v3, 0x80000000, v9
	v_lshlrev_b32_e32 v2, 20, v2
	v_lshl_add_u32 v4, v4, 23, v6
	v_or3_b32 v2, v3, v4, v2
.LBB1_11516:
	s_or_b64 exec, exec, s[6:7]
	s_movk_i32 s4, 0x7f
	v_cmp_gt_i16_sdwa s[6:7], v5, s4 src0_sel:BYTE_3 src1_sel:DWORD
	s_mov_b64 s[4:5], 0
                                        ; implicit-def: $sgpr10
	s_and_saveexec_b64 s[8:9], s[6:7]
	s_xor_b64 s[6:7], exec, s[8:9]
	s_cbranch_execz .LBB1_11517
; %bb.47357:
	s_getpc_b64 s[14:15]
.Lpost_getpc9342:
	s_add_u32 s14, s14, (.LBB1_25853-.Lpost_getpc9342)&4294967295
	s_addc_u32 s15, s15, (.LBB1_25853-.Lpost_getpc9342)>>32
	s_setpc_b64 s[14:15]
.LBB1_11517:
	s_or_saveexec_b64 s[6:7], s[6:7]
	v_mov_b32_e32 v3, s10
	s_xor_b64 exec, exec, s[6:7]
	s_cbranch_execz .LBB1_11518
; %bb.47359:
	s_getpc_b64 s[14:15]
.Lpost_getpc9343:
	s_add_u32 s14, s14, (.LBB1_25856-.Lpost_getpc9343)&4294967295
	s_addc_u32 s15, s15, (.LBB1_25856-.Lpost_getpc9343)>>32
	s_setpc_b64 s[14:15]
.LBB1_11518:
	s_or_b64 exec, exec, s[6:7]
	s_and_saveexec_b64 s[6:7], s[4:5]
	s_cbranch_execz .LBB1_11520
.LBB1_11519:
	v_bfe_u32 v3, v5, 24, 3
	v_ffbh_u32_e32 v8, v3
	v_min_u32_e32 v8, 32, v8
	v_lshrrev_b32_e32 v6, 27, v5
	v_subrev_u32_e32 v9, 28, v8
	v_and_b32_e32 v4, 0x80000000, v5
	v_and_b32_e32 v6, 15, v6
	v_bfe_u32 v7, v5, 27, 4
	v_lshlrev_b32_sdwa v5, v9, v5 dst_sel:DWORD dst_unused:UNUSED_PAD src0_sel:DWORD src1_sel:BYTE_3
	v_sub_u32_e32 v8, 29, v8
	v_and_b32_e32 v5, 7, v5
	v_cmp_eq_u16_e32 vcc, 0, v6
	v_cndmask_b32_e32 v3, v3, v5, vcc
	v_cndmask_b32_e32 v5, v7, v8, vcc
	v_mov_b32_e32 v6, 0x3b800000
	v_lshlrev_b32_e32 v3, 20, v3
	v_lshl_add_u32 v5, v5, 23, v6
	v_or3_b32 v3, v4, v5, v3
.LBB1_11520:
	s_or_b64 exec, exec, s[6:7]
	s_nop 0
	v_mfma_f32_16x16x4f32 a[0:3], v2, v3, a[0:3]
	s_movk_i32 s4, 0x7f
                                        ; implicit-def: $sgpr10
	s_nop 7
	s_nop 1
	flat_store_dwordx4 v[10:11], a[0:3] offset:528
	flat_load_dwordx4 v[12:15], v[0:1]
	s_nop 0
	flat_load_dwordx2 v[10:11], v[0:1] offset:16
	s_waitcnt vmcnt(0) lgkmcnt(0)
	flat_load_dwordx4 v[6:9], v[12:13] offset:176
	flat_load_dwordx4 v[2:5], v[14:15] offset:160
	s_waitcnt vmcnt(0) lgkmcnt(0)
	v_cmp_gt_i16_sdwa s[6:7], v6, s4 src0_sel:BYTE_0 src1_sel:DWORD
	s_mov_b64 s[4:5], 0
	s_and_saveexec_b64 s[8:9], s[6:7]
	s_xor_b64 s[6:7], exec, s[8:9]
	s_cbranch_execz .LBB1_11521
; %bb.47361:
	s_getpc_b64 s[14:15]
.Lpost_getpc9344:
	s_add_u32 s14, s14, (.LBB1_25857-.Lpost_getpc9344)&4294967295
	s_addc_u32 s15, s15, (.LBB1_25857-.Lpost_getpc9344)>>32
	s_setpc_b64 s[14:15]
.LBB1_11521:
	s_or_saveexec_b64 s[6:7], s[6:7]
	v_mov_b32_e32 v12, s10
	s_xor_b64 exec, exec, s[6:7]
	s_cbranch_execz .LBB1_11522
; %bb.47363:
	s_getpc_b64 s[14:15]
.Lpost_getpc9345:
	s_add_u32 s14, s14, (.LBB1_25860-.Lpost_getpc9345)&4294967295
	s_addc_u32 s15, s15, (.LBB1_25860-.Lpost_getpc9345)>>32
	s_setpc_b64 s[14:15]
.LBB1_11522:
	s_or_b64 exec, exec, s[6:7]
	s_and_saveexec_b64 s[6:7], s[4:5]
	s_cbranch_execz .LBB1_11524
.LBB1_11523:
	v_and_b32_e32 v12, 7, v6
	v_ffbh_u32_e32 v14, v12
	v_min_u32_e32 v14, 32, v14
	v_lshrrev_b16_e32 v13, 3, v6
	v_subrev_u32_e32 v15, 28, v14
	v_and_b32_e32 v13, 15, v13
	v_lshlrev_b32_e32 v15, v15, v6
	v_sub_u32_e32 v14, 29, v14
	v_and_b32_e32 v15, 7, v15
	v_cmp_eq_u16_e32 vcc, 0, v13
	v_cndmask_b32_e32 v12, v12, v15, vcc
	v_cndmask_b32_e32 v13, v13, v14, vcc
	v_lshlrev_b32_e32 v14, 24, v6
	v_mov_b32_e32 v15, 0x3b800000
	v_lshlrev_b32_e32 v12, 20, v12
	v_and_b32_e32 v14, 0x80000000, v14
	v_lshl_add_u32 v13, v13, 23, v15
	v_or3_b32 v12, v14, v13, v12
.LBB1_11524:
	s_or_b64 exec, exec, s[6:7]
	s_movk_i32 s4, 0x7f
	v_cmp_gt_i16_sdwa s[6:7], v2, s4 src0_sel:BYTE_0 src1_sel:DWORD
	s_mov_b64 s[4:5], 0
                                        ; implicit-def: $sgpr10
	s_and_saveexec_b64 s[8:9], s[6:7]
	s_xor_b64 s[6:7], exec, s[8:9]
	s_cbranch_execz .LBB1_11525
; %bb.47365:
	s_getpc_b64 s[14:15]
.Lpost_getpc9346:
	s_add_u32 s14, s14, (.LBB1_25861-.Lpost_getpc9346)&4294967295
	s_addc_u32 s15, s15, (.LBB1_25861-.Lpost_getpc9346)>>32
	s_setpc_b64 s[14:15]
.LBB1_11525:
	s_or_saveexec_b64 s[6:7], s[6:7]
	v_mov_b32_e32 v13, s10
	s_xor_b64 exec, exec, s[6:7]
	s_cbranch_execz .LBB1_11526
; %bb.47367:
	s_getpc_b64 s[14:15]
.Lpost_getpc9347:
	s_add_u32 s14, s14, (.LBB1_25864-.Lpost_getpc9347)&4294967295
	s_addc_u32 s15, s15, (.LBB1_25864-.Lpost_getpc9347)>>32
	s_setpc_b64 s[14:15]
.LBB1_11526:
	s_or_b64 exec, exec, s[6:7]
	s_and_saveexec_b64 s[6:7], s[4:5]
	s_cbranch_execz .LBB1_11528
.LBB1_11527:
	v_and_b32_e32 v13, 7, v2
	v_ffbh_u32_e32 v15, v13
	v_min_u32_e32 v15, 32, v15
	v_lshrrev_b16_e32 v14, 3, v2
	v_subrev_u32_e32 v16, 28, v15
	v_and_b32_e32 v14, 15, v14
	v_lshlrev_b32_e32 v16, v16, v2
	v_sub_u32_e32 v15, 29, v15
	v_and_b32_e32 v16, 7, v16
	v_cmp_eq_u16_e32 vcc, 0, v14
	v_cndmask_b32_e32 v13, v13, v16, vcc
	v_cndmask_b32_e32 v14, v14, v15, vcc
	v_lshlrev_b32_e32 v15, 24, v2
	v_mov_b32_e32 v16, 0x3b800000
	v_lshlrev_b32_e32 v13, 20, v13
	v_and_b32_e32 v15, 0x80000000, v15
	v_lshl_add_u32 v14, v14, 23, v16
	v_or3_b32 v13, v15, v14, v13
.LBB1_11528:
	s_or_b64 exec, exec, s[6:7]
	flat_load_dwordx4 a[0:3], v[10:11] offset:544
	s_movk_i32 s4, 0x7f
                                        ; implicit-def: $sgpr10
	s_waitcnt vmcnt(0) lgkmcnt(0)
	v_mfma_f32_16x16x4f32 a[0:3], v12, v13, a[0:3]
	v_lshrrev_b32_e32 v13, 8, v6
	v_cmp_gt_i16_sdwa s[6:7], v13, s4 src0_sel:BYTE_0 src1_sel:DWORD
	s_mov_b64 s[4:5], 0
	s_and_saveexec_b64 s[8:9], s[6:7]
	s_xor_b64 s[6:7], exec, s[8:9]
	s_cbranch_execz .LBB1_11529
; %bb.47369:
	s_getpc_b64 s[14:15]
.Lpost_getpc9348:
	s_add_u32 s14, s14, (.LBB1_25865-.Lpost_getpc9348)&4294967295
	s_addc_u32 s15, s15, (.LBB1_25865-.Lpost_getpc9348)>>32
	s_setpc_b64 s[14:15]
.LBB1_11529:
	s_or_saveexec_b64 s[6:7], s[6:7]
	v_mov_b32_e32 v12, s10
	s_xor_b64 exec, exec, s[6:7]
	s_cbranch_execz .LBB1_11530
; %bb.47371:
	s_getpc_b64 s[14:15]
.Lpost_getpc9349:
	s_add_u32 s14, s14, (.LBB1_25868-.Lpost_getpc9349)&4294967295
	s_addc_u32 s15, s15, (.LBB1_25868-.Lpost_getpc9349)>>32
	s_setpc_b64 s[14:15]
.LBB1_11530:
	s_or_b64 exec, exec, s[6:7]
	s_and_saveexec_b64 s[6:7], s[4:5]
	s_cbranch_execz .LBB1_11532
.LBB1_11531:
	v_bfe_u32 v12, v6, 8, 3
	v_ffbh_u32_e32 v15, v12
	v_min_u32_e32 v15, 32, v15
	v_lshrrev_b16_e32 v14, 3, v13
	v_subrev_u32_e32 v16, 28, v15
	v_and_b32_e32 v14, 15, v14
	v_lshlrev_b32_e32 v13, v16, v13
	v_sub_u32_e32 v15, 29, v15
	v_and_b32_e32 v13, 7, v13
	v_cmp_eq_u16_e32 vcc, 0, v14
	v_cndmask_b32_e32 v12, v12, v13, vcc
	v_cndmask_b32_e32 v13, v14, v15, vcc
	v_lshlrev_b32_e32 v14, 16, v6
	v_mov_b32_e32 v15, 0x3b800000
	v_lshlrev_b32_e32 v12, 20, v12
	v_and_b32_e32 v14, 0x80000000, v14
	v_lshl_add_u32 v13, v13, 23, v15
	v_or3_b32 v12, v14, v13, v12
.LBB1_11532:
	s_or_b64 exec, exec, s[6:7]
	v_lshrrev_b32_e32 v13, 8, v2
	s_movk_i32 s4, 0x7f
	v_cmp_gt_i16_sdwa s[6:7], v13, s4 src0_sel:BYTE_0 src1_sel:DWORD
	s_mov_b64 s[4:5], 0
                                        ; implicit-def: $sgpr10
	s_and_saveexec_b64 s[8:9], s[6:7]
	s_xor_b64 s[6:7], exec, s[8:9]
	s_cbranch_execz .LBB1_11533
; %bb.47373:
	s_getpc_b64 s[14:15]
.Lpost_getpc9350:
	s_add_u32 s14, s14, (.LBB1_25869-.Lpost_getpc9350)&4294967295
	s_addc_u32 s15, s15, (.LBB1_25869-.Lpost_getpc9350)>>32
	s_setpc_b64 s[14:15]
.LBB1_11533:
	s_or_saveexec_b64 s[6:7], s[6:7]
	v_mov_b32_e32 v14, s10
	s_xor_b64 exec, exec, s[6:7]
	s_cbranch_execz .LBB1_11534
; %bb.47375:
	s_getpc_b64 s[14:15]
.Lpost_getpc9351:
	s_add_u32 s14, s14, (.LBB1_25872-.Lpost_getpc9351)&4294967295
	s_addc_u32 s15, s15, (.LBB1_25872-.Lpost_getpc9351)>>32
	s_setpc_b64 s[14:15]
.LBB1_11534:
	s_or_b64 exec, exec, s[6:7]
	s_and_saveexec_b64 s[6:7], s[4:5]
	s_cbranch_execz .LBB1_11536
.LBB1_11535:
	v_bfe_u32 v14, v2, 8, 3
	v_ffbh_u32_e32 v16, v14
	v_min_u32_e32 v16, 32, v16
	v_lshrrev_b16_e32 v15, 3, v13
	v_subrev_u32_e32 v17, 28, v16
	v_and_b32_e32 v15, 15, v15
	v_lshlrev_b32_e32 v13, v17, v13
	v_sub_u32_e32 v16, 29, v16
	v_and_b32_e32 v13, 7, v13
	v_cmp_eq_u16_e32 vcc, 0, v15
	v_cndmask_b32_e32 v13, v14, v13, vcc
	v_cndmask_b32_e32 v14, v15, v16, vcc
	v_lshlrev_b32_e32 v15, 16, v2
	v_mov_b32_e32 v16, 0x3b800000
	v_lshlrev_b32_e32 v13, 20, v13
	v_and_b32_e32 v15, 0x80000000, v15
	v_lshl_add_u32 v14, v14, 23, v16
	v_or3_b32 v14, v15, v14, v13
.LBB1_11536:
	s_or_b64 exec, exec, s[6:7]
	s_nop 0
	v_mfma_f32_16x16x4f32 a[0:3], v12, v14, a[0:3]
	s_movk_i32 s4, 0xff
	v_and_b32_sdwa v13, v6, s4 dst_sel:DWORD dst_unused:UNUSED_PAD src0_sel:WORD_1 src1_sel:DWORD
	s_movk_i32 s4, 0x7f
	v_cmp_lt_i16_e32 vcc, s4, v13
	s_mov_b64 s[4:5], 0
                                        ; implicit-def: $sgpr10
	s_and_saveexec_b64 s[6:7], vcc
	s_xor_b64 s[6:7], exec, s[6:7]
	s_cbranch_execz .LBB1_11537
; %bb.47377:
	s_getpc_b64 s[14:15]
.Lpost_getpc9352:
	s_add_u32 s14, s14, (.LBB1_25873-.Lpost_getpc9352)&4294967295
	s_addc_u32 s15, s15, (.LBB1_25873-.Lpost_getpc9352)>>32
	s_setpc_b64 s[14:15]
.LBB1_11537:
	s_or_saveexec_b64 s[6:7], s[6:7]
	v_mov_b32_e32 v12, s10
	s_xor_b64 exec, exec, s[6:7]
	s_cbranch_execz .LBB1_11538
; %bb.47379:
	s_getpc_b64 s[14:15]
.Lpost_getpc9353:
	s_add_u32 s14, s14, (.LBB1_25876-.Lpost_getpc9353)&4294967295
	s_addc_u32 s15, s15, (.LBB1_25876-.Lpost_getpc9353)>>32
	s_setpc_b64 s[14:15]
.LBB1_11538:
	s_or_b64 exec, exec, s[6:7]
	s_and_saveexec_b64 s[6:7], s[4:5]
	s_cbranch_execz .LBB1_11540
.LBB1_11539:
	v_bfe_u32 v12, v6, 16, 3
	v_ffbh_u32_e32 v15, v12
	v_min_u32_e32 v15, 32, v15
	v_lshrrev_b32_e32 v13, 19, v6
	v_subrev_u32_e32 v16, 28, v15
	v_and_b32_e32 v13, 15, v13
	v_lshlrev_b32_sdwa v16, v16, v6 dst_sel:DWORD dst_unused:UNUSED_PAD src0_sel:DWORD src1_sel:WORD_1
	v_bfe_u32 v14, v6, 19, 4
	v_sub_u32_e32 v15, 29, v15
	v_and_b32_e32 v16, 7, v16
	v_cmp_eq_u16_e32 vcc, 0, v13
	v_cndmask_b32_e32 v12, v12, v16, vcc
	v_cndmask_b32_e32 v13, v14, v15, vcc
	v_lshlrev_b32_e32 v14, 8, v6
	v_mov_b32_e32 v15, 0x3b800000
	v_lshlrev_b32_e32 v12, 20, v12
	v_and_b32_e32 v14, 0x80000000, v14
	v_lshl_add_u32 v13, v13, 23, v15
	v_or3_b32 v12, v14, v13, v12
.LBB1_11540:
	s_or_b64 exec, exec, s[6:7]
	s_movk_i32 s4, 0xff
	v_and_b32_sdwa v13, v2, s4 dst_sel:DWORD dst_unused:UNUSED_PAD src0_sel:WORD_1 src1_sel:DWORD
	s_movk_i32 s4, 0x7f
	v_cmp_lt_i16_e32 vcc, s4, v13
	s_mov_b64 s[4:5], 0
                                        ; implicit-def: $sgpr10
	s_and_saveexec_b64 s[6:7], vcc
	s_xor_b64 s[6:7], exec, s[6:7]
	s_cbranch_execz .LBB1_11541
; %bb.47381:
	s_getpc_b64 s[14:15]
.Lpost_getpc9354:
	s_add_u32 s14, s14, (.LBB1_25877-.Lpost_getpc9354)&4294967295
	s_addc_u32 s15, s15, (.LBB1_25877-.Lpost_getpc9354)>>32
	s_setpc_b64 s[14:15]
.LBB1_11541:
	s_or_saveexec_b64 s[6:7], s[6:7]
	v_mov_b32_e32 v14, s10
	s_xor_b64 exec, exec, s[6:7]
	s_cbranch_execz .LBB1_11542
; %bb.47383:
	s_getpc_b64 s[14:15]
.Lpost_getpc9355:
	s_add_u32 s14, s14, (.LBB1_25880-.Lpost_getpc9355)&4294967295
	s_addc_u32 s15, s15, (.LBB1_25880-.Lpost_getpc9355)>>32
	s_setpc_b64 s[14:15]
.LBB1_11542:
	s_or_b64 exec, exec, s[6:7]
	s_and_saveexec_b64 s[6:7], s[4:5]
	s_cbranch_execz .LBB1_11544
.LBB1_11543:
	v_bfe_u32 v13, v2, 16, 3
	v_ffbh_u32_e32 v16, v13
	v_min_u32_e32 v16, 32, v16
	v_lshrrev_b32_e32 v14, 19, v2
	v_subrev_u32_e32 v17, 28, v16
	v_and_b32_e32 v14, 15, v14
	v_lshlrev_b32_sdwa v17, v17, v2 dst_sel:DWORD dst_unused:UNUSED_PAD src0_sel:DWORD src1_sel:WORD_1
	v_bfe_u32 v15, v2, 19, 4
	v_sub_u32_e32 v16, 29, v16
	v_and_b32_e32 v17, 7, v17
	v_cmp_eq_u16_e32 vcc, 0, v14
	v_cndmask_b32_e32 v13, v13, v17, vcc
	v_cndmask_b32_e32 v14, v15, v16, vcc
	v_lshlrev_b32_e32 v15, 8, v2
	v_mov_b32_e32 v16, 0x3b800000
	v_lshlrev_b32_e32 v13, 20, v13
	v_and_b32_e32 v15, 0x80000000, v15
	v_lshl_add_u32 v14, v14, 23, v16
	v_or3_b32 v14, v15, v14, v13
.LBB1_11544:
	s_or_b64 exec, exec, s[6:7]
	s_nop 0
	v_mfma_f32_16x16x4f32 a[0:3], v12, v14, a[0:3]
	s_movk_i32 s4, 0x7f
	v_cmp_gt_i16_sdwa s[6:7], v6, s4 src0_sel:BYTE_3 src1_sel:DWORD
	s_mov_b64 s[4:5], 0
                                        ; implicit-def: $sgpr10
	s_and_saveexec_b64 s[8:9], s[6:7]
	s_xor_b64 s[6:7], exec, s[8:9]
	s_cbranch_execz .LBB1_11545
; %bb.47385:
	s_getpc_b64 s[14:15]
.Lpost_getpc9356:
	s_add_u32 s14, s14, (.LBB1_25881-.Lpost_getpc9356)&4294967295
	s_addc_u32 s15, s15, (.LBB1_25881-.Lpost_getpc9356)>>32
	s_setpc_b64 s[14:15]
.LBB1_11545:
	s_or_saveexec_b64 s[6:7], s[6:7]
	v_mov_b32_e32 v12, s10
	s_xor_b64 exec, exec, s[6:7]
	s_cbranch_execz .LBB1_11546
; %bb.47387:
	s_getpc_b64 s[14:15]
.Lpost_getpc9357:
	s_add_u32 s14, s14, (.LBB1_25884-.Lpost_getpc9357)&4294967295
	s_addc_u32 s15, s15, (.LBB1_25884-.Lpost_getpc9357)>>32
	s_setpc_b64 s[14:15]
.LBB1_11546:
	s_or_b64 exec, exec, s[6:7]
	s_and_saveexec_b64 s[6:7], s[4:5]
	s_cbranch_execz .LBB1_11548
.LBB1_11547:
	v_bfe_u32 v12, v6, 24, 3
	v_ffbh_u32_e32 v16, v12
	v_min_u32_e32 v16, 32, v16
	v_lshrrev_b32_e32 v14, 27, v6
	v_subrev_u32_e32 v17, 28, v16
	v_and_b32_e32 v13, 0x80000000, v6
	v_and_b32_e32 v14, 15, v14
	v_bfe_u32 v15, v6, 27, 4
	v_lshlrev_b32_sdwa v6, v17, v6 dst_sel:DWORD dst_unused:UNUSED_PAD src0_sel:DWORD src1_sel:BYTE_3
	v_sub_u32_e32 v16, 29, v16
	v_and_b32_e32 v6, 7, v6
	v_cmp_eq_u16_e32 vcc, 0, v14
	v_cndmask_b32_e32 v6, v12, v6, vcc
	v_cndmask_b32_e32 v12, v15, v16, vcc
	v_mov_b32_e32 v14, 0x3b800000
	v_lshlrev_b32_e32 v6, 20, v6
	v_lshl_add_u32 v12, v12, 23, v14
	v_or3_b32 v12, v13, v12, v6
.LBB1_11548:
	s_or_b64 exec, exec, s[6:7]
	s_movk_i32 s4, 0x7f
	v_cmp_gt_i16_sdwa s[6:7], v2, s4 src0_sel:BYTE_3 src1_sel:DWORD
	s_mov_b64 s[4:5], 0
                                        ; implicit-def: $sgpr10
	s_and_saveexec_b64 s[8:9], s[6:7]
	s_xor_b64 s[6:7], exec, s[8:9]
	s_cbranch_execz .LBB1_11549
; %bb.47389:
	s_getpc_b64 s[14:15]
.Lpost_getpc9358:
	s_add_u32 s14, s14, (.LBB1_25885-.Lpost_getpc9358)&4294967295
	s_addc_u32 s15, s15, (.LBB1_25885-.Lpost_getpc9358)>>32
	s_setpc_b64 s[14:15]
.LBB1_11549:
	s_or_saveexec_b64 s[6:7], s[6:7]
	v_mov_b32_e32 v6, s10
	s_xor_b64 exec, exec, s[6:7]
	s_cbranch_execz .LBB1_11550
; %bb.47391:
	s_getpc_b64 s[14:15]
.Lpost_getpc9359:
	s_add_u32 s14, s14, (.LBB1_25888-.Lpost_getpc9359)&4294967295
	s_addc_u32 s15, s15, (.LBB1_25888-.Lpost_getpc9359)>>32
	s_setpc_b64 s[14:15]
.LBB1_11550:
	s_or_b64 exec, exec, s[6:7]
	s_and_saveexec_b64 s[6:7], s[4:5]
	s_cbranch_execz .LBB1_11552
.LBB1_11551:
	v_bfe_u32 v6, v2, 24, 3
	v_ffbh_u32_e32 v16, v6
	v_min_u32_e32 v16, 32, v16
	v_lshrrev_b32_e32 v14, 27, v2
	v_subrev_u32_e32 v17, 28, v16
	v_and_b32_e32 v13, 0x80000000, v2
	v_and_b32_e32 v14, 15, v14
	v_bfe_u32 v15, v2, 27, 4
	v_lshlrev_b32_sdwa v2, v17, v2 dst_sel:DWORD dst_unused:UNUSED_PAD src0_sel:DWORD src1_sel:BYTE_3
	v_sub_u32_e32 v16, 29, v16
	v_and_b32_e32 v2, 7, v2
	v_cmp_eq_u16_e32 vcc, 0, v14
	v_cndmask_b32_e32 v2, v6, v2, vcc
	v_cndmask_b32_e32 v6, v15, v16, vcc
	v_mov_b32_e32 v14, 0x3b800000
	v_lshlrev_b32_e32 v2, 20, v2
	v_lshl_add_u32 v6, v6, 23, v14
	v_or3_b32 v6, v13, v6, v2
.LBB1_11552:
	s_or_b64 exec, exec, s[6:7]
	s_nop 0
	v_mfma_f32_16x16x4f32 a[0:3], v12, v6, a[0:3]
	s_movk_i32 s4, 0x7f
	v_cmp_gt_i16_sdwa s[6:7], v7, s4 src0_sel:BYTE_0 src1_sel:DWORD
	s_mov_b64 s[4:5], 0
                                        ; implicit-def: $sgpr10
	s_and_saveexec_b64 s[8:9], s[6:7]
	s_xor_b64 s[6:7], exec, s[8:9]
	s_cbranch_execz .LBB1_11553
; %bb.47393:
	s_getpc_b64 s[14:15]
.Lpost_getpc9360:
	s_add_u32 s14, s14, (.LBB1_25889-.Lpost_getpc9360)&4294967295
	s_addc_u32 s15, s15, (.LBB1_25889-.Lpost_getpc9360)>>32
	s_setpc_b64 s[14:15]
.LBB1_11553:
	s_or_saveexec_b64 s[6:7], s[6:7]
	v_mov_b32_e32 v2, s10
	s_xor_b64 exec, exec, s[6:7]
	s_cbranch_execz .LBB1_11554
; %bb.47395:
	s_getpc_b64 s[14:15]
.Lpost_getpc9361:
	s_add_u32 s14, s14, (.LBB1_25892-.Lpost_getpc9361)&4294967295
	s_addc_u32 s15, s15, (.LBB1_25892-.Lpost_getpc9361)>>32
	s_setpc_b64 s[14:15]
.LBB1_11554:
	s_or_b64 exec, exec, s[6:7]
	s_and_saveexec_b64 s[6:7], s[4:5]
	s_cbranch_execz .LBB1_11556
.LBB1_11555:
	v_and_b32_e32 v2, 7, v7
	v_ffbh_u32_e32 v12, v2
	v_min_u32_e32 v12, 32, v12
	v_lshrrev_b16_e32 v6, 3, v7
	v_subrev_u32_e32 v13, 28, v12
	v_and_b32_e32 v6, 15, v6
	v_lshlrev_b32_e32 v13, v13, v7
	v_sub_u32_e32 v12, 29, v12
	v_and_b32_e32 v13, 7, v13
	v_cmp_eq_u16_e32 vcc, 0, v6
	v_cndmask_b32_e32 v2, v2, v13, vcc
	v_cndmask_b32_e32 v6, v6, v12, vcc
	v_lshlrev_b32_e32 v12, 24, v7
	v_mov_b32_e32 v13, 0x3b800000
	v_lshlrev_b32_e32 v2, 20, v2
	v_and_b32_e32 v12, 0x80000000, v12
	v_lshl_add_u32 v6, v6, 23, v13
	v_or3_b32 v2, v12, v6, v2
.LBB1_11556:
	s_or_b64 exec, exec, s[6:7]
	s_movk_i32 s4, 0x7f
	v_cmp_gt_i16_sdwa s[6:7], v3, s4 src0_sel:BYTE_0 src1_sel:DWORD
	s_mov_b64 s[4:5], 0
                                        ; implicit-def: $sgpr10
	s_and_saveexec_b64 s[8:9], s[6:7]
	s_xor_b64 s[6:7], exec, s[8:9]
	s_cbranch_execz .LBB1_11557
; %bb.47397:
	s_getpc_b64 s[14:15]
.Lpost_getpc9362:
	s_add_u32 s14, s14, (.LBB1_25893-.Lpost_getpc9362)&4294967295
	s_addc_u32 s15, s15, (.LBB1_25893-.Lpost_getpc9362)>>32
	s_setpc_b64 s[14:15]
.LBB1_11557:
	s_or_saveexec_b64 s[6:7], s[6:7]
	v_mov_b32_e32 v6, s10
	s_xor_b64 exec, exec, s[6:7]
	s_cbranch_execz .LBB1_11558
; %bb.47399:
	s_getpc_b64 s[14:15]
.Lpost_getpc9363:
	s_add_u32 s14, s14, (.LBB1_25896-.Lpost_getpc9363)&4294967295
	s_addc_u32 s15, s15, (.LBB1_25896-.Lpost_getpc9363)>>32
	s_setpc_b64 s[14:15]
.LBB1_11558:
	s_or_b64 exec, exec, s[6:7]
	s_and_saveexec_b64 s[6:7], s[4:5]
	s_cbranch_execz .LBB1_11560
.LBB1_11559:
	v_and_b32_e32 v6, 7, v3
	v_ffbh_u32_e32 v13, v6
	v_min_u32_e32 v13, 32, v13
	v_lshrrev_b16_e32 v12, 3, v3
	v_subrev_u32_e32 v14, 28, v13
	v_and_b32_e32 v12, 15, v12
	v_lshlrev_b32_e32 v14, v14, v3
	v_sub_u32_e32 v13, 29, v13
	v_and_b32_e32 v14, 7, v14
	v_cmp_eq_u16_e32 vcc, 0, v12
	v_cndmask_b32_e32 v6, v6, v14, vcc
	v_cndmask_b32_e32 v12, v12, v13, vcc
	v_lshlrev_b32_e32 v13, 24, v3
	v_mov_b32_e32 v14, 0x3b800000
	v_lshlrev_b32_e32 v6, 20, v6
	v_and_b32_e32 v13, 0x80000000, v13
	v_lshl_add_u32 v12, v12, 23, v14
	v_or3_b32 v6, v13, v12, v6
.LBB1_11560:
	s_or_b64 exec, exec, s[6:7]
	s_nop 0
	v_mfma_f32_16x16x4f32 a[0:3], v2, v6, a[0:3]
	v_lshrrev_b32_e32 v6, 8, v7
	s_movk_i32 s4, 0x7f
	v_cmp_gt_i16_sdwa s[6:7], v6, s4 src0_sel:BYTE_0 src1_sel:DWORD
	s_mov_b64 s[4:5], 0
                                        ; implicit-def: $sgpr10
	s_and_saveexec_b64 s[8:9], s[6:7]
	s_xor_b64 s[6:7], exec, s[8:9]
	s_cbranch_execz .LBB1_11561
; %bb.47401:
	s_getpc_b64 s[14:15]
.Lpost_getpc9364:
	s_add_u32 s14, s14, (.LBB1_25897-.Lpost_getpc9364)&4294967295
	s_addc_u32 s15, s15, (.LBB1_25897-.Lpost_getpc9364)>>32
	s_setpc_b64 s[14:15]
.LBB1_11561:
	s_or_saveexec_b64 s[6:7], s[6:7]
	v_mov_b32_e32 v2, s10
	s_xor_b64 exec, exec, s[6:7]
	s_cbranch_execz .LBB1_11562
; %bb.47403:
	s_getpc_b64 s[14:15]
.Lpost_getpc9365:
	s_add_u32 s14, s14, (.LBB1_25900-.Lpost_getpc9365)&4294967295
	s_addc_u32 s15, s15, (.LBB1_25900-.Lpost_getpc9365)>>32
	s_setpc_b64 s[14:15]
.LBB1_11562:
	s_or_b64 exec, exec, s[6:7]
	s_and_saveexec_b64 s[6:7], s[4:5]
	s_cbranch_execz .LBB1_11564
.LBB1_11563:
	v_bfe_u32 v2, v7, 8, 3
	v_ffbh_u32_e32 v13, v2
	v_min_u32_e32 v13, 32, v13
	v_lshrrev_b16_e32 v12, 3, v6
	v_subrev_u32_e32 v14, 28, v13
	v_and_b32_e32 v12, 15, v12
	v_lshlrev_b32_e32 v6, v14, v6
	v_sub_u32_e32 v13, 29, v13
	v_and_b32_e32 v6, 7, v6
	v_cmp_eq_u16_e32 vcc, 0, v12
	v_cndmask_b32_e32 v2, v2, v6, vcc
	v_cndmask_b32_e32 v6, v12, v13, vcc
	v_lshlrev_b32_e32 v12, 16, v7
	v_mov_b32_e32 v13, 0x3b800000
	v_lshlrev_b32_e32 v2, 20, v2
	v_and_b32_e32 v12, 0x80000000, v12
	v_lshl_add_u32 v6, v6, 23, v13
	v_or3_b32 v2, v12, v6, v2
.LBB1_11564:
	s_or_b64 exec, exec, s[6:7]
	v_lshrrev_b32_e32 v6, 8, v3
	s_movk_i32 s4, 0x7f
	v_cmp_gt_i16_sdwa s[6:7], v6, s4 src0_sel:BYTE_0 src1_sel:DWORD
	s_mov_b64 s[4:5], 0
                                        ; implicit-def: $sgpr10
	s_and_saveexec_b64 s[8:9], s[6:7]
	s_xor_b64 s[6:7], exec, s[8:9]
	s_cbranch_execz .LBB1_11565
; %bb.47405:
	s_getpc_b64 s[14:15]
.Lpost_getpc9366:
	s_add_u32 s14, s14, (.LBB1_25901-.Lpost_getpc9366)&4294967295
	s_addc_u32 s15, s15, (.LBB1_25901-.Lpost_getpc9366)>>32
	s_setpc_b64 s[14:15]
.LBB1_11565:
	s_or_saveexec_b64 s[6:7], s[6:7]
	v_mov_b32_e32 v12, s10
	s_xor_b64 exec, exec, s[6:7]
	s_cbranch_execz .LBB1_11566
; %bb.47407:
	s_getpc_b64 s[14:15]
.Lpost_getpc9367:
	s_add_u32 s14, s14, (.LBB1_25904-.Lpost_getpc9367)&4294967295
	s_addc_u32 s15, s15, (.LBB1_25904-.Lpost_getpc9367)>>32
	s_setpc_b64 s[14:15]
.LBB1_11566:
	s_or_b64 exec, exec, s[6:7]
	s_and_saveexec_b64 s[6:7], s[4:5]
	s_cbranch_execz .LBB1_11568
.LBB1_11567:
	v_bfe_u32 v12, v3, 8, 3
	v_ffbh_u32_e32 v14, v12
	v_min_u32_e32 v14, 32, v14
	v_lshrrev_b16_e32 v13, 3, v6
	v_subrev_u32_e32 v15, 28, v14
	v_and_b32_e32 v13, 15, v13
	v_lshlrev_b32_e32 v6, v15, v6
	v_sub_u32_e32 v14, 29, v14
	v_and_b32_e32 v6, 7, v6
	v_cmp_eq_u16_e32 vcc, 0, v13
	v_cndmask_b32_e32 v6, v12, v6, vcc
	v_cndmask_b32_e32 v12, v13, v14, vcc
	v_lshlrev_b32_e32 v13, 16, v3
	v_mov_b32_e32 v14, 0x3b800000
	v_lshlrev_b32_e32 v6, 20, v6
	v_and_b32_e32 v13, 0x80000000, v13
	v_lshl_add_u32 v12, v12, 23, v14
	v_or3_b32 v12, v13, v12, v6
.LBB1_11568:
	s_or_b64 exec, exec, s[6:7]
	s_nop 0
	v_mfma_f32_16x16x4f32 a[0:3], v2, v12, a[0:3]
	s_movk_i32 s4, 0xff
	v_and_b32_sdwa v6, v7, s4 dst_sel:DWORD dst_unused:UNUSED_PAD src0_sel:WORD_1 src1_sel:DWORD
	s_movk_i32 s4, 0x7f
	v_cmp_lt_i16_e32 vcc, s4, v6
	s_mov_b64 s[4:5], 0
                                        ; implicit-def: $sgpr10
	s_and_saveexec_b64 s[6:7], vcc
	s_xor_b64 s[6:7], exec, s[6:7]
	s_cbranch_execz .LBB1_11569
; %bb.47409:
	s_getpc_b64 s[14:15]
.Lpost_getpc9368:
	s_add_u32 s14, s14, (.LBB1_25905-.Lpost_getpc9368)&4294967295
	s_addc_u32 s15, s15, (.LBB1_25905-.Lpost_getpc9368)>>32
	s_setpc_b64 s[14:15]
.LBB1_11569:
	s_or_saveexec_b64 s[6:7], s[6:7]
	v_mov_b32_e32 v2, s10
	s_xor_b64 exec, exec, s[6:7]
	s_cbranch_execz .LBB1_11570
; %bb.47411:
	s_getpc_b64 s[14:15]
.Lpost_getpc9369:
	s_add_u32 s14, s14, (.LBB1_25908-.Lpost_getpc9369)&4294967295
	s_addc_u32 s15, s15, (.LBB1_25908-.Lpost_getpc9369)>>32
	s_setpc_b64 s[14:15]
.LBB1_11570:
	s_or_b64 exec, exec, s[6:7]
	s_and_saveexec_b64 s[6:7], s[4:5]
	s_cbranch_execz .LBB1_11572
.LBB1_11571:
	v_bfe_u32 v2, v7, 16, 3
	v_ffbh_u32_e32 v13, v2
	v_min_u32_e32 v13, 32, v13
	v_lshrrev_b32_e32 v6, 19, v7
	v_subrev_u32_e32 v14, 28, v13
	v_and_b32_e32 v6, 15, v6
	v_lshlrev_b32_sdwa v14, v14, v7 dst_sel:DWORD dst_unused:UNUSED_PAD src0_sel:DWORD src1_sel:WORD_1
	v_bfe_u32 v12, v7, 19, 4
	v_sub_u32_e32 v13, 29, v13
	v_and_b32_e32 v14, 7, v14
	v_cmp_eq_u16_e32 vcc, 0, v6
	v_cndmask_b32_e32 v2, v2, v14, vcc
	v_cndmask_b32_e32 v6, v12, v13, vcc
	v_lshlrev_b32_e32 v12, 8, v7
	v_mov_b32_e32 v13, 0x3b800000
	v_lshlrev_b32_e32 v2, 20, v2
	v_and_b32_e32 v12, 0x80000000, v12
	v_lshl_add_u32 v6, v6, 23, v13
	v_or3_b32 v2, v12, v6, v2
.LBB1_11572:
	s_or_b64 exec, exec, s[6:7]
	s_movk_i32 s4, 0xff
	v_and_b32_sdwa v6, v3, s4 dst_sel:DWORD dst_unused:UNUSED_PAD src0_sel:WORD_1 src1_sel:DWORD
	s_movk_i32 s4, 0x7f
	v_cmp_lt_i16_e32 vcc, s4, v6
	s_mov_b64 s[4:5], 0
                                        ; implicit-def: $sgpr10
	s_and_saveexec_b64 s[6:7], vcc
	s_xor_b64 s[6:7], exec, s[6:7]
	s_cbranch_execz .LBB1_11573
; %bb.47413:
	s_getpc_b64 s[14:15]
.Lpost_getpc9370:
	s_add_u32 s14, s14, (.LBB1_25909-.Lpost_getpc9370)&4294967295
	s_addc_u32 s15, s15, (.LBB1_25909-.Lpost_getpc9370)>>32
	s_setpc_b64 s[14:15]
.LBB1_11573:
	s_or_saveexec_b64 s[6:7], s[6:7]
	v_mov_b32_e32 v12, s10
	s_xor_b64 exec, exec, s[6:7]
	s_cbranch_execz .LBB1_11574
; %bb.47415:
	s_getpc_b64 s[14:15]
.Lpost_getpc9371:
	s_add_u32 s14, s14, (.LBB1_25912-.Lpost_getpc9371)&4294967295
	s_addc_u32 s15, s15, (.LBB1_25912-.Lpost_getpc9371)>>32
	s_setpc_b64 s[14:15]
.LBB1_11574:
	s_or_b64 exec, exec, s[6:7]
	s_and_saveexec_b64 s[6:7], s[4:5]
	s_cbranch_execz .LBB1_11576
.LBB1_11575:
	v_bfe_u32 v6, v3, 16, 3
	v_ffbh_u32_e32 v14, v6
	v_min_u32_e32 v14, 32, v14
	v_lshrrev_b32_e32 v12, 19, v3
	v_subrev_u32_e32 v15, 28, v14
	v_and_b32_e32 v12, 15, v12
	v_lshlrev_b32_sdwa v15, v15, v3 dst_sel:DWORD dst_unused:UNUSED_PAD src0_sel:DWORD src1_sel:WORD_1
	v_bfe_u32 v13, v3, 19, 4
	v_sub_u32_e32 v14, 29, v14
	v_and_b32_e32 v15, 7, v15
	v_cmp_eq_u16_e32 vcc, 0, v12
	v_cndmask_b32_e32 v6, v6, v15, vcc
	v_cndmask_b32_e32 v12, v13, v14, vcc
	v_lshlrev_b32_e32 v13, 8, v3
	v_mov_b32_e32 v14, 0x3b800000
	v_lshlrev_b32_e32 v6, 20, v6
	v_and_b32_e32 v13, 0x80000000, v13
	v_lshl_add_u32 v12, v12, 23, v14
	v_or3_b32 v12, v13, v12, v6
.LBB1_11576:
	s_or_b64 exec, exec, s[6:7]
	s_nop 0
	v_mfma_f32_16x16x4f32 a[0:3], v2, v12, a[0:3]
	s_movk_i32 s4, 0x7f
	v_cmp_gt_i16_sdwa s[6:7], v7, s4 src0_sel:BYTE_3 src1_sel:DWORD
	s_mov_b64 s[4:5], 0
                                        ; implicit-def: $sgpr10
	s_and_saveexec_b64 s[8:9], s[6:7]
	s_xor_b64 s[6:7], exec, s[8:9]
	s_cbranch_execz .LBB1_11577
; %bb.47417:
	s_getpc_b64 s[14:15]
.Lpost_getpc9372:
	s_add_u32 s14, s14, (.LBB1_25913-.Lpost_getpc9372)&4294967295
	s_addc_u32 s15, s15, (.LBB1_25913-.Lpost_getpc9372)>>32
	s_setpc_b64 s[14:15]
.LBB1_11577:
	s_or_saveexec_b64 s[6:7], s[6:7]
	v_mov_b32_e32 v2, s10
	s_xor_b64 exec, exec, s[6:7]
	s_cbranch_execz .LBB1_11578
; %bb.47419:
	s_getpc_b64 s[14:15]
.Lpost_getpc9373:
	s_add_u32 s14, s14, (.LBB1_25916-.Lpost_getpc9373)&4294967295
	s_addc_u32 s15, s15, (.LBB1_25916-.Lpost_getpc9373)>>32
	s_setpc_b64 s[14:15]
.LBB1_11578:
	s_or_b64 exec, exec, s[6:7]
	s_and_saveexec_b64 s[6:7], s[4:5]
	s_cbranch_execz .LBB1_11580
.LBB1_11579:
	v_bfe_u32 v2, v7, 24, 3
	v_ffbh_u32_e32 v14, v2
	v_min_u32_e32 v14, 32, v14
	v_lshrrev_b32_e32 v12, 27, v7
	v_subrev_u32_e32 v15, 28, v14
	v_and_b32_e32 v6, 0x80000000, v7
	v_and_b32_e32 v12, 15, v12
	v_bfe_u32 v13, v7, 27, 4
	v_lshlrev_b32_sdwa v7, v15, v7 dst_sel:DWORD dst_unused:UNUSED_PAD src0_sel:DWORD src1_sel:BYTE_3
	v_sub_u32_e32 v14, 29, v14
	v_and_b32_e32 v7, 7, v7
	v_cmp_eq_u16_e32 vcc, 0, v12
	v_cndmask_b32_e32 v2, v2, v7, vcc
	v_cndmask_b32_e32 v7, v13, v14, vcc
	v_mov_b32_e32 v12, 0x3b800000
	v_lshlrev_b32_e32 v2, 20, v2
	v_lshl_add_u32 v7, v7, 23, v12
	v_or3_b32 v2, v6, v7, v2
.LBB1_11580:
	s_or_b64 exec, exec, s[6:7]
	s_movk_i32 s4, 0x7f
	v_cmp_gt_i16_sdwa s[6:7], v3, s4 src0_sel:BYTE_3 src1_sel:DWORD
	s_mov_b64 s[4:5], 0
                                        ; implicit-def: $sgpr10
	s_and_saveexec_b64 s[8:9], s[6:7]
	s_xor_b64 s[6:7], exec, s[8:9]
	s_cbranch_execz .LBB1_11581
; %bb.47421:
	s_getpc_b64 s[14:15]
.Lpost_getpc9374:
	s_add_u32 s14, s14, (.LBB1_25917-.Lpost_getpc9374)&4294967295
	s_addc_u32 s15, s15, (.LBB1_25917-.Lpost_getpc9374)>>32
	s_setpc_b64 s[14:15]
.LBB1_11581:
	s_or_saveexec_b64 s[6:7], s[6:7]
	v_mov_b32_e32 v6, s10
	s_xor_b64 exec, exec, s[6:7]
	s_cbranch_execz .LBB1_11582
; %bb.47423:
	s_getpc_b64 s[14:15]
.Lpost_getpc9375:
	s_add_u32 s14, s14, (.LBB1_25920-.Lpost_getpc9375)&4294967295
	s_addc_u32 s15, s15, (.LBB1_25920-.Lpost_getpc9375)>>32
	s_setpc_b64 s[14:15]
.LBB1_11582:
	s_or_b64 exec, exec, s[6:7]
	s_and_saveexec_b64 s[6:7], s[4:5]
	s_cbranch_execz .LBB1_11584
.LBB1_11583:
	v_bfe_u32 v6, v3, 24, 3
	v_ffbh_u32_e32 v14, v6
	v_min_u32_e32 v14, 32, v14
	v_lshrrev_b32_e32 v12, 27, v3
	v_subrev_u32_e32 v15, 28, v14
	v_and_b32_e32 v7, 0x80000000, v3
	v_and_b32_e32 v12, 15, v12
	v_bfe_u32 v13, v3, 27, 4
	v_lshlrev_b32_sdwa v3, v15, v3 dst_sel:DWORD dst_unused:UNUSED_PAD src0_sel:DWORD src1_sel:BYTE_3
	v_sub_u32_e32 v14, 29, v14
	v_and_b32_e32 v3, 7, v3
	v_cmp_eq_u16_e32 vcc, 0, v12
	v_cndmask_b32_e32 v3, v6, v3, vcc
	v_cndmask_b32_e32 v6, v13, v14, vcc
	v_mov_b32_e32 v12, 0x3b800000
	v_lshlrev_b32_e32 v3, 20, v3
	v_lshl_add_u32 v6, v6, 23, v12
	v_or3_b32 v6, v7, v6, v3
.LBB1_11584:
	s_or_b64 exec, exec, s[6:7]
	s_nop 0
	v_mfma_f32_16x16x4f32 a[0:3], v2, v6, a[0:3]
	s_movk_i32 s4, 0x7f
	v_cmp_gt_i16_sdwa s[6:7], v8, s4 src0_sel:BYTE_0 src1_sel:DWORD
	s_mov_b64 s[4:5], 0
                                        ; implicit-def: $sgpr10
	s_and_saveexec_b64 s[8:9], s[6:7]
	s_xor_b64 s[6:7], exec, s[8:9]
	s_cbranch_execz .LBB1_11585
; %bb.47425:
	s_getpc_b64 s[14:15]
.Lpost_getpc9376:
	s_add_u32 s14, s14, (.LBB1_25921-.Lpost_getpc9376)&4294967295
	s_addc_u32 s15, s15, (.LBB1_25921-.Lpost_getpc9376)>>32
	s_setpc_b64 s[14:15]
.LBB1_11585:
	s_or_saveexec_b64 s[6:7], s[6:7]
	v_mov_b32_e32 v2, s10
	s_xor_b64 exec, exec, s[6:7]
	s_cbranch_execz .LBB1_11586
; %bb.47427:
	s_getpc_b64 s[14:15]
.Lpost_getpc9377:
	s_add_u32 s14, s14, (.LBB1_25924-.Lpost_getpc9377)&4294967295
	s_addc_u32 s15, s15, (.LBB1_25924-.Lpost_getpc9377)>>32
	s_setpc_b64 s[14:15]
.LBB1_11586:
	s_or_b64 exec, exec, s[6:7]
	s_and_saveexec_b64 s[6:7], s[4:5]
	s_cbranch_execz .LBB1_11588
.LBB1_11587:
	v_and_b32_e32 v2, 7, v8
	v_ffbh_u32_e32 v6, v2
	v_min_u32_e32 v6, 32, v6
	v_lshrrev_b16_e32 v3, 3, v8
	v_subrev_u32_e32 v7, 28, v6
	v_and_b32_e32 v3, 15, v3
	v_lshlrev_b32_e32 v7, v7, v8
	v_sub_u32_e32 v6, 29, v6
	v_and_b32_e32 v7, 7, v7
	v_cmp_eq_u16_e32 vcc, 0, v3
	v_cndmask_b32_e32 v2, v2, v7, vcc
	v_cndmask_b32_e32 v3, v3, v6, vcc
	v_lshlrev_b32_e32 v6, 24, v8
	v_mov_b32_e32 v7, 0x3b800000
	v_lshlrev_b32_e32 v2, 20, v2
	v_and_b32_e32 v6, 0x80000000, v6
	v_lshl_add_u32 v3, v3, 23, v7
	v_or3_b32 v2, v6, v3, v2
.LBB1_11588:
	s_or_b64 exec, exec, s[6:7]
	s_movk_i32 s4, 0x7f
	v_cmp_gt_i16_sdwa s[6:7], v4, s4 src0_sel:BYTE_0 src1_sel:DWORD
	s_mov_b64 s[4:5], 0
                                        ; implicit-def: $sgpr10
	s_and_saveexec_b64 s[8:9], s[6:7]
	s_xor_b64 s[6:7], exec, s[8:9]
	s_cbranch_execz .LBB1_11589
; %bb.47429:
	s_getpc_b64 s[14:15]
.Lpost_getpc9378:
	s_add_u32 s14, s14, (.LBB1_25925-.Lpost_getpc9378)&4294967295
	s_addc_u32 s15, s15, (.LBB1_25925-.Lpost_getpc9378)>>32
	s_setpc_b64 s[14:15]
.LBB1_11589:
	s_or_saveexec_b64 s[6:7], s[6:7]
	v_mov_b32_e32 v3, s10
	s_xor_b64 exec, exec, s[6:7]
	s_cbranch_execz .LBB1_11590
; %bb.47431:
	s_getpc_b64 s[14:15]
.Lpost_getpc9379:
	s_add_u32 s14, s14, (.LBB1_25928-.Lpost_getpc9379)&4294967295
	s_addc_u32 s15, s15, (.LBB1_25928-.Lpost_getpc9379)>>32
	s_setpc_b64 s[14:15]
.LBB1_11590:
	s_or_b64 exec, exec, s[6:7]
	s_and_saveexec_b64 s[6:7], s[4:5]
	s_cbranch_execz .LBB1_11592
.LBB1_11591:
	v_and_b32_e32 v3, 7, v4
	v_ffbh_u32_e32 v7, v3
	v_min_u32_e32 v7, 32, v7
	v_lshrrev_b16_e32 v6, 3, v4
	v_subrev_u32_e32 v12, 28, v7
	v_and_b32_e32 v6, 15, v6
	v_lshlrev_b32_e32 v12, v12, v4
	v_sub_u32_e32 v7, 29, v7
	v_and_b32_e32 v12, 7, v12
	v_cmp_eq_u16_e32 vcc, 0, v6
	v_cndmask_b32_e32 v3, v3, v12, vcc
	v_cndmask_b32_e32 v6, v6, v7, vcc
	v_lshlrev_b32_e32 v7, 24, v4
	v_mov_b32_e32 v12, 0x3b800000
	v_lshlrev_b32_e32 v3, 20, v3
	v_and_b32_e32 v7, 0x80000000, v7
	v_lshl_add_u32 v6, v6, 23, v12
	v_or3_b32 v3, v7, v6, v3
.LBB1_11592:
	s_or_b64 exec, exec, s[6:7]
	s_nop 0
	v_mfma_f32_16x16x4f32 a[0:3], v2, v3, a[0:3]
	v_lshrrev_b32_e32 v3, 8, v8
	s_movk_i32 s4, 0x7f
	v_cmp_gt_i16_sdwa s[6:7], v3, s4 src0_sel:BYTE_0 src1_sel:DWORD
	s_mov_b64 s[4:5], 0
                                        ; implicit-def: $sgpr10
	s_and_saveexec_b64 s[8:9], s[6:7]
	s_xor_b64 s[6:7], exec, s[8:9]
	s_cbranch_execz .LBB1_11593
; %bb.47433:
	s_getpc_b64 s[14:15]
.Lpost_getpc9380:
	s_add_u32 s14, s14, (.LBB1_25929-.Lpost_getpc9380)&4294967295
	s_addc_u32 s15, s15, (.LBB1_25929-.Lpost_getpc9380)>>32
	s_setpc_b64 s[14:15]
.LBB1_11593:
	s_or_saveexec_b64 s[6:7], s[6:7]
	v_mov_b32_e32 v2, s10
	s_xor_b64 exec, exec, s[6:7]
	s_cbranch_execz .LBB1_11594
; %bb.47435:
	s_getpc_b64 s[14:15]
.Lpost_getpc9381:
	s_add_u32 s14, s14, (.LBB1_25932-.Lpost_getpc9381)&4294967295
	s_addc_u32 s15, s15, (.LBB1_25932-.Lpost_getpc9381)>>32
	s_setpc_b64 s[14:15]
.LBB1_11594:
	s_or_b64 exec, exec, s[6:7]
	s_and_saveexec_b64 s[6:7], s[4:5]
	s_cbranch_execz .LBB1_11596
.LBB1_11595:
	v_bfe_u32 v2, v8, 8, 3
	v_ffbh_u32_e32 v7, v2
	v_min_u32_e32 v7, 32, v7
	v_lshrrev_b16_e32 v6, 3, v3
	v_subrev_u32_e32 v12, 28, v7
	v_and_b32_e32 v6, 15, v6
	v_lshlrev_b32_e32 v3, v12, v3
	v_sub_u32_e32 v7, 29, v7
	v_and_b32_e32 v3, 7, v3
	v_cmp_eq_u16_e32 vcc, 0, v6
	v_cndmask_b32_e32 v2, v2, v3, vcc
	v_cndmask_b32_e32 v3, v6, v7, vcc
	v_lshlrev_b32_e32 v6, 16, v8
	v_mov_b32_e32 v7, 0x3b800000
	v_lshlrev_b32_e32 v2, 20, v2
	v_and_b32_e32 v6, 0x80000000, v6
	v_lshl_add_u32 v3, v3, 23, v7
	v_or3_b32 v2, v6, v3, v2
.LBB1_11596:
	s_or_b64 exec, exec, s[6:7]
	v_lshrrev_b32_e32 v3, 8, v4
	s_movk_i32 s4, 0x7f
	v_cmp_gt_i16_sdwa s[6:7], v3, s4 src0_sel:BYTE_0 src1_sel:DWORD
	s_mov_b64 s[4:5], 0
                                        ; implicit-def: $sgpr10
	s_and_saveexec_b64 s[8:9], s[6:7]
	s_xor_b64 s[6:7], exec, s[8:9]
	s_cbranch_execz .LBB1_11597
; %bb.47437:
	s_getpc_b64 s[14:15]
.Lpost_getpc9382:
	s_add_u32 s14, s14, (.LBB1_25933-.Lpost_getpc9382)&4294967295
	s_addc_u32 s15, s15, (.LBB1_25933-.Lpost_getpc9382)>>32
	s_setpc_b64 s[14:15]
.LBB1_11597:
	s_or_saveexec_b64 s[6:7], s[6:7]
	v_mov_b32_e32 v6, s10
	s_xor_b64 exec, exec, s[6:7]
	s_cbranch_execz .LBB1_11598
; %bb.47439:
	s_getpc_b64 s[14:15]
.Lpost_getpc9383:
	s_add_u32 s14, s14, (.LBB1_25936-.Lpost_getpc9383)&4294967295
	s_addc_u32 s15, s15, (.LBB1_25936-.Lpost_getpc9383)>>32
	s_setpc_b64 s[14:15]
.LBB1_11598:
	s_or_b64 exec, exec, s[6:7]
	s_and_saveexec_b64 s[6:7], s[4:5]
	s_cbranch_execz .LBB1_11600
.LBB1_11599:
	v_bfe_u32 v6, v4, 8, 3
	v_ffbh_u32_e32 v12, v6
	v_min_u32_e32 v12, 32, v12
	v_lshrrev_b16_e32 v7, 3, v3
	v_subrev_u32_e32 v13, 28, v12
	v_and_b32_e32 v7, 15, v7
	v_lshlrev_b32_e32 v3, v13, v3
	v_sub_u32_e32 v12, 29, v12
	v_and_b32_e32 v3, 7, v3
	v_cmp_eq_u16_e32 vcc, 0, v7
	v_cndmask_b32_e32 v3, v6, v3, vcc
	v_cndmask_b32_e32 v6, v7, v12, vcc
	v_lshlrev_b32_e32 v7, 16, v4
	v_mov_b32_e32 v12, 0x3b800000
	v_lshlrev_b32_e32 v3, 20, v3
	v_and_b32_e32 v7, 0x80000000, v7
	v_lshl_add_u32 v6, v6, 23, v12
	v_or3_b32 v6, v7, v6, v3
.LBB1_11600:
	s_or_b64 exec, exec, s[6:7]
	s_nop 0
	v_mfma_f32_16x16x4f32 a[0:3], v2, v6, a[0:3]
	s_movk_i32 s4, 0xff
	v_and_b32_sdwa v3, v8, s4 dst_sel:DWORD dst_unused:UNUSED_PAD src0_sel:WORD_1 src1_sel:DWORD
	s_movk_i32 s4, 0x7f
	v_cmp_lt_i16_e32 vcc, s4, v3
	s_mov_b64 s[4:5], 0
                                        ; implicit-def: $sgpr10
	s_and_saveexec_b64 s[6:7], vcc
	s_xor_b64 s[6:7], exec, s[6:7]
	s_cbranch_execz .LBB1_11601
; %bb.47441:
	s_getpc_b64 s[14:15]
.Lpost_getpc9384:
	s_add_u32 s14, s14, (.LBB1_25937-.Lpost_getpc9384)&4294967295
	s_addc_u32 s15, s15, (.LBB1_25937-.Lpost_getpc9384)>>32
	s_setpc_b64 s[14:15]
.LBB1_11601:
	s_or_saveexec_b64 s[6:7], s[6:7]
	v_mov_b32_e32 v2, s10
	s_xor_b64 exec, exec, s[6:7]
	s_cbranch_execz .LBB1_11602
; %bb.47443:
	s_getpc_b64 s[14:15]
.Lpost_getpc9385:
	s_add_u32 s14, s14, (.LBB1_25940-.Lpost_getpc9385)&4294967295
	s_addc_u32 s15, s15, (.LBB1_25940-.Lpost_getpc9385)>>32
	s_setpc_b64 s[14:15]
.LBB1_11602:
	s_or_b64 exec, exec, s[6:7]
	s_and_saveexec_b64 s[6:7], s[4:5]
	s_cbranch_execz .LBB1_11604
.LBB1_11603:
	v_bfe_u32 v2, v8, 16, 3
	v_ffbh_u32_e32 v7, v2
	v_min_u32_e32 v7, 32, v7
	v_lshrrev_b32_e32 v3, 19, v8
	v_subrev_u32_e32 v12, 28, v7
	v_and_b32_e32 v3, 15, v3
	v_lshlrev_b32_sdwa v12, v12, v8 dst_sel:DWORD dst_unused:UNUSED_PAD src0_sel:DWORD src1_sel:WORD_1
	v_bfe_u32 v6, v8, 19, 4
	v_sub_u32_e32 v7, 29, v7
	v_and_b32_e32 v12, 7, v12
	v_cmp_eq_u16_e32 vcc, 0, v3
	v_cndmask_b32_e32 v2, v2, v12, vcc
	v_cndmask_b32_e32 v3, v6, v7, vcc
	v_lshlrev_b32_e32 v6, 8, v8
	v_mov_b32_e32 v7, 0x3b800000
	v_lshlrev_b32_e32 v2, 20, v2
	v_and_b32_e32 v6, 0x80000000, v6
	v_lshl_add_u32 v3, v3, 23, v7
	v_or3_b32 v2, v6, v3, v2
.LBB1_11604:
	s_or_b64 exec, exec, s[6:7]
	s_movk_i32 s4, 0xff
	v_and_b32_sdwa v3, v4, s4 dst_sel:DWORD dst_unused:UNUSED_PAD src0_sel:WORD_1 src1_sel:DWORD
	s_movk_i32 s4, 0x7f
	v_cmp_lt_i16_e32 vcc, s4, v3
	s_mov_b64 s[4:5], 0
                                        ; implicit-def: $sgpr10
	s_and_saveexec_b64 s[6:7], vcc
	s_xor_b64 s[6:7], exec, s[6:7]
	s_cbranch_execz .LBB1_11605
; %bb.47445:
	s_getpc_b64 s[14:15]
.Lpost_getpc9386:
	s_add_u32 s14, s14, (.LBB1_25941-.Lpost_getpc9386)&4294967295
	s_addc_u32 s15, s15, (.LBB1_25941-.Lpost_getpc9386)>>32
	s_setpc_b64 s[14:15]
.LBB1_11605:
	s_or_saveexec_b64 s[6:7], s[6:7]
	v_mov_b32_e32 v6, s10
	s_xor_b64 exec, exec, s[6:7]
	s_cbranch_execz .LBB1_11606
; %bb.47447:
	s_getpc_b64 s[14:15]
.Lpost_getpc9387:
	s_add_u32 s14, s14, (.LBB1_25944-.Lpost_getpc9387)&4294967295
	s_addc_u32 s15, s15, (.LBB1_25944-.Lpost_getpc9387)>>32
	s_setpc_b64 s[14:15]
.LBB1_11606:
	s_or_b64 exec, exec, s[6:7]
	s_and_saveexec_b64 s[6:7], s[4:5]
	s_cbranch_execz .LBB1_11608
.LBB1_11607:
	v_bfe_u32 v3, v4, 16, 3
	v_ffbh_u32_e32 v12, v3
	v_min_u32_e32 v12, 32, v12
	v_lshrrev_b32_e32 v6, 19, v4
	v_subrev_u32_e32 v13, 28, v12
	v_and_b32_e32 v6, 15, v6
	v_lshlrev_b32_sdwa v13, v13, v4 dst_sel:DWORD dst_unused:UNUSED_PAD src0_sel:DWORD src1_sel:WORD_1
	v_bfe_u32 v7, v4, 19, 4
	v_sub_u32_e32 v12, 29, v12
	v_and_b32_e32 v13, 7, v13
	v_cmp_eq_u16_e32 vcc, 0, v6
	v_cndmask_b32_e32 v3, v3, v13, vcc
	v_cndmask_b32_e32 v6, v7, v12, vcc
	v_lshlrev_b32_e32 v7, 8, v4
	v_mov_b32_e32 v12, 0x3b800000
	v_lshlrev_b32_e32 v3, 20, v3
	v_and_b32_e32 v7, 0x80000000, v7
	v_lshl_add_u32 v6, v6, 23, v12
	v_or3_b32 v6, v7, v6, v3
.LBB1_11608:
	s_or_b64 exec, exec, s[6:7]
	s_nop 0
	v_mfma_f32_16x16x4f32 a[0:3], v2, v6, a[0:3]
	s_movk_i32 s4, 0x7f
	v_cmp_gt_i16_sdwa s[6:7], v8, s4 src0_sel:BYTE_3 src1_sel:DWORD
	s_mov_b64 s[4:5], 0
                                        ; implicit-def: $sgpr10
	s_and_saveexec_b64 s[8:9], s[6:7]
	s_xor_b64 s[6:7], exec, s[8:9]
	s_cbranch_execz .LBB1_11609
; %bb.47449:
	s_getpc_b64 s[14:15]
.Lpost_getpc9388:
	s_add_u32 s14, s14, (.LBB1_25945-.Lpost_getpc9388)&4294967295
	s_addc_u32 s15, s15, (.LBB1_25945-.Lpost_getpc9388)>>32
	s_setpc_b64 s[14:15]
.LBB1_11609:
	s_or_saveexec_b64 s[6:7], s[6:7]
	v_mov_b32_e32 v2, s10
	s_xor_b64 exec, exec, s[6:7]
	s_cbranch_execz .LBB1_11610
; %bb.47451:
	s_getpc_b64 s[14:15]
.Lpost_getpc9389:
	s_add_u32 s14, s14, (.LBB1_25948-.Lpost_getpc9389)&4294967295
	s_addc_u32 s15, s15, (.LBB1_25948-.Lpost_getpc9389)>>32
	s_setpc_b64 s[14:15]
.LBB1_11610:
	s_or_b64 exec, exec, s[6:7]
	s_and_saveexec_b64 s[6:7], s[4:5]
	s_cbranch_execz .LBB1_11612
.LBB1_11611:
	v_bfe_u32 v2, v8, 24, 3
	v_ffbh_u32_e32 v12, v2
	v_min_u32_e32 v12, 32, v12
	v_lshrrev_b32_e32 v6, 27, v8
	v_subrev_u32_e32 v13, 28, v12
	v_and_b32_e32 v3, 0x80000000, v8
	v_and_b32_e32 v6, 15, v6
	v_bfe_u32 v7, v8, 27, 4
	v_lshlrev_b32_sdwa v8, v13, v8 dst_sel:DWORD dst_unused:UNUSED_PAD src0_sel:DWORD src1_sel:BYTE_3
	v_sub_u32_e32 v12, 29, v12
	v_and_b32_e32 v8, 7, v8
	v_cmp_eq_u16_e32 vcc, 0, v6
	v_cndmask_b32_e32 v2, v2, v8, vcc
	v_cndmask_b32_e32 v6, v7, v12, vcc
	v_mov_b32_e32 v7, 0x3b800000
	v_lshlrev_b32_e32 v2, 20, v2
	v_lshl_add_u32 v6, v6, 23, v7
	v_or3_b32 v2, v3, v6, v2
.LBB1_11612:
	s_or_b64 exec, exec, s[6:7]
	s_movk_i32 s4, 0x7f
	v_cmp_gt_i16_sdwa s[6:7], v4, s4 src0_sel:BYTE_3 src1_sel:DWORD
	s_mov_b64 s[4:5], 0
                                        ; implicit-def: $sgpr10
	s_and_saveexec_b64 s[8:9], s[6:7]
	s_xor_b64 s[6:7], exec, s[8:9]
	s_cbranch_execz .LBB1_11613
; %bb.47453:
	s_getpc_b64 s[14:15]
.Lpost_getpc9390:
	s_add_u32 s14, s14, (.LBB1_25949-.Lpost_getpc9390)&4294967295
	s_addc_u32 s15, s15, (.LBB1_25949-.Lpost_getpc9390)>>32
	s_setpc_b64 s[14:15]
.LBB1_11613:
	s_or_saveexec_b64 s[6:7], s[6:7]
	v_mov_b32_e32 v3, s10
	s_xor_b64 exec, exec, s[6:7]
	s_cbranch_execz .LBB1_11614
; %bb.47455:
	s_getpc_b64 s[14:15]
.Lpost_getpc9391:
	s_add_u32 s14, s14, (.LBB1_25952-.Lpost_getpc9391)&4294967295
	s_addc_u32 s15, s15, (.LBB1_25952-.Lpost_getpc9391)>>32
	s_setpc_b64 s[14:15]
.LBB1_11614:
	s_or_b64 exec, exec, s[6:7]
	s_and_saveexec_b64 s[6:7], s[4:5]
	s_cbranch_execz .LBB1_11616
.LBB1_11615:
	v_bfe_u32 v3, v4, 24, 3
	v_ffbh_u32_e32 v12, v3
	v_min_u32_e32 v12, 32, v12
	v_lshrrev_b32_e32 v7, 27, v4
	v_subrev_u32_e32 v13, 28, v12
	v_and_b32_e32 v6, 0x80000000, v4
	v_and_b32_e32 v7, 15, v7
	v_bfe_u32 v8, v4, 27, 4
	v_lshlrev_b32_sdwa v4, v13, v4 dst_sel:DWORD dst_unused:UNUSED_PAD src0_sel:DWORD src1_sel:BYTE_3
	v_sub_u32_e32 v12, 29, v12
	v_and_b32_e32 v4, 7, v4
	v_cmp_eq_u16_e32 vcc, 0, v7
	v_cndmask_b32_e32 v3, v3, v4, vcc
	v_cndmask_b32_e32 v4, v8, v12, vcc
	v_mov_b32_e32 v7, 0x3b800000
	v_lshlrev_b32_e32 v3, 20, v3
	v_lshl_add_u32 v4, v4, 23, v7
	v_or3_b32 v3, v6, v4, v3
.LBB1_11616:
	s_or_b64 exec, exec, s[6:7]
	s_nop 0
	v_mfma_f32_16x16x4f32 a[0:3], v2, v3, a[0:3]
	s_movk_i32 s4, 0x7f
	v_cmp_gt_i16_sdwa s[6:7], v9, s4 src0_sel:BYTE_0 src1_sel:DWORD
	s_mov_b64 s[4:5], 0
                                        ; implicit-def: $sgpr10
	s_and_saveexec_b64 s[8:9], s[6:7]
	s_xor_b64 s[6:7], exec, s[8:9]
	s_cbranch_execz .LBB1_11617
; %bb.47457:
	s_getpc_b64 s[14:15]
.Lpost_getpc9392:
	s_add_u32 s14, s14, (.LBB1_25953-.Lpost_getpc9392)&4294967295
	s_addc_u32 s15, s15, (.LBB1_25953-.Lpost_getpc9392)>>32
	s_setpc_b64 s[14:15]
.LBB1_11617:
	s_or_saveexec_b64 s[6:7], s[6:7]
	v_mov_b32_e32 v2, s10
	s_xor_b64 exec, exec, s[6:7]
	s_cbranch_execz .LBB1_11618
; %bb.47459:
	s_getpc_b64 s[14:15]
.Lpost_getpc9393:
	s_add_u32 s14, s14, (.LBB1_25956-.Lpost_getpc9393)&4294967295
	s_addc_u32 s15, s15, (.LBB1_25956-.Lpost_getpc9393)>>32
	s_setpc_b64 s[14:15]
.LBB1_11618:
	s_or_b64 exec, exec, s[6:7]
	s_and_saveexec_b64 s[6:7], s[4:5]
	s_cbranch_execz .LBB1_11620
.LBB1_11619:
	v_mov_b32_e32 v2, 8
	v_and_b32_e32 v3, 7, v9
	v_lshrrev_b32_sdwa v2, v2, v9 dst_sel:BYTE_1 dst_unused:UNUSED_PAD src0_sel:DWORD src1_sel:DWORD
	v_ffbh_u32_e32 v4, v3
	v_or_b32_sdwa v2, v9, v2 dst_sel:DWORD dst_unused:UNUSED_PAD src0_sel:BYTE_0 src1_sel:DWORD
	v_min_u32_e32 v4, 32, v4
	v_lshrrev_b16_e32 v2, 3, v2
	v_subrev_u32_e32 v6, 28, v4
	v_and_b32_e32 v2, 15, v2
	v_lshlrev_b32_e32 v6, v6, v9
	v_sub_u32_e32 v4, 29, v4
	v_and_b32_e32 v6, 7, v6
	v_cmp_eq_u16_e32 vcc, 0, v2
	v_cndmask_b32_e32 v3, v3, v6, vcc
	v_cndmask_b32_e32 v2, v2, v4, vcc
	v_lshlrev_b32_e32 v4, 24, v9
	v_mov_b32_e32 v6, 0x3b800000
	v_lshlrev_b32_e32 v3, 20, v3
	v_and_b32_e32 v4, 0x80000000, v4
	v_lshl_add_u32 v2, v2, 23, v6
	v_or3_b32 v2, v4, v2, v3
.LBB1_11620:
	s_or_b64 exec, exec, s[6:7]
	s_movk_i32 s4, 0x7f
	v_cmp_gt_i16_sdwa s[6:7], v5, s4 src0_sel:BYTE_0 src1_sel:DWORD
	s_mov_b64 s[4:5], 0
                                        ; implicit-def: $sgpr10
	s_and_saveexec_b64 s[8:9], s[6:7]
	s_xor_b64 s[6:7], exec, s[8:9]
	s_cbranch_execz .LBB1_11621
; %bb.47461:
	s_getpc_b64 s[14:15]
.Lpost_getpc9394:
	s_add_u32 s14, s14, (.LBB1_25957-.Lpost_getpc9394)&4294967295
	s_addc_u32 s15, s15, (.LBB1_25957-.Lpost_getpc9394)>>32
	s_setpc_b64 s[14:15]
.LBB1_11621:
	s_or_saveexec_b64 s[6:7], s[6:7]
	v_mov_b32_e32 v3, s10
	s_xor_b64 exec, exec, s[6:7]
	s_cbranch_execz .LBB1_11622
; %bb.47463:
	s_getpc_b64 s[14:15]
.Lpost_getpc9395:
	s_add_u32 s14, s14, (.LBB1_25960-.Lpost_getpc9395)&4294967295
	s_addc_u32 s15, s15, (.LBB1_25960-.Lpost_getpc9395)>>32
	s_setpc_b64 s[14:15]
.LBB1_11622:
	s_or_b64 exec, exec, s[6:7]
	s_and_saveexec_b64 s[6:7], s[4:5]
	s_cbranch_execz .LBB1_11624
.LBB1_11623:
	v_mov_b32_e32 v3, 8
	v_and_b32_e32 v4, 7, v5
	v_lshrrev_b32_sdwa v3, v3, v5 dst_sel:BYTE_1 dst_unused:UNUSED_PAD src0_sel:DWORD src1_sel:DWORD
	v_ffbh_u32_e32 v6, v4
	v_or_b32_sdwa v3, v5, v3 dst_sel:DWORD dst_unused:UNUSED_PAD src0_sel:BYTE_0 src1_sel:DWORD
	v_min_u32_e32 v6, 32, v6
	v_lshrrev_b16_e32 v3, 3, v3
	v_subrev_u32_e32 v7, 28, v6
	v_and_b32_e32 v3, 15, v3
	v_lshlrev_b32_e32 v7, v7, v5
	v_sub_u32_e32 v6, 29, v6
	v_and_b32_e32 v7, 7, v7
	v_cmp_eq_u16_e32 vcc, 0, v3
	v_cndmask_b32_e32 v4, v4, v7, vcc
	v_cndmask_b32_e32 v3, v3, v6, vcc
	v_lshlrev_b32_e32 v6, 24, v5
	v_mov_b32_e32 v7, 0x3b800000
	v_lshlrev_b32_e32 v4, 20, v4
	v_and_b32_e32 v6, 0x80000000, v6
	v_lshl_add_u32 v3, v3, 23, v7
	v_or3_b32 v3, v6, v3, v4
.LBB1_11624:
	s_or_b64 exec, exec, s[6:7]
	s_nop 0
	v_mfma_f32_16x16x4f32 a[0:3], v2, v3, a[0:3]
	v_lshrrev_b32_e32 v3, 8, v9
	s_movk_i32 s4, 0x7f
	v_cmp_gt_i16_sdwa s[6:7], v3, s4 src0_sel:BYTE_0 src1_sel:DWORD
	s_mov_b64 s[4:5], 0
                                        ; implicit-def: $sgpr10
	s_and_saveexec_b64 s[8:9], s[6:7]
	s_xor_b64 s[6:7], exec, s[8:9]
	s_cbranch_execz .LBB1_11625
; %bb.47465:
	s_getpc_b64 s[14:15]
.Lpost_getpc9396:
	s_add_u32 s14, s14, (.LBB1_25961-.Lpost_getpc9396)&4294967295
	s_addc_u32 s15, s15, (.LBB1_25961-.Lpost_getpc9396)>>32
	s_setpc_b64 s[14:15]
.LBB1_11625:
	s_or_saveexec_b64 s[6:7], s[6:7]
	v_mov_b32_e32 v2, s10
	s_xor_b64 exec, exec, s[6:7]
	s_cbranch_execz .LBB1_11626
; %bb.47467:
	s_getpc_b64 s[14:15]
.Lpost_getpc9397:
	s_add_u32 s14, s14, (.LBB1_25964-.Lpost_getpc9397)&4294967295
	s_addc_u32 s15, s15, (.LBB1_25964-.Lpost_getpc9397)>>32
	s_setpc_b64 s[14:15]
.LBB1_11626:
	s_or_b64 exec, exec, s[6:7]
	s_and_saveexec_b64 s[6:7], s[4:5]
	s_cbranch_execz .LBB1_11628
.LBB1_11627:
	v_bfe_u32 v2, v9, 8, 3
	v_ffbh_u32_e32 v6, v2
	v_min_u32_e32 v6, 32, v6
	v_lshrrev_b16_e32 v4, 3, v3
	v_subrev_u32_e32 v7, 28, v6
	v_and_b32_e32 v4, 15, v4
	v_lshlrev_b32_e32 v3, v7, v3
	v_sub_u32_e32 v6, 29, v6
	v_and_b32_e32 v3, 7, v3
	v_cmp_eq_u16_e32 vcc, 0, v4
	v_cndmask_b32_e32 v2, v2, v3, vcc
	v_cndmask_b32_e32 v3, v4, v6, vcc
	v_lshlrev_b32_e32 v4, 16, v9
	v_mov_b32_e32 v6, 0x3b800000
	v_lshlrev_b32_e32 v2, 20, v2
	v_and_b32_e32 v4, 0x80000000, v4
	v_lshl_add_u32 v3, v3, 23, v6
	v_or3_b32 v2, v4, v3, v2
.LBB1_11628:
	s_or_b64 exec, exec, s[6:7]
	v_lshrrev_b32_e32 v3, 8, v5
	s_movk_i32 s4, 0x7f
	v_cmp_gt_i16_sdwa s[6:7], v3, s4 src0_sel:BYTE_0 src1_sel:DWORD
	s_mov_b64 s[4:5], 0
                                        ; implicit-def: $sgpr10
	s_and_saveexec_b64 s[8:9], s[6:7]
	s_xor_b64 s[6:7], exec, s[8:9]
	s_cbranch_execz .LBB1_11629
; %bb.47469:
	s_getpc_b64 s[14:15]
.Lpost_getpc9398:
	s_add_u32 s14, s14, (.LBB1_25965-.Lpost_getpc9398)&4294967295
	s_addc_u32 s15, s15, (.LBB1_25965-.Lpost_getpc9398)>>32
	s_setpc_b64 s[14:15]
.LBB1_11629:
	s_or_saveexec_b64 s[6:7], s[6:7]
	v_mov_b32_e32 v4, s10
	s_xor_b64 exec, exec, s[6:7]
	s_cbranch_execz .LBB1_11630
; %bb.47471:
	s_getpc_b64 s[14:15]
.Lpost_getpc9399:
	s_add_u32 s14, s14, (.LBB1_25968-.Lpost_getpc9399)&4294967295
	s_addc_u32 s15, s15, (.LBB1_25968-.Lpost_getpc9399)>>32
	s_setpc_b64 s[14:15]
.LBB1_11630:
	s_or_b64 exec, exec, s[6:7]
	s_and_saveexec_b64 s[6:7], s[4:5]
	s_cbranch_execz .LBB1_11632
.LBB1_11631:
	v_bfe_u32 v4, v5, 8, 3
	v_ffbh_u32_e32 v7, v4
	v_min_u32_e32 v7, 32, v7
	v_lshrrev_b16_e32 v6, 3, v3
	v_subrev_u32_e32 v8, 28, v7
	v_and_b32_e32 v6, 15, v6
	v_lshlrev_b32_e32 v3, v8, v3
	v_sub_u32_e32 v7, 29, v7
	v_and_b32_e32 v3, 7, v3
	v_cmp_eq_u16_e32 vcc, 0, v6
	v_cndmask_b32_e32 v3, v4, v3, vcc
	v_cndmask_b32_e32 v4, v6, v7, vcc
	v_lshlrev_b32_e32 v6, 16, v5
	v_mov_b32_e32 v7, 0x3b800000
	v_lshlrev_b32_e32 v3, 20, v3
	v_and_b32_e32 v6, 0x80000000, v6
	v_lshl_add_u32 v4, v4, 23, v7
	v_or3_b32 v4, v6, v4, v3
.LBB1_11632:
	s_or_b64 exec, exec, s[6:7]
	s_nop 0
	v_mfma_f32_16x16x4f32 a[0:3], v2, v4, a[0:3]
	s_movk_i32 s4, 0xff
	v_and_b32_sdwa v3, v9, s4 dst_sel:DWORD dst_unused:UNUSED_PAD src0_sel:WORD_1 src1_sel:DWORD
	s_movk_i32 s4, 0x7f
	v_cmp_lt_i16_e32 vcc, s4, v3
	s_mov_b64 s[4:5], 0
                                        ; implicit-def: $sgpr10
	s_and_saveexec_b64 s[6:7], vcc
	s_xor_b64 s[6:7], exec, s[6:7]
	s_cbranch_execz .LBB1_11633
; %bb.47473:
	s_getpc_b64 s[14:15]
.Lpost_getpc9400:
	s_add_u32 s14, s14, (.LBB1_25969-.Lpost_getpc9400)&4294967295
	s_addc_u32 s15, s15, (.LBB1_25969-.Lpost_getpc9400)>>32
	s_setpc_b64 s[14:15]
.LBB1_11633:
	s_or_saveexec_b64 s[6:7], s[6:7]
	v_mov_b32_e32 v2, s10
	s_xor_b64 exec, exec, s[6:7]
	s_cbranch_execz .LBB1_11634
; %bb.47475:
	s_getpc_b64 s[14:15]
.Lpost_getpc9401:
	s_add_u32 s14, s14, (.LBB1_25972-.Lpost_getpc9401)&4294967295
	s_addc_u32 s15, s15, (.LBB1_25972-.Lpost_getpc9401)>>32
	s_setpc_b64 s[14:15]
.LBB1_11634:
	s_or_b64 exec, exec, s[6:7]
	s_and_saveexec_b64 s[6:7], s[4:5]
	s_cbranch_execz .LBB1_11636
.LBB1_11635:
	v_bfe_u32 v2, v9, 16, 3
	v_ffbh_u32_e32 v6, v2
	v_min_u32_e32 v6, 32, v6
	v_lshrrev_b32_e32 v3, 19, v9
	v_subrev_u32_e32 v7, 28, v6
	v_and_b32_e32 v3, 15, v3
	v_lshlrev_b32_sdwa v7, v7, v9 dst_sel:DWORD dst_unused:UNUSED_PAD src0_sel:DWORD src1_sel:WORD_1
	v_bfe_u32 v4, v9, 19, 4
	v_sub_u32_e32 v6, 29, v6
	v_and_b32_e32 v7, 7, v7
	v_cmp_eq_u16_e32 vcc, 0, v3
	v_cndmask_b32_e32 v2, v2, v7, vcc
	v_cndmask_b32_e32 v3, v4, v6, vcc
	v_lshlrev_b32_e32 v4, 8, v9
	v_mov_b32_e32 v6, 0x3b800000
	v_lshlrev_b32_e32 v2, 20, v2
	v_and_b32_e32 v4, 0x80000000, v4
	v_lshl_add_u32 v3, v3, 23, v6
	v_or3_b32 v2, v4, v3, v2
.LBB1_11636:
	s_or_b64 exec, exec, s[6:7]
	s_movk_i32 s4, 0xff
	v_and_b32_sdwa v3, v5, s4 dst_sel:DWORD dst_unused:UNUSED_PAD src0_sel:WORD_1 src1_sel:DWORD
	s_movk_i32 s4, 0x7f
	v_cmp_lt_i16_e32 vcc, s4, v3
	s_mov_b64 s[4:5], 0
                                        ; implicit-def: $sgpr10
	s_and_saveexec_b64 s[6:7], vcc
	s_xor_b64 s[6:7], exec, s[6:7]
	s_cbranch_execz .LBB1_11637
; %bb.47477:
	s_getpc_b64 s[14:15]
.Lpost_getpc9402:
	s_add_u32 s14, s14, (.LBB1_25973-.Lpost_getpc9402)&4294967295
	s_addc_u32 s15, s15, (.LBB1_25973-.Lpost_getpc9402)>>32
	s_setpc_b64 s[14:15]
.LBB1_11637:
	s_or_saveexec_b64 s[6:7], s[6:7]
	v_mov_b32_e32 v4, s10
	s_xor_b64 exec, exec, s[6:7]
	s_cbranch_execz .LBB1_11638
; %bb.47479:
	s_getpc_b64 s[14:15]
.Lpost_getpc9403:
	s_add_u32 s14, s14, (.LBB1_25976-.Lpost_getpc9403)&4294967295
	s_addc_u32 s15, s15, (.LBB1_25976-.Lpost_getpc9403)>>32
	s_setpc_b64 s[14:15]
.LBB1_11638:
	s_or_b64 exec, exec, s[6:7]
	s_and_saveexec_b64 s[6:7], s[4:5]
	s_cbranch_execz .LBB1_11640
.LBB1_11639:
	v_bfe_u32 v3, v5, 16, 3
	v_ffbh_u32_e32 v7, v3
	v_min_u32_e32 v7, 32, v7
	v_lshrrev_b32_e32 v4, 19, v5
	v_subrev_u32_e32 v8, 28, v7
	v_and_b32_e32 v4, 15, v4
	v_lshlrev_b32_sdwa v8, v8, v5 dst_sel:DWORD dst_unused:UNUSED_PAD src0_sel:DWORD src1_sel:WORD_1
	v_bfe_u32 v6, v5, 19, 4
	v_sub_u32_e32 v7, 29, v7
	v_and_b32_e32 v8, 7, v8
	v_cmp_eq_u16_e32 vcc, 0, v4
	v_cndmask_b32_e32 v3, v3, v8, vcc
	v_cndmask_b32_e32 v4, v6, v7, vcc
	v_lshlrev_b32_e32 v6, 8, v5
	v_mov_b32_e32 v7, 0x3b800000
	v_lshlrev_b32_e32 v3, 20, v3
	v_and_b32_e32 v6, 0x80000000, v6
	v_lshl_add_u32 v4, v4, 23, v7
	v_or3_b32 v4, v6, v4, v3
.LBB1_11640:
	s_or_b64 exec, exec, s[6:7]
	s_nop 0
	v_mfma_f32_16x16x4f32 a[0:3], v2, v4, a[0:3]
	s_movk_i32 s4, 0x7f
	v_cmp_gt_i16_sdwa s[6:7], v9, s4 src0_sel:BYTE_3 src1_sel:DWORD
	s_mov_b64 s[4:5], 0
                                        ; implicit-def: $sgpr10
	s_and_saveexec_b64 s[8:9], s[6:7]
	s_xor_b64 s[6:7], exec, s[8:9]
	s_cbranch_execz .LBB1_11641
; %bb.47481:
	s_getpc_b64 s[14:15]
.Lpost_getpc9404:
	s_add_u32 s14, s14, (.LBB1_25977-.Lpost_getpc9404)&4294967295
	s_addc_u32 s15, s15, (.LBB1_25977-.Lpost_getpc9404)>>32
	s_setpc_b64 s[14:15]
.LBB1_11641:
	s_or_saveexec_b64 s[6:7], s[6:7]
	v_mov_b32_e32 v2, s10
	s_xor_b64 exec, exec, s[6:7]
	s_cbranch_execz .LBB1_11642
; %bb.47483:
	s_getpc_b64 s[14:15]
.Lpost_getpc9405:
	s_add_u32 s14, s14, (.LBB1_25980-.Lpost_getpc9405)&4294967295
	s_addc_u32 s15, s15, (.LBB1_25980-.Lpost_getpc9405)>>32
	s_setpc_b64 s[14:15]
.LBB1_11642:
	s_or_b64 exec, exec, s[6:7]
	s_and_saveexec_b64 s[6:7], s[4:5]
	s_cbranch_execz .LBB1_11644
.LBB1_11643:
	v_bfe_u32 v2, v9, 24, 3
	v_ffbh_u32_e32 v7, v2
	v_min_u32_e32 v7, 32, v7
	v_lshrrev_b32_e32 v4, 27, v9
	v_subrev_u32_e32 v8, 28, v7
	v_and_b32_e32 v4, 15, v4
	v_lshlrev_b32_sdwa v8, v8, v9 dst_sel:DWORD dst_unused:UNUSED_PAD src0_sel:DWORD src1_sel:BYTE_3
	v_bfe_u32 v6, v9, 27, 4
	v_sub_u32_e32 v7, 29, v7
	v_and_b32_e32 v8, 7, v8
	v_cmp_eq_u16_e32 vcc, 0, v4
	v_cndmask_b32_e32 v2, v2, v8, vcc
	v_cndmask_b32_e32 v4, v6, v7, vcc
	v_mov_b32_e32 v6, 0x3b800000
	v_and_b32_e32 v3, 0x80000000, v9
	v_lshlrev_b32_e32 v2, 20, v2
	v_lshl_add_u32 v4, v4, 23, v6
	v_or3_b32 v2, v3, v4, v2
.LBB1_11644:
	s_or_b64 exec, exec, s[6:7]
	s_movk_i32 s4, 0x7f
	v_cmp_gt_i16_sdwa s[6:7], v5, s4 src0_sel:BYTE_3 src1_sel:DWORD
	s_mov_b64 s[4:5], 0
                                        ; implicit-def: $sgpr10
	s_and_saveexec_b64 s[8:9], s[6:7]
	s_xor_b64 s[6:7], exec, s[8:9]
	s_cbranch_execz .LBB1_11645
; %bb.47485:
	s_getpc_b64 s[14:15]
.Lpost_getpc9406:
	s_add_u32 s14, s14, (.LBB1_25981-.Lpost_getpc9406)&4294967295
	s_addc_u32 s15, s15, (.LBB1_25981-.Lpost_getpc9406)>>32
	s_setpc_b64 s[14:15]
.LBB1_11645:
	s_or_saveexec_b64 s[6:7], s[6:7]
	v_mov_b32_e32 v3, s10
	s_xor_b64 exec, exec, s[6:7]
	s_cbranch_execz .LBB1_11646
; %bb.47487:
	s_getpc_b64 s[14:15]
.Lpost_getpc9407:
	s_add_u32 s14, s14, (.LBB1_25984-.Lpost_getpc9407)&4294967295
	s_addc_u32 s15, s15, (.LBB1_25984-.Lpost_getpc9407)>>32
	s_setpc_b64 s[14:15]
.LBB1_11646:
	s_or_b64 exec, exec, s[6:7]
	s_and_saveexec_b64 s[6:7], s[4:5]
	s_cbranch_execz .LBB1_11648
.LBB1_11647:
	v_bfe_u32 v3, v5, 24, 3
	v_ffbh_u32_e32 v8, v3
	v_min_u32_e32 v8, 32, v8
	v_lshrrev_b32_e32 v6, 27, v5
	v_subrev_u32_e32 v9, 28, v8
	v_and_b32_e32 v4, 0x80000000, v5
	v_and_b32_e32 v6, 15, v6
	v_bfe_u32 v7, v5, 27, 4
	v_lshlrev_b32_sdwa v5, v9, v5 dst_sel:DWORD dst_unused:UNUSED_PAD src0_sel:DWORD src1_sel:BYTE_3
	v_sub_u32_e32 v8, 29, v8
	v_and_b32_e32 v5, 7, v5
	v_cmp_eq_u16_e32 vcc, 0, v6
	v_cndmask_b32_e32 v3, v3, v5, vcc
	v_cndmask_b32_e32 v5, v7, v8, vcc
	v_mov_b32_e32 v6, 0x3b800000
	v_lshlrev_b32_e32 v3, 20, v3
	v_lshl_add_u32 v5, v5, 23, v6
	v_or3_b32 v3, v4, v5, v3
.LBB1_11648:
	s_or_b64 exec, exec, s[6:7]
	s_nop 0
	v_mfma_f32_16x16x4f32 a[0:3], v2, v3, a[0:3]
	s_movk_i32 s4, 0x7f
                                        ; implicit-def: $sgpr10
	s_nop 7
	s_nop 1
	flat_store_dwordx4 v[10:11], a[0:3] offset:544
	flat_load_dwordx4 v[12:15], v[0:1]
	s_nop 0
	flat_load_dwordx2 v[10:11], v[0:1] offset:16
	s_waitcnt vmcnt(0) lgkmcnt(0)
	flat_load_dwordx4 v[6:9], v[12:13] offset:176
	flat_load_dwordx4 v[2:5], v[14:15] offset:176
	s_waitcnt vmcnt(0) lgkmcnt(0)
	v_cmp_gt_i16_sdwa s[6:7], v6, s4 src0_sel:BYTE_0 src1_sel:DWORD
	s_mov_b64 s[4:5], 0
	s_and_saveexec_b64 s[8:9], s[6:7]
	s_xor_b64 s[6:7], exec, s[8:9]
	s_cbranch_execz .LBB1_11649
; %bb.47489:
	s_getpc_b64 s[14:15]
.Lpost_getpc9408:
	s_add_u32 s14, s14, (.LBB1_25985-.Lpost_getpc9408)&4294967295
	s_addc_u32 s15, s15, (.LBB1_25985-.Lpost_getpc9408)>>32
	s_setpc_b64 s[14:15]
.LBB1_11649:
	s_or_saveexec_b64 s[6:7], s[6:7]
	v_mov_b32_e32 v12, s10
	s_xor_b64 exec, exec, s[6:7]
	s_cbranch_execz .LBB1_11650
; %bb.47491:
	s_getpc_b64 s[14:15]
.Lpost_getpc9409:
	s_add_u32 s14, s14, (.LBB1_25988-.Lpost_getpc9409)&4294967295
	s_addc_u32 s15, s15, (.LBB1_25988-.Lpost_getpc9409)>>32
	s_setpc_b64 s[14:15]
.LBB1_11650:
	s_or_b64 exec, exec, s[6:7]
	s_and_saveexec_b64 s[6:7], s[4:5]
	s_cbranch_execz .LBB1_11652
.LBB1_11651:
	v_and_b32_e32 v12, 7, v6
	v_ffbh_u32_e32 v14, v12
	v_min_u32_e32 v14, 32, v14
	v_lshrrev_b16_e32 v13, 3, v6
	v_subrev_u32_e32 v15, 28, v14
	v_and_b32_e32 v13, 15, v13
	v_lshlrev_b32_e32 v15, v15, v6
	v_sub_u32_e32 v14, 29, v14
	v_and_b32_e32 v15, 7, v15
	v_cmp_eq_u16_e32 vcc, 0, v13
	v_cndmask_b32_e32 v12, v12, v15, vcc
	v_cndmask_b32_e32 v13, v13, v14, vcc
	v_lshlrev_b32_e32 v14, 24, v6
	v_mov_b32_e32 v15, 0x3b800000
	v_lshlrev_b32_e32 v12, 20, v12
	v_and_b32_e32 v14, 0x80000000, v14
	v_lshl_add_u32 v13, v13, 23, v15
	v_or3_b32 v12, v14, v13, v12
.LBB1_11652:
	s_or_b64 exec, exec, s[6:7]
	s_movk_i32 s4, 0x7f
	v_cmp_gt_i16_sdwa s[6:7], v2, s4 src0_sel:BYTE_0 src1_sel:DWORD
	s_mov_b64 s[4:5], 0
                                        ; implicit-def: $sgpr10
	s_and_saveexec_b64 s[8:9], s[6:7]
	s_xor_b64 s[6:7], exec, s[8:9]
	s_cbranch_execz .LBB1_11653
; %bb.47493:
	s_getpc_b64 s[14:15]
.Lpost_getpc9410:
	s_add_u32 s14, s14, (.LBB1_25989-.Lpost_getpc9410)&4294967295
	s_addc_u32 s15, s15, (.LBB1_25989-.Lpost_getpc9410)>>32
	s_setpc_b64 s[14:15]
.LBB1_11653:
	s_or_saveexec_b64 s[6:7], s[6:7]
	v_mov_b32_e32 v13, s10
	s_xor_b64 exec, exec, s[6:7]
	s_cbranch_execz .LBB1_11654
; %bb.47495:
	s_getpc_b64 s[14:15]
.Lpost_getpc9411:
	s_add_u32 s14, s14, (.LBB1_25992-.Lpost_getpc9411)&4294967295
	s_addc_u32 s15, s15, (.LBB1_25992-.Lpost_getpc9411)>>32
	s_setpc_b64 s[14:15]
.LBB1_11654:
	s_or_b64 exec, exec, s[6:7]
	s_and_saveexec_b64 s[6:7], s[4:5]
	s_cbranch_execz .LBB1_11656
.LBB1_11655:
	v_and_b32_e32 v13, 7, v2
	v_ffbh_u32_e32 v15, v13
	v_min_u32_e32 v15, 32, v15
	v_lshrrev_b16_e32 v14, 3, v2
	v_subrev_u32_e32 v16, 28, v15
	v_and_b32_e32 v14, 15, v14
	v_lshlrev_b32_e32 v16, v16, v2
	v_sub_u32_e32 v15, 29, v15
	v_and_b32_e32 v16, 7, v16
	v_cmp_eq_u16_e32 vcc, 0, v14
	v_cndmask_b32_e32 v13, v13, v16, vcc
	v_cndmask_b32_e32 v14, v14, v15, vcc
	v_lshlrev_b32_e32 v15, 24, v2
	v_mov_b32_e32 v16, 0x3b800000
	v_lshlrev_b32_e32 v13, 20, v13
	v_and_b32_e32 v15, 0x80000000, v15
	v_lshl_add_u32 v14, v14, 23, v16
	v_or3_b32 v13, v15, v14, v13
.LBB1_11656:
	s_or_b64 exec, exec, s[6:7]
	flat_load_dwordx4 a[0:3], v[10:11] offset:560
	s_movk_i32 s4, 0x7f
                                        ; implicit-def: $sgpr10
	s_waitcnt vmcnt(0) lgkmcnt(0)
	v_mfma_f32_16x16x4f32 a[0:3], v12, v13, a[0:3]
	v_lshrrev_b32_e32 v13, 8, v6
	v_cmp_gt_i16_sdwa s[6:7], v13, s4 src0_sel:BYTE_0 src1_sel:DWORD
	s_mov_b64 s[4:5], 0
	s_and_saveexec_b64 s[8:9], s[6:7]
	s_xor_b64 s[6:7], exec, s[8:9]
	s_cbranch_execz .LBB1_11657
; %bb.47497:
	s_getpc_b64 s[14:15]
.Lpost_getpc9412:
	s_add_u32 s14, s14, (.LBB1_25993-.Lpost_getpc9412)&4294967295
	s_addc_u32 s15, s15, (.LBB1_25993-.Lpost_getpc9412)>>32
	s_setpc_b64 s[14:15]
.LBB1_11657:
	s_or_saveexec_b64 s[6:7], s[6:7]
	v_mov_b32_e32 v12, s10
	s_xor_b64 exec, exec, s[6:7]
	s_cbranch_execz .LBB1_11658
; %bb.47499:
	s_getpc_b64 s[14:15]
.Lpost_getpc9413:
	s_add_u32 s14, s14, (.LBB1_25996-.Lpost_getpc9413)&4294967295
	s_addc_u32 s15, s15, (.LBB1_25996-.Lpost_getpc9413)>>32
	s_setpc_b64 s[14:15]
.LBB1_11658:
	s_or_b64 exec, exec, s[6:7]
	s_and_saveexec_b64 s[6:7], s[4:5]
	s_cbranch_execz .LBB1_11660
.LBB1_11659:
	v_bfe_u32 v12, v6, 8, 3
	v_ffbh_u32_e32 v15, v12
	v_min_u32_e32 v15, 32, v15
	v_lshrrev_b16_e32 v14, 3, v13
	v_subrev_u32_e32 v16, 28, v15
	v_and_b32_e32 v14, 15, v14
	v_lshlrev_b32_e32 v13, v16, v13
	v_sub_u32_e32 v15, 29, v15
	v_and_b32_e32 v13, 7, v13
	v_cmp_eq_u16_e32 vcc, 0, v14
	v_cndmask_b32_e32 v12, v12, v13, vcc
	v_cndmask_b32_e32 v13, v14, v15, vcc
	v_lshlrev_b32_e32 v14, 16, v6
	v_mov_b32_e32 v15, 0x3b800000
	v_lshlrev_b32_e32 v12, 20, v12
	v_and_b32_e32 v14, 0x80000000, v14
	v_lshl_add_u32 v13, v13, 23, v15
	v_or3_b32 v12, v14, v13, v12
.LBB1_11660:
	s_or_b64 exec, exec, s[6:7]
	v_lshrrev_b32_e32 v13, 8, v2
	s_movk_i32 s4, 0x7f
	v_cmp_gt_i16_sdwa s[6:7], v13, s4 src0_sel:BYTE_0 src1_sel:DWORD
	s_mov_b64 s[4:5], 0
                                        ; implicit-def: $sgpr10
	s_and_saveexec_b64 s[8:9], s[6:7]
	s_xor_b64 s[6:7], exec, s[8:9]
	s_cbranch_execz .LBB1_11661
; %bb.47501:
	s_getpc_b64 s[14:15]
.Lpost_getpc9414:
	s_add_u32 s14, s14, (.LBB1_25997-.Lpost_getpc9414)&4294967295
	s_addc_u32 s15, s15, (.LBB1_25997-.Lpost_getpc9414)>>32
	s_setpc_b64 s[14:15]
.LBB1_11661:
	s_or_saveexec_b64 s[6:7], s[6:7]
	v_mov_b32_e32 v14, s10
	s_xor_b64 exec, exec, s[6:7]
	s_cbranch_execz .LBB1_11662
; %bb.47503:
	s_getpc_b64 s[14:15]
.Lpost_getpc9415:
	s_add_u32 s14, s14, (.LBB1_26000-.Lpost_getpc9415)&4294967295
	s_addc_u32 s15, s15, (.LBB1_26000-.Lpost_getpc9415)>>32
	s_setpc_b64 s[14:15]
.LBB1_11662:
	s_or_b64 exec, exec, s[6:7]
	s_and_saveexec_b64 s[6:7], s[4:5]
	s_cbranch_execz .LBB1_11664
.LBB1_11663:
	v_bfe_u32 v14, v2, 8, 3
	v_ffbh_u32_e32 v16, v14
	v_min_u32_e32 v16, 32, v16
	v_lshrrev_b16_e32 v15, 3, v13
	v_subrev_u32_e32 v17, 28, v16
	v_and_b32_e32 v15, 15, v15
	v_lshlrev_b32_e32 v13, v17, v13
	v_sub_u32_e32 v16, 29, v16
	v_and_b32_e32 v13, 7, v13
	v_cmp_eq_u16_e32 vcc, 0, v15
	v_cndmask_b32_e32 v13, v14, v13, vcc
	v_cndmask_b32_e32 v14, v15, v16, vcc
	v_lshlrev_b32_e32 v15, 16, v2
	v_mov_b32_e32 v16, 0x3b800000
	v_lshlrev_b32_e32 v13, 20, v13
	v_and_b32_e32 v15, 0x80000000, v15
	v_lshl_add_u32 v14, v14, 23, v16
	v_or3_b32 v14, v15, v14, v13
.LBB1_11664:
	s_or_b64 exec, exec, s[6:7]
	s_nop 0
	v_mfma_f32_16x16x4f32 a[0:3], v12, v14, a[0:3]
	s_movk_i32 s4, 0xff
	v_and_b32_sdwa v13, v6, s4 dst_sel:DWORD dst_unused:UNUSED_PAD src0_sel:WORD_1 src1_sel:DWORD
	s_movk_i32 s4, 0x7f
	v_cmp_lt_i16_e32 vcc, s4, v13
	s_mov_b64 s[4:5], 0
                                        ; implicit-def: $sgpr10
	s_and_saveexec_b64 s[6:7], vcc
	s_xor_b64 s[6:7], exec, s[6:7]
	s_cbranch_execz .LBB1_11665
; %bb.47505:
	s_getpc_b64 s[14:15]
.Lpost_getpc9416:
	s_add_u32 s14, s14, (.LBB1_26001-.Lpost_getpc9416)&4294967295
	s_addc_u32 s15, s15, (.LBB1_26001-.Lpost_getpc9416)>>32
	s_setpc_b64 s[14:15]
.LBB1_11665:
	s_or_saveexec_b64 s[6:7], s[6:7]
	v_mov_b32_e32 v12, s10
	s_xor_b64 exec, exec, s[6:7]
	s_cbranch_execz .LBB1_11666
; %bb.47507:
	s_getpc_b64 s[14:15]
.Lpost_getpc9417:
	s_add_u32 s14, s14, (.LBB1_26004-.Lpost_getpc9417)&4294967295
	s_addc_u32 s15, s15, (.LBB1_26004-.Lpost_getpc9417)>>32
	s_setpc_b64 s[14:15]
.LBB1_11666:
	s_or_b64 exec, exec, s[6:7]
	s_and_saveexec_b64 s[6:7], s[4:5]
	s_cbranch_execz .LBB1_11668
.LBB1_11667:
	v_bfe_u32 v12, v6, 16, 3
	v_ffbh_u32_e32 v15, v12
	v_min_u32_e32 v15, 32, v15
	v_lshrrev_b32_e32 v13, 19, v6
	v_subrev_u32_e32 v16, 28, v15
	v_and_b32_e32 v13, 15, v13
	v_lshlrev_b32_sdwa v16, v16, v6 dst_sel:DWORD dst_unused:UNUSED_PAD src0_sel:DWORD src1_sel:WORD_1
	v_bfe_u32 v14, v6, 19, 4
	v_sub_u32_e32 v15, 29, v15
	v_and_b32_e32 v16, 7, v16
	v_cmp_eq_u16_e32 vcc, 0, v13
	v_cndmask_b32_e32 v12, v12, v16, vcc
	v_cndmask_b32_e32 v13, v14, v15, vcc
	v_lshlrev_b32_e32 v14, 8, v6
	v_mov_b32_e32 v15, 0x3b800000
	v_lshlrev_b32_e32 v12, 20, v12
	v_and_b32_e32 v14, 0x80000000, v14
	v_lshl_add_u32 v13, v13, 23, v15
	v_or3_b32 v12, v14, v13, v12
.LBB1_11668:
	s_or_b64 exec, exec, s[6:7]
	s_movk_i32 s4, 0xff
	v_and_b32_sdwa v13, v2, s4 dst_sel:DWORD dst_unused:UNUSED_PAD src0_sel:WORD_1 src1_sel:DWORD
	s_movk_i32 s4, 0x7f
	v_cmp_lt_i16_e32 vcc, s4, v13
	s_mov_b64 s[4:5], 0
                                        ; implicit-def: $sgpr10
	s_and_saveexec_b64 s[6:7], vcc
	s_xor_b64 s[6:7], exec, s[6:7]
	s_cbranch_execz .LBB1_11669
; %bb.47509:
	s_getpc_b64 s[14:15]
.Lpost_getpc9418:
	s_add_u32 s14, s14, (.LBB1_26005-.Lpost_getpc9418)&4294967295
	s_addc_u32 s15, s15, (.LBB1_26005-.Lpost_getpc9418)>>32
	s_setpc_b64 s[14:15]
.LBB1_11669:
	s_or_saveexec_b64 s[6:7], s[6:7]
	v_mov_b32_e32 v14, s10
	s_xor_b64 exec, exec, s[6:7]
	s_cbranch_execz .LBB1_11670
; %bb.47511:
	s_getpc_b64 s[14:15]
.Lpost_getpc9419:
	s_add_u32 s14, s14, (.LBB1_26008-.Lpost_getpc9419)&4294967295
	s_addc_u32 s15, s15, (.LBB1_26008-.Lpost_getpc9419)>>32
	s_setpc_b64 s[14:15]
.LBB1_11670:
	s_or_b64 exec, exec, s[6:7]
	s_and_saveexec_b64 s[6:7], s[4:5]
	s_cbranch_execz .LBB1_11672
.LBB1_11671:
	v_bfe_u32 v13, v2, 16, 3
	v_ffbh_u32_e32 v16, v13
	v_min_u32_e32 v16, 32, v16
	v_lshrrev_b32_e32 v14, 19, v2
	v_subrev_u32_e32 v17, 28, v16
	v_and_b32_e32 v14, 15, v14
	v_lshlrev_b32_sdwa v17, v17, v2 dst_sel:DWORD dst_unused:UNUSED_PAD src0_sel:DWORD src1_sel:WORD_1
	v_bfe_u32 v15, v2, 19, 4
	v_sub_u32_e32 v16, 29, v16
	v_and_b32_e32 v17, 7, v17
	v_cmp_eq_u16_e32 vcc, 0, v14
	v_cndmask_b32_e32 v13, v13, v17, vcc
	v_cndmask_b32_e32 v14, v15, v16, vcc
	v_lshlrev_b32_e32 v15, 8, v2
	v_mov_b32_e32 v16, 0x3b800000
	v_lshlrev_b32_e32 v13, 20, v13
	v_and_b32_e32 v15, 0x80000000, v15
	v_lshl_add_u32 v14, v14, 23, v16
	v_or3_b32 v14, v15, v14, v13
.LBB1_11672:
	s_or_b64 exec, exec, s[6:7]
	s_nop 0
	v_mfma_f32_16x16x4f32 a[0:3], v12, v14, a[0:3]
	s_movk_i32 s4, 0x7f
	v_cmp_gt_i16_sdwa s[6:7], v6, s4 src0_sel:BYTE_3 src1_sel:DWORD
	s_mov_b64 s[4:5], 0
                                        ; implicit-def: $sgpr10
	s_and_saveexec_b64 s[8:9], s[6:7]
	s_xor_b64 s[6:7], exec, s[8:9]
	s_cbranch_execz .LBB1_11673
; %bb.47513:
	s_getpc_b64 s[14:15]
.Lpost_getpc9420:
	s_add_u32 s14, s14, (.LBB1_26009-.Lpost_getpc9420)&4294967295
	s_addc_u32 s15, s15, (.LBB1_26009-.Lpost_getpc9420)>>32
	s_setpc_b64 s[14:15]
.LBB1_11673:
	s_or_saveexec_b64 s[6:7], s[6:7]
	v_mov_b32_e32 v12, s10
	s_xor_b64 exec, exec, s[6:7]
	s_cbranch_execz .LBB1_11674
; %bb.47515:
	s_getpc_b64 s[14:15]
.Lpost_getpc9421:
	s_add_u32 s14, s14, (.LBB1_26012-.Lpost_getpc9421)&4294967295
	s_addc_u32 s15, s15, (.LBB1_26012-.Lpost_getpc9421)>>32
	s_setpc_b64 s[14:15]
.LBB1_11674:
	s_or_b64 exec, exec, s[6:7]
	s_and_saveexec_b64 s[6:7], s[4:5]
	s_cbranch_execz .LBB1_11676
.LBB1_11675:
	v_bfe_u32 v12, v6, 24, 3
	v_ffbh_u32_e32 v16, v12
	v_min_u32_e32 v16, 32, v16
	v_lshrrev_b32_e32 v14, 27, v6
	v_subrev_u32_e32 v17, 28, v16
	v_and_b32_e32 v13, 0x80000000, v6
	v_and_b32_e32 v14, 15, v14
	v_bfe_u32 v15, v6, 27, 4
	v_lshlrev_b32_sdwa v6, v17, v6 dst_sel:DWORD dst_unused:UNUSED_PAD src0_sel:DWORD src1_sel:BYTE_3
	v_sub_u32_e32 v16, 29, v16
	v_and_b32_e32 v6, 7, v6
	v_cmp_eq_u16_e32 vcc, 0, v14
	v_cndmask_b32_e32 v6, v12, v6, vcc
	v_cndmask_b32_e32 v12, v15, v16, vcc
	v_mov_b32_e32 v14, 0x3b800000
	v_lshlrev_b32_e32 v6, 20, v6
	v_lshl_add_u32 v12, v12, 23, v14
	v_or3_b32 v12, v13, v12, v6
.LBB1_11676:
	s_or_b64 exec, exec, s[6:7]
	s_movk_i32 s4, 0x7f
	v_cmp_gt_i16_sdwa s[6:7], v2, s4 src0_sel:BYTE_3 src1_sel:DWORD
	s_mov_b64 s[4:5], 0
                                        ; implicit-def: $sgpr10
	s_and_saveexec_b64 s[8:9], s[6:7]
	s_xor_b64 s[6:7], exec, s[8:9]
	s_cbranch_execz .LBB1_11677
; %bb.47517:
	s_getpc_b64 s[14:15]
.Lpost_getpc9422:
	s_add_u32 s14, s14, (.LBB1_26013-.Lpost_getpc9422)&4294967295
	s_addc_u32 s15, s15, (.LBB1_26013-.Lpost_getpc9422)>>32
	s_setpc_b64 s[14:15]
.LBB1_11677:
	s_or_saveexec_b64 s[6:7], s[6:7]
	v_mov_b32_e32 v6, s10
	s_xor_b64 exec, exec, s[6:7]
	s_cbranch_execz .LBB1_11678
; %bb.47519:
	s_getpc_b64 s[14:15]
.Lpost_getpc9423:
	s_add_u32 s14, s14, (.LBB1_26016-.Lpost_getpc9423)&4294967295
	s_addc_u32 s15, s15, (.LBB1_26016-.Lpost_getpc9423)>>32
	s_setpc_b64 s[14:15]
.LBB1_11678:
	s_or_b64 exec, exec, s[6:7]
	s_and_saveexec_b64 s[6:7], s[4:5]
	s_cbranch_execz .LBB1_11680
.LBB1_11679:
	v_bfe_u32 v6, v2, 24, 3
	v_ffbh_u32_e32 v16, v6
	v_min_u32_e32 v16, 32, v16
	v_lshrrev_b32_e32 v14, 27, v2
	v_subrev_u32_e32 v17, 28, v16
	v_and_b32_e32 v13, 0x80000000, v2
	v_and_b32_e32 v14, 15, v14
	v_bfe_u32 v15, v2, 27, 4
	v_lshlrev_b32_sdwa v2, v17, v2 dst_sel:DWORD dst_unused:UNUSED_PAD src0_sel:DWORD src1_sel:BYTE_3
	v_sub_u32_e32 v16, 29, v16
	v_and_b32_e32 v2, 7, v2
	v_cmp_eq_u16_e32 vcc, 0, v14
	v_cndmask_b32_e32 v2, v6, v2, vcc
	v_cndmask_b32_e32 v6, v15, v16, vcc
	v_mov_b32_e32 v14, 0x3b800000
	v_lshlrev_b32_e32 v2, 20, v2
	v_lshl_add_u32 v6, v6, 23, v14
	v_or3_b32 v6, v13, v6, v2
.LBB1_11680:
	s_or_b64 exec, exec, s[6:7]
	s_nop 0
	v_mfma_f32_16x16x4f32 a[0:3], v12, v6, a[0:3]
	s_movk_i32 s4, 0x7f
	v_cmp_gt_i16_sdwa s[6:7], v7, s4 src0_sel:BYTE_0 src1_sel:DWORD
	s_mov_b64 s[4:5], 0
                                        ; implicit-def: $sgpr10
	s_and_saveexec_b64 s[8:9], s[6:7]
	s_xor_b64 s[6:7], exec, s[8:9]
	s_cbranch_execz .LBB1_11681
; %bb.47521:
	s_getpc_b64 s[14:15]
.Lpost_getpc9424:
	s_add_u32 s14, s14, (.LBB1_26017-.Lpost_getpc9424)&4294967295
	s_addc_u32 s15, s15, (.LBB1_26017-.Lpost_getpc9424)>>32
	s_setpc_b64 s[14:15]
.LBB1_11681:
	s_or_saveexec_b64 s[6:7], s[6:7]
	v_mov_b32_e32 v2, s10
	s_xor_b64 exec, exec, s[6:7]
	s_cbranch_execz .LBB1_11682
; %bb.47523:
	s_getpc_b64 s[14:15]
.Lpost_getpc9425:
	s_add_u32 s14, s14, (.LBB1_26020-.Lpost_getpc9425)&4294967295
	s_addc_u32 s15, s15, (.LBB1_26020-.Lpost_getpc9425)>>32
	s_setpc_b64 s[14:15]
.LBB1_11682:
	s_or_b64 exec, exec, s[6:7]
	s_and_saveexec_b64 s[6:7], s[4:5]
	s_cbranch_execz .LBB1_11684
.LBB1_11683:
	v_and_b32_e32 v2, 7, v7
	v_ffbh_u32_e32 v12, v2
	v_min_u32_e32 v12, 32, v12
	v_lshrrev_b16_e32 v6, 3, v7
	v_subrev_u32_e32 v13, 28, v12
	v_and_b32_e32 v6, 15, v6
	v_lshlrev_b32_e32 v13, v13, v7
	v_sub_u32_e32 v12, 29, v12
	v_and_b32_e32 v13, 7, v13
	v_cmp_eq_u16_e32 vcc, 0, v6
	v_cndmask_b32_e32 v2, v2, v13, vcc
	v_cndmask_b32_e32 v6, v6, v12, vcc
	v_lshlrev_b32_e32 v12, 24, v7
	v_mov_b32_e32 v13, 0x3b800000
	v_lshlrev_b32_e32 v2, 20, v2
	v_and_b32_e32 v12, 0x80000000, v12
	v_lshl_add_u32 v6, v6, 23, v13
	v_or3_b32 v2, v12, v6, v2
.LBB1_11684:
	s_or_b64 exec, exec, s[6:7]
	s_movk_i32 s4, 0x7f
	v_cmp_gt_i16_sdwa s[6:7], v3, s4 src0_sel:BYTE_0 src1_sel:DWORD
	s_mov_b64 s[4:5], 0
                                        ; implicit-def: $sgpr10
	s_and_saveexec_b64 s[8:9], s[6:7]
	s_xor_b64 s[6:7], exec, s[8:9]
	s_cbranch_execz .LBB1_11685
; %bb.47525:
	s_getpc_b64 s[14:15]
.Lpost_getpc9426:
	s_add_u32 s14, s14, (.LBB1_26021-.Lpost_getpc9426)&4294967295
	s_addc_u32 s15, s15, (.LBB1_26021-.Lpost_getpc9426)>>32
	s_setpc_b64 s[14:15]
.LBB1_11685:
	s_or_saveexec_b64 s[6:7], s[6:7]
	v_mov_b32_e32 v6, s10
	s_xor_b64 exec, exec, s[6:7]
	s_cbranch_execz .LBB1_11686
; %bb.47527:
	s_getpc_b64 s[14:15]
.Lpost_getpc9427:
	s_add_u32 s14, s14, (.LBB1_26024-.Lpost_getpc9427)&4294967295
	s_addc_u32 s15, s15, (.LBB1_26024-.Lpost_getpc9427)>>32
	s_setpc_b64 s[14:15]
.LBB1_11686:
	s_or_b64 exec, exec, s[6:7]
	s_and_saveexec_b64 s[6:7], s[4:5]
	s_cbranch_execz .LBB1_11688
.LBB1_11687:
	v_and_b32_e32 v6, 7, v3
	v_ffbh_u32_e32 v13, v6
	v_min_u32_e32 v13, 32, v13
	v_lshrrev_b16_e32 v12, 3, v3
	v_subrev_u32_e32 v14, 28, v13
	v_and_b32_e32 v12, 15, v12
	v_lshlrev_b32_e32 v14, v14, v3
	v_sub_u32_e32 v13, 29, v13
	v_and_b32_e32 v14, 7, v14
	v_cmp_eq_u16_e32 vcc, 0, v12
	v_cndmask_b32_e32 v6, v6, v14, vcc
	v_cndmask_b32_e32 v12, v12, v13, vcc
	v_lshlrev_b32_e32 v13, 24, v3
	v_mov_b32_e32 v14, 0x3b800000
	v_lshlrev_b32_e32 v6, 20, v6
	v_and_b32_e32 v13, 0x80000000, v13
	v_lshl_add_u32 v12, v12, 23, v14
	v_or3_b32 v6, v13, v12, v6
.LBB1_11688:
	s_or_b64 exec, exec, s[6:7]
	s_nop 0
	v_mfma_f32_16x16x4f32 a[0:3], v2, v6, a[0:3]
	v_lshrrev_b32_e32 v6, 8, v7
	s_movk_i32 s4, 0x7f
	v_cmp_gt_i16_sdwa s[6:7], v6, s4 src0_sel:BYTE_0 src1_sel:DWORD
	s_mov_b64 s[4:5], 0
                                        ; implicit-def: $sgpr10
	s_and_saveexec_b64 s[8:9], s[6:7]
	s_xor_b64 s[6:7], exec, s[8:9]
	s_cbranch_execz .LBB1_11689
; %bb.47529:
	s_getpc_b64 s[14:15]
.Lpost_getpc9428:
	s_add_u32 s14, s14, (.LBB1_26025-.Lpost_getpc9428)&4294967295
	s_addc_u32 s15, s15, (.LBB1_26025-.Lpost_getpc9428)>>32
	s_setpc_b64 s[14:15]
.LBB1_11689:
	s_or_saveexec_b64 s[6:7], s[6:7]
	v_mov_b32_e32 v2, s10
	s_xor_b64 exec, exec, s[6:7]
	s_cbranch_execz .LBB1_11690
; %bb.47531:
	s_getpc_b64 s[14:15]
.Lpost_getpc9429:
	s_add_u32 s14, s14, (.LBB1_26028-.Lpost_getpc9429)&4294967295
	s_addc_u32 s15, s15, (.LBB1_26028-.Lpost_getpc9429)>>32
	s_setpc_b64 s[14:15]
.LBB1_11690:
	s_or_b64 exec, exec, s[6:7]
	s_and_saveexec_b64 s[6:7], s[4:5]
	s_cbranch_execz .LBB1_11692
.LBB1_11691:
	v_bfe_u32 v2, v7, 8, 3
	v_ffbh_u32_e32 v13, v2
	v_min_u32_e32 v13, 32, v13
	v_lshrrev_b16_e32 v12, 3, v6
	v_subrev_u32_e32 v14, 28, v13
	v_and_b32_e32 v12, 15, v12
	v_lshlrev_b32_e32 v6, v14, v6
	v_sub_u32_e32 v13, 29, v13
	v_and_b32_e32 v6, 7, v6
	v_cmp_eq_u16_e32 vcc, 0, v12
	v_cndmask_b32_e32 v2, v2, v6, vcc
	v_cndmask_b32_e32 v6, v12, v13, vcc
	v_lshlrev_b32_e32 v12, 16, v7
	v_mov_b32_e32 v13, 0x3b800000
	v_lshlrev_b32_e32 v2, 20, v2
	v_and_b32_e32 v12, 0x80000000, v12
	v_lshl_add_u32 v6, v6, 23, v13
	v_or3_b32 v2, v12, v6, v2
.LBB1_11692:
	s_or_b64 exec, exec, s[6:7]
	v_lshrrev_b32_e32 v6, 8, v3
	s_movk_i32 s4, 0x7f
	v_cmp_gt_i16_sdwa s[6:7], v6, s4 src0_sel:BYTE_0 src1_sel:DWORD
	s_mov_b64 s[4:5], 0
                                        ; implicit-def: $sgpr10
	s_and_saveexec_b64 s[8:9], s[6:7]
	s_xor_b64 s[6:7], exec, s[8:9]
	s_cbranch_execz .LBB1_11693
; %bb.47533:
	s_getpc_b64 s[14:15]
.Lpost_getpc9430:
	s_add_u32 s14, s14, (.LBB1_26029-.Lpost_getpc9430)&4294967295
	s_addc_u32 s15, s15, (.LBB1_26029-.Lpost_getpc9430)>>32
	s_setpc_b64 s[14:15]
.LBB1_11693:
	s_or_saveexec_b64 s[6:7], s[6:7]
	v_mov_b32_e32 v12, s10
	s_xor_b64 exec, exec, s[6:7]
	s_cbranch_execz .LBB1_11694
; %bb.47535:
	s_getpc_b64 s[14:15]
.Lpost_getpc9431:
	s_add_u32 s14, s14, (.LBB1_26032-.Lpost_getpc9431)&4294967295
	s_addc_u32 s15, s15, (.LBB1_26032-.Lpost_getpc9431)>>32
	s_setpc_b64 s[14:15]
.LBB1_11694:
	s_or_b64 exec, exec, s[6:7]
	s_and_saveexec_b64 s[6:7], s[4:5]
	s_cbranch_execz .LBB1_11696
.LBB1_11695:
	v_bfe_u32 v12, v3, 8, 3
	v_ffbh_u32_e32 v14, v12
	v_min_u32_e32 v14, 32, v14
	v_lshrrev_b16_e32 v13, 3, v6
	v_subrev_u32_e32 v15, 28, v14
	v_and_b32_e32 v13, 15, v13
	v_lshlrev_b32_e32 v6, v15, v6
	v_sub_u32_e32 v14, 29, v14
	v_and_b32_e32 v6, 7, v6
	v_cmp_eq_u16_e32 vcc, 0, v13
	v_cndmask_b32_e32 v6, v12, v6, vcc
	v_cndmask_b32_e32 v12, v13, v14, vcc
	v_lshlrev_b32_e32 v13, 16, v3
	v_mov_b32_e32 v14, 0x3b800000
	v_lshlrev_b32_e32 v6, 20, v6
	v_and_b32_e32 v13, 0x80000000, v13
	v_lshl_add_u32 v12, v12, 23, v14
	v_or3_b32 v12, v13, v12, v6
.LBB1_11696:
	s_or_b64 exec, exec, s[6:7]
	s_nop 0
	v_mfma_f32_16x16x4f32 a[0:3], v2, v12, a[0:3]
	s_movk_i32 s4, 0xff
	v_and_b32_sdwa v6, v7, s4 dst_sel:DWORD dst_unused:UNUSED_PAD src0_sel:WORD_1 src1_sel:DWORD
	s_movk_i32 s4, 0x7f
	v_cmp_lt_i16_e32 vcc, s4, v6
	s_mov_b64 s[4:5], 0
                                        ; implicit-def: $sgpr10
	s_and_saveexec_b64 s[6:7], vcc
	s_xor_b64 s[6:7], exec, s[6:7]
	s_cbranch_execz .LBB1_11697
; %bb.47537:
	s_getpc_b64 s[14:15]
.Lpost_getpc9432:
	s_add_u32 s14, s14, (.LBB1_26033-.Lpost_getpc9432)&4294967295
	s_addc_u32 s15, s15, (.LBB1_26033-.Lpost_getpc9432)>>32
	s_setpc_b64 s[14:15]
.LBB1_11697:
	s_or_saveexec_b64 s[6:7], s[6:7]
	v_mov_b32_e32 v2, s10
	s_xor_b64 exec, exec, s[6:7]
	s_cbranch_execz .LBB1_11698
; %bb.47539:
	s_getpc_b64 s[14:15]
.Lpost_getpc9433:
	s_add_u32 s14, s14, (.LBB1_26036-.Lpost_getpc9433)&4294967295
	s_addc_u32 s15, s15, (.LBB1_26036-.Lpost_getpc9433)>>32
	s_setpc_b64 s[14:15]
.LBB1_11698:
	s_or_b64 exec, exec, s[6:7]
	s_and_saveexec_b64 s[6:7], s[4:5]
	s_cbranch_execz .LBB1_11700
.LBB1_11699:
	v_bfe_u32 v2, v7, 16, 3
	v_ffbh_u32_e32 v13, v2
	v_min_u32_e32 v13, 32, v13
	v_lshrrev_b32_e32 v6, 19, v7
	v_subrev_u32_e32 v14, 28, v13
	v_and_b32_e32 v6, 15, v6
	v_lshlrev_b32_sdwa v14, v14, v7 dst_sel:DWORD dst_unused:UNUSED_PAD src0_sel:DWORD src1_sel:WORD_1
	v_bfe_u32 v12, v7, 19, 4
	v_sub_u32_e32 v13, 29, v13
	v_and_b32_e32 v14, 7, v14
	v_cmp_eq_u16_e32 vcc, 0, v6
	v_cndmask_b32_e32 v2, v2, v14, vcc
	v_cndmask_b32_e32 v6, v12, v13, vcc
	v_lshlrev_b32_e32 v12, 8, v7
	v_mov_b32_e32 v13, 0x3b800000
	v_lshlrev_b32_e32 v2, 20, v2
	v_and_b32_e32 v12, 0x80000000, v12
	v_lshl_add_u32 v6, v6, 23, v13
	v_or3_b32 v2, v12, v6, v2
.LBB1_11700:
	s_or_b64 exec, exec, s[6:7]
	s_movk_i32 s4, 0xff
	v_and_b32_sdwa v6, v3, s4 dst_sel:DWORD dst_unused:UNUSED_PAD src0_sel:WORD_1 src1_sel:DWORD
	s_movk_i32 s4, 0x7f
	v_cmp_lt_i16_e32 vcc, s4, v6
	s_mov_b64 s[4:5], 0
                                        ; implicit-def: $sgpr10
	s_and_saveexec_b64 s[6:7], vcc
	s_xor_b64 s[6:7], exec, s[6:7]
	s_cbranch_execz .LBB1_11701
; %bb.47541:
	s_getpc_b64 s[14:15]
.Lpost_getpc9434:
	s_add_u32 s14, s14, (.LBB1_26037-.Lpost_getpc9434)&4294967295
	s_addc_u32 s15, s15, (.LBB1_26037-.Lpost_getpc9434)>>32
	s_setpc_b64 s[14:15]
.LBB1_11701:
	s_or_saveexec_b64 s[6:7], s[6:7]
	v_mov_b32_e32 v12, s10
	s_xor_b64 exec, exec, s[6:7]
	s_cbranch_execz .LBB1_11702
; %bb.47543:
	s_getpc_b64 s[14:15]
.Lpost_getpc9435:
	s_add_u32 s14, s14, (.LBB1_26040-.Lpost_getpc9435)&4294967295
	s_addc_u32 s15, s15, (.LBB1_26040-.Lpost_getpc9435)>>32
	s_setpc_b64 s[14:15]
.LBB1_11702:
	s_or_b64 exec, exec, s[6:7]
	s_and_saveexec_b64 s[6:7], s[4:5]
	s_cbranch_execz .LBB1_11704
.LBB1_11703:
	v_bfe_u32 v6, v3, 16, 3
	v_ffbh_u32_e32 v14, v6
	v_min_u32_e32 v14, 32, v14
	v_lshrrev_b32_e32 v12, 19, v3
	v_subrev_u32_e32 v15, 28, v14
	v_and_b32_e32 v12, 15, v12
	v_lshlrev_b32_sdwa v15, v15, v3 dst_sel:DWORD dst_unused:UNUSED_PAD src0_sel:DWORD src1_sel:WORD_1
	v_bfe_u32 v13, v3, 19, 4
	v_sub_u32_e32 v14, 29, v14
	v_and_b32_e32 v15, 7, v15
	v_cmp_eq_u16_e32 vcc, 0, v12
	v_cndmask_b32_e32 v6, v6, v15, vcc
	v_cndmask_b32_e32 v12, v13, v14, vcc
	v_lshlrev_b32_e32 v13, 8, v3
	v_mov_b32_e32 v14, 0x3b800000
	v_lshlrev_b32_e32 v6, 20, v6
	v_and_b32_e32 v13, 0x80000000, v13
	v_lshl_add_u32 v12, v12, 23, v14
	v_or3_b32 v12, v13, v12, v6
.LBB1_11704:
	s_or_b64 exec, exec, s[6:7]
	s_nop 0
	v_mfma_f32_16x16x4f32 a[0:3], v2, v12, a[0:3]
	s_movk_i32 s4, 0x7f
	v_cmp_gt_i16_sdwa s[6:7], v7, s4 src0_sel:BYTE_3 src1_sel:DWORD
	s_mov_b64 s[4:5], 0
                                        ; implicit-def: $sgpr10
	s_and_saveexec_b64 s[8:9], s[6:7]
	s_xor_b64 s[6:7], exec, s[8:9]
	s_cbranch_execz .LBB1_11705
; %bb.47545:
	s_getpc_b64 s[14:15]
.Lpost_getpc9436:
	s_add_u32 s14, s14, (.LBB1_26041-.Lpost_getpc9436)&4294967295
	s_addc_u32 s15, s15, (.LBB1_26041-.Lpost_getpc9436)>>32
	s_setpc_b64 s[14:15]
.LBB1_11705:
	s_or_saveexec_b64 s[6:7], s[6:7]
	v_mov_b32_e32 v2, s10
	s_xor_b64 exec, exec, s[6:7]
	s_cbranch_execz .LBB1_11706
; %bb.47547:
	s_getpc_b64 s[14:15]
.Lpost_getpc9437:
	s_add_u32 s14, s14, (.LBB1_26044-.Lpost_getpc9437)&4294967295
	s_addc_u32 s15, s15, (.LBB1_26044-.Lpost_getpc9437)>>32
	s_setpc_b64 s[14:15]
.LBB1_11706:
	s_or_b64 exec, exec, s[6:7]
	s_and_saveexec_b64 s[6:7], s[4:5]
	s_cbranch_execz .LBB1_11708
.LBB1_11707:
	v_bfe_u32 v2, v7, 24, 3
	v_ffbh_u32_e32 v14, v2
	v_min_u32_e32 v14, 32, v14
	v_lshrrev_b32_e32 v12, 27, v7
	v_subrev_u32_e32 v15, 28, v14
	v_and_b32_e32 v6, 0x80000000, v7
	v_and_b32_e32 v12, 15, v12
	v_bfe_u32 v13, v7, 27, 4
	v_lshlrev_b32_sdwa v7, v15, v7 dst_sel:DWORD dst_unused:UNUSED_PAD src0_sel:DWORD src1_sel:BYTE_3
	v_sub_u32_e32 v14, 29, v14
	v_and_b32_e32 v7, 7, v7
	v_cmp_eq_u16_e32 vcc, 0, v12
	v_cndmask_b32_e32 v2, v2, v7, vcc
	v_cndmask_b32_e32 v7, v13, v14, vcc
	v_mov_b32_e32 v12, 0x3b800000
	v_lshlrev_b32_e32 v2, 20, v2
	v_lshl_add_u32 v7, v7, 23, v12
	v_or3_b32 v2, v6, v7, v2
.LBB1_11708:
	s_or_b64 exec, exec, s[6:7]
	s_movk_i32 s4, 0x7f
	v_cmp_gt_i16_sdwa s[6:7], v3, s4 src0_sel:BYTE_3 src1_sel:DWORD
	s_mov_b64 s[4:5], 0
                                        ; implicit-def: $sgpr10
	s_and_saveexec_b64 s[8:9], s[6:7]
	s_xor_b64 s[6:7], exec, s[8:9]
	s_cbranch_execz .LBB1_11709
; %bb.47549:
	s_getpc_b64 s[14:15]
.Lpost_getpc9438:
	s_add_u32 s14, s14, (.LBB1_26045-.Lpost_getpc9438)&4294967295
	s_addc_u32 s15, s15, (.LBB1_26045-.Lpost_getpc9438)>>32
	s_setpc_b64 s[14:15]
.LBB1_11709:
	s_or_saveexec_b64 s[6:7], s[6:7]
	v_mov_b32_e32 v6, s10
	s_xor_b64 exec, exec, s[6:7]
	s_cbranch_execz .LBB1_11710
; %bb.47551:
	s_getpc_b64 s[14:15]
.Lpost_getpc9439:
	s_add_u32 s14, s14, (.LBB1_26048-.Lpost_getpc9439)&4294967295
	s_addc_u32 s15, s15, (.LBB1_26048-.Lpost_getpc9439)>>32
	s_setpc_b64 s[14:15]
.LBB1_11710:
	s_or_b64 exec, exec, s[6:7]
	s_and_saveexec_b64 s[6:7], s[4:5]
	s_cbranch_execz .LBB1_11712
.LBB1_11711:
	v_bfe_u32 v6, v3, 24, 3
	v_ffbh_u32_e32 v14, v6
	v_min_u32_e32 v14, 32, v14
	v_lshrrev_b32_e32 v12, 27, v3
	v_subrev_u32_e32 v15, 28, v14
	v_and_b32_e32 v7, 0x80000000, v3
	v_and_b32_e32 v12, 15, v12
	v_bfe_u32 v13, v3, 27, 4
	v_lshlrev_b32_sdwa v3, v15, v3 dst_sel:DWORD dst_unused:UNUSED_PAD src0_sel:DWORD src1_sel:BYTE_3
	v_sub_u32_e32 v14, 29, v14
	v_and_b32_e32 v3, 7, v3
	v_cmp_eq_u16_e32 vcc, 0, v12
	v_cndmask_b32_e32 v3, v6, v3, vcc
	v_cndmask_b32_e32 v6, v13, v14, vcc
	v_mov_b32_e32 v12, 0x3b800000
	v_lshlrev_b32_e32 v3, 20, v3
	v_lshl_add_u32 v6, v6, 23, v12
	v_or3_b32 v6, v7, v6, v3
.LBB1_11712:
	s_or_b64 exec, exec, s[6:7]
	s_nop 0
	v_mfma_f32_16x16x4f32 a[0:3], v2, v6, a[0:3]
	s_movk_i32 s4, 0x7f
	v_cmp_gt_i16_sdwa s[6:7], v8, s4 src0_sel:BYTE_0 src1_sel:DWORD
	s_mov_b64 s[4:5], 0
                                        ; implicit-def: $sgpr10
	s_and_saveexec_b64 s[8:9], s[6:7]
	s_xor_b64 s[6:7], exec, s[8:9]
	s_cbranch_execz .LBB1_11713
; %bb.47553:
	s_getpc_b64 s[14:15]
.Lpost_getpc9440:
	s_add_u32 s14, s14, (.LBB1_26049-.Lpost_getpc9440)&4294967295
	s_addc_u32 s15, s15, (.LBB1_26049-.Lpost_getpc9440)>>32
	s_setpc_b64 s[14:15]
.LBB1_11713:
	s_or_saveexec_b64 s[6:7], s[6:7]
	v_mov_b32_e32 v2, s10
	s_xor_b64 exec, exec, s[6:7]
	s_cbranch_execz .LBB1_11714
; %bb.47555:
	s_getpc_b64 s[14:15]
.Lpost_getpc9441:
	s_add_u32 s14, s14, (.LBB1_26052-.Lpost_getpc9441)&4294967295
	s_addc_u32 s15, s15, (.LBB1_26052-.Lpost_getpc9441)>>32
	s_setpc_b64 s[14:15]
.LBB1_11714:
	s_or_b64 exec, exec, s[6:7]
	s_and_saveexec_b64 s[6:7], s[4:5]
	s_cbranch_execz .LBB1_11716
.LBB1_11715:
	v_and_b32_e32 v2, 7, v8
	v_ffbh_u32_e32 v6, v2
	v_min_u32_e32 v6, 32, v6
	v_lshrrev_b16_e32 v3, 3, v8
	v_subrev_u32_e32 v7, 28, v6
	v_and_b32_e32 v3, 15, v3
	v_lshlrev_b32_e32 v7, v7, v8
	v_sub_u32_e32 v6, 29, v6
	v_and_b32_e32 v7, 7, v7
	v_cmp_eq_u16_e32 vcc, 0, v3
	v_cndmask_b32_e32 v2, v2, v7, vcc
	v_cndmask_b32_e32 v3, v3, v6, vcc
	v_lshlrev_b32_e32 v6, 24, v8
	v_mov_b32_e32 v7, 0x3b800000
	v_lshlrev_b32_e32 v2, 20, v2
	v_and_b32_e32 v6, 0x80000000, v6
	v_lshl_add_u32 v3, v3, 23, v7
	v_or3_b32 v2, v6, v3, v2
.LBB1_11716:
	s_or_b64 exec, exec, s[6:7]
	s_movk_i32 s4, 0x7f
	v_cmp_gt_i16_sdwa s[6:7], v4, s4 src0_sel:BYTE_0 src1_sel:DWORD
	s_mov_b64 s[4:5], 0
                                        ; implicit-def: $sgpr10
	s_and_saveexec_b64 s[8:9], s[6:7]
	s_xor_b64 s[6:7], exec, s[8:9]
	s_cbranch_execz .LBB1_11717
; %bb.47557:
	s_getpc_b64 s[14:15]
.Lpost_getpc9442:
	s_add_u32 s14, s14, (.LBB1_26053-.Lpost_getpc9442)&4294967295
	s_addc_u32 s15, s15, (.LBB1_26053-.Lpost_getpc9442)>>32
	s_setpc_b64 s[14:15]
.LBB1_11717:
	s_or_saveexec_b64 s[6:7], s[6:7]
	v_mov_b32_e32 v3, s10
	s_xor_b64 exec, exec, s[6:7]
	s_cbranch_execz .LBB1_11718
; %bb.47559:
	s_getpc_b64 s[14:15]
.Lpost_getpc9443:
	s_add_u32 s14, s14, (.LBB1_26056-.Lpost_getpc9443)&4294967295
	s_addc_u32 s15, s15, (.LBB1_26056-.Lpost_getpc9443)>>32
	s_setpc_b64 s[14:15]
.LBB1_11718:
	s_or_b64 exec, exec, s[6:7]
	s_and_saveexec_b64 s[6:7], s[4:5]
	s_cbranch_execz .LBB1_11720
.LBB1_11719:
	v_and_b32_e32 v3, 7, v4
	v_ffbh_u32_e32 v7, v3
	v_min_u32_e32 v7, 32, v7
	v_lshrrev_b16_e32 v6, 3, v4
	v_subrev_u32_e32 v12, 28, v7
	v_and_b32_e32 v6, 15, v6
	v_lshlrev_b32_e32 v12, v12, v4
	v_sub_u32_e32 v7, 29, v7
	v_and_b32_e32 v12, 7, v12
	v_cmp_eq_u16_e32 vcc, 0, v6
	v_cndmask_b32_e32 v3, v3, v12, vcc
	v_cndmask_b32_e32 v6, v6, v7, vcc
	v_lshlrev_b32_e32 v7, 24, v4
	v_mov_b32_e32 v12, 0x3b800000
	v_lshlrev_b32_e32 v3, 20, v3
	v_and_b32_e32 v7, 0x80000000, v7
	v_lshl_add_u32 v6, v6, 23, v12
	v_or3_b32 v3, v7, v6, v3
.LBB1_11720:
	s_or_b64 exec, exec, s[6:7]
	s_nop 0
	v_mfma_f32_16x16x4f32 a[0:3], v2, v3, a[0:3]
	v_lshrrev_b32_e32 v3, 8, v8
	s_movk_i32 s4, 0x7f
	v_cmp_gt_i16_sdwa s[6:7], v3, s4 src0_sel:BYTE_0 src1_sel:DWORD
	s_mov_b64 s[4:5], 0
                                        ; implicit-def: $sgpr10
	s_and_saveexec_b64 s[8:9], s[6:7]
	s_xor_b64 s[6:7], exec, s[8:9]
	s_cbranch_execz .LBB1_11721
; %bb.47561:
	s_getpc_b64 s[14:15]
.Lpost_getpc9444:
	s_add_u32 s14, s14, (.LBB1_26057-.Lpost_getpc9444)&4294967295
	s_addc_u32 s15, s15, (.LBB1_26057-.Lpost_getpc9444)>>32
	s_setpc_b64 s[14:15]
.LBB1_11721:
	s_or_saveexec_b64 s[6:7], s[6:7]
	v_mov_b32_e32 v2, s10
	s_xor_b64 exec, exec, s[6:7]
	s_cbranch_execz .LBB1_11722
; %bb.47563:
	s_getpc_b64 s[14:15]
.Lpost_getpc9445:
	s_add_u32 s14, s14, (.LBB1_26060-.Lpost_getpc9445)&4294967295
	s_addc_u32 s15, s15, (.LBB1_26060-.Lpost_getpc9445)>>32
	s_setpc_b64 s[14:15]
.LBB1_11722:
	s_or_b64 exec, exec, s[6:7]
	s_and_saveexec_b64 s[6:7], s[4:5]
	s_cbranch_execz .LBB1_11724
.LBB1_11723:
	v_bfe_u32 v2, v8, 8, 3
	v_ffbh_u32_e32 v7, v2
	v_min_u32_e32 v7, 32, v7
	v_lshrrev_b16_e32 v6, 3, v3
	v_subrev_u32_e32 v12, 28, v7
	v_and_b32_e32 v6, 15, v6
	v_lshlrev_b32_e32 v3, v12, v3
	v_sub_u32_e32 v7, 29, v7
	v_and_b32_e32 v3, 7, v3
	v_cmp_eq_u16_e32 vcc, 0, v6
	v_cndmask_b32_e32 v2, v2, v3, vcc
	v_cndmask_b32_e32 v3, v6, v7, vcc
	v_lshlrev_b32_e32 v6, 16, v8
	v_mov_b32_e32 v7, 0x3b800000
	v_lshlrev_b32_e32 v2, 20, v2
	v_and_b32_e32 v6, 0x80000000, v6
	v_lshl_add_u32 v3, v3, 23, v7
	v_or3_b32 v2, v6, v3, v2
.LBB1_11724:
	s_or_b64 exec, exec, s[6:7]
	v_lshrrev_b32_e32 v3, 8, v4
	s_movk_i32 s4, 0x7f
	v_cmp_gt_i16_sdwa s[6:7], v3, s4 src0_sel:BYTE_0 src1_sel:DWORD
	s_mov_b64 s[4:5], 0
                                        ; implicit-def: $sgpr10
	s_and_saveexec_b64 s[8:9], s[6:7]
	s_xor_b64 s[6:7], exec, s[8:9]
	s_cbranch_execz .LBB1_11725
; %bb.47565:
	s_getpc_b64 s[14:15]
.Lpost_getpc9446:
	s_add_u32 s14, s14, (.LBB1_26061-.Lpost_getpc9446)&4294967295
	s_addc_u32 s15, s15, (.LBB1_26061-.Lpost_getpc9446)>>32
	s_setpc_b64 s[14:15]
.LBB1_11725:
	s_or_saveexec_b64 s[6:7], s[6:7]
	v_mov_b32_e32 v6, s10
	s_xor_b64 exec, exec, s[6:7]
	s_cbranch_execz .LBB1_11726
; %bb.47567:
	s_getpc_b64 s[14:15]
.Lpost_getpc9447:
	s_add_u32 s14, s14, (.LBB1_26064-.Lpost_getpc9447)&4294967295
	s_addc_u32 s15, s15, (.LBB1_26064-.Lpost_getpc9447)>>32
	s_setpc_b64 s[14:15]
.LBB1_11726:
	s_or_b64 exec, exec, s[6:7]
	s_and_saveexec_b64 s[6:7], s[4:5]
	s_cbranch_execz .LBB1_11728
.LBB1_11727:
	v_bfe_u32 v6, v4, 8, 3
	v_ffbh_u32_e32 v12, v6
	v_min_u32_e32 v12, 32, v12
	v_lshrrev_b16_e32 v7, 3, v3
	v_subrev_u32_e32 v13, 28, v12
	v_and_b32_e32 v7, 15, v7
	v_lshlrev_b32_e32 v3, v13, v3
	v_sub_u32_e32 v12, 29, v12
	v_and_b32_e32 v3, 7, v3
	v_cmp_eq_u16_e32 vcc, 0, v7
	v_cndmask_b32_e32 v3, v6, v3, vcc
	v_cndmask_b32_e32 v6, v7, v12, vcc
	v_lshlrev_b32_e32 v7, 16, v4
	v_mov_b32_e32 v12, 0x3b800000
	v_lshlrev_b32_e32 v3, 20, v3
	v_and_b32_e32 v7, 0x80000000, v7
	v_lshl_add_u32 v6, v6, 23, v12
	v_or3_b32 v6, v7, v6, v3
.LBB1_11728:
	s_or_b64 exec, exec, s[6:7]
	s_nop 0
	v_mfma_f32_16x16x4f32 a[0:3], v2, v6, a[0:3]
	s_movk_i32 s4, 0xff
	v_and_b32_sdwa v3, v8, s4 dst_sel:DWORD dst_unused:UNUSED_PAD src0_sel:WORD_1 src1_sel:DWORD
	s_movk_i32 s4, 0x7f
	v_cmp_lt_i16_e32 vcc, s4, v3
	s_mov_b64 s[4:5], 0
                                        ; implicit-def: $sgpr10
	s_and_saveexec_b64 s[6:7], vcc
	s_xor_b64 s[6:7], exec, s[6:7]
	s_cbranch_execz .LBB1_11729
; %bb.47569:
	s_getpc_b64 s[14:15]
.Lpost_getpc9448:
	s_add_u32 s14, s14, (.LBB1_26065-.Lpost_getpc9448)&4294967295
	s_addc_u32 s15, s15, (.LBB1_26065-.Lpost_getpc9448)>>32
	s_setpc_b64 s[14:15]
.LBB1_11729:
	s_or_saveexec_b64 s[6:7], s[6:7]
	v_mov_b32_e32 v2, s10
	s_xor_b64 exec, exec, s[6:7]
	s_cbranch_execz .LBB1_11730
; %bb.47571:
	s_getpc_b64 s[14:15]
.Lpost_getpc9449:
	s_add_u32 s14, s14, (.LBB1_26068-.Lpost_getpc9449)&4294967295
	s_addc_u32 s15, s15, (.LBB1_26068-.Lpost_getpc9449)>>32
	s_setpc_b64 s[14:15]
.LBB1_11730:
	s_or_b64 exec, exec, s[6:7]
	s_and_saveexec_b64 s[6:7], s[4:5]
	s_cbranch_execz .LBB1_11732
.LBB1_11731:
	v_bfe_u32 v2, v8, 16, 3
	v_ffbh_u32_e32 v7, v2
	v_min_u32_e32 v7, 32, v7
	v_lshrrev_b32_e32 v3, 19, v8
	v_subrev_u32_e32 v12, 28, v7
	v_and_b32_e32 v3, 15, v3
	v_lshlrev_b32_sdwa v12, v12, v8 dst_sel:DWORD dst_unused:UNUSED_PAD src0_sel:DWORD src1_sel:WORD_1
	v_bfe_u32 v6, v8, 19, 4
	v_sub_u32_e32 v7, 29, v7
	v_and_b32_e32 v12, 7, v12
	v_cmp_eq_u16_e32 vcc, 0, v3
	v_cndmask_b32_e32 v2, v2, v12, vcc
	v_cndmask_b32_e32 v3, v6, v7, vcc
	v_lshlrev_b32_e32 v6, 8, v8
	v_mov_b32_e32 v7, 0x3b800000
	v_lshlrev_b32_e32 v2, 20, v2
	v_and_b32_e32 v6, 0x80000000, v6
	v_lshl_add_u32 v3, v3, 23, v7
	v_or3_b32 v2, v6, v3, v2
.LBB1_11732:
	s_or_b64 exec, exec, s[6:7]
	s_movk_i32 s4, 0xff
	v_and_b32_sdwa v3, v4, s4 dst_sel:DWORD dst_unused:UNUSED_PAD src0_sel:WORD_1 src1_sel:DWORD
	s_movk_i32 s4, 0x7f
	v_cmp_lt_i16_e32 vcc, s4, v3
	s_mov_b64 s[4:5], 0
                                        ; implicit-def: $sgpr10
	s_and_saveexec_b64 s[6:7], vcc
	s_xor_b64 s[6:7], exec, s[6:7]
	s_cbranch_execz .LBB1_11733
; %bb.47573:
	s_getpc_b64 s[14:15]
.Lpost_getpc9450:
	s_add_u32 s14, s14, (.LBB1_26069-.Lpost_getpc9450)&4294967295
	s_addc_u32 s15, s15, (.LBB1_26069-.Lpost_getpc9450)>>32
	s_setpc_b64 s[14:15]
.LBB1_11733:
	s_or_saveexec_b64 s[6:7], s[6:7]
	v_mov_b32_e32 v6, s10
	s_xor_b64 exec, exec, s[6:7]
	s_cbranch_execz .LBB1_11734
; %bb.47575:
	s_getpc_b64 s[14:15]
.Lpost_getpc9451:
	s_add_u32 s14, s14, (.LBB1_26072-.Lpost_getpc9451)&4294967295
	s_addc_u32 s15, s15, (.LBB1_26072-.Lpost_getpc9451)>>32
	s_setpc_b64 s[14:15]
.LBB1_11734:
	s_or_b64 exec, exec, s[6:7]
	s_and_saveexec_b64 s[6:7], s[4:5]
	s_cbranch_execz .LBB1_11736
.LBB1_11735:
	v_bfe_u32 v3, v4, 16, 3
	v_ffbh_u32_e32 v12, v3
	v_min_u32_e32 v12, 32, v12
	v_lshrrev_b32_e32 v6, 19, v4
	v_subrev_u32_e32 v13, 28, v12
	v_and_b32_e32 v6, 15, v6
	v_lshlrev_b32_sdwa v13, v13, v4 dst_sel:DWORD dst_unused:UNUSED_PAD src0_sel:DWORD src1_sel:WORD_1
	v_bfe_u32 v7, v4, 19, 4
	v_sub_u32_e32 v12, 29, v12
	v_and_b32_e32 v13, 7, v13
	v_cmp_eq_u16_e32 vcc, 0, v6
	v_cndmask_b32_e32 v3, v3, v13, vcc
	v_cndmask_b32_e32 v6, v7, v12, vcc
	v_lshlrev_b32_e32 v7, 8, v4
	v_mov_b32_e32 v12, 0x3b800000
	v_lshlrev_b32_e32 v3, 20, v3
	v_and_b32_e32 v7, 0x80000000, v7
	v_lshl_add_u32 v6, v6, 23, v12
	v_or3_b32 v6, v7, v6, v3
.LBB1_11736:
	s_or_b64 exec, exec, s[6:7]
	s_nop 0
	v_mfma_f32_16x16x4f32 a[0:3], v2, v6, a[0:3]
	s_movk_i32 s4, 0x7f
	v_cmp_gt_i16_sdwa s[6:7], v8, s4 src0_sel:BYTE_3 src1_sel:DWORD
	s_mov_b64 s[4:5], 0
                                        ; implicit-def: $sgpr10
	s_and_saveexec_b64 s[8:9], s[6:7]
	s_xor_b64 s[6:7], exec, s[8:9]
	s_cbranch_execz .LBB1_11737
; %bb.47577:
	s_getpc_b64 s[14:15]
.Lpost_getpc9452:
	s_add_u32 s14, s14, (.LBB1_26073-.Lpost_getpc9452)&4294967295
	s_addc_u32 s15, s15, (.LBB1_26073-.Lpost_getpc9452)>>32
	s_setpc_b64 s[14:15]
.LBB1_11737:
	s_or_saveexec_b64 s[6:7], s[6:7]
	v_mov_b32_e32 v2, s10
	s_xor_b64 exec, exec, s[6:7]
	s_cbranch_execz .LBB1_11738
; %bb.47579:
	s_getpc_b64 s[14:15]
.Lpost_getpc9453:
	s_add_u32 s14, s14, (.LBB1_26076-.Lpost_getpc9453)&4294967295
	s_addc_u32 s15, s15, (.LBB1_26076-.Lpost_getpc9453)>>32
	s_setpc_b64 s[14:15]
.LBB1_11738:
	s_or_b64 exec, exec, s[6:7]
	s_and_saveexec_b64 s[6:7], s[4:5]
	s_cbranch_execz .LBB1_11740
.LBB1_11739:
	v_bfe_u32 v2, v8, 24, 3
	v_ffbh_u32_e32 v12, v2
	v_min_u32_e32 v12, 32, v12
	v_lshrrev_b32_e32 v6, 27, v8
	v_subrev_u32_e32 v13, 28, v12
	v_and_b32_e32 v3, 0x80000000, v8
	v_and_b32_e32 v6, 15, v6
	v_bfe_u32 v7, v8, 27, 4
	v_lshlrev_b32_sdwa v8, v13, v8 dst_sel:DWORD dst_unused:UNUSED_PAD src0_sel:DWORD src1_sel:BYTE_3
	v_sub_u32_e32 v12, 29, v12
	v_and_b32_e32 v8, 7, v8
	v_cmp_eq_u16_e32 vcc, 0, v6
	v_cndmask_b32_e32 v2, v2, v8, vcc
	v_cndmask_b32_e32 v6, v7, v12, vcc
	v_mov_b32_e32 v7, 0x3b800000
	v_lshlrev_b32_e32 v2, 20, v2
	v_lshl_add_u32 v6, v6, 23, v7
	v_or3_b32 v2, v3, v6, v2
.LBB1_11740:
	s_or_b64 exec, exec, s[6:7]
	s_movk_i32 s4, 0x7f
	v_cmp_gt_i16_sdwa s[6:7], v4, s4 src0_sel:BYTE_3 src1_sel:DWORD
	s_mov_b64 s[4:5], 0
                                        ; implicit-def: $sgpr10
	s_and_saveexec_b64 s[8:9], s[6:7]
	s_xor_b64 s[6:7], exec, s[8:9]
	s_cbranch_execz .LBB1_11741
; %bb.47581:
	s_getpc_b64 s[14:15]
.Lpost_getpc9454:
	s_add_u32 s14, s14, (.LBB1_26077-.Lpost_getpc9454)&4294967295
	s_addc_u32 s15, s15, (.LBB1_26077-.Lpost_getpc9454)>>32
	s_setpc_b64 s[14:15]
.LBB1_11741:
	s_or_saveexec_b64 s[6:7], s[6:7]
	v_mov_b32_e32 v3, s10
	s_xor_b64 exec, exec, s[6:7]
	s_cbranch_execz .LBB1_11742
; %bb.47583:
	s_getpc_b64 s[14:15]
.Lpost_getpc9455:
	s_add_u32 s14, s14, (.LBB1_26080-.Lpost_getpc9455)&4294967295
	s_addc_u32 s15, s15, (.LBB1_26080-.Lpost_getpc9455)>>32
	s_setpc_b64 s[14:15]
.LBB1_11742:
	s_or_b64 exec, exec, s[6:7]
	s_and_saveexec_b64 s[6:7], s[4:5]
	s_cbranch_execz .LBB1_11744
.LBB1_11743:
	v_bfe_u32 v3, v4, 24, 3
	v_ffbh_u32_e32 v12, v3
	v_min_u32_e32 v12, 32, v12
	v_lshrrev_b32_e32 v7, 27, v4
	v_subrev_u32_e32 v13, 28, v12
	v_and_b32_e32 v6, 0x80000000, v4
	v_and_b32_e32 v7, 15, v7
	v_bfe_u32 v8, v4, 27, 4
	v_lshlrev_b32_sdwa v4, v13, v4 dst_sel:DWORD dst_unused:UNUSED_PAD src0_sel:DWORD src1_sel:BYTE_3
	v_sub_u32_e32 v12, 29, v12
	v_and_b32_e32 v4, 7, v4
	v_cmp_eq_u16_e32 vcc, 0, v7
	v_cndmask_b32_e32 v3, v3, v4, vcc
	v_cndmask_b32_e32 v4, v8, v12, vcc
	v_mov_b32_e32 v7, 0x3b800000
	v_lshlrev_b32_e32 v3, 20, v3
	v_lshl_add_u32 v4, v4, 23, v7
	v_or3_b32 v3, v6, v4, v3
.LBB1_11744:
	s_or_b64 exec, exec, s[6:7]
	s_nop 0
	v_mfma_f32_16x16x4f32 a[0:3], v2, v3, a[0:3]
	s_movk_i32 s4, 0x7f
	v_cmp_gt_i16_sdwa s[6:7], v9, s4 src0_sel:BYTE_0 src1_sel:DWORD
	s_mov_b64 s[4:5], 0
                                        ; implicit-def: $sgpr10
	s_and_saveexec_b64 s[8:9], s[6:7]
	s_xor_b64 s[6:7], exec, s[8:9]
	s_cbranch_execz .LBB1_11745
; %bb.47585:
	s_getpc_b64 s[14:15]
.Lpost_getpc9456:
	s_add_u32 s14, s14, (.LBB1_26081-.Lpost_getpc9456)&4294967295
	s_addc_u32 s15, s15, (.LBB1_26081-.Lpost_getpc9456)>>32
	s_setpc_b64 s[14:15]
.LBB1_11745:
	s_or_saveexec_b64 s[6:7], s[6:7]
	v_mov_b32_e32 v2, s10
	s_xor_b64 exec, exec, s[6:7]
	s_cbranch_execz .LBB1_11746
; %bb.47587:
	s_getpc_b64 s[14:15]
.Lpost_getpc9457:
	s_add_u32 s14, s14, (.LBB1_26084-.Lpost_getpc9457)&4294967295
	s_addc_u32 s15, s15, (.LBB1_26084-.Lpost_getpc9457)>>32
	s_setpc_b64 s[14:15]
.LBB1_11746:
	s_or_b64 exec, exec, s[6:7]
	s_and_saveexec_b64 s[6:7], s[4:5]
	s_cbranch_execz .LBB1_11748
.LBB1_11747:
	v_mov_b32_e32 v2, 8
	v_and_b32_e32 v3, 7, v9
	v_lshrrev_b32_sdwa v2, v2, v9 dst_sel:BYTE_1 dst_unused:UNUSED_PAD src0_sel:DWORD src1_sel:DWORD
	v_ffbh_u32_e32 v4, v3
	v_or_b32_sdwa v2, v9, v2 dst_sel:DWORD dst_unused:UNUSED_PAD src0_sel:BYTE_0 src1_sel:DWORD
	v_min_u32_e32 v4, 32, v4
	v_lshrrev_b16_e32 v2, 3, v2
	v_subrev_u32_e32 v6, 28, v4
	v_and_b32_e32 v2, 15, v2
	v_lshlrev_b32_e32 v6, v6, v9
	v_sub_u32_e32 v4, 29, v4
	v_and_b32_e32 v6, 7, v6
	v_cmp_eq_u16_e32 vcc, 0, v2
	v_cndmask_b32_e32 v3, v3, v6, vcc
	v_cndmask_b32_e32 v2, v2, v4, vcc
	v_lshlrev_b32_e32 v4, 24, v9
	v_mov_b32_e32 v6, 0x3b800000
	v_lshlrev_b32_e32 v3, 20, v3
	v_and_b32_e32 v4, 0x80000000, v4
	v_lshl_add_u32 v2, v2, 23, v6
	v_or3_b32 v2, v4, v2, v3
.LBB1_11748:
	s_or_b64 exec, exec, s[6:7]
	s_movk_i32 s4, 0x7f
	v_cmp_gt_i16_sdwa s[6:7], v5, s4 src0_sel:BYTE_0 src1_sel:DWORD
	s_mov_b64 s[4:5], 0
                                        ; implicit-def: $sgpr10
	s_and_saveexec_b64 s[8:9], s[6:7]
	s_xor_b64 s[6:7], exec, s[8:9]
	s_cbranch_execz .LBB1_11749
; %bb.47589:
	s_getpc_b64 s[14:15]
.Lpost_getpc9458:
	s_add_u32 s14, s14, (.LBB1_26085-.Lpost_getpc9458)&4294967295
	s_addc_u32 s15, s15, (.LBB1_26085-.Lpost_getpc9458)>>32
	s_setpc_b64 s[14:15]
.LBB1_11749:
	s_or_saveexec_b64 s[6:7], s[6:7]
	v_mov_b32_e32 v3, s10
	s_xor_b64 exec, exec, s[6:7]
	s_cbranch_execz .LBB1_11750
; %bb.47591:
	s_getpc_b64 s[14:15]
.Lpost_getpc9459:
	s_add_u32 s14, s14, (.LBB1_26088-.Lpost_getpc9459)&4294967295
	s_addc_u32 s15, s15, (.LBB1_26088-.Lpost_getpc9459)>>32
	s_setpc_b64 s[14:15]
.LBB1_11750:
	s_or_b64 exec, exec, s[6:7]
	s_and_saveexec_b64 s[6:7], s[4:5]
	s_cbranch_execz .LBB1_11752
.LBB1_11751:
	v_mov_b32_e32 v3, 8
	v_and_b32_e32 v4, 7, v5
	v_lshrrev_b32_sdwa v3, v3, v5 dst_sel:BYTE_1 dst_unused:UNUSED_PAD src0_sel:DWORD src1_sel:DWORD
	v_ffbh_u32_e32 v6, v4
	v_or_b32_sdwa v3, v5, v3 dst_sel:DWORD dst_unused:UNUSED_PAD src0_sel:BYTE_0 src1_sel:DWORD
	v_min_u32_e32 v6, 32, v6
	v_lshrrev_b16_e32 v3, 3, v3
	v_subrev_u32_e32 v7, 28, v6
	v_and_b32_e32 v3, 15, v3
	v_lshlrev_b32_e32 v7, v7, v5
	v_sub_u32_e32 v6, 29, v6
	v_and_b32_e32 v7, 7, v7
	v_cmp_eq_u16_e32 vcc, 0, v3
	v_cndmask_b32_e32 v4, v4, v7, vcc
	v_cndmask_b32_e32 v3, v3, v6, vcc
	v_lshlrev_b32_e32 v6, 24, v5
	v_mov_b32_e32 v7, 0x3b800000
	v_lshlrev_b32_e32 v4, 20, v4
	v_and_b32_e32 v6, 0x80000000, v6
	v_lshl_add_u32 v3, v3, 23, v7
	v_or3_b32 v3, v6, v3, v4
.LBB1_11752:
	s_or_b64 exec, exec, s[6:7]
	s_nop 0
	v_mfma_f32_16x16x4f32 a[0:3], v2, v3, a[0:3]
	v_lshrrev_b32_e32 v3, 8, v9
	s_movk_i32 s4, 0x7f
	v_cmp_gt_i16_sdwa s[6:7], v3, s4 src0_sel:BYTE_0 src1_sel:DWORD
	s_mov_b64 s[4:5], 0
                                        ; implicit-def: $sgpr10
	s_and_saveexec_b64 s[8:9], s[6:7]
	s_xor_b64 s[6:7], exec, s[8:9]
	s_cbranch_execz .LBB1_11753
; %bb.47593:
	s_getpc_b64 s[14:15]
.Lpost_getpc9460:
	s_add_u32 s14, s14, (.LBB1_26089-.Lpost_getpc9460)&4294967295
	s_addc_u32 s15, s15, (.LBB1_26089-.Lpost_getpc9460)>>32
	s_setpc_b64 s[14:15]
.LBB1_11753:
	s_or_saveexec_b64 s[6:7], s[6:7]
	v_mov_b32_e32 v2, s10
	s_xor_b64 exec, exec, s[6:7]
	s_cbranch_execz .LBB1_11754
; %bb.47595:
	s_getpc_b64 s[14:15]
.Lpost_getpc9461:
	s_add_u32 s14, s14, (.LBB1_26092-.Lpost_getpc9461)&4294967295
	s_addc_u32 s15, s15, (.LBB1_26092-.Lpost_getpc9461)>>32
	s_setpc_b64 s[14:15]
.LBB1_11754:
	s_or_b64 exec, exec, s[6:7]
	s_and_saveexec_b64 s[6:7], s[4:5]
	s_cbranch_execz .LBB1_11756
.LBB1_11755:
	v_bfe_u32 v2, v9, 8, 3
	v_ffbh_u32_e32 v6, v2
	v_min_u32_e32 v6, 32, v6
	v_lshrrev_b16_e32 v4, 3, v3
	v_subrev_u32_e32 v7, 28, v6
	v_and_b32_e32 v4, 15, v4
	v_lshlrev_b32_e32 v3, v7, v3
	v_sub_u32_e32 v6, 29, v6
	v_and_b32_e32 v3, 7, v3
	v_cmp_eq_u16_e32 vcc, 0, v4
	v_cndmask_b32_e32 v2, v2, v3, vcc
	v_cndmask_b32_e32 v3, v4, v6, vcc
	v_lshlrev_b32_e32 v4, 16, v9
	v_mov_b32_e32 v6, 0x3b800000
	v_lshlrev_b32_e32 v2, 20, v2
	v_and_b32_e32 v4, 0x80000000, v4
	v_lshl_add_u32 v3, v3, 23, v6
	v_or3_b32 v2, v4, v3, v2
.LBB1_11756:
	s_or_b64 exec, exec, s[6:7]
	v_lshrrev_b32_e32 v3, 8, v5
	s_movk_i32 s4, 0x7f
	v_cmp_gt_i16_sdwa s[6:7], v3, s4 src0_sel:BYTE_0 src1_sel:DWORD
	s_mov_b64 s[4:5], 0
                                        ; implicit-def: $sgpr10
	s_and_saveexec_b64 s[8:9], s[6:7]
	s_xor_b64 s[6:7], exec, s[8:9]
	s_cbranch_execz .LBB1_11757
; %bb.47597:
	s_getpc_b64 s[14:15]
.Lpost_getpc9462:
	s_add_u32 s14, s14, (.LBB1_26093-.Lpost_getpc9462)&4294967295
	s_addc_u32 s15, s15, (.LBB1_26093-.Lpost_getpc9462)>>32
	s_setpc_b64 s[14:15]
.LBB1_11757:
	s_or_saveexec_b64 s[6:7], s[6:7]
	v_mov_b32_e32 v4, s10
	s_xor_b64 exec, exec, s[6:7]
	s_cbranch_execz .LBB1_11758
; %bb.47599:
	s_getpc_b64 s[14:15]
.Lpost_getpc9463:
	s_add_u32 s14, s14, (.LBB1_26096-.Lpost_getpc9463)&4294967295
	s_addc_u32 s15, s15, (.LBB1_26096-.Lpost_getpc9463)>>32
	s_setpc_b64 s[14:15]
.LBB1_11758:
	s_or_b64 exec, exec, s[6:7]
	s_and_saveexec_b64 s[6:7], s[4:5]
	s_cbranch_execz .LBB1_11760
.LBB1_11759:
	v_bfe_u32 v4, v5, 8, 3
	v_ffbh_u32_e32 v7, v4
	v_min_u32_e32 v7, 32, v7
	v_lshrrev_b16_e32 v6, 3, v3
	v_subrev_u32_e32 v8, 28, v7
	v_and_b32_e32 v6, 15, v6
	v_lshlrev_b32_e32 v3, v8, v3
	v_sub_u32_e32 v7, 29, v7
	v_and_b32_e32 v3, 7, v3
	v_cmp_eq_u16_e32 vcc, 0, v6
	v_cndmask_b32_e32 v3, v4, v3, vcc
	v_cndmask_b32_e32 v4, v6, v7, vcc
	v_lshlrev_b32_e32 v6, 16, v5
	v_mov_b32_e32 v7, 0x3b800000
	v_lshlrev_b32_e32 v3, 20, v3
	v_and_b32_e32 v6, 0x80000000, v6
	v_lshl_add_u32 v4, v4, 23, v7
	v_or3_b32 v4, v6, v4, v3
.LBB1_11760:
	s_or_b64 exec, exec, s[6:7]
	s_nop 0
	v_mfma_f32_16x16x4f32 a[0:3], v2, v4, a[0:3]
	s_movk_i32 s4, 0xff
	v_and_b32_sdwa v3, v9, s4 dst_sel:DWORD dst_unused:UNUSED_PAD src0_sel:WORD_1 src1_sel:DWORD
	s_movk_i32 s4, 0x7f
	v_cmp_lt_i16_e32 vcc, s4, v3
	s_mov_b64 s[4:5], 0
                                        ; implicit-def: $sgpr10
	s_and_saveexec_b64 s[6:7], vcc
	s_xor_b64 s[6:7], exec, s[6:7]
	s_cbranch_execz .LBB1_11761
; %bb.47601:
	s_getpc_b64 s[14:15]
.Lpost_getpc9464:
	s_add_u32 s14, s14, (.LBB1_26097-.Lpost_getpc9464)&4294967295
	s_addc_u32 s15, s15, (.LBB1_26097-.Lpost_getpc9464)>>32
	s_setpc_b64 s[14:15]
.LBB1_11761:
	s_or_saveexec_b64 s[6:7], s[6:7]
	v_mov_b32_e32 v2, s10
	s_xor_b64 exec, exec, s[6:7]
	s_cbranch_execz .LBB1_11762
; %bb.47603:
	s_getpc_b64 s[14:15]
.Lpost_getpc9465:
	s_add_u32 s14, s14, (.LBB1_26100-.Lpost_getpc9465)&4294967295
	s_addc_u32 s15, s15, (.LBB1_26100-.Lpost_getpc9465)>>32
	s_setpc_b64 s[14:15]
.LBB1_11762:
	s_or_b64 exec, exec, s[6:7]
	s_and_saveexec_b64 s[6:7], s[4:5]
	s_cbranch_execz .LBB1_11764
.LBB1_11763:
	v_bfe_u32 v2, v9, 16, 3
	v_ffbh_u32_e32 v6, v2
	v_min_u32_e32 v6, 32, v6
	v_lshrrev_b32_e32 v3, 19, v9
	v_subrev_u32_e32 v7, 28, v6
	v_and_b32_e32 v3, 15, v3
	v_lshlrev_b32_sdwa v7, v7, v9 dst_sel:DWORD dst_unused:UNUSED_PAD src0_sel:DWORD src1_sel:WORD_1
	v_bfe_u32 v4, v9, 19, 4
	v_sub_u32_e32 v6, 29, v6
	v_and_b32_e32 v7, 7, v7
	v_cmp_eq_u16_e32 vcc, 0, v3
	v_cndmask_b32_e32 v2, v2, v7, vcc
	v_cndmask_b32_e32 v3, v4, v6, vcc
	v_lshlrev_b32_e32 v4, 8, v9
	v_mov_b32_e32 v6, 0x3b800000
	v_lshlrev_b32_e32 v2, 20, v2
	v_and_b32_e32 v4, 0x80000000, v4
	v_lshl_add_u32 v3, v3, 23, v6
	v_or3_b32 v2, v4, v3, v2
.LBB1_11764:
	s_or_b64 exec, exec, s[6:7]
	s_movk_i32 s4, 0xff
	v_and_b32_sdwa v3, v5, s4 dst_sel:DWORD dst_unused:UNUSED_PAD src0_sel:WORD_1 src1_sel:DWORD
	s_movk_i32 s4, 0x7f
	v_cmp_lt_i16_e32 vcc, s4, v3
	s_mov_b64 s[4:5], 0
                                        ; implicit-def: $sgpr10
	s_and_saveexec_b64 s[6:7], vcc
	s_xor_b64 s[6:7], exec, s[6:7]
	s_cbranch_execz .LBB1_11765
; %bb.47605:
	s_getpc_b64 s[14:15]
.Lpost_getpc9466:
	s_add_u32 s14, s14, (.LBB1_26101-.Lpost_getpc9466)&4294967295
	s_addc_u32 s15, s15, (.LBB1_26101-.Lpost_getpc9466)>>32
	s_setpc_b64 s[14:15]
.LBB1_11765:
	s_or_saveexec_b64 s[6:7], s[6:7]
	v_mov_b32_e32 v4, s10
	s_xor_b64 exec, exec, s[6:7]
	s_cbranch_execz .LBB1_11766
; %bb.47607:
	s_getpc_b64 s[14:15]
.Lpost_getpc9467:
	s_add_u32 s14, s14, (.LBB1_26104-.Lpost_getpc9467)&4294967295
	s_addc_u32 s15, s15, (.LBB1_26104-.Lpost_getpc9467)>>32
	s_setpc_b64 s[14:15]
.LBB1_11766:
	s_or_b64 exec, exec, s[6:7]
	s_and_saveexec_b64 s[6:7], s[4:5]
	s_cbranch_execz .LBB1_11768
.LBB1_11767:
	v_bfe_u32 v3, v5, 16, 3
	v_ffbh_u32_e32 v7, v3
	v_min_u32_e32 v7, 32, v7
	v_lshrrev_b32_e32 v4, 19, v5
	v_subrev_u32_e32 v8, 28, v7
	v_and_b32_e32 v4, 15, v4
	v_lshlrev_b32_sdwa v8, v8, v5 dst_sel:DWORD dst_unused:UNUSED_PAD src0_sel:DWORD src1_sel:WORD_1
	v_bfe_u32 v6, v5, 19, 4
	v_sub_u32_e32 v7, 29, v7
	v_and_b32_e32 v8, 7, v8
	v_cmp_eq_u16_e32 vcc, 0, v4
	v_cndmask_b32_e32 v3, v3, v8, vcc
	v_cndmask_b32_e32 v4, v6, v7, vcc
	v_lshlrev_b32_e32 v6, 8, v5
	v_mov_b32_e32 v7, 0x3b800000
	v_lshlrev_b32_e32 v3, 20, v3
	v_and_b32_e32 v6, 0x80000000, v6
	v_lshl_add_u32 v4, v4, 23, v7
	v_or3_b32 v4, v6, v4, v3
.LBB1_11768:
	s_or_b64 exec, exec, s[6:7]
	s_nop 0
	v_mfma_f32_16x16x4f32 a[0:3], v2, v4, a[0:3]
	s_movk_i32 s4, 0x7f
	v_cmp_gt_i16_sdwa s[6:7], v9, s4 src0_sel:BYTE_3 src1_sel:DWORD
	s_mov_b64 s[4:5], 0
                                        ; implicit-def: $sgpr10
	s_and_saveexec_b64 s[8:9], s[6:7]
	s_xor_b64 s[6:7], exec, s[8:9]
	s_cbranch_execz .LBB1_11769
; %bb.47609:
	s_getpc_b64 s[14:15]
.Lpost_getpc9468:
	s_add_u32 s14, s14, (.LBB1_26105-.Lpost_getpc9468)&4294967295
	s_addc_u32 s15, s15, (.LBB1_26105-.Lpost_getpc9468)>>32
	s_setpc_b64 s[14:15]
.LBB1_11769:
	s_or_saveexec_b64 s[6:7], s[6:7]
	v_mov_b32_e32 v2, s10
	s_xor_b64 exec, exec, s[6:7]
	s_cbranch_execz .LBB1_11770
; %bb.47611:
	s_getpc_b64 s[14:15]
.Lpost_getpc9469:
	s_add_u32 s14, s14, (.LBB1_26108-.Lpost_getpc9469)&4294967295
	s_addc_u32 s15, s15, (.LBB1_26108-.Lpost_getpc9469)>>32
	s_setpc_b64 s[14:15]
.LBB1_11770:
	s_or_b64 exec, exec, s[6:7]
	s_and_saveexec_b64 s[6:7], s[4:5]
	s_cbranch_execz .LBB1_11772
.LBB1_11771:
	v_bfe_u32 v2, v9, 24, 3
	v_ffbh_u32_e32 v7, v2
	v_min_u32_e32 v7, 32, v7
	v_lshrrev_b32_e32 v4, 27, v9
	v_subrev_u32_e32 v8, 28, v7
	v_and_b32_e32 v4, 15, v4
	v_lshlrev_b32_sdwa v8, v8, v9 dst_sel:DWORD dst_unused:UNUSED_PAD src0_sel:DWORD src1_sel:BYTE_3
	v_bfe_u32 v6, v9, 27, 4
	v_sub_u32_e32 v7, 29, v7
	v_and_b32_e32 v8, 7, v8
	v_cmp_eq_u16_e32 vcc, 0, v4
	v_cndmask_b32_e32 v2, v2, v8, vcc
	v_cndmask_b32_e32 v4, v6, v7, vcc
	v_mov_b32_e32 v6, 0x3b800000
	v_and_b32_e32 v3, 0x80000000, v9
	v_lshlrev_b32_e32 v2, 20, v2
	v_lshl_add_u32 v4, v4, 23, v6
	v_or3_b32 v2, v3, v4, v2
.LBB1_11772:
	s_or_b64 exec, exec, s[6:7]
	s_movk_i32 s4, 0x7f
	v_cmp_gt_i16_sdwa s[6:7], v5, s4 src0_sel:BYTE_3 src1_sel:DWORD
	s_mov_b64 s[4:5], 0
                                        ; implicit-def: $sgpr10
	s_and_saveexec_b64 s[8:9], s[6:7]
	s_xor_b64 s[6:7], exec, s[8:9]
	s_cbranch_execz .LBB1_11773
; %bb.47613:
	s_getpc_b64 s[14:15]
.Lpost_getpc9470:
	s_add_u32 s14, s14, (.LBB1_26109-.Lpost_getpc9470)&4294967295
	s_addc_u32 s15, s15, (.LBB1_26109-.Lpost_getpc9470)>>32
	s_setpc_b64 s[14:15]
.LBB1_11773:
	s_or_saveexec_b64 s[6:7], s[6:7]
	v_mov_b32_e32 v3, s10
	s_xor_b64 exec, exec, s[6:7]
	s_cbranch_execz .LBB1_11774
; %bb.47615:
	s_getpc_b64 s[14:15]
.Lpost_getpc9471:
	s_add_u32 s14, s14, (.LBB1_26112-.Lpost_getpc9471)&4294967295
	s_addc_u32 s15, s15, (.LBB1_26112-.Lpost_getpc9471)>>32
	s_setpc_b64 s[14:15]
.LBB1_11774:
	s_or_b64 exec, exec, s[6:7]
	s_and_saveexec_b64 s[6:7], s[4:5]
	s_cbranch_execz .LBB1_11776
.LBB1_11775:
	v_bfe_u32 v3, v5, 24, 3
	v_ffbh_u32_e32 v8, v3
	v_min_u32_e32 v8, 32, v8
	v_lshrrev_b32_e32 v6, 27, v5
	v_subrev_u32_e32 v9, 28, v8
	v_and_b32_e32 v4, 0x80000000, v5
	v_and_b32_e32 v6, 15, v6
	v_bfe_u32 v7, v5, 27, 4
	v_lshlrev_b32_sdwa v5, v9, v5 dst_sel:DWORD dst_unused:UNUSED_PAD src0_sel:DWORD src1_sel:BYTE_3
	v_sub_u32_e32 v8, 29, v8
	v_and_b32_e32 v5, 7, v5
	v_cmp_eq_u16_e32 vcc, 0, v6
	v_cndmask_b32_e32 v3, v3, v5, vcc
	v_cndmask_b32_e32 v5, v7, v8, vcc
	v_mov_b32_e32 v6, 0x3b800000
	v_lshlrev_b32_e32 v3, 20, v3
	v_lshl_add_u32 v5, v5, 23, v6
	v_or3_b32 v3, v4, v5, v3
.LBB1_11776:
	s_or_b64 exec, exec, s[6:7]
	s_nop 0
	v_mfma_f32_16x16x4f32 a[0:3], v2, v3, a[0:3]
	s_movk_i32 s4, 0x7f
                                        ; implicit-def: $sgpr10
	s_nop 7
	s_nop 1
	flat_store_dwordx4 v[10:11], a[0:3] offset:560
	flat_load_dwordx4 v[12:15], v[0:1]
	s_nop 0
	flat_load_dwordx2 v[10:11], v[0:1] offset:16
	s_waitcnt vmcnt(0) lgkmcnt(0)
	flat_load_dwordx4 v[6:9], v[12:13] offset:176
	flat_load_dwordx4 v[2:5], v[14:15] offset:192
	s_waitcnt vmcnt(0) lgkmcnt(0)
	v_cmp_gt_i16_sdwa s[6:7], v6, s4 src0_sel:BYTE_0 src1_sel:DWORD
	s_mov_b64 s[4:5], 0
	s_and_saveexec_b64 s[8:9], s[6:7]
	s_xor_b64 s[6:7], exec, s[8:9]
	s_cbranch_execz .LBB1_11777
; %bb.47617:
	s_getpc_b64 s[14:15]
.Lpost_getpc9472:
	s_add_u32 s14, s14, (.LBB1_26113-.Lpost_getpc9472)&4294967295
	s_addc_u32 s15, s15, (.LBB1_26113-.Lpost_getpc9472)>>32
	s_setpc_b64 s[14:15]
.LBB1_11777:
	s_or_saveexec_b64 s[6:7], s[6:7]
	v_mov_b32_e32 v12, s10
	s_xor_b64 exec, exec, s[6:7]
	s_cbranch_execz .LBB1_11778
; %bb.47619:
	s_getpc_b64 s[14:15]
.Lpost_getpc9473:
	s_add_u32 s14, s14, (.LBB1_26116-.Lpost_getpc9473)&4294967295
	s_addc_u32 s15, s15, (.LBB1_26116-.Lpost_getpc9473)>>32
	s_setpc_b64 s[14:15]
.LBB1_11778:
	s_or_b64 exec, exec, s[6:7]
	s_and_saveexec_b64 s[6:7], s[4:5]
	s_cbranch_execz .LBB1_11780
.LBB1_11779:
	v_and_b32_e32 v12, 7, v6
	v_ffbh_u32_e32 v14, v12
	v_min_u32_e32 v14, 32, v14
	v_lshrrev_b16_e32 v13, 3, v6
	v_subrev_u32_e32 v15, 28, v14
	v_and_b32_e32 v13, 15, v13
	v_lshlrev_b32_e32 v15, v15, v6
	v_sub_u32_e32 v14, 29, v14
	v_and_b32_e32 v15, 7, v15
	v_cmp_eq_u16_e32 vcc, 0, v13
	v_cndmask_b32_e32 v12, v12, v15, vcc
	v_cndmask_b32_e32 v13, v13, v14, vcc
	v_lshlrev_b32_e32 v14, 24, v6
	v_mov_b32_e32 v15, 0x3b800000
	v_lshlrev_b32_e32 v12, 20, v12
	v_and_b32_e32 v14, 0x80000000, v14
	v_lshl_add_u32 v13, v13, 23, v15
	v_or3_b32 v12, v14, v13, v12
.LBB1_11780:
	s_or_b64 exec, exec, s[6:7]
	s_movk_i32 s4, 0x7f
	v_cmp_gt_i16_sdwa s[6:7], v2, s4 src0_sel:BYTE_0 src1_sel:DWORD
	s_mov_b64 s[4:5], 0
                                        ; implicit-def: $sgpr10
	s_and_saveexec_b64 s[8:9], s[6:7]
	s_xor_b64 s[6:7], exec, s[8:9]
	s_cbranch_execz .LBB1_11781
; %bb.47621:
	s_getpc_b64 s[14:15]
.Lpost_getpc9474:
	s_add_u32 s14, s14, (.LBB1_26117-.Lpost_getpc9474)&4294967295
	s_addc_u32 s15, s15, (.LBB1_26117-.Lpost_getpc9474)>>32
	s_setpc_b64 s[14:15]
.LBB1_11781:
	s_or_saveexec_b64 s[6:7], s[6:7]
	v_mov_b32_e32 v13, s10
	s_xor_b64 exec, exec, s[6:7]
	s_cbranch_execz .LBB1_11782
; %bb.47623:
	s_getpc_b64 s[14:15]
.Lpost_getpc9475:
	s_add_u32 s14, s14, (.LBB1_26120-.Lpost_getpc9475)&4294967295
	s_addc_u32 s15, s15, (.LBB1_26120-.Lpost_getpc9475)>>32
	s_setpc_b64 s[14:15]
.LBB1_11782:
	s_or_b64 exec, exec, s[6:7]
	s_and_saveexec_b64 s[6:7], s[4:5]
	s_cbranch_execz .LBB1_11784
.LBB1_11783:
	v_and_b32_e32 v13, 7, v2
	v_ffbh_u32_e32 v15, v13
	v_min_u32_e32 v15, 32, v15
	v_lshrrev_b16_e32 v14, 3, v2
	v_subrev_u32_e32 v16, 28, v15
	v_and_b32_e32 v14, 15, v14
	v_lshlrev_b32_e32 v16, v16, v2
	v_sub_u32_e32 v15, 29, v15
	v_and_b32_e32 v16, 7, v16
	v_cmp_eq_u16_e32 vcc, 0, v14
	v_cndmask_b32_e32 v13, v13, v16, vcc
	v_cndmask_b32_e32 v14, v14, v15, vcc
	v_lshlrev_b32_e32 v15, 24, v2
	v_mov_b32_e32 v16, 0x3b800000
	v_lshlrev_b32_e32 v13, 20, v13
	v_and_b32_e32 v15, 0x80000000, v15
	v_lshl_add_u32 v14, v14, 23, v16
	v_or3_b32 v13, v15, v14, v13
.LBB1_11784:
	s_or_b64 exec, exec, s[6:7]
	flat_load_dwordx4 a[0:3], v[10:11] offset:576
	s_movk_i32 s4, 0x7f
                                        ; implicit-def: $sgpr10
	s_waitcnt vmcnt(0) lgkmcnt(0)
	v_mfma_f32_16x16x4f32 a[0:3], v12, v13, a[0:3]
	v_lshrrev_b32_e32 v13, 8, v6
	v_cmp_gt_i16_sdwa s[6:7], v13, s4 src0_sel:BYTE_0 src1_sel:DWORD
	s_mov_b64 s[4:5], 0
	s_and_saveexec_b64 s[8:9], s[6:7]
	s_xor_b64 s[6:7], exec, s[8:9]
	s_cbranch_execz .LBB1_11785
; %bb.47625:
	s_getpc_b64 s[14:15]
.Lpost_getpc9476:
	s_add_u32 s14, s14, (.LBB1_26121-.Lpost_getpc9476)&4294967295
	s_addc_u32 s15, s15, (.LBB1_26121-.Lpost_getpc9476)>>32
	s_setpc_b64 s[14:15]
.LBB1_11785:
	s_or_saveexec_b64 s[6:7], s[6:7]
	v_mov_b32_e32 v12, s10
	s_xor_b64 exec, exec, s[6:7]
	s_cbranch_execz .LBB1_11786
; %bb.47627:
	s_getpc_b64 s[14:15]
.Lpost_getpc9477:
	s_add_u32 s14, s14, (.LBB1_26124-.Lpost_getpc9477)&4294967295
	s_addc_u32 s15, s15, (.LBB1_26124-.Lpost_getpc9477)>>32
	s_setpc_b64 s[14:15]
.LBB1_11786:
	s_or_b64 exec, exec, s[6:7]
	s_and_saveexec_b64 s[6:7], s[4:5]
	s_cbranch_execz .LBB1_11788
.LBB1_11787:
	v_bfe_u32 v12, v6, 8, 3
	v_ffbh_u32_e32 v15, v12
	v_min_u32_e32 v15, 32, v15
	v_lshrrev_b16_e32 v14, 3, v13
	v_subrev_u32_e32 v16, 28, v15
	v_and_b32_e32 v14, 15, v14
	v_lshlrev_b32_e32 v13, v16, v13
	v_sub_u32_e32 v15, 29, v15
	v_and_b32_e32 v13, 7, v13
	v_cmp_eq_u16_e32 vcc, 0, v14
	v_cndmask_b32_e32 v12, v12, v13, vcc
	v_cndmask_b32_e32 v13, v14, v15, vcc
	v_lshlrev_b32_e32 v14, 16, v6
	v_mov_b32_e32 v15, 0x3b800000
	v_lshlrev_b32_e32 v12, 20, v12
	v_and_b32_e32 v14, 0x80000000, v14
	v_lshl_add_u32 v13, v13, 23, v15
	v_or3_b32 v12, v14, v13, v12
.LBB1_11788:
	s_or_b64 exec, exec, s[6:7]
	v_lshrrev_b32_e32 v13, 8, v2
	s_movk_i32 s4, 0x7f
	v_cmp_gt_i16_sdwa s[6:7], v13, s4 src0_sel:BYTE_0 src1_sel:DWORD
	s_mov_b64 s[4:5], 0
                                        ; implicit-def: $sgpr10
	s_and_saveexec_b64 s[8:9], s[6:7]
	s_xor_b64 s[6:7], exec, s[8:9]
	s_cbranch_execz .LBB1_11789
; %bb.47629:
	s_getpc_b64 s[14:15]
.Lpost_getpc9478:
	s_add_u32 s14, s14, (.LBB1_26125-.Lpost_getpc9478)&4294967295
	s_addc_u32 s15, s15, (.LBB1_26125-.Lpost_getpc9478)>>32
	s_setpc_b64 s[14:15]
.LBB1_11789:
	s_or_saveexec_b64 s[6:7], s[6:7]
	v_mov_b32_e32 v14, s10
	s_xor_b64 exec, exec, s[6:7]
	s_cbranch_execz .LBB1_11790
; %bb.47631:
	s_getpc_b64 s[14:15]
.Lpost_getpc9479:
	s_add_u32 s14, s14, (.LBB1_26128-.Lpost_getpc9479)&4294967295
	s_addc_u32 s15, s15, (.LBB1_26128-.Lpost_getpc9479)>>32
	s_setpc_b64 s[14:15]
.LBB1_11790:
	s_or_b64 exec, exec, s[6:7]
	s_and_saveexec_b64 s[6:7], s[4:5]
	s_cbranch_execz .LBB1_11792
.LBB1_11791:
	v_bfe_u32 v14, v2, 8, 3
	v_ffbh_u32_e32 v16, v14
	v_min_u32_e32 v16, 32, v16
	v_lshrrev_b16_e32 v15, 3, v13
	v_subrev_u32_e32 v17, 28, v16
	v_and_b32_e32 v15, 15, v15
	v_lshlrev_b32_e32 v13, v17, v13
	v_sub_u32_e32 v16, 29, v16
	v_and_b32_e32 v13, 7, v13
	v_cmp_eq_u16_e32 vcc, 0, v15
	v_cndmask_b32_e32 v13, v14, v13, vcc
	v_cndmask_b32_e32 v14, v15, v16, vcc
	v_lshlrev_b32_e32 v15, 16, v2
	v_mov_b32_e32 v16, 0x3b800000
	v_lshlrev_b32_e32 v13, 20, v13
	v_and_b32_e32 v15, 0x80000000, v15
	v_lshl_add_u32 v14, v14, 23, v16
	v_or3_b32 v14, v15, v14, v13
.LBB1_11792:
	s_or_b64 exec, exec, s[6:7]
	s_nop 0
	v_mfma_f32_16x16x4f32 a[0:3], v12, v14, a[0:3]
	s_movk_i32 s4, 0xff
	v_and_b32_sdwa v13, v6, s4 dst_sel:DWORD dst_unused:UNUSED_PAD src0_sel:WORD_1 src1_sel:DWORD
	s_movk_i32 s4, 0x7f
	v_cmp_lt_i16_e32 vcc, s4, v13
	s_mov_b64 s[4:5], 0
                                        ; implicit-def: $sgpr10
	s_and_saveexec_b64 s[6:7], vcc
	s_xor_b64 s[6:7], exec, s[6:7]
	s_cbranch_execz .LBB1_11793
; %bb.47633:
	s_getpc_b64 s[14:15]
.Lpost_getpc9480:
	s_add_u32 s14, s14, (.LBB1_26129-.Lpost_getpc9480)&4294967295
	s_addc_u32 s15, s15, (.LBB1_26129-.Lpost_getpc9480)>>32
	s_setpc_b64 s[14:15]
.LBB1_11793:
	s_or_saveexec_b64 s[6:7], s[6:7]
	v_mov_b32_e32 v12, s10
	s_xor_b64 exec, exec, s[6:7]
	s_cbranch_execz .LBB1_11794
; %bb.47635:
	s_getpc_b64 s[14:15]
.Lpost_getpc9481:
	s_add_u32 s14, s14, (.LBB1_26132-.Lpost_getpc9481)&4294967295
	s_addc_u32 s15, s15, (.LBB1_26132-.Lpost_getpc9481)>>32
	s_setpc_b64 s[14:15]
.LBB1_11794:
	s_or_b64 exec, exec, s[6:7]
	s_and_saveexec_b64 s[6:7], s[4:5]
	s_cbranch_execz .LBB1_11796
.LBB1_11795:
	v_bfe_u32 v12, v6, 16, 3
	v_ffbh_u32_e32 v15, v12
	v_min_u32_e32 v15, 32, v15
	v_lshrrev_b32_e32 v13, 19, v6
	v_subrev_u32_e32 v16, 28, v15
	v_and_b32_e32 v13, 15, v13
	v_lshlrev_b32_sdwa v16, v16, v6 dst_sel:DWORD dst_unused:UNUSED_PAD src0_sel:DWORD src1_sel:WORD_1
	v_bfe_u32 v14, v6, 19, 4
	v_sub_u32_e32 v15, 29, v15
	v_and_b32_e32 v16, 7, v16
	v_cmp_eq_u16_e32 vcc, 0, v13
	v_cndmask_b32_e32 v12, v12, v16, vcc
	v_cndmask_b32_e32 v13, v14, v15, vcc
	v_lshlrev_b32_e32 v14, 8, v6
	v_mov_b32_e32 v15, 0x3b800000
	v_lshlrev_b32_e32 v12, 20, v12
	v_and_b32_e32 v14, 0x80000000, v14
	v_lshl_add_u32 v13, v13, 23, v15
	v_or3_b32 v12, v14, v13, v12
.LBB1_11796:
	s_or_b64 exec, exec, s[6:7]
	s_movk_i32 s4, 0xff
	v_and_b32_sdwa v13, v2, s4 dst_sel:DWORD dst_unused:UNUSED_PAD src0_sel:WORD_1 src1_sel:DWORD
	s_movk_i32 s4, 0x7f
	v_cmp_lt_i16_e32 vcc, s4, v13
	s_mov_b64 s[4:5], 0
                                        ; implicit-def: $sgpr10
	s_and_saveexec_b64 s[6:7], vcc
	s_xor_b64 s[6:7], exec, s[6:7]
	s_cbranch_execz .LBB1_11797
; %bb.47637:
	s_getpc_b64 s[14:15]
.Lpost_getpc9482:
	s_add_u32 s14, s14, (.LBB1_26133-.Lpost_getpc9482)&4294967295
	s_addc_u32 s15, s15, (.LBB1_26133-.Lpost_getpc9482)>>32
	s_setpc_b64 s[14:15]
.LBB1_11797:
	s_or_saveexec_b64 s[6:7], s[6:7]
	v_mov_b32_e32 v14, s10
	s_xor_b64 exec, exec, s[6:7]
	s_cbranch_execz .LBB1_11798
; %bb.47639:
	s_getpc_b64 s[14:15]
.Lpost_getpc9483:
	s_add_u32 s14, s14, (.LBB1_26136-.Lpost_getpc9483)&4294967295
	s_addc_u32 s15, s15, (.LBB1_26136-.Lpost_getpc9483)>>32
	s_setpc_b64 s[14:15]
.LBB1_11798:
	s_or_b64 exec, exec, s[6:7]
	s_and_saveexec_b64 s[6:7], s[4:5]
	s_cbranch_execz .LBB1_11800
.LBB1_11799:
	v_bfe_u32 v13, v2, 16, 3
	v_ffbh_u32_e32 v16, v13
	v_min_u32_e32 v16, 32, v16
	v_lshrrev_b32_e32 v14, 19, v2
	v_subrev_u32_e32 v17, 28, v16
	v_and_b32_e32 v14, 15, v14
	v_lshlrev_b32_sdwa v17, v17, v2 dst_sel:DWORD dst_unused:UNUSED_PAD src0_sel:DWORD src1_sel:WORD_1
	v_bfe_u32 v15, v2, 19, 4
	v_sub_u32_e32 v16, 29, v16
	v_and_b32_e32 v17, 7, v17
	v_cmp_eq_u16_e32 vcc, 0, v14
	v_cndmask_b32_e32 v13, v13, v17, vcc
	v_cndmask_b32_e32 v14, v15, v16, vcc
	v_lshlrev_b32_e32 v15, 8, v2
	v_mov_b32_e32 v16, 0x3b800000
	v_lshlrev_b32_e32 v13, 20, v13
	v_and_b32_e32 v15, 0x80000000, v15
	v_lshl_add_u32 v14, v14, 23, v16
	v_or3_b32 v14, v15, v14, v13
.LBB1_11800:
	s_or_b64 exec, exec, s[6:7]
	s_nop 0
	v_mfma_f32_16x16x4f32 a[0:3], v12, v14, a[0:3]
	s_movk_i32 s4, 0x7f
	v_cmp_gt_i16_sdwa s[6:7], v6, s4 src0_sel:BYTE_3 src1_sel:DWORD
	s_mov_b64 s[4:5], 0
                                        ; implicit-def: $sgpr10
	s_and_saveexec_b64 s[8:9], s[6:7]
	s_xor_b64 s[6:7], exec, s[8:9]
	s_cbranch_execz .LBB1_11801
; %bb.47641:
	s_getpc_b64 s[14:15]
.Lpost_getpc9484:
	s_add_u32 s14, s14, (.LBB1_26137-.Lpost_getpc9484)&4294967295
	s_addc_u32 s15, s15, (.LBB1_26137-.Lpost_getpc9484)>>32
	s_setpc_b64 s[14:15]
.LBB1_11801:
	s_or_saveexec_b64 s[6:7], s[6:7]
	v_mov_b32_e32 v12, s10
	s_xor_b64 exec, exec, s[6:7]
	s_cbranch_execz .LBB1_11802
; %bb.47643:
	s_getpc_b64 s[14:15]
.Lpost_getpc9485:
	s_add_u32 s14, s14, (.LBB1_26140-.Lpost_getpc9485)&4294967295
	s_addc_u32 s15, s15, (.LBB1_26140-.Lpost_getpc9485)>>32
	s_setpc_b64 s[14:15]
.LBB1_11802:
	s_or_b64 exec, exec, s[6:7]
	s_and_saveexec_b64 s[6:7], s[4:5]
	s_cbranch_execz .LBB1_11804
.LBB1_11803:
	v_bfe_u32 v12, v6, 24, 3
	v_ffbh_u32_e32 v16, v12
	v_min_u32_e32 v16, 32, v16
	v_lshrrev_b32_e32 v14, 27, v6
	v_subrev_u32_e32 v17, 28, v16
	v_and_b32_e32 v13, 0x80000000, v6
	v_and_b32_e32 v14, 15, v14
	v_bfe_u32 v15, v6, 27, 4
	v_lshlrev_b32_sdwa v6, v17, v6 dst_sel:DWORD dst_unused:UNUSED_PAD src0_sel:DWORD src1_sel:BYTE_3
	v_sub_u32_e32 v16, 29, v16
	v_and_b32_e32 v6, 7, v6
	v_cmp_eq_u16_e32 vcc, 0, v14
	v_cndmask_b32_e32 v6, v12, v6, vcc
	v_cndmask_b32_e32 v12, v15, v16, vcc
	v_mov_b32_e32 v14, 0x3b800000
	v_lshlrev_b32_e32 v6, 20, v6
	v_lshl_add_u32 v12, v12, 23, v14
	v_or3_b32 v12, v13, v12, v6
.LBB1_11804:
	s_or_b64 exec, exec, s[6:7]
	s_movk_i32 s4, 0x7f
	v_cmp_gt_i16_sdwa s[6:7], v2, s4 src0_sel:BYTE_3 src1_sel:DWORD
	s_mov_b64 s[4:5], 0
                                        ; implicit-def: $sgpr10
	s_and_saveexec_b64 s[8:9], s[6:7]
	s_xor_b64 s[6:7], exec, s[8:9]
	s_cbranch_execz .LBB1_11805
; %bb.47645:
	s_getpc_b64 s[14:15]
.Lpost_getpc9486:
	s_add_u32 s14, s14, (.LBB1_26141-.Lpost_getpc9486)&4294967295
	s_addc_u32 s15, s15, (.LBB1_26141-.Lpost_getpc9486)>>32
	s_setpc_b64 s[14:15]
.LBB1_11805:
	s_or_saveexec_b64 s[6:7], s[6:7]
	v_mov_b32_e32 v6, s10
	s_xor_b64 exec, exec, s[6:7]
	s_cbranch_execz .LBB1_11806
; %bb.47647:
	s_getpc_b64 s[14:15]
.Lpost_getpc9487:
	s_add_u32 s14, s14, (.LBB1_26144-.Lpost_getpc9487)&4294967295
	s_addc_u32 s15, s15, (.LBB1_26144-.Lpost_getpc9487)>>32
	s_setpc_b64 s[14:15]
.LBB1_11806:
	s_or_b64 exec, exec, s[6:7]
	s_and_saveexec_b64 s[6:7], s[4:5]
	s_cbranch_execz .LBB1_11808
.LBB1_11807:
	v_bfe_u32 v6, v2, 24, 3
	v_ffbh_u32_e32 v16, v6
	v_min_u32_e32 v16, 32, v16
	v_lshrrev_b32_e32 v14, 27, v2
	v_subrev_u32_e32 v17, 28, v16
	v_and_b32_e32 v13, 0x80000000, v2
	v_and_b32_e32 v14, 15, v14
	v_bfe_u32 v15, v2, 27, 4
	v_lshlrev_b32_sdwa v2, v17, v2 dst_sel:DWORD dst_unused:UNUSED_PAD src0_sel:DWORD src1_sel:BYTE_3
	v_sub_u32_e32 v16, 29, v16
	v_and_b32_e32 v2, 7, v2
	v_cmp_eq_u16_e32 vcc, 0, v14
	v_cndmask_b32_e32 v2, v6, v2, vcc
	v_cndmask_b32_e32 v6, v15, v16, vcc
	v_mov_b32_e32 v14, 0x3b800000
	v_lshlrev_b32_e32 v2, 20, v2
	v_lshl_add_u32 v6, v6, 23, v14
	v_or3_b32 v6, v13, v6, v2
.LBB1_11808:
	s_or_b64 exec, exec, s[6:7]
	s_nop 0
	v_mfma_f32_16x16x4f32 a[0:3], v12, v6, a[0:3]
	s_movk_i32 s4, 0x7f
	v_cmp_gt_i16_sdwa s[6:7], v7, s4 src0_sel:BYTE_0 src1_sel:DWORD
	s_mov_b64 s[4:5], 0
                                        ; implicit-def: $sgpr10
	s_and_saveexec_b64 s[8:9], s[6:7]
	s_xor_b64 s[6:7], exec, s[8:9]
	s_cbranch_execz .LBB1_11809
; %bb.47649:
	s_getpc_b64 s[14:15]
.Lpost_getpc9488:
	s_add_u32 s14, s14, (.LBB1_26145-.Lpost_getpc9488)&4294967295
	s_addc_u32 s15, s15, (.LBB1_26145-.Lpost_getpc9488)>>32
	s_setpc_b64 s[14:15]
.LBB1_11809:
	s_or_saveexec_b64 s[6:7], s[6:7]
	v_mov_b32_e32 v2, s10
	s_xor_b64 exec, exec, s[6:7]
	s_cbranch_execz .LBB1_11810
; %bb.47651:
	s_getpc_b64 s[14:15]
.Lpost_getpc9489:
	s_add_u32 s14, s14, (.LBB1_26148-.Lpost_getpc9489)&4294967295
	s_addc_u32 s15, s15, (.LBB1_26148-.Lpost_getpc9489)>>32
	s_setpc_b64 s[14:15]
.LBB1_11810:
	s_or_b64 exec, exec, s[6:7]
	s_and_saveexec_b64 s[6:7], s[4:5]
	s_cbranch_execz .LBB1_11812
.LBB1_11811:
	v_and_b32_e32 v2, 7, v7
	v_ffbh_u32_e32 v12, v2
	v_min_u32_e32 v12, 32, v12
	v_lshrrev_b16_e32 v6, 3, v7
	v_subrev_u32_e32 v13, 28, v12
	v_and_b32_e32 v6, 15, v6
	v_lshlrev_b32_e32 v13, v13, v7
	v_sub_u32_e32 v12, 29, v12
	v_and_b32_e32 v13, 7, v13
	v_cmp_eq_u16_e32 vcc, 0, v6
	v_cndmask_b32_e32 v2, v2, v13, vcc
	v_cndmask_b32_e32 v6, v6, v12, vcc
	v_lshlrev_b32_e32 v12, 24, v7
	v_mov_b32_e32 v13, 0x3b800000
	v_lshlrev_b32_e32 v2, 20, v2
	v_and_b32_e32 v12, 0x80000000, v12
	v_lshl_add_u32 v6, v6, 23, v13
	v_or3_b32 v2, v12, v6, v2
.LBB1_11812:
	s_or_b64 exec, exec, s[6:7]
	s_movk_i32 s4, 0x7f
	v_cmp_gt_i16_sdwa s[6:7], v3, s4 src0_sel:BYTE_0 src1_sel:DWORD
	s_mov_b64 s[4:5], 0
                                        ; implicit-def: $sgpr10
	s_and_saveexec_b64 s[8:9], s[6:7]
	s_xor_b64 s[6:7], exec, s[8:9]
	s_cbranch_execz .LBB1_11813
; %bb.47653:
	s_getpc_b64 s[14:15]
.Lpost_getpc9490:
	s_add_u32 s14, s14, (.LBB1_26149-.Lpost_getpc9490)&4294967295
	s_addc_u32 s15, s15, (.LBB1_26149-.Lpost_getpc9490)>>32
	s_setpc_b64 s[14:15]
.LBB1_11813:
	s_or_saveexec_b64 s[6:7], s[6:7]
	v_mov_b32_e32 v6, s10
	s_xor_b64 exec, exec, s[6:7]
	s_cbranch_execz .LBB1_11814
; %bb.47655:
	s_getpc_b64 s[14:15]
.Lpost_getpc9491:
	s_add_u32 s14, s14, (.LBB1_26152-.Lpost_getpc9491)&4294967295
	s_addc_u32 s15, s15, (.LBB1_26152-.Lpost_getpc9491)>>32
	s_setpc_b64 s[14:15]
.LBB1_11814:
	s_or_b64 exec, exec, s[6:7]
	s_and_saveexec_b64 s[6:7], s[4:5]
	s_cbranch_execz .LBB1_11816
.LBB1_11815:
	v_and_b32_e32 v6, 7, v3
	v_ffbh_u32_e32 v13, v6
	v_min_u32_e32 v13, 32, v13
	v_lshrrev_b16_e32 v12, 3, v3
	v_subrev_u32_e32 v14, 28, v13
	v_and_b32_e32 v12, 15, v12
	v_lshlrev_b32_e32 v14, v14, v3
	v_sub_u32_e32 v13, 29, v13
	v_and_b32_e32 v14, 7, v14
	v_cmp_eq_u16_e32 vcc, 0, v12
	v_cndmask_b32_e32 v6, v6, v14, vcc
	v_cndmask_b32_e32 v12, v12, v13, vcc
	v_lshlrev_b32_e32 v13, 24, v3
	v_mov_b32_e32 v14, 0x3b800000
	v_lshlrev_b32_e32 v6, 20, v6
	v_and_b32_e32 v13, 0x80000000, v13
	v_lshl_add_u32 v12, v12, 23, v14
	v_or3_b32 v6, v13, v12, v6
.LBB1_11816:
	s_or_b64 exec, exec, s[6:7]
	s_nop 0
	v_mfma_f32_16x16x4f32 a[0:3], v2, v6, a[0:3]
	v_lshrrev_b32_e32 v6, 8, v7
	s_movk_i32 s4, 0x7f
	v_cmp_gt_i16_sdwa s[6:7], v6, s4 src0_sel:BYTE_0 src1_sel:DWORD
	s_mov_b64 s[4:5], 0
                                        ; implicit-def: $sgpr10
	s_and_saveexec_b64 s[8:9], s[6:7]
	s_xor_b64 s[6:7], exec, s[8:9]
	s_cbranch_execz .LBB1_11817
; %bb.47657:
	s_getpc_b64 s[14:15]
.Lpost_getpc9492:
	s_add_u32 s14, s14, (.LBB1_26153-.Lpost_getpc9492)&4294967295
	s_addc_u32 s15, s15, (.LBB1_26153-.Lpost_getpc9492)>>32
	s_setpc_b64 s[14:15]
.LBB1_11817:
	s_or_saveexec_b64 s[6:7], s[6:7]
	v_mov_b32_e32 v2, s10
	s_xor_b64 exec, exec, s[6:7]
	s_cbranch_execz .LBB1_11818
; %bb.47659:
	s_getpc_b64 s[14:15]
.Lpost_getpc9493:
	s_add_u32 s14, s14, (.LBB1_26156-.Lpost_getpc9493)&4294967295
	s_addc_u32 s15, s15, (.LBB1_26156-.Lpost_getpc9493)>>32
	s_setpc_b64 s[14:15]
.LBB1_11818:
	s_or_b64 exec, exec, s[6:7]
	s_and_saveexec_b64 s[6:7], s[4:5]
	s_cbranch_execz .LBB1_11820
.LBB1_11819:
	v_bfe_u32 v2, v7, 8, 3
	v_ffbh_u32_e32 v13, v2
	v_min_u32_e32 v13, 32, v13
	v_lshrrev_b16_e32 v12, 3, v6
	v_subrev_u32_e32 v14, 28, v13
	v_and_b32_e32 v12, 15, v12
	v_lshlrev_b32_e32 v6, v14, v6
	v_sub_u32_e32 v13, 29, v13
	v_and_b32_e32 v6, 7, v6
	v_cmp_eq_u16_e32 vcc, 0, v12
	v_cndmask_b32_e32 v2, v2, v6, vcc
	v_cndmask_b32_e32 v6, v12, v13, vcc
	v_lshlrev_b32_e32 v12, 16, v7
	v_mov_b32_e32 v13, 0x3b800000
	v_lshlrev_b32_e32 v2, 20, v2
	v_and_b32_e32 v12, 0x80000000, v12
	v_lshl_add_u32 v6, v6, 23, v13
	v_or3_b32 v2, v12, v6, v2
.LBB1_11820:
	s_or_b64 exec, exec, s[6:7]
	v_lshrrev_b32_e32 v6, 8, v3
	s_movk_i32 s4, 0x7f
	v_cmp_gt_i16_sdwa s[6:7], v6, s4 src0_sel:BYTE_0 src1_sel:DWORD
	s_mov_b64 s[4:5], 0
                                        ; implicit-def: $sgpr10
	s_and_saveexec_b64 s[8:9], s[6:7]
	s_xor_b64 s[6:7], exec, s[8:9]
	s_cbranch_execz .LBB1_11821
; %bb.47661:
	s_getpc_b64 s[14:15]
.Lpost_getpc9494:
	s_add_u32 s14, s14, (.LBB1_26157-.Lpost_getpc9494)&4294967295
	s_addc_u32 s15, s15, (.LBB1_26157-.Lpost_getpc9494)>>32
	s_setpc_b64 s[14:15]
.LBB1_11821:
	s_or_saveexec_b64 s[6:7], s[6:7]
	v_mov_b32_e32 v12, s10
	s_xor_b64 exec, exec, s[6:7]
	s_cbranch_execz .LBB1_11822
; %bb.47663:
	s_getpc_b64 s[14:15]
.Lpost_getpc9495:
	s_add_u32 s14, s14, (.LBB1_26160-.Lpost_getpc9495)&4294967295
	s_addc_u32 s15, s15, (.LBB1_26160-.Lpost_getpc9495)>>32
	s_setpc_b64 s[14:15]
.LBB1_11822:
	s_or_b64 exec, exec, s[6:7]
	s_and_saveexec_b64 s[6:7], s[4:5]
	s_cbranch_execz .LBB1_11824
.LBB1_11823:
	v_bfe_u32 v12, v3, 8, 3
	v_ffbh_u32_e32 v14, v12
	v_min_u32_e32 v14, 32, v14
	v_lshrrev_b16_e32 v13, 3, v6
	v_subrev_u32_e32 v15, 28, v14
	v_and_b32_e32 v13, 15, v13
	v_lshlrev_b32_e32 v6, v15, v6
	v_sub_u32_e32 v14, 29, v14
	v_and_b32_e32 v6, 7, v6
	v_cmp_eq_u16_e32 vcc, 0, v13
	v_cndmask_b32_e32 v6, v12, v6, vcc
	v_cndmask_b32_e32 v12, v13, v14, vcc
	v_lshlrev_b32_e32 v13, 16, v3
	v_mov_b32_e32 v14, 0x3b800000
	v_lshlrev_b32_e32 v6, 20, v6
	v_and_b32_e32 v13, 0x80000000, v13
	v_lshl_add_u32 v12, v12, 23, v14
	v_or3_b32 v12, v13, v12, v6
.LBB1_11824:
	s_or_b64 exec, exec, s[6:7]
	s_nop 0
	v_mfma_f32_16x16x4f32 a[0:3], v2, v12, a[0:3]
	s_movk_i32 s4, 0xff
	v_and_b32_sdwa v6, v7, s4 dst_sel:DWORD dst_unused:UNUSED_PAD src0_sel:WORD_1 src1_sel:DWORD
	s_movk_i32 s4, 0x7f
	v_cmp_lt_i16_e32 vcc, s4, v6
	s_mov_b64 s[4:5], 0
                                        ; implicit-def: $sgpr10
	s_and_saveexec_b64 s[6:7], vcc
	s_xor_b64 s[6:7], exec, s[6:7]
	s_cbranch_execz .LBB1_11825
; %bb.47665:
	s_getpc_b64 s[14:15]
.Lpost_getpc9496:
	s_add_u32 s14, s14, (.LBB1_26161-.Lpost_getpc9496)&4294967295
	s_addc_u32 s15, s15, (.LBB1_26161-.Lpost_getpc9496)>>32
	s_setpc_b64 s[14:15]
.LBB1_11825:
	s_or_saveexec_b64 s[6:7], s[6:7]
	v_mov_b32_e32 v2, s10
	s_xor_b64 exec, exec, s[6:7]
	s_cbranch_execz .LBB1_11826
; %bb.47667:
	s_getpc_b64 s[14:15]
.Lpost_getpc9497:
	s_add_u32 s14, s14, (.LBB1_26164-.Lpost_getpc9497)&4294967295
	s_addc_u32 s15, s15, (.LBB1_26164-.Lpost_getpc9497)>>32
	s_setpc_b64 s[14:15]
.LBB1_11826:
	s_or_b64 exec, exec, s[6:7]
	s_and_saveexec_b64 s[6:7], s[4:5]
	s_cbranch_execz .LBB1_11828
.LBB1_11827:
	v_bfe_u32 v2, v7, 16, 3
	v_ffbh_u32_e32 v13, v2
	v_min_u32_e32 v13, 32, v13
	v_lshrrev_b32_e32 v6, 19, v7
	v_subrev_u32_e32 v14, 28, v13
	v_and_b32_e32 v6, 15, v6
	v_lshlrev_b32_sdwa v14, v14, v7 dst_sel:DWORD dst_unused:UNUSED_PAD src0_sel:DWORD src1_sel:WORD_1
	v_bfe_u32 v12, v7, 19, 4
	v_sub_u32_e32 v13, 29, v13
	v_and_b32_e32 v14, 7, v14
	v_cmp_eq_u16_e32 vcc, 0, v6
	v_cndmask_b32_e32 v2, v2, v14, vcc
	v_cndmask_b32_e32 v6, v12, v13, vcc
	v_lshlrev_b32_e32 v12, 8, v7
	v_mov_b32_e32 v13, 0x3b800000
	v_lshlrev_b32_e32 v2, 20, v2
	v_and_b32_e32 v12, 0x80000000, v12
	v_lshl_add_u32 v6, v6, 23, v13
	v_or3_b32 v2, v12, v6, v2
.LBB1_11828:
	s_or_b64 exec, exec, s[6:7]
	s_movk_i32 s4, 0xff
	v_and_b32_sdwa v6, v3, s4 dst_sel:DWORD dst_unused:UNUSED_PAD src0_sel:WORD_1 src1_sel:DWORD
	s_movk_i32 s4, 0x7f
	v_cmp_lt_i16_e32 vcc, s4, v6
	s_mov_b64 s[4:5], 0
                                        ; implicit-def: $sgpr10
	s_and_saveexec_b64 s[6:7], vcc
	s_xor_b64 s[6:7], exec, s[6:7]
	s_cbranch_execz .LBB1_11829
; %bb.47669:
	s_getpc_b64 s[14:15]
.Lpost_getpc9498:
	s_add_u32 s14, s14, (.LBB1_26165-.Lpost_getpc9498)&4294967295
	s_addc_u32 s15, s15, (.LBB1_26165-.Lpost_getpc9498)>>32
	s_setpc_b64 s[14:15]
.LBB1_11829:
	s_or_saveexec_b64 s[6:7], s[6:7]
	v_mov_b32_e32 v12, s10
	s_xor_b64 exec, exec, s[6:7]
	s_cbranch_execz .LBB1_11830
; %bb.47671:
	s_getpc_b64 s[14:15]
.Lpost_getpc9499:
	s_add_u32 s14, s14, (.LBB1_26168-.Lpost_getpc9499)&4294967295
	s_addc_u32 s15, s15, (.LBB1_26168-.Lpost_getpc9499)>>32
	s_setpc_b64 s[14:15]
.LBB1_11830:
	s_or_b64 exec, exec, s[6:7]
	s_and_saveexec_b64 s[6:7], s[4:5]
	s_cbranch_execz .LBB1_11832
.LBB1_11831:
	v_bfe_u32 v6, v3, 16, 3
	v_ffbh_u32_e32 v14, v6
	v_min_u32_e32 v14, 32, v14
	v_lshrrev_b32_e32 v12, 19, v3
	v_subrev_u32_e32 v15, 28, v14
	v_and_b32_e32 v12, 15, v12
	v_lshlrev_b32_sdwa v15, v15, v3 dst_sel:DWORD dst_unused:UNUSED_PAD src0_sel:DWORD src1_sel:WORD_1
	v_bfe_u32 v13, v3, 19, 4
	v_sub_u32_e32 v14, 29, v14
	v_and_b32_e32 v15, 7, v15
	v_cmp_eq_u16_e32 vcc, 0, v12
	v_cndmask_b32_e32 v6, v6, v15, vcc
	v_cndmask_b32_e32 v12, v13, v14, vcc
	v_lshlrev_b32_e32 v13, 8, v3
	v_mov_b32_e32 v14, 0x3b800000
	v_lshlrev_b32_e32 v6, 20, v6
	v_and_b32_e32 v13, 0x80000000, v13
	v_lshl_add_u32 v12, v12, 23, v14
	v_or3_b32 v12, v13, v12, v6
.LBB1_11832:
	s_or_b64 exec, exec, s[6:7]
	s_nop 0
	v_mfma_f32_16x16x4f32 a[0:3], v2, v12, a[0:3]
	s_movk_i32 s4, 0x7f
	v_cmp_gt_i16_sdwa s[6:7], v7, s4 src0_sel:BYTE_3 src1_sel:DWORD
	s_mov_b64 s[4:5], 0
                                        ; implicit-def: $sgpr10
	s_and_saveexec_b64 s[8:9], s[6:7]
	s_xor_b64 s[6:7], exec, s[8:9]
	s_cbranch_execz .LBB1_11833
; %bb.47673:
	s_getpc_b64 s[14:15]
.Lpost_getpc9500:
	s_add_u32 s14, s14, (.LBB1_26169-.Lpost_getpc9500)&4294967295
	s_addc_u32 s15, s15, (.LBB1_26169-.Lpost_getpc9500)>>32
	s_setpc_b64 s[14:15]
.LBB1_11833:
	s_or_saveexec_b64 s[6:7], s[6:7]
	v_mov_b32_e32 v2, s10
	s_xor_b64 exec, exec, s[6:7]
	s_cbranch_execz .LBB1_11834
; %bb.47675:
	s_getpc_b64 s[14:15]
.Lpost_getpc9501:
	s_add_u32 s14, s14, (.LBB1_26172-.Lpost_getpc9501)&4294967295
	s_addc_u32 s15, s15, (.LBB1_26172-.Lpost_getpc9501)>>32
	s_setpc_b64 s[14:15]
.LBB1_11834:
	s_or_b64 exec, exec, s[6:7]
	s_and_saveexec_b64 s[6:7], s[4:5]
	s_cbranch_execz .LBB1_11836
.LBB1_11835:
	v_bfe_u32 v2, v7, 24, 3
	v_ffbh_u32_e32 v14, v2
	v_min_u32_e32 v14, 32, v14
	v_lshrrev_b32_e32 v12, 27, v7
	v_subrev_u32_e32 v15, 28, v14
	v_and_b32_e32 v6, 0x80000000, v7
	v_and_b32_e32 v12, 15, v12
	v_bfe_u32 v13, v7, 27, 4
	v_lshlrev_b32_sdwa v7, v15, v7 dst_sel:DWORD dst_unused:UNUSED_PAD src0_sel:DWORD src1_sel:BYTE_3
	v_sub_u32_e32 v14, 29, v14
	v_and_b32_e32 v7, 7, v7
	v_cmp_eq_u16_e32 vcc, 0, v12
	v_cndmask_b32_e32 v2, v2, v7, vcc
	v_cndmask_b32_e32 v7, v13, v14, vcc
	v_mov_b32_e32 v12, 0x3b800000
	v_lshlrev_b32_e32 v2, 20, v2
	v_lshl_add_u32 v7, v7, 23, v12
	v_or3_b32 v2, v6, v7, v2
.LBB1_11836:
	s_or_b64 exec, exec, s[6:7]
	s_movk_i32 s4, 0x7f
	v_cmp_gt_i16_sdwa s[6:7], v3, s4 src0_sel:BYTE_3 src1_sel:DWORD
	s_mov_b64 s[4:5], 0
                                        ; implicit-def: $sgpr10
	s_and_saveexec_b64 s[8:9], s[6:7]
	s_xor_b64 s[6:7], exec, s[8:9]
	s_cbranch_execz .LBB1_11837
; %bb.47677:
	s_getpc_b64 s[14:15]
.Lpost_getpc9502:
	s_add_u32 s14, s14, (.LBB1_26173-.Lpost_getpc9502)&4294967295
	s_addc_u32 s15, s15, (.LBB1_26173-.Lpost_getpc9502)>>32
	s_setpc_b64 s[14:15]
.LBB1_11837:
	s_or_saveexec_b64 s[6:7], s[6:7]
	v_mov_b32_e32 v6, s10
	s_xor_b64 exec, exec, s[6:7]
	s_cbranch_execz .LBB1_11838
; %bb.47679:
	s_getpc_b64 s[14:15]
.Lpost_getpc9503:
	s_add_u32 s14, s14, (.LBB1_26176-.Lpost_getpc9503)&4294967295
	s_addc_u32 s15, s15, (.LBB1_26176-.Lpost_getpc9503)>>32
	s_setpc_b64 s[14:15]
.LBB1_11838:
	s_or_b64 exec, exec, s[6:7]
	s_and_saveexec_b64 s[6:7], s[4:5]
	s_cbranch_execz .LBB1_11840
.LBB1_11839:
	v_bfe_u32 v6, v3, 24, 3
	v_ffbh_u32_e32 v14, v6
	v_min_u32_e32 v14, 32, v14
	v_lshrrev_b32_e32 v12, 27, v3
	v_subrev_u32_e32 v15, 28, v14
	v_and_b32_e32 v7, 0x80000000, v3
	v_and_b32_e32 v12, 15, v12
	v_bfe_u32 v13, v3, 27, 4
	v_lshlrev_b32_sdwa v3, v15, v3 dst_sel:DWORD dst_unused:UNUSED_PAD src0_sel:DWORD src1_sel:BYTE_3
	v_sub_u32_e32 v14, 29, v14
	v_and_b32_e32 v3, 7, v3
	v_cmp_eq_u16_e32 vcc, 0, v12
	v_cndmask_b32_e32 v3, v6, v3, vcc
	v_cndmask_b32_e32 v6, v13, v14, vcc
	v_mov_b32_e32 v12, 0x3b800000
	v_lshlrev_b32_e32 v3, 20, v3
	v_lshl_add_u32 v6, v6, 23, v12
	v_or3_b32 v6, v7, v6, v3
.LBB1_11840:
	s_or_b64 exec, exec, s[6:7]
	s_nop 0
	v_mfma_f32_16x16x4f32 a[0:3], v2, v6, a[0:3]
	s_movk_i32 s4, 0x7f
	v_cmp_gt_i16_sdwa s[6:7], v8, s4 src0_sel:BYTE_0 src1_sel:DWORD
	s_mov_b64 s[4:5], 0
                                        ; implicit-def: $sgpr10
	s_and_saveexec_b64 s[8:9], s[6:7]
	s_xor_b64 s[6:7], exec, s[8:9]
	s_cbranch_execz .LBB1_11841
; %bb.47681:
	s_getpc_b64 s[14:15]
.Lpost_getpc9504:
	s_add_u32 s14, s14, (.LBB1_26177-.Lpost_getpc9504)&4294967295
	s_addc_u32 s15, s15, (.LBB1_26177-.Lpost_getpc9504)>>32
	s_setpc_b64 s[14:15]
.LBB1_11841:
	s_or_saveexec_b64 s[6:7], s[6:7]
	v_mov_b32_e32 v2, s10
	s_xor_b64 exec, exec, s[6:7]
	s_cbranch_execz .LBB1_11842
; %bb.47683:
	s_getpc_b64 s[14:15]
.Lpost_getpc9505:
	s_add_u32 s14, s14, (.LBB1_26180-.Lpost_getpc9505)&4294967295
	s_addc_u32 s15, s15, (.LBB1_26180-.Lpost_getpc9505)>>32
	s_setpc_b64 s[14:15]
.LBB1_11842:
	s_or_b64 exec, exec, s[6:7]
	s_and_saveexec_b64 s[6:7], s[4:5]
	s_cbranch_execz .LBB1_11844
.LBB1_11843:
	v_and_b32_e32 v2, 7, v8
	v_ffbh_u32_e32 v6, v2
	v_min_u32_e32 v6, 32, v6
	v_lshrrev_b16_e32 v3, 3, v8
	v_subrev_u32_e32 v7, 28, v6
	v_and_b32_e32 v3, 15, v3
	v_lshlrev_b32_e32 v7, v7, v8
	v_sub_u32_e32 v6, 29, v6
	v_and_b32_e32 v7, 7, v7
	v_cmp_eq_u16_e32 vcc, 0, v3
	v_cndmask_b32_e32 v2, v2, v7, vcc
	v_cndmask_b32_e32 v3, v3, v6, vcc
	v_lshlrev_b32_e32 v6, 24, v8
	v_mov_b32_e32 v7, 0x3b800000
	v_lshlrev_b32_e32 v2, 20, v2
	v_and_b32_e32 v6, 0x80000000, v6
	v_lshl_add_u32 v3, v3, 23, v7
	v_or3_b32 v2, v6, v3, v2
.LBB1_11844:
	s_or_b64 exec, exec, s[6:7]
	s_movk_i32 s4, 0x7f
	v_cmp_gt_i16_sdwa s[6:7], v4, s4 src0_sel:BYTE_0 src1_sel:DWORD
	s_mov_b64 s[4:5], 0
                                        ; implicit-def: $sgpr10
	s_and_saveexec_b64 s[8:9], s[6:7]
	s_xor_b64 s[6:7], exec, s[8:9]
	s_cbranch_execz .LBB1_11845
; %bb.47685:
	s_getpc_b64 s[14:15]
.Lpost_getpc9506:
	s_add_u32 s14, s14, (.LBB1_26181-.Lpost_getpc9506)&4294967295
	s_addc_u32 s15, s15, (.LBB1_26181-.Lpost_getpc9506)>>32
	s_setpc_b64 s[14:15]
.LBB1_11845:
	s_or_saveexec_b64 s[6:7], s[6:7]
	v_mov_b32_e32 v3, s10
	s_xor_b64 exec, exec, s[6:7]
	s_cbranch_execz .LBB1_11846
; %bb.47687:
	s_getpc_b64 s[14:15]
.Lpost_getpc9507:
	s_add_u32 s14, s14, (.LBB1_26184-.Lpost_getpc9507)&4294967295
	s_addc_u32 s15, s15, (.LBB1_26184-.Lpost_getpc9507)>>32
	s_setpc_b64 s[14:15]
.LBB1_11846:
	s_or_b64 exec, exec, s[6:7]
	s_and_saveexec_b64 s[6:7], s[4:5]
	s_cbranch_execz .LBB1_11848
.LBB1_11847:
	v_and_b32_e32 v3, 7, v4
	v_ffbh_u32_e32 v7, v3
	v_min_u32_e32 v7, 32, v7
	v_lshrrev_b16_e32 v6, 3, v4
	v_subrev_u32_e32 v12, 28, v7
	v_and_b32_e32 v6, 15, v6
	v_lshlrev_b32_e32 v12, v12, v4
	v_sub_u32_e32 v7, 29, v7
	v_and_b32_e32 v12, 7, v12
	v_cmp_eq_u16_e32 vcc, 0, v6
	v_cndmask_b32_e32 v3, v3, v12, vcc
	v_cndmask_b32_e32 v6, v6, v7, vcc
	v_lshlrev_b32_e32 v7, 24, v4
	v_mov_b32_e32 v12, 0x3b800000
	v_lshlrev_b32_e32 v3, 20, v3
	v_and_b32_e32 v7, 0x80000000, v7
	v_lshl_add_u32 v6, v6, 23, v12
	v_or3_b32 v3, v7, v6, v3
.LBB1_11848:
	s_or_b64 exec, exec, s[6:7]
	s_nop 0
	v_mfma_f32_16x16x4f32 a[0:3], v2, v3, a[0:3]
	v_lshrrev_b32_e32 v3, 8, v8
	s_movk_i32 s4, 0x7f
	v_cmp_gt_i16_sdwa s[6:7], v3, s4 src0_sel:BYTE_0 src1_sel:DWORD
	s_mov_b64 s[4:5], 0
                                        ; implicit-def: $sgpr10
	s_and_saveexec_b64 s[8:9], s[6:7]
	s_xor_b64 s[6:7], exec, s[8:9]
	s_cbranch_execz .LBB1_11849
; %bb.47689:
	s_getpc_b64 s[14:15]
.Lpost_getpc9508:
	s_add_u32 s14, s14, (.LBB1_26185-.Lpost_getpc9508)&4294967295
	s_addc_u32 s15, s15, (.LBB1_26185-.Lpost_getpc9508)>>32
	s_setpc_b64 s[14:15]
.LBB1_11849:
	s_or_saveexec_b64 s[6:7], s[6:7]
	v_mov_b32_e32 v2, s10
	s_xor_b64 exec, exec, s[6:7]
	s_cbranch_execz .LBB1_11850
; %bb.47691:
	s_getpc_b64 s[14:15]
.Lpost_getpc9509:
	s_add_u32 s14, s14, (.LBB1_26188-.Lpost_getpc9509)&4294967295
	s_addc_u32 s15, s15, (.LBB1_26188-.Lpost_getpc9509)>>32
	s_setpc_b64 s[14:15]
.LBB1_11850:
	s_or_b64 exec, exec, s[6:7]
	s_and_saveexec_b64 s[6:7], s[4:5]
	s_cbranch_execz .LBB1_11852
.LBB1_11851:
	v_bfe_u32 v2, v8, 8, 3
	v_ffbh_u32_e32 v7, v2
	v_min_u32_e32 v7, 32, v7
	v_lshrrev_b16_e32 v6, 3, v3
	v_subrev_u32_e32 v12, 28, v7
	v_and_b32_e32 v6, 15, v6
	v_lshlrev_b32_e32 v3, v12, v3
	v_sub_u32_e32 v7, 29, v7
	v_and_b32_e32 v3, 7, v3
	v_cmp_eq_u16_e32 vcc, 0, v6
	v_cndmask_b32_e32 v2, v2, v3, vcc
	v_cndmask_b32_e32 v3, v6, v7, vcc
	v_lshlrev_b32_e32 v6, 16, v8
	v_mov_b32_e32 v7, 0x3b800000
	v_lshlrev_b32_e32 v2, 20, v2
	v_and_b32_e32 v6, 0x80000000, v6
	v_lshl_add_u32 v3, v3, 23, v7
	v_or3_b32 v2, v6, v3, v2
.LBB1_11852:
	s_or_b64 exec, exec, s[6:7]
	v_lshrrev_b32_e32 v3, 8, v4
	s_movk_i32 s4, 0x7f
	v_cmp_gt_i16_sdwa s[6:7], v3, s4 src0_sel:BYTE_0 src1_sel:DWORD
	s_mov_b64 s[4:5], 0
                                        ; implicit-def: $sgpr10
	s_and_saveexec_b64 s[8:9], s[6:7]
	s_xor_b64 s[6:7], exec, s[8:9]
	s_cbranch_execz .LBB1_11853
; %bb.47693:
	s_getpc_b64 s[14:15]
.Lpost_getpc9510:
	s_add_u32 s14, s14, (.LBB1_26189-.Lpost_getpc9510)&4294967295
	s_addc_u32 s15, s15, (.LBB1_26189-.Lpost_getpc9510)>>32
	s_setpc_b64 s[14:15]
.LBB1_11853:
	s_or_saveexec_b64 s[6:7], s[6:7]
	v_mov_b32_e32 v6, s10
	s_xor_b64 exec, exec, s[6:7]
	s_cbranch_execz .LBB1_11854
; %bb.47695:
	s_getpc_b64 s[14:15]
.Lpost_getpc9511:
	s_add_u32 s14, s14, (.LBB1_26192-.Lpost_getpc9511)&4294967295
	s_addc_u32 s15, s15, (.LBB1_26192-.Lpost_getpc9511)>>32
	s_setpc_b64 s[14:15]
.LBB1_11854:
	s_or_b64 exec, exec, s[6:7]
	s_and_saveexec_b64 s[6:7], s[4:5]
	s_cbranch_execz .LBB1_11856
.LBB1_11855:
	v_bfe_u32 v6, v4, 8, 3
	v_ffbh_u32_e32 v12, v6
	v_min_u32_e32 v12, 32, v12
	v_lshrrev_b16_e32 v7, 3, v3
	v_subrev_u32_e32 v13, 28, v12
	v_and_b32_e32 v7, 15, v7
	v_lshlrev_b32_e32 v3, v13, v3
	v_sub_u32_e32 v12, 29, v12
	v_and_b32_e32 v3, 7, v3
	v_cmp_eq_u16_e32 vcc, 0, v7
	v_cndmask_b32_e32 v3, v6, v3, vcc
	v_cndmask_b32_e32 v6, v7, v12, vcc
	v_lshlrev_b32_e32 v7, 16, v4
	v_mov_b32_e32 v12, 0x3b800000
	v_lshlrev_b32_e32 v3, 20, v3
	v_and_b32_e32 v7, 0x80000000, v7
	v_lshl_add_u32 v6, v6, 23, v12
	v_or3_b32 v6, v7, v6, v3
.LBB1_11856:
	s_or_b64 exec, exec, s[6:7]
	s_nop 0
	v_mfma_f32_16x16x4f32 a[0:3], v2, v6, a[0:3]
	s_movk_i32 s4, 0xff
	v_and_b32_sdwa v3, v8, s4 dst_sel:DWORD dst_unused:UNUSED_PAD src0_sel:WORD_1 src1_sel:DWORD
	s_movk_i32 s4, 0x7f
	v_cmp_lt_i16_e32 vcc, s4, v3
	s_mov_b64 s[4:5], 0
                                        ; implicit-def: $sgpr10
	s_and_saveexec_b64 s[6:7], vcc
	s_xor_b64 s[6:7], exec, s[6:7]
	s_cbranch_execz .LBB1_11857
; %bb.47697:
	s_getpc_b64 s[14:15]
.Lpost_getpc9512:
	s_add_u32 s14, s14, (.LBB1_26193-.Lpost_getpc9512)&4294967295
	s_addc_u32 s15, s15, (.LBB1_26193-.Lpost_getpc9512)>>32
	s_setpc_b64 s[14:15]
.LBB1_11857:
	s_or_saveexec_b64 s[6:7], s[6:7]
	v_mov_b32_e32 v2, s10
	s_xor_b64 exec, exec, s[6:7]
	s_cbranch_execz .LBB1_11858
; %bb.47699:
	s_getpc_b64 s[14:15]
.Lpost_getpc9513:
	s_add_u32 s14, s14, (.LBB1_26196-.Lpost_getpc9513)&4294967295
	s_addc_u32 s15, s15, (.LBB1_26196-.Lpost_getpc9513)>>32
	s_setpc_b64 s[14:15]
.LBB1_11858:
	s_or_b64 exec, exec, s[6:7]
	s_and_saveexec_b64 s[6:7], s[4:5]
	s_cbranch_execz .LBB1_11860
.LBB1_11859:
	v_bfe_u32 v2, v8, 16, 3
	v_ffbh_u32_e32 v7, v2
	v_min_u32_e32 v7, 32, v7
	v_lshrrev_b32_e32 v3, 19, v8
	v_subrev_u32_e32 v12, 28, v7
	v_and_b32_e32 v3, 15, v3
	v_lshlrev_b32_sdwa v12, v12, v8 dst_sel:DWORD dst_unused:UNUSED_PAD src0_sel:DWORD src1_sel:WORD_1
	v_bfe_u32 v6, v8, 19, 4
	v_sub_u32_e32 v7, 29, v7
	v_and_b32_e32 v12, 7, v12
	v_cmp_eq_u16_e32 vcc, 0, v3
	v_cndmask_b32_e32 v2, v2, v12, vcc
	v_cndmask_b32_e32 v3, v6, v7, vcc
	v_lshlrev_b32_e32 v6, 8, v8
	v_mov_b32_e32 v7, 0x3b800000
	v_lshlrev_b32_e32 v2, 20, v2
	v_and_b32_e32 v6, 0x80000000, v6
	v_lshl_add_u32 v3, v3, 23, v7
	v_or3_b32 v2, v6, v3, v2
.LBB1_11860:
	s_or_b64 exec, exec, s[6:7]
	s_movk_i32 s4, 0xff
	v_and_b32_sdwa v3, v4, s4 dst_sel:DWORD dst_unused:UNUSED_PAD src0_sel:WORD_1 src1_sel:DWORD
	s_movk_i32 s4, 0x7f
	v_cmp_lt_i16_e32 vcc, s4, v3
	s_mov_b64 s[4:5], 0
                                        ; implicit-def: $sgpr10
	s_and_saveexec_b64 s[6:7], vcc
	s_xor_b64 s[6:7], exec, s[6:7]
	s_cbranch_execz .LBB1_11861
; %bb.47701:
	s_getpc_b64 s[14:15]
.Lpost_getpc9514:
	s_add_u32 s14, s14, (.LBB1_26197-.Lpost_getpc9514)&4294967295
	s_addc_u32 s15, s15, (.LBB1_26197-.Lpost_getpc9514)>>32
	s_setpc_b64 s[14:15]
.LBB1_11861:
	s_or_saveexec_b64 s[6:7], s[6:7]
	v_mov_b32_e32 v6, s10
	s_xor_b64 exec, exec, s[6:7]
	s_cbranch_execz .LBB1_11862
; %bb.47703:
	s_getpc_b64 s[14:15]
.Lpost_getpc9515:
	s_add_u32 s14, s14, (.LBB1_26200-.Lpost_getpc9515)&4294967295
	s_addc_u32 s15, s15, (.LBB1_26200-.Lpost_getpc9515)>>32
	s_setpc_b64 s[14:15]
.LBB1_11862:
	s_or_b64 exec, exec, s[6:7]
	s_and_saveexec_b64 s[6:7], s[4:5]
	s_cbranch_execz .LBB1_11864
.LBB1_11863:
	v_bfe_u32 v3, v4, 16, 3
	v_ffbh_u32_e32 v12, v3
	v_min_u32_e32 v12, 32, v12
	v_lshrrev_b32_e32 v6, 19, v4
	v_subrev_u32_e32 v13, 28, v12
	v_and_b32_e32 v6, 15, v6
	v_lshlrev_b32_sdwa v13, v13, v4 dst_sel:DWORD dst_unused:UNUSED_PAD src0_sel:DWORD src1_sel:WORD_1
	v_bfe_u32 v7, v4, 19, 4
	v_sub_u32_e32 v12, 29, v12
	v_and_b32_e32 v13, 7, v13
	v_cmp_eq_u16_e32 vcc, 0, v6
	v_cndmask_b32_e32 v3, v3, v13, vcc
	v_cndmask_b32_e32 v6, v7, v12, vcc
	v_lshlrev_b32_e32 v7, 8, v4
	v_mov_b32_e32 v12, 0x3b800000
	v_lshlrev_b32_e32 v3, 20, v3
	v_and_b32_e32 v7, 0x80000000, v7
	v_lshl_add_u32 v6, v6, 23, v12
	v_or3_b32 v6, v7, v6, v3
.LBB1_11864:
	s_or_b64 exec, exec, s[6:7]
	s_nop 0
	v_mfma_f32_16x16x4f32 a[0:3], v2, v6, a[0:3]
	s_movk_i32 s4, 0x7f
	v_cmp_gt_i16_sdwa s[6:7], v8, s4 src0_sel:BYTE_3 src1_sel:DWORD
	s_mov_b64 s[4:5], 0
                                        ; implicit-def: $sgpr10
	s_and_saveexec_b64 s[8:9], s[6:7]
	s_xor_b64 s[6:7], exec, s[8:9]
	s_cbranch_execz .LBB1_11865
; %bb.47705:
	s_getpc_b64 s[14:15]
.Lpost_getpc9516:
	s_add_u32 s14, s14, (.LBB1_26201-.Lpost_getpc9516)&4294967295
	s_addc_u32 s15, s15, (.LBB1_26201-.Lpost_getpc9516)>>32
	s_setpc_b64 s[14:15]
.LBB1_11865:
	s_or_saveexec_b64 s[6:7], s[6:7]
	v_mov_b32_e32 v2, s10
	s_xor_b64 exec, exec, s[6:7]
	s_cbranch_execz .LBB1_11866
; %bb.47707:
	s_getpc_b64 s[14:15]
.Lpost_getpc9517:
	s_add_u32 s14, s14, (.LBB1_26204-.Lpost_getpc9517)&4294967295
	s_addc_u32 s15, s15, (.LBB1_26204-.Lpost_getpc9517)>>32
	s_setpc_b64 s[14:15]
.LBB1_11866:
	s_or_b64 exec, exec, s[6:7]
	s_and_saveexec_b64 s[6:7], s[4:5]
	s_cbranch_execz .LBB1_11868
.LBB1_11867:
	v_bfe_u32 v2, v8, 24, 3
	v_ffbh_u32_e32 v12, v2
	v_min_u32_e32 v12, 32, v12
	v_lshrrev_b32_e32 v6, 27, v8
	v_subrev_u32_e32 v13, 28, v12
	v_and_b32_e32 v3, 0x80000000, v8
	v_and_b32_e32 v6, 15, v6
	v_bfe_u32 v7, v8, 27, 4
	v_lshlrev_b32_sdwa v8, v13, v8 dst_sel:DWORD dst_unused:UNUSED_PAD src0_sel:DWORD src1_sel:BYTE_3
	v_sub_u32_e32 v12, 29, v12
	v_and_b32_e32 v8, 7, v8
	v_cmp_eq_u16_e32 vcc, 0, v6
	v_cndmask_b32_e32 v2, v2, v8, vcc
	v_cndmask_b32_e32 v6, v7, v12, vcc
	v_mov_b32_e32 v7, 0x3b800000
	v_lshlrev_b32_e32 v2, 20, v2
	v_lshl_add_u32 v6, v6, 23, v7
	v_or3_b32 v2, v3, v6, v2
.LBB1_11868:
	s_or_b64 exec, exec, s[6:7]
	s_movk_i32 s4, 0x7f
	v_cmp_gt_i16_sdwa s[6:7], v4, s4 src0_sel:BYTE_3 src1_sel:DWORD
	s_mov_b64 s[4:5], 0
                                        ; implicit-def: $sgpr10
	s_and_saveexec_b64 s[8:9], s[6:7]
	s_xor_b64 s[6:7], exec, s[8:9]
	s_cbranch_execz .LBB1_11869
; %bb.47709:
	s_getpc_b64 s[14:15]
.Lpost_getpc9518:
	s_add_u32 s14, s14, (.LBB1_26205-.Lpost_getpc9518)&4294967295
	s_addc_u32 s15, s15, (.LBB1_26205-.Lpost_getpc9518)>>32
	s_setpc_b64 s[14:15]
.LBB1_11869:
	s_or_saveexec_b64 s[6:7], s[6:7]
	v_mov_b32_e32 v3, s10
	s_xor_b64 exec, exec, s[6:7]
	s_cbranch_execz .LBB1_11870
; %bb.47711:
	s_getpc_b64 s[14:15]
.Lpost_getpc9519:
	s_add_u32 s14, s14, (.LBB1_26208-.Lpost_getpc9519)&4294967295
	s_addc_u32 s15, s15, (.LBB1_26208-.Lpost_getpc9519)>>32
	s_setpc_b64 s[14:15]
.LBB1_11870:
	s_or_b64 exec, exec, s[6:7]
	s_and_saveexec_b64 s[6:7], s[4:5]
	s_cbranch_execz .LBB1_11872
.LBB1_11871:
	v_bfe_u32 v3, v4, 24, 3
	v_ffbh_u32_e32 v12, v3
	v_min_u32_e32 v12, 32, v12
	v_lshrrev_b32_e32 v7, 27, v4
	v_subrev_u32_e32 v13, 28, v12
	v_and_b32_e32 v6, 0x80000000, v4
	v_and_b32_e32 v7, 15, v7
	v_bfe_u32 v8, v4, 27, 4
	v_lshlrev_b32_sdwa v4, v13, v4 dst_sel:DWORD dst_unused:UNUSED_PAD src0_sel:DWORD src1_sel:BYTE_3
	v_sub_u32_e32 v12, 29, v12
	v_and_b32_e32 v4, 7, v4
	v_cmp_eq_u16_e32 vcc, 0, v7
	v_cndmask_b32_e32 v3, v3, v4, vcc
	v_cndmask_b32_e32 v4, v8, v12, vcc
	v_mov_b32_e32 v7, 0x3b800000
	v_lshlrev_b32_e32 v3, 20, v3
	v_lshl_add_u32 v4, v4, 23, v7
	v_or3_b32 v3, v6, v4, v3
.LBB1_11872:
	s_or_b64 exec, exec, s[6:7]
	s_nop 0
	v_mfma_f32_16x16x4f32 a[0:3], v2, v3, a[0:3]
	s_movk_i32 s4, 0x7f
	v_cmp_gt_i16_sdwa s[6:7], v9, s4 src0_sel:BYTE_0 src1_sel:DWORD
	s_mov_b64 s[4:5], 0
                                        ; implicit-def: $sgpr10
	s_and_saveexec_b64 s[8:9], s[6:7]
	s_xor_b64 s[6:7], exec, s[8:9]
	s_cbranch_execz .LBB1_11873
; %bb.47713:
	s_getpc_b64 s[14:15]
.Lpost_getpc9520:
	s_add_u32 s14, s14, (.LBB1_26209-.Lpost_getpc9520)&4294967295
	s_addc_u32 s15, s15, (.LBB1_26209-.Lpost_getpc9520)>>32
	s_setpc_b64 s[14:15]
.LBB1_11873:
	s_or_saveexec_b64 s[6:7], s[6:7]
	v_mov_b32_e32 v2, s10
	s_xor_b64 exec, exec, s[6:7]
	s_cbranch_execz .LBB1_11874
; %bb.47715:
	s_getpc_b64 s[14:15]
.Lpost_getpc9521:
	s_add_u32 s14, s14, (.LBB1_26212-.Lpost_getpc9521)&4294967295
	s_addc_u32 s15, s15, (.LBB1_26212-.Lpost_getpc9521)>>32
	s_setpc_b64 s[14:15]
.LBB1_11874:
	s_or_b64 exec, exec, s[6:7]
	s_and_saveexec_b64 s[6:7], s[4:5]
	s_cbranch_execz .LBB1_11876
.LBB1_11875:
	v_mov_b32_e32 v2, 8
	v_and_b32_e32 v3, 7, v9
	v_lshrrev_b32_sdwa v2, v2, v9 dst_sel:BYTE_1 dst_unused:UNUSED_PAD src0_sel:DWORD src1_sel:DWORD
	v_ffbh_u32_e32 v4, v3
	v_or_b32_sdwa v2, v9, v2 dst_sel:DWORD dst_unused:UNUSED_PAD src0_sel:BYTE_0 src1_sel:DWORD
	v_min_u32_e32 v4, 32, v4
	v_lshrrev_b16_e32 v2, 3, v2
	v_subrev_u32_e32 v6, 28, v4
	v_and_b32_e32 v2, 15, v2
	v_lshlrev_b32_e32 v6, v6, v9
	v_sub_u32_e32 v4, 29, v4
	v_and_b32_e32 v6, 7, v6
	v_cmp_eq_u16_e32 vcc, 0, v2
	v_cndmask_b32_e32 v3, v3, v6, vcc
	v_cndmask_b32_e32 v2, v2, v4, vcc
	v_lshlrev_b32_e32 v4, 24, v9
	v_mov_b32_e32 v6, 0x3b800000
	v_lshlrev_b32_e32 v3, 20, v3
	v_and_b32_e32 v4, 0x80000000, v4
	v_lshl_add_u32 v2, v2, 23, v6
	v_or3_b32 v2, v4, v2, v3
.LBB1_11876:
	s_or_b64 exec, exec, s[6:7]
	s_movk_i32 s4, 0x7f
	v_cmp_gt_i16_sdwa s[6:7], v5, s4 src0_sel:BYTE_0 src1_sel:DWORD
	s_mov_b64 s[4:5], 0
                                        ; implicit-def: $sgpr10
	s_and_saveexec_b64 s[8:9], s[6:7]
	s_xor_b64 s[6:7], exec, s[8:9]
	s_cbranch_execz .LBB1_11877
; %bb.47717:
	s_getpc_b64 s[14:15]
.Lpost_getpc9522:
	s_add_u32 s14, s14, (.LBB1_26213-.Lpost_getpc9522)&4294967295
	s_addc_u32 s15, s15, (.LBB1_26213-.Lpost_getpc9522)>>32
	s_setpc_b64 s[14:15]
.LBB1_11877:
	s_or_saveexec_b64 s[6:7], s[6:7]
	v_mov_b32_e32 v3, s10
	s_xor_b64 exec, exec, s[6:7]
	s_cbranch_execz .LBB1_11878
; %bb.47719:
	s_getpc_b64 s[14:15]
.Lpost_getpc9523:
	s_add_u32 s14, s14, (.LBB1_26216-.Lpost_getpc9523)&4294967295
	s_addc_u32 s15, s15, (.LBB1_26216-.Lpost_getpc9523)>>32
	s_setpc_b64 s[14:15]
.LBB1_11878:
	s_or_b64 exec, exec, s[6:7]
	s_and_saveexec_b64 s[6:7], s[4:5]
	s_cbranch_execz .LBB1_11880
.LBB1_11879:
	v_mov_b32_e32 v3, 8
	v_and_b32_e32 v4, 7, v5
	v_lshrrev_b32_sdwa v3, v3, v5 dst_sel:BYTE_1 dst_unused:UNUSED_PAD src0_sel:DWORD src1_sel:DWORD
	v_ffbh_u32_e32 v6, v4
	v_or_b32_sdwa v3, v5, v3 dst_sel:DWORD dst_unused:UNUSED_PAD src0_sel:BYTE_0 src1_sel:DWORD
	v_min_u32_e32 v6, 32, v6
	v_lshrrev_b16_e32 v3, 3, v3
	v_subrev_u32_e32 v7, 28, v6
	v_and_b32_e32 v3, 15, v3
	v_lshlrev_b32_e32 v7, v7, v5
	v_sub_u32_e32 v6, 29, v6
	v_and_b32_e32 v7, 7, v7
	v_cmp_eq_u16_e32 vcc, 0, v3
	v_cndmask_b32_e32 v4, v4, v7, vcc
	v_cndmask_b32_e32 v3, v3, v6, vcc
	v_lshlrev_b32_e32 v6, 24, v5
	v_mov_b32_e32 v7, 0x3b800000
	v_lshlrev_b32_e32 v4, 20, v4
	v_and_b32_e32 v6, 0x80000000, v6
	v_lshl_add_u32 v3, v3, 23, v7
	v_or3_b32 v3, v6, v3, v4
.LBB1_11880:
	s_or_b64 exec, exec, s[6:7]
	s_nop 0
	v_mfma_f32_16x16x4f32 a[0:3], v2, v3, a[0:3]
	v_lshrrev_b32_e32 v3, 8, v9
	s_movk_i32 s4, 0x7f
	v_cmp_gt_i16_sdwa s[6:7], v3, s4 src0_sel:BYTE_0 src1_sel:DWORD
	s_mov_b64 s[4:5], 0
                                        ; implicit-def: $sgpr10
	s_and_saveexec_b64 s[8:9], s[6:7]
	s_xor_b64 s[6:7], exec, s[8:9]
	s_cbranch_execz .LBB1_11881
; %bb.47721:
	s_getpc_b64 s[14:15]
.Lpost_getpc9524:
	s_add_u32 s14, s14, (.LBB1_26217-.Lpost_getpc9524)&4294967295
	s_addc_u32 s15, s15, (.LBB1_26217-.Lpost_getpc9524)>>32
	s_setpc_b64 s[14:15]
.LBB1_11881:
	s_or_saveexec_b64 s[6:7], s[6:7]
	v_mov_b32_e32 v2, s10
	s_xor_b64 exec, exec, s[6:7]
	s_cbranch_execz .LBB1_11882
; %bb.47723:
	s_getpc_b64 s[14:15]
.Lpost_getpc9525:
	s_add_u32 s14, s14, (.LBB1_26220-.Lpost_getpc9525)&4294967295
	s_addc_u32 s15, s15, (.LBB1_26220-.Lpost_getpc9525)>>32
	s_setpc_b64 s[14:15]
.LBB1_11882:
	s_or_b64 exec, exec, s[6:7]
	s_and_saveexec_b64 s[6:7], s[4:5]
	s_cbranch_execz .LBB1_11884
.LBB1_11883:
	v_bfe_u32 v2, v9, 8, 3
	v_ffbh_u32_e32 v6, v2
	v_min_u32_e32 v6, 32, v6
	v_lshrrev_b16_e32 v4, 3, v3
	v_subrev_u32_e32 v7, 28, v6
	v_and_b32_e32 v4, 15, v4
	v_lshlrev_b32_e32 v3, v7, v3
	v_sub_u32_e32 v6, 29, v6
	v_and_b32_e32 v3, 7, v3
	v_cmp_eq_u16_e32 vcc, 0, v4
	v_cndmask_b32_e32 v2, v2, v3, vcc
	v_cndmask_b32_e32 v3, v4, v6, vcc
	v_lshlrev_b32_e32 v4, 16, v9
	v_mov_b32_e32 v6, 0x3b800000
	v_lshlrev_b32_e32 v2, 20, v2
	v_and_b32_e32 v4, 0x80000000, v4
	v_lshl_add_u32 v3, v3, 23, v6
	v_or3_b32 v2, v4, v3, v2
.LBB1_11884:
	s_or_b64 exec, exec, s[6:7]
	v_lshrrev_b32_e32 v3, 8, v5
	s_movk_i32 s4, 0x7f
	v_cmp_gt_i16_sdwa s[6:7], v3, s4 src0_sel:BYTE_0 src1_sel:DWORD
	s_mov_b64 s[4:5], 0
                                        ; implicit-def: $sgpr10
	s_and_saveexec_b64 s[8:9], s[6:7]
	s_xor_b64 s[6:7], exec, s[8:9]
	s_cbranch_execz .LBB1_11885
; %bb.47725:
	s_getpc_b64 s[14:15]
.Lpost_getpc9526:
	s_add_u32 s14, s14, (.LBB1_26221-.Lpost_getpc9526)&4294967295
	s_addc_u32 s15, s15, (.LBB1_26221-.Lpost_getpc9526)>>32
	s_setpc_b64 s[14:15]
.LBB1_11885:
	s_or_saveexec_b64 s[6:7], s[6:7]
	v_mov_b32_e32 v4, s10
	s_xor_b64 exec, exec, s[6:7]
	s_cbranch_execz .LBB1_11886
; %bb.47727:
	s_getpc_b64 s[14:15]
.Lpost_getpc9527:
	s_add_u32 s14, s14, (.LBB1_26224-.Lpost_getpc9527)&4294967295
	s_addc_u32 s15, s15, (.LBB1_26224-.Lpost_getpc9527)>>32
	s_setpc_b64 s[14:15]
.LBB1_11886:
	s_or_b64 exec, exec, s[6:7]
	s_and_saveexec_b64 s[6:7], s[4:5]
	s_cbranch_execz .LBB1_11888
.LBB1_11887:
	v_bfe_u32 v4, v5, 8, 3
	v_ffbh_u32_e32 v7, v4
	v_min_u32_e32 v7, 32, v7
	v_lshrrev_b16_e32 v6, 3, v3
	v_subrev_u32_e32 v8, 28, v7
	v_and_b32_e32 v6, 15, v6
	v_lshlrev_b32_e32 v3, v8, v3
	v_sub_u32_e32 v7, 29, v7
	v_and_b32_e32 v3, 7, v3
	v_cmp_eq_u16_e32 vcc, 0, v6
	v_cndmask_b32_e32 v3, v4, v3, vcc
	v_cndmask_b32_e32 v4, v6, v7, vcc
	v_lshlrev_b32_e32 v6, 16, v5
	v_mov_b32_e32 v7, 0x3b800000
	v_lshlrev_b32_e32 v3, 20, v3
	v_and_b32_e32 v6, 0x80000000, v6
	v_lshl_add_u32 v4, v4, 23, v7
	v_or3_b32 v4, v6, v4, v3
.LBB1_11888:
	s_or_b64 exec, exec, s[6:7]
	s_nop 0
	v_mfma_f32_16x16x4f32 a[0:3], v2, v4, a[0:3]
	s_movk_i32 s4, 0xff
	v_and_b32_sdwa v3, v9, s4 dst_sel:DWORD dst_unused:UNUSED_PAD src0_sel:WORD_1 src1_sel:DWORD
	s_movk_i32 s4, 0x7f
	v_cmp_lt_i16_e32 vcc, s4, v3
	s_mov_b64 s[4:5], 0
                                        ; implicit-def: $sgpr10
	s_and_saveexec_b64 s[6:7], vcc
	s_xor_b64 s[6:7], exec, s[6:7]
	s_cbranch_execz .LBB1_11889
; %bb.47729:
	s_getpc_b64 s[14:15]
.Lpost_getpc9528:
	s_add_u32 s14, s14, (.LBB1_26225-.Lpost_getpc9528)&4294967295
	s_addc_u32 s15, s15, (.LBB1_26225-.Lpost_getpc9528)>>32
	s_setpc_b64 s[14:15]
.LBB1_11889:
	s_or_saveexec_b64 s[6:7], s[6:7]
	v_mov_b32_e32 v2, s10
	s_xor_b64 exec, exec, s[6:7]
	s_cbranch_execz .LBB1_11890
; %bb.47731:
	s_getpc_b64 s[14:15]
.Lpost_getpc9529:
	s_add_u32 s14, s14, (.LBB1_26228-.Lpost_getpc9529)&4294967295
	s_addc_u32 s15, s15, (.LBB1_26228-.Lpost_getpc9529)>>32
	s_setpc_b64 s[14:15]
.LBB1_11890:
	s_or_b64 exec, exec, s[6:7]
	s_and_saveexec_b64 s[6:7], s[4:5]
	s_cbranch_execz .LBB1_11892
.LBB1_11891:
	v_bfe_u32 v2, v9, 16, 3
	v_ffbh_u32_e32 v6, v2
	v_min_u32_e32 v6, 32, v6
	v_lshrrev_b32_e32 v3, 19, v9
	v_subrev_u32_e32 v7, 28, v6
	v_and_b32_e32 v3, 15, v3
	v_lshlrev_b32_sdwa v7, v7, v9 dst_sel:DWORD dst_unused:UNUSED_PAD src0_sel:DWORD src1_sel:WORD_1
	v_bfe_u32 v4, v9, 19, 4
	v_sub_u32_e32 v6, 29, v6
	v_and_b32_e32 v7, 7, v7
	v_cmp_eq_u16_e32 vcc, 0, v3
	v_cndmask_b32_e32 v2, v2, v7, vcc
	v_cndmask_b32_e32 v3, v4, v6, vcc
	v_lshlrev_b32_e32 v4, 8, v9
	v_mov_b32_e32 v6, 0x3b800000
	v_lshlrev_b32_e32 v2, 20, v2
	v_and_b32_e32 v4, 0x80000000, v4
	v_lshl_add_u32 v3, v3, 23, v6
	v_or3_b32 v2, v4, v3, v2
.LBB1_11892:
	s_or_b64 exec, exec, s[6:7]
	s_movk_i32 s4, 0xff
	v_and_b32_sdwa v3, v5, s4 dst_sel:DWORD dst_unused:UNUSED_PAD src0_sel:WORD_1 src1_sel:DWORD
	s_movk_i32 s4, 0x7f
	v_cmp_lt_i16_e32 vcc, s4, v3
	s_mov_b64 s[4:5], 0
                                        ; implicit-def: $sgpr10
	s_and_saveexec_b64 s[6:7], vcc
	s_xor_b64 s[6:7], exec, s[6:7]
	s_cbranch_execz .LBB1_11893
; %bb.47733:
	s_getpc_b64 s[14:15]
.Lpost_getpc9530:
	s_add_u32 s14, s14, (.LBB1_26229-.Lpost_getpc9530)&4294967295
	s_addc_u32 s15, s15, (.LBB1_26229-.Lpost_getpc9530)>>32
	s_setpc_b64 s[14:15]
.LBB1_11893:
	s_or_saveexec_b64 s[6:7], s[6:7]
	v_mov_b32_e32 v4, s10
	s_xor_b64 exec, exec, s[6:7]
	s_cbranch_execz .LBB1_11894
; %bb.47735:
	s_getpc_b64 s[14:15]
.Lpost_getpc9531:
	s_add_u32 s14, s14, (.LBB1_26232-.Lpost_getpc9531)&4294967295
	s_addc_u32 s15, s15, (.LBB1_26232-.Lpost_getpc9531)>>32
	s_setpc_b64 s[14:15]
.LBB1_11894:
	s_or_b64 exec, exec, s[6:7]
	s_and_saveexec_b64 s[6:7], s[4:5]
	s_cbranch_execz .LBB1_11896
.LBB1_11895:
	v_bfe_u32 v3, v5, 16, 3
	v_ffbh_u32_e32 v7, v3
	v_min_u32_e32 v7, 32, v7
	v_lshrrev_b32_e32 v4, 19, v5
	v_subrev_u32_e32 v8, 28, v7
	v_and_b32_e32 v4, 15, v4
	v_lshlrev_b32_sdwa v8, v8, v5 dst_sel:DWORD dst_unused:UNUSED_PAD src0_sel:DWORD src1_sel:WORD_1
	v_bfe_u32 v6, v5, 19, 4
	v_sub_u32_e32 v7, 29, v7
	v_and_b32_e32 v8, 7, v8
	v_cmp_eq_u16_e32 vcc, 0, v4
	v_cndmask_b32_e32 v3, v3, v8, vcc
	v_cndmask_b32_e32 v4, v6, v7, vcc
	v_lshlrev_b32_e32 v6, 8, v5
	v_mov_b32_e32 v7, 0x3b800000
	v_lshlrev_b32_e32 v3, 20, v3
	v_and_b32_e32 v6, 0x80000000, v6
	v_lshl_add_u32 v4, v4, 23, v7
	v_or3_b32 v4, v6, v4, v3
.LBB1_11896:
	s_or_b64 exec, exec, s[6:7]
	s_nop 0
	v_mfma_f32_16x16x4f32 a[0:3], v2, v4, a[0:3]
	s_movk_i32 s4, 0x7f
	v_cmp_gt_i16_sdwa s[6:7], v9, s4 src0_sel:BYTE_3 src1_sel:DWORD
	s_mov_b64 s[4:5], 0
                                        ; implicit-def: $sgpr10
	s_and_saveexec_b64 s[8:9], s[6:7]
	s_xor_b64 s[6:7], exec, s[8:9]
	s_cbranch_execz .LBB1_11897
; %bb.47737:
	s_getpc_b64 s[14:15]
.Lpost_getpc9532:
	s_add_u32 s14, s14, (.LBB1_26233-.Lpost_getpc9532)&4294967295
	s_addc_u32 s15, s15, (.LBB1_26233-.Lpost_getpc9532)>>32
	s_setpc_b64 s[14:15]
.LBB1_11897:
	s_or_saveexec_b64 s[6:7], s[6:7]
	v_mov_b32_e32 v2, s10
	s_xor_b64 exec, exec, s[6:7]
	s_cbranch_execz .LBB1_11898
; %bb.47739:
	s_getpc_b64 s[14:15]
.Lpost_getpc9533:
	s_add_u32 s14, s14, (.LBB1_26236-.Lpost_getpc9533)&4294967295
	s_addc_u32 s15, s15, (.LBB1_26236-.Lpost_getpc9533)>>32
	s_setpc_b64 s[14:15]
.LBB1_11898:
	s_or_b64 exec, exec, s[6:7]
	s_and_saveexec_b64 s[6:7], s[4:5]
	s_cbranch_execz .LBB1_11900
.LBB1_11899:
	v_bfe_u32 v2, v9, 24, 3
	v_ffbh_u32_e32 v7, v2
	v_min_u32_e32 v7, 32, v7
	v_lshrrev_b32_e32 v4, 27, v9
	v_subrev_u32_e32 v8, 28, v7
	v_and_b32_e32 v4, 15, v4
	v_lshlrev_b32_sdwa v8, v8, v9 dst_sel:DWORD dst_unused:UNUSED_PAD src0_sel:DWORD src1_sel:BYTE_3
	v_bfe_u32 v6, v9, 27, 4
	v_sub_u32_e32 v7, 29, v7
	v_and_b32_e32 v8, 7, v8
	v_cmp_eq_u16_e32 vcc, 0, v4
	v_cndmask_b32_e32 v2, v2, v8, vcc
	v_cndmask_b32_e32 v4, v6, v7, vcc
	v_mov_b32_e32 v6, 0x3b800000
	v_and_b32_e32 v3, 0x80000000, v9
	v_lshlrev_b32_e32 v2, 20, v2
	v_lshl_add_u32 v4, v4, 23, v6
	v_or3_b32 v2, v3, v4, v2
.LBB1_11900:
	s_or_b64 exec, exec, s[6:7]
	s_movk_i32 s4, 0x7f
	v_cmp_gt_i16_sdwa s[6:7], v5, s4 src0_sel:BYTE_3 src1_sel:DWORD
	s_mov_b64 s[4:5], 0
                                        ; implicit-def: $sgpr10
	s_and_saveexec_b64 s[8:9], s[6:7]
	s_xor_b64 s[6:7], exec, s[8:9]
	s_cbranch_execz .LBB1_11901
; %bb.47741:
	s_getpc_b64 s[14:15]
.Lpost_getpc9534:
	s_add_u32 s14, s14, (.LBB1_26237-.Lpost_getpc9534)&4294967295
	s_addc_u32 s15, s15, (.LBB1_26237-.Lpost_getpc9534)>>32
	s_setpc_b64 s[14:15]
.LBB1_11901:
	s_or_saveexec_b64 s[6:7], s[6:7]
	v_mov_b32_e32 v3, s10
	s_xor_b64 exec, exec, s[6:7]
	s_cbranch_execz .LBB1_11902
; %bb.47743:
	s_getpc_b64 s[14:15]
.Lpost_getpc9535:
	s_add_u32 s14, s14, (.LBB1_26240-.Lpost_getpc9535)&4294967295
	s_addc_u32 s15, s15, (.LBB1_26240-.Lpost_getpc9535)>>32
	s_setpc_b64 s[14:15]
.LBB1_11902:
	s_or_b64 exec, exec, s[6:7]
	s_and_saveexec_b64 s[6:7], s[4:5]
	s_cbranch_execz .LBB1_11904
.LBB1_11903:
	v_bfe_u32 v3, v5, 24, 3
	v_ffbh_u32_e32 v8, v3
	v_min_u32_e32 v8, 32, v8
	v_lshrrev_b32_e32 v6, 27, v5
	v_subrev_u32_e32 v9, 28, v8
	v_and_b32_e32 v4, 0x80000000, v5
	v_and_b32_e32 v6, 15, v6
	v_bfe_u32 v7, v5, 27, 4
	v_lshlrev_b32_sdwa v5, v9, v5 dst_sel:DWORD dst_unused:UNUSED_PAD src0_sel:DWORD src1_sel:BYTE_3
	v_sub_u32_e32 v8, 29, v8
	v_and_b32_e32 v5, 7, v5
	v_cmp_eq_u16_e32 vcc, 0, v6
	v_cndmask_b32_e32 v3, v3, v5, vcc
	v_cndmask_b32_e32 v5, v7, v8, vcc
	v_mov_b32_e32 v6, 0x3b800000
	v_lshlrev_b32_e32 v3, 20, v3
	v_lshl_add_u32 v5, v5, 23, v6
	v_or3_b32 v3, v4, v5, v3
.LBB1_11904:
	s_or_b64 exec, exec, s[6:7]
	s_nop 0
	v_mfma_f32_16x16x4f32 a[0:3], v2, v3, a[0:3]
	s_movk_i32 s4, 0x7f
                                        ; implicit-def: $sgpr10
	s_nop 7
	s_nop 1
	flat_store_dwordx4 v[10:11], a[0:3] offset:576
	flat_load_dwordx4 v[12:15], v[0:1]
	s_nop 0
	flat_load_dwordx2 v[10:11], v[0:1] offset:16
	s_waitcnt vmcnt(0) lgkmcnt(0)
	flat_load_dwordx4 v[6:9], v[12:13] offset:176
	flat_load_dwordx4 v[2:5], v[14:15] offset:208
	s_waitcnt vmcnt(0) lgkmcnt(0)
	v_cmp_gt_i16_sdwa s[6:7], v6, s4 src0_sel:BYTE_0 src1_sel:DWORD
	s_mov_b64 s[4:5], 0
	s_and_saveexec_b64 s[8:9], s[6:7]
	s_xor_b64 s[6:7], exec, s[8:9]
	s_cbranch_execz .LBB1_11905
; %bb.47745:
	s_getpc_b64 s[14:15]
.Lpost_getpc9536:
	s_add_u32 s14, s14, (.LBB1_26241-.Lpost_getpc9536)&4294967295
	s_addc_u32 s15, s15, (.LBB1_26241-.Lpost_getpc9536)>>32
	s_setpc_b64 s[14:15]
.LBB1_11905:
	s_or_saveexec_b64 s[6:7], s[6:7]
	v_mov_b32_e32 v12, s10
	s_xor_b64 exec, exec, s[6:7]
	s_cbranch_execz .LBB1_11906
; %bb.47747:
	s_getpc_b64 s[14:15]
.Lpost_getpc9537:
	s_add_u32 s14, s14, (.LBB1_26244-.Lpost_getpc9537)&4294967295
	s_addc_u32 s15, s15, (.LBB1_26244-.Lpost_getpc9537)>>32
	s_setpc_b64 s[14:15]
.LBB1_11906:
	s_or_b64 exec, exec, s[6:7]
	s_and_saveexec_b64 s[6:7], s[4:5]
	s_cbranch_execz .LBB1_11908
.LBB1_11907:
	v_and_b32_e32 v12, 7, v6
	v_ffbh_u32_e32 v14, v12
	v_min_u32_e32 v14, 32, v14
	v_lshrrev_b16_e32 v13, 3, v6
	v_subrev_u32_e32 v15, 28, v14
	v_and_b32_e32 v13, 15, v13
	v_lshlrev_b32_e32 v15, v15, v6
	v_sub_u32_e32 v14, 29, v14
	v_and_b32_e32 v15, 7, v15
	v_cmp_eq_u16_e32 vcc, 0, v13
	v_cndmask_b32_e32 v12, v12, v15, vcc
	v_cndmask_b32_e32 v13, v13, v14, vcc
	v_lshlrev_b32_e32 v14, 24, v6
	v_mov_b32_e32 v15, 0x3b800000
	v_lshlrev_b32_e32 v12, 20, v12
	v_and_b32_e32 v14, 0x80000000, v14
	v_lshl_add_u32 v13, v13, 23, v15
	v_or3_b32 v12, v14, v13, v12
.LBB1_11908:
	s_or_b64 exec, exec, s[6:7]
	s_movk_i32 s4, 0x7f
	v_cmp_gt_i16_sdwa s[6:7], v2, s4 src0_sel:BYTE_0 src1_sel:DWORD
	s_mov_b64 s[4:5], 0
                                        ; implicit-def: $sgpr10
	s_and_saveexec_b64 s[8:9], s[6:7]
	s_xor_b64 s[6:7], exec, s[8:9]
	s_cbranch_execz .LBB1_11909
; %bb.47749:
	s_getpc_b64 s[14:15]
.Lpost_getpc9538:
	s_add_u32 s14, s14, (.LBB1_26245-.Lpost_getpc9538)&4294967295
	s_addc_u32 s15, s15, (.LBB1_26245-.Lpost_getpc9538)>>32
	s_setpc_b64 s[14:15]
.LBB1_11909:
	s_or_saveexec_b64 s[6:7], s[6:7]
	v_mov_b32_e32 v13, s10
	s_xor_b64 exec, exec, s[6:7]
	s_cbranch_execz .LBB1_11910
; %bb.47751:
	s_getpc_b64 s[14:15]
.Lpost_getpc9539:
	s_add_u32 s14, s14, (.LBB1_26248-.Lpost_getpc9539)&4294967295
	s_addc_u32 s15, s15, (.LBB1_26248-.Lpost_getpc9539)>>32
	s_setpc_b64 s[14:15]
.LBB1_11910:
	s_or_b64 exec, exec, s[6:7]
	s_and_saveexec_b64 s[6:7], s[4:5]
	s_cbranch_execz .LBB1_11912
.LBB1_11911:
	v_and_b32_e32 v13, 7, v2
	v_ffbh_u32_e32 v15, v13
	v_min_u32_e32 v15, 32, v15
	v_lshrrev_b16_e32 v14, 3, v2
	v_subrev_u32_e32 v16, 28, v15
	v_and_b32_e32 v14, 15, v14
	v_lshlrev_b32_e32 v16, v16, v2
	v_sub_u32_e32 v15, 29, v15
	v_and_b32_e32 v16, 7, v16
	v_cmp_eq_u16_e32 vcc, 0, v14
	v_cndmask_b32_e32 v13, v13, v16, vcc
	v_cndmask_b32_e32 v14, v14, v15, vcc
	v_lshlrev_b32_e32 v15, 24, v2
	v_mov_b32_e32 v16, 0x3b800000
	v_lshlrev_b32_e32 v13, 20, v13
	v_and_b32_e32 v15, 0x80000000, v15
	v_lshl_add_u32 v14, v14, 23, v16
	v_or3_b32 v13, v15, v14, v13
.LBB1_11912:
	s_or_b64 exec, exec, s[6:7]
	flat_load_dwordx4 a[0:3], v[10:11] offset:592
	s_movk_i32 s4, 0x7f
                                        ; implicit-def: $sgpr10
	s_waitcnt vmcnt(0) lgkmcnt(0)
	v_mfma_f32_16x16x4f32 a[0:3], v12, v13, a[0:3]
	v_lshrrev_b32_e32 v13, 8, v6
	v_cmp_gt_i16_sdwa s[6:7], v13, s4 src0_sel:BYTE_0 src1_sel:DWORD
	s_mov_b64 s[4:5], 0
	s_and_saveexec_b64 s[8:9], s[6:7]
	s_xor_b64 s[6:7], exec, s[8:9]
	s_cbranch_execz .LBB1_11913
; %bb.47753:
	s_getpc_b64 s[14:15]
.Lpost_getpc9540:
	s_add_u32 s14, s14, (.LBB1_26249-.Lpost_getpc9540)&4294967295
	s_addc_u32 s15, s15, (.LBB1_26249-.Lpost_getpc9540)>>32
	s_setpc_b64 s[14:15]
.LBB1_11913:
	s_or_saveexec_b64 s[6:7], s[6:7]
	v_mov_b32_e32 v12, s10
	s_xor_b64 exec, exec, s[6:7]
	s_cbranch_execz .LBB1_11914
; %bb.47755:
	s_getpc_b64 s[14:15]
.Lpost_getpc9541:
	s_add_u32 s14, s14, (.LBB1_26252-.Lpost_getpc9541)&4294967295
	s_addc_u32 s15, s15, (.LBB1_26252-.Lpost_getpc9541)>>32
	s_setpc_b64 s[14:15]
.LBB1_11914:
	s_or_b64 exec, exec, s[6:7]
	s_and_saveexec_b64 s[6:7], s[4:5]
	s_cbranch_execz .LBB1_11916
.LBB1_11915:
	v_bfe_u32 v12, v6, 8, 3
	v_ffbh_u32_e32 v15, v12
	v_min_u32_e32 v15, 32, v15
	v_lshrrev_b16_e32 v14, 3, v13
	v_subrev_u32_e32 v16, 28, v15
	v_and_b32_e32 v14, 15, v14
	v_lshlrev_b32_e32 v13, v16, v13
	v_sub_u32_e32 v15, 29, v15
	v_and_b32_e32 v13, 7, v13
	v_cmp_eq_u16_e32 vcc, 0, v14
	v_cndmask_b32_e32 v12, v12, v13, vcc
	v_cndmask_b32_e32 v13, v14, v15, vcc
	v_lshlrev_b32_e32 v14, 16, v6
	v_mov_b32_e32 v15, 0x3b800000
	v_lshlrev_b32_e32 v12, 20, v12
	v_and_b32_e32 v14, 0x80000000, v14
	v_lshl_add_u32 v13, v13, 23, v15
	v_or3_b32 v12, v14, v13, v12
.LBB1_11916:
	s_or_b64 exec, exec, s[6:7]
	v_lshrrev_b32_e32 v13, 8, v2
	s_movk_i32 s4, 0x7f
	v_cmp_gt_i16_sdwa s[6:7], v13, s4 src0_sel:BYTE_0 src1_sel:DWORD
	s_mov_b64 s[4:5], 0
                                        ; implicit-def: $sgpr10
	s_and_saveexec_b64 s[8:9], s[6:7]
	s_xor_b64 s[6:7], exec, s[8:9]
	s_cbranch_execz .LBB1_11917
; %bb.47757:
	s_getpc_b64 s[14:15]
.Lpost_getpc9542:
	s_add_u32 s14, s14, (.LBB1_26253-.Lpost_getpc9542)&4294967295
	s_addc_u32 s15, s15, (.LBB1_26253-.Lpost_getpc9542)>>32
	s_setpc_b64 s[14:15]
.LBB1_11917:
	s_or_saveexec_b64 s[6:7], s[6:7]
	v_mov_b32_e32 v14, s10
	s_xor_b64 exec, exec, s[6:7]
	s_cbranch_execz .LBB1_11918
; %bb.47759:
	s_getpc_b64 s[14:15]
.Lpost_getpc9543:
	s_add_u32 s14, s14, (.LBB1_26256-.Lpost_getpc9543)&4294967295
	s_addc_u32 s15, s15, (.LBB1_26256-.Lpost_getpc9543)>>32
	s_setpc_b64 s[14:15]
.LBB1_11918:
	s_or_b64 exec, exec, s[6:7]
	s_and_saveexec_b64 s[6:7], s[4:5]
	s_cbranch_execz .LBB1_11920
.LBB1_11919:
	v_bfe_u32 v14, v2, 8, 3
	v_ffbh_u32_e32 v16, v14
	v_min_u32_e32 v16, 32, v16
	v_lshrrev_b16_e32 v15, 3, v13
	v_subrev_u32_e32 v17, 28, v16
	v_and_b32_e32 v15, 15, v15
	v_lshlrev_b32_e32 v13, v17, v13
	v_sub_u32_e32 v16, 29, v16
	v_and_b32_e32 v13, 7, v13
	v_cmp_eq_u16_e32 vcc, 0, v15
	v_cndmask_b32_e32 v13, v14, v13, vcc
	v_cndmask_b32_e32 v14, v15, v16, vcc
	v_lshlrev_b32_e32 v15, 16, v2
	v_mov_b32_e32 v16, 0x3b800000
	v_lshlrev_b32_e32 v13, 20, v13
	v_and_b32_e32 v15, 0x80000000, v15
	v_lshl_add_u32 v14, v14, 23, v16
	v_or3_b32 v14, v15, v14, v13
.LBB1_11920:
	s_or_b64 exec, exec, s[6:7]
	s_nop 0
	v_mfma_f32_16x16x4f32 a[0:3], v12, v14, a[0:3]
	s_movk_i32 s4, 0xff
	v_and_b32_sdwa v13, v6, s4 dst_sel:DWORD dst_unused:UNUSED_PAD src0_sel:WORD_1 src1_sel:DWORD
	s_movk_i32 s4, 0x7f
	v_cmp_lt_i16_e32 vcc, s4, v13
	s_mov_b64 s[4:5], 0
                                        ; implicit-def: $sgpr10
	s_and_saveexec_b64 s[6:7], vcc
	s_xor_b64 s[6:7], exec, s[6:7]
	s_cbranch_execz .LBB1_11921
; %bb.47761:
	s_getpc_b64 s[14:15]
.Lpost_getpc9544:
	s_add_u32 s14, s14, (.LBB1_26257-.Lpost_getpc9544)&4294967295
	s_addc_u32 s15, s15, (.LBB1_26257-.Lpost_getpc9544)>>32
	s_setpc_b64 s[14:15]
.LBB1_11921:
	s_or_saveexec_b64 s[6:7], s[6:7]
	v_mov_b32_e32 v12, s10
	s_xor_b64 exec, exec, s[6:7]
	s_cbranch_execz .LBB1_11922
; %bb.47763:
	s_getpc_b64 s[14:15]
.Lpost_getpc9545:
	s_add_u32 s14, s14, (.LBB1_26260-.Lpost_getpc9545)&4294967295
	s_addc_u32 s15, s15, (.LBB1_26260-.Lpost_getpc9545)>>32
	s_setpc_b64 s[14:15]
.LBB1_11922:
	s_or_b64 exec, exec, s[6:7]
	s_and_saveexec_b64 s[6:7], s[4:5]
	s_cbranch_execz .LBB1_11924
.LBB1_11923:
	v_bfe_u32 v12, v6, 16, 3
	v_ffbh_u32_e32 v15, v12
	v_min_u32_e32 v15, 32, v15
	v_lshrrev_b32_e32 v13, 19, v6
	v_subrev_u32_e32 v16, 28, v15
	v_and_b32_e32 v13, 15, v13
	v_lshlrev_b32_sdwa v16, v16, v6 dst_sel:DWORD dst_unused:UNUSED_PAD src0_sel:DWORD src1_sel:WORD_1
	v_bfe_u32 v14, v6, 19, 4
	v_sub_u32_e32 v15, 29, v15
	v_and_b32_e32 v16, 7, v16
	v_cmp_eq_u16_e32 vcc, 0, v13
	v_cndmask_b32_e32 v12, v12, v16, vcc
	v_cndmask_b32_e32 v13, v14, v15, vcc
	v_lshlrev_b32_e32 v14, 8, v6
	v_mov_b32_e32 v15, 0x3b800000
	v_lshlrev_b32_e32 v12, 20, v12
	v_and_b32_e32 v14, 0x80000000, v14
	v_lshl_add_u32 v13, v13, 23, v15
	v_or3_b32 v12, v14, v13, v12
.LBB1_11924:
	s_or_b64 exec, exec, s[6:7]
	s_movk_i32 s4, 0xff
	v_and_b32_sdwa v13, v2, s4 dst_sel:DWORD dst_unused:UNUSED_PAD src0_sel:WORD_1 src1_sel:DWORD
	s_movk_i32 s4, 0x7f
	v_cmp_lt_i16_e32 vcc, s4, v13
	s_mov_b64 s[4:5], 0
                                        ; implicit-def: $sgpr10
	s_and_saveexec_b64 s[6:7], vcc
	s_xor_b64 s[6:7], exec, s[6:7]
	s_cbranch_execz .LBB1_11925
; %bb.47765:
	s_getpc_b64 s[14:15]
.Lpost_getpc9546:
	s_add_u32 s14, s14, (.LBB1_26261-.Lpost_getpc9546)&4294967295
	s_addc_u32 s15, s15, (.LBB1_26261-.Lpost_getpc9546)>>32
	s_setpc_b64 s[14:15]
.LBB1_11925:
	s_or_saveexec_b64 s[6:7], s[6:7]
	v_mov_b32_e32 v14, s10
	s_xor_b64 exec, exec, s[6:7]
	s_cbranch_execz .LBB1_11926
; %bb.47767:
	s_getpc_b64 s[14:15]
.Lpost_getpc9547:
	s_add_u32 s14, s14, (.LBB1_26264-.Lpost_getpc9547)&4294967295
	s_addc_u32 s15, s15, (.LBB1_26264-.Lpost_getpc9547)>>32
	s_setpc_b64 s[14:15]
.LBB1_11926:
	s_or_b64 exec, exec, s[6:7]
	s_and_saveexec_b64 s[6:7], s[4:5]
	s_cbranch_execz .LBB1_11928
.LBB1_11927:
	v_bfe_u32 v13, v2, 16, 3
	v_ffbh_u32_e32 v16, v13
	v_min_u32_e32 v16, 32, v16
	v_lshrrev_b32_e32 v14, 19, v2
	v_subrev_u32_e32 v17, 28, v16
	v_and_b32_e32 v14, 15, v14
	v_lshlrev_b32_sdwa v17, v17, v2 dst_sel:DWORD dst_unused:UNUSED_PAD src0_sel:DWORD src1_sel:WORD_1
	v_bfe_u32 v15, v2, 19, 4
	v_sub_u32_e32 v16, 29, v16
	v_and_b32_e32 v17, 7, v17
	v_cmp_eq_u16_e32 vcc, 0, v14
	v_cndmask_b32_e32 v13, v13, v17, vcc
	v_cndmask_b32_e32 v14, v15, v16, vcc
	v_lshlrev_b32_e32 v15, 8, v2
	v_mov_b32_e32 v16, 0x3b800000
	v_lshlrev_b32_e32 v13, 20, v13
	v_and_b32_e32 v15, 0x80000000, v15
	v_lshl_add_u32 v14, v14, 23, v16
	v_or3_b32 v14, v15, v14, v13
.LBB1_11928:
	s_or_b64 exec, exec, s[6:7]
	s_nop 0
	v_mfma_f32_16x16x4f32 a[0:3], v12, v14, a[0:3]
	s_movk_i32 s4, 0x7f
	v_cmp_gt_i16_sdwa s[6:7], v6, s4 src0_sel:BYTE_3 src1_sel:DWORD
	s_mov_b64 s[4:5], 0
                                        ; implicit-def: $sgpr10
	s_and_saveexec_b64 s[8:9], s[6:7]
	s_xor_b64 s[6:7], exec, s[8:9]
	s_cbranch_execz .LBB1_11929
; %bb.47769:
	s_getpc_b64 s[14:15]
.Lpost_getpc9548:
	s_add_u32 s14, s14, (.LBB1_26265-.Lpost_getpc9548)&4294967295
	s_addc_u32 s15, s15, (.LBB1_26265-.Lpost_getpc9548)>>32
	s_setpc_b64 s[14:15]
.LBB1_11929:
	s_or_saveexec_b64 s[6:7], s[6:7]
	v_mov_b32_e32 v12, s10
	s_xor_b64 exec, exec, s[6:7]
	s_cbranch_execz .LBB1_11930
; %bb.47771:
	s_getpc_b64 s[14:15]
.Lpost_getpc9549:
	s_add_u32 s14, s14, (.LBB1_26268-.Lpost_getpc9549)&4294967295
	s_addc_u32 s15, s15, (.LBB1_26268-.Lpost_getpc9549)>>32
	s_setpc_b64 s[14:15]
.LBB1_11930:
	s_or_b64 exec, exec, s[6:7]
	s_and_saveexec_b64 s[6:7], s[4:5]
	s_cbranch_execz .LBB1_11932
.LBB1_11931:
	v_bfe_u32 v12, v6, 24, 3
	v_ffbh_u32_e32 v16, v12
	v_min_u32_e32 v16, 32, v16
	v_lshrrev_b32_e32 v14, 27, v6
	v_subrev_u32_e32 v17, 28, v16
	v_and_b32_e32 v13, 0x80000000, v6
	v_and_b32_e32 v14, 15, v14
	v_bfe_u32 v15, v6, 27, 4
	v_lshlrev_b32_sdwa v6, v17, v6 dst_sel:DWORD dst_unused:UNUSED_PAD src0_sel:DWORD src1_sel:BYTE_3
	v_sub_u32_e32 v16, 29, v16
	v_and_b32_e32 v6, 7, v6
	v_cmp_eq_u16_e32 vcc, 0, v14
	v_cndmask_b32_e32 v6, v12, v6, vcc
	v_cndmask_b32_e32 v12, v15, v16, vcc
	v_mov_b32_e32 v14, 0x3b800000
	v_lshlrev_b32_e32 v6, 20, v6
	v_lshl_add_u32 v12, v12, 23, v14
	v_or3_b32 v12, v13, v12, v6
.LBB1_11932:
	s_or_b64 exec, exec, s[6:7]
	s_movk_i32 s4, 0x7f
	v_cmp_gt_i16_sdwa s[6:7], v2, s4 src0_sel:BYTE_3 src1_sel:DWORD
	s_mov_b64 s[4:5], 0
                                        ; implicit-def: $sgpr10
	s_and_saveexec_b64 s[8:9], s[6:7]
	s_xor_b64 s[6:7], exec, s[8:9]
	s_cbranch_execz .LBB1_11933
; %bb.47773:
	s_getpc_b64 s[14:15]
.Lpost_getpc9550:
	s_add_u32 s14, s14, (.LBB1_26269-.Lpost_getpc9550)&4294967295
	s_addc_u32 s15, s15, (.LBB1_26269-.Lpost_getpc9550)>>32
	s_setpc_b64 s[14:15]
.LBB1_11933:
	s_or_saveexec_b64 s[6:7], s[6:7]
	v_mov_b32_e32 v6, s10
	s_xor_b64 exec, exec, s[6:7]
	s_cbranch_execz .LBB1_11934
; %bb.47775:
	s_getpc_b64 s[14:15]
.Lpost_getpc9551:
	s_add_u32 s14, s14, (.LBB1_26272-.Lpost_getpc9551)&4294967295
	s_addc_u32 s15, s15, (.LBB1_26272-.Lpost_getpc9551)>>32
	s_setpc_b64 s[14:15]
.LBB1_11934:
	s_or_b64 exec, exec, s[6:7]
	s_and_saveexec_b64 s[6:7], s[4:5]
	s_cbranch_execz .LBB1_11936
.LBB1_11935:
	v_bfe_u32 v6, v2, 24, 3
	v_ffbh_u32_e32 v16, v6
	v_min_u32_e32 v16, 32, v16
	v_lshrrev_b32_e32 v14, 27, v2
	v_subrev_u32_e32 v17, 28, v16
	v_and_b32_e32 v13, 0x80000000, v2
	v_and_b32_e32 v14, 15, v14
	v_bfe_u32 v15, v2, 27, 4
	v_lshlrev_b32_sdwa v2, v17, v2 dst_sel:DWORD dst_unused:UNUSED_PAD src0_sel:DWORD src1_sel:BYTE_3
	v_sub_u32_e32 v16, 29, v16
	v_and_b32_e32 v2, 7, v2
	v_cmp_eq_u16_e32 vcc, 0, v14
	v_cndmask_b32_e32 v2, v6, v2, vcc
	v_cndmask_b32_e32 v6, v15, v16, vcc
	v_mov_b32_e32 v14, 0x3b800000
	v_lshlrev_b32_e32 v2, 20, v2
	v_lshl_add_u32 v6, v6, 23, v14
	v_or3_b32 v6, v13, v6, v2
.LBB1_11936:
	s_or_b64 exec, exec, s[6:7]
	s_nop 0
	v_mfma_f32_16x16x4f32 a[0:3], v12, v6, a[0:3]
	s_movk_i32 s4, 0x7f
	v_cmp_gt_i16_sdwa s[6:7], v7, s4 src0_sel:BYTE_0 src1_sel:DWORD
	s_mov_b64 s[4:5], 0
                                        ; implicit-def: $sgpr10
	s_and_saveexec_b64 s[8:9], s[6:7]
	s_xor_b64 s[6:7], exec, s[8:9]
	s_cbranch_execz .LBB1_11937
; %bb.47777:
	s_getpc_b64 s[14:15]
.Lpost_getpc9552:
	s_add_u32 s14, s14, (.LBB1_26273-.Lpost_getpc9552)&4294967295
	s_addc_u32 s15, s15, (.LBB1_26273-.Lpost_getpc9552)>>32
	s_setpc_b64 s[14:15]
.LBB1_11937:
	s_or_saveexec_b64 s[6:7], s[6:7]
	v_mov_b32_e32 v2, s10
	s_xor_b64 exec, exec, s[6:7]
	s_cbranch_execz .LBB1_11938
; %bb.47779:
	s_getpc_b64 s[14:15]
.Lpost_getpc9553:
	s_add_u32 s14, s14, (.LBB1_26276-.Lpost_getpc9553)&4294967295
	s_addc_u32 s15, s15, (.LBB1_26276-.Lpost_getpc9553)>>32
	s_setpc_b64 s[14:15]
.LBB1_11938:
	s_or_b64 exec, exec, s[6:7]
	s_and_saveexec_b64 s[6:7], s[4:5]
	s_cbranch_execz .LBB1_11940
.LBB1_11939:
	v_and_b32_e32 v2, 7, v7
	v_ffbh_u32_e32 v12, v2
	v_min_u32_e32 v12, 32, v12
	v_lshrrev_b16_e32 v6, 3, v7
	v_subrev_u32_e32 v13, 28, v12
	v_and_b32_e32 v6, 15, v6
	v_lshlrev_b32_e32 v13, v13, v7
	v_sub_u32_e32 v12, 29, v12
	v_and_b32_e32 v13, 7, v13
	v_cmp_eq_u16_e32 vcc, 0, v6
	v_cndmask_b32_e32 v2, v2, v13, vcc
	v_cndmask_b32_e32 v6, v6, v12, vcc
	v_lshlrev_b32_e32 v12, 24, v7
	v_mov_b32_e32 v13, 0x3b800000
	v_lshlrev_b32_e32 v2, 20, v2
	v_and_b32_e32 v12, 0x80000000, v12
	v_lshl_add_u32 v6, v6, 23, v13
	v_or3_b32 v2, v12, v6, v2
.LBB1_11940:
	s_or_b64 exec, exec, s[6:7]
	s_movk_i32 s4, 0x7f
	v_cmp_gt_i16_sdwa s[6:7], v3, s4 src0_sel:BYTE_0 src1_sel:DWORD
	s_mov_b64 s[4:5], 0
                                        ; implicit-def: $sgpr10
	s_and_saveexec_b64 s[8:9], s[6:7]
	s_xor_b64 s[6:7], exec, s[8:9]
	s_cbranch_execz .LBB1_11941
; %bb.47781:
	s_getpc_b64 s[14:15]
.Lpost_getpc9554:
	s_add_u32 s14, s14, (.LBB1_26277-.Lpost_getpc9554)&4294967295
	s_addc_u32 s15, s15, (.LBB1_26277-.Lpost_getpc9554)>>32
	s_setpc_b64 s[14:15]
.LBB1_11941:
	s_or_saveexec_b64 s[6:7], s[6:7]
	v_mov_b32_e32 v6, s10
	s_xor_b64 exec, exec, s[6:7]
	s_cbranch_execz .LBB1_11942
; %bb.47783:
	s_getpc_b64 s[14:15]
.Lpost_getpc9555:
	s_add_u32 s14, s14, (.LBB1_26280-.Lpost_getpc9555)&4294967295
	s_addc_u32 s15, s15, (.LBB1_26280-.Lpost_getpc9555)>>32
	s_setpc_b64 s[14:15]
.LBB1_11942:
	s_or_b64 exec, exec, s[6:7]
	s_and_saveexec_b64 s[6:7], s[4:5]
	s_cbranch_execz .LBB1_11944
.LBB1_11943:
	v_and_b32_e32 v6, 7, v3
	v_ffbh_u32_e32 v13, v6
	v_min_u32_e32 v13, 32, v13
	v_lshrrev_b16_e32 v12, 3, v3
	v_subrev_u32_e32 v14, 28, v13
	v_and_b32_e32 v12, 15, v12
	v_lshlrev_b32_e32 v14, v14, v3
	v_sub_u32_e32 v13, 29, v13
	v_and_b32_e32 v14, 7, v14
	v_cmp_eq_u16_e32 vcc, 0, v12
	v_cndmask_b32_e32 v6, v6, v14, vcc
	v_cndmask_b32_e32 v12, v12, v13, vcc
	v_lshlrev_b32_e32 v13, 24, v3
	v_mov_b32_e32 v14, 0x3b800000
	v_lshlrev_b32_e32 v6, 20, v6
	v_and_b32_e32 v13, 0x80000000, v13
	v_lshl_add_u32 v12, v12, 23, v14
	v_or3_b32 v6, v13, v12, v6
.LBB1_11944:
	s_or_b64 exec, exec, s[6:7]
	s_nop 0
	v_mfma_f32_16x16x4f32 a[0:3], v2, v6, a[0:3]
	v_lshrrev_b32_e32 v6, 8, v7
	s_movk_i32 s4, 0x7f
	v_cmp_gt_i16_sdwa s[6:7], v6, s4 src0_sel:BYTE_0 src1_sel:DWORD
	s_mov_b64 s[4:5], 0
                                        ; implicit-def: $sgpr10
	s_and_saveexec_b64 s[8:9], s[6:7]
	s_xor_b64 s[6:7], exec, s[8:9]
	s_cbranch_execz .LBB1_11945
; %bb.47785:
	s_getpc_b64 s[14:15]
.Lpost_getpc9556:
	s_add_u32 s14, s14, (.LBB1_26281-.Lpost_getpc9556)&4294967295
	s_addc_u32 s15, s15, (.LBB1_26281-.Lpost_getpc9556)>>32
	s_setpc_b64 s[14:15]
.LBB1_11945:
	s_or_saveexec_b64 s[6:7], s[6:7]
	v_mov_b32_e32 v2, s10
	s_xor_b64 exec, exec, s[6:7]
	s_cbranch_execz .LBB1_11946
; %bb.47787:
	s_getpc_b64 s[14:15]
.Lpost_getpc9557:
	s_add_u32 s14, s14, (.LBB1_26284-.Lpost_getpc9557)&4294967295
	s_addc_u32 s15, s15, (.LBB1_26284-.Lpost_getpc9557)>>32
	s_setpc_b64 s[14:15]
.LBB1_11946:
	s_or_b64 exec, exec, s[6:7]
	s_and_saveexec_b64 s[6:7], s[4:5]
	s_cbranch_execz .LBB1_11948
.LBB1_11947:
	v_bfe_u32 v2, v7, 8, 3
	v_ffbh_u32_e32 v13, v2
	v_min_u32_e32 v13, 32, v13
	v_lshrrev_b16_e32 v12, 3, v6
	v_subrev_u32_e32 v14, 28, v13
	v_and_b32_e32 v12, 15, v12
	v_lshlrev_b32_e32 v6, v14, v6
	v_sub_u32_e32 v13, 29, v13
	v_and_b32_e32 v6, 7, v6
	v_cmp_eq_u16_e32 vcc, 0, v12
	v_cndmask_b32_e32 v2, v2, v6, vcc
	v_cndmask_b32_e32 v6, v12, v13, vcc
	v_lshlrev_b32_e32 v12, 16, v7
	v_mov_b32_e32 v13, 0x3b800000
	v_lshlrev_b32_e32 v2, 20, v2
	v_and_b32_e32 v12, 0x80000000, v12
	v_lshl_add_u32 v6, v6, 23, v13
	v_or3_b32 v2, v12, v6, v2
.LBB1_11948:
	s_or_b64 exec, exec, s[6:7]
	v_lshrrev_b32_e32 v6, 8, v3
	s_movk_i32 s4, 0x7f
	v_cmp_gt_i16_sdwa s[6:7], v6, s4 src0_sel:BYTE_0 src1_sel:DWORD
	s_mov_b64 s[4:5], 0
                                        ; implicit-def: $sgpr10
	s_and_saveexec_b64 s[8:9], s[6:7]
	s_xor_b64 s[6:7], exec, s[8:9]
	s_cbranch_execz .LBB1_11949
; %bb.47789:
	s_getpc_b64 s[14:15]
.Lpost_getpc9558:
	s_add_u32 s14, s14, (.LBB1_26285-.Lpost_getpc9558)&4294967295
	s_addc_u32 s15, s15, (.LBB1_26285-.Lpost_getpc9558)>>32
	s_setpc_b64 s[14:15]
.LBB1_11949:
	s_or_saveexec_b64 s[6:7], s[6:7]
	v_mov_b32_e32 v12, s10
	s_xor_b64 exec, exec, s[6:7]
	s_cbranch_execz .LBB1_11950
; %bb.47791:
	s_getpc_b64 s[14:15]
.Lpost_getpc9559:
	s_add_u32 s14, s14, (.LBB1_26288-.Lpost_getpc9559)&4294967295
	s_addc_u32 s15, s15, (.LBB1_26288-.Lpost_getpc9559)>>32
	s_setpc_b64 s[14:15]
.LBB1_11950:
	s_or_b64 exec, exec, s[6:7]
	s_and_saveexec_b64 s[6:7], s[4:5]
	s_cbranch_execz .LBB1_11952
.LBB1_11951:
	v_bfe_u32 v12, v3, 8, 3
	v_ffbh_u32_e32 v14, v12
	v_min_u32_e32 v14, 32, v14
	v_lshrrev_b16_e32 v13, 3, v6
	v_subrev_u32_e32 v15, 28, v14
	v_and_b32_e32 v13, 15, v13
	v_lshlrev_b32_e32 v6, v15, v6
	v_sub_u32_e32 v14, 29, v14
	v_and_b32_e32 v6, 7, v6
	v_cmp_eq_u16_e32 vcc, 0, v13
	v_cndmask_b32_e32 v6, v12, v6, vcc
	v_cndmask_b32_e32 v12, v13, v14, vcc
	v_lshlrev_b32_e32 v13, 16, v3
	v_mov_b32_e32 v14, 0x3b800000
	v_lshlrev_b32_e32 v6, 20, v6
	v_and_b32_e32 v13, 0x80000000, v13
	v_lshl_add_u32 v12, v12, 23, v14
	v_or3_b32 v12, v13, v12, v6
.LBB1_11952:
	s_or_b64 exec, exec, s[6:7]
	s_nop 0
	v_mfma_f32_16x16x4f32 a[0:3], v2, v12, a[0:3]
	s_movk_i32 s4, 0xff
	v_and_b32_sdwa v6, v7, s4 dst_sel:DWORD dst_unused:UNUSED_PAD src0_sel:WORD_1 src1_sel:DWORD
	s_movk_i32 s4, 0x7f
	v_cmp_lt_i16_e32 vcc, s4, v6
	s_mov_b64 s[4:5], 0
                                        ; implicit-def: $sgpr10
	s_and_saveexec_b64 s[6:7], vcc
	s_xor_b64 s[6:7], exec, s[6:7]
	s_cbranch_execz .LBB1_11953
; %bb.47793:
	s_getpc_b64 s[14:15]
.Lpost_getpc9560:
	s_add_u32 s14, s14, (.LBB1_26289-.Lpost_getpc9560)&4294967295
	s_addc_u32 s15, s15, (.LBB1_26289-.Lpost_getpc9560)>>32
	s_setpc_b64 s[14:15]
.LBB1_11953:
	s_or_saveexec_b64 s[6:7], s[6:7]
	v_mov_b32_e32 v2, s10
	s_xor_b64 exec, exec, s[6:7]
	s_cbranch_execz .LBB1_11954
; %bb.47795:
	s_getpc_b64 s[14:15]
.Lpost_getpc9561:
	s_add_u32 s14, s14, (.LBB1_26292-.Lpost_getpc9561)&4294967295
	s_addc_u32 s15, s15, (.LBB1_26292-.Lpost_getpc9561)>>32
	s_setpc_b64 s[14:15]
.LBB1_11954:
	s_or_b64 exec, exec, s[6:7]
	s_and_saveexec_b64 s[6:7], s[4:5]
	s_cbranch_execz .LBB1_11956
.LBB1_11955:
	v_bfe_u32 v2, v7, 16, 3
	v_ffbh_u32_e32 v13, v2
	v_min_u32_e32 v13, 32, v13
	v_lshrrev_b32_e32 v6, 19, v7
	v_subrev_u32_e32 v14, 28, v13
	v_and_b32_e32 v6, 15, v6
	v_lshlrev_b32_sdwa v14, v14, v7 dst_sel:DWORD dst_unused:UNUSED_PAD src0_sel:DWORD src1_sel:WORD_1
	v_bfe_u32 v12, v7, 19, 4
	v_sub_u32_e32 v13, 29, v13
	v_and_b32_e32 v14, 7, v14
	v_cmp_eq_u16_e32 vcc, 0, v6
	v_cndmask_b32_e32 v2, v2, v14, vcc
	v_cndmask_b32_e32 v6, v12, v13, vcc
	v_lshlrev_b32_e32 v12, 8, v7
	v_mov_b32_e32 v13, 0x3b800000
	v_lshlrev_b32_e32 v2, 20, v2
	v_and_b32_e32 v12, 0x80000000, v12
	v_lshl_add_u32 v6, v6, 23, v13
	v_or3_b32 v2, v12, v6, v2
.LBB1_11956:
	s_or_b64 exec, exec, s[6:7]
	s_movk_i32 s4, 0xff
	v_and_b32_sdwa v6, v3, s4 dst_sel:DWORD dst_unused:UNUSED_PAD src0_sel:WORD_1 src1_sel:DWORD
	s_movk_i32 s4, 0x7f
	v_cmp_lt_i16_e32 vcc, s4, v6
	s_mov_b64 s[4:5], 0
                                        ; implicit-def: $sgpr10
	s_and_saveexec_b64 s[6:7], vcc
	s_xor_b64 s[6:7], exec, s[6:7]
	s_cbranch_execz .LBB1_11957
; %bb.47797:
	s_getpc_b64 s[14:15]
.Lpost_getpc9562:
	s_add_u32 s14, s14, (.LBB1_26293-.Lpost_getpc9562)&4294967295
	s_addc_u32 s15, s15, (.LBB1_26293-.Lpost_getpc9562)>>32
	s_setpc_b64 s[14:15]
.LBB1_11957:
	s_or_saveexec_b64 s[6:7], s[6:7]
	v_mov_b32_e32 v12, s10
	s_xor_b64 exec, exec, s[6:7]
	s_cbranch_execz .LBB1_11958
; %bb.47799:
	s_getpc_b64 s[14:15]
.Lpost_getpc9563:
	s_add_u32 s14, s14, (.LBB1_26296-.Lpost_getpc9563)&4294967295
	s_addc_u32 s15, s15, (.LBB1_26296-.Lpost_getpc9563)>>32
	s_setpc_b64 s[14:15]
.LBB1_11958:
	s_or_b64 exec, exec, s[6:7]
	s_and_saveexec_b64 s[6:7], s[4:5]
	s_cbranch_execz .LBB1_11960
.LBB1_11959:
	v_bfe_u32 v6, v3, 16, 3
	v_ffbh_u32_e32 v14, v6
	v_min_u32_e32 v14, 32, v14
	v_lshrrev_b32_e32 v12, 19, v3
	v_subrev_u32_e32 v15, 28, v14
	v_and_b32_e32 v12, 15, v12
	v_lshlrev_b32_sdwa v15, v15, v3 dst_sel:DWORD dst_unused:UNUSED_PAD src0_sel:DWORD src1_sel:WORD_1
	v_bfe_u32 v13, v3, 19, 4
	v_sub_u32_e32 v14, 29, v14
	v_and_b32_e32 v15, 7, v15
	v_cmp_eq_u16_e32 vcc, 0, v12
	v_cndmask_b32_e32 v6, v6, v15, vcc
	v_cndmask_b32_e32 v12, v13, v14, vcc
	v_lshlrev_b32_e32 v13, 8, v3
	v_mov_b32_e32 v14, 0x3b800000
	v_lshlrev_b32_e32 v6, 20, v6
	v_and_b32_e32 v13, 0x80000000, v13
	v_lshl_add_u32 v12, v12, 23, v14
	v_or3_b32 v12, v13, v12, v6
.LBB1_11960:
	s_or_b64 exec, exec, s[6:7]
	s_nop 0
	v_mfma_f32_16x16x4f32 a[0:3], v2, v12, a[0:3]
	s_movk_i32 s4, 0x7f
	v_cmp_gt_i16_sdwa s[6:7], v7, s4 src0_sel:BYTE_3 src1_sel:DWORD
	s_mov_b64 s[4:5], 0
                                        ; implicit-def: $sgpr10
	s_and_saveexec_b64 s[8:9], s[6:7]
	s_xor_b64 s[6:7], exec, s[8:9]
	s_cbranch_execz .LBB1_11961
; %bb.47801:
	s_getpc_b64 s[14:15]
.Lpost_getpc9564:
	s_add_u32 s14, s14, (.LBB1_26297-.Lpost_getpc9564)&4294967295
	s_addc_u32 s15, s15, (.LBB1_26297-.Lpost_getpc9564)>>32
	s_setpc_b64 s[14:15]
.LBB1_11961:
	s_or_saveexec_b64 s[6:7], s[6:7]
	v_mov_b32_e32 v2, s10
	s_xor_b64 exec, exec, s[6:7]
	s_cbranch_execz .LBB1_11962
; %bb.47803:
	s_getpc_b64 s[14:15]
.Lpost_getpc9565:
	s_add_u32 s14, s14, (.LBB1_26300-.Lpost_getpc9565)&4294967295
	s_addc_u32 s15, s15, (.LBB1_26300-.Lpost_getpc9565)>>32
	s_setpc_b64 s[14:15]
.LBB1_11962:
	s_or_b64 exec, exec, s[6:7]
	s_and_saveexec_b64 s[6:7], s[4:5]
	s_cbranch_execz .LBB1_11964
.LBB1_11963:
	v_bfe_u32 v2, v7, 24, 3
	v_ffbh_u32_e32 v14, v2
	v_min_u32_e32 v14, 32, v14
	v_lshrrev_b32_e32 v12, 27, v7
	v_subrev_u32_e32 v15, 28, v14
	v_and_b32_e32 v6, 0x80000000, v7
	v_and_b32_e32 v12, 15, v12
	v_bfe_u32 v13, v7, 27, 4
	v_lshlrev_b32_sdwa v7, v15, v7 dst_sel:DWORD dst_unused:UNUSED_PAD src0_sel:DWORD src1_sel:BYTE_3
	v_sub_u32_e32 v14, 29, v14
	v_and_b32_e32 v7, 7, v7
	v_cmp_eq_u16_e32 vcc, 0, v12
	v_cndmask_b32_e32 v2, v2, v7, vcc
	v_cndmask_b32_e32 v7, v13, v14, vcc
	v_mov_b32_e32 v12, 0x3b800000
	v_lshlrev_b32_e32 v2, 20, v2
	v_lshl_add_u32 v7, v7, 23, v12
	v_or3_b32 v2, v6, v7, v2
.LBB1_11964:
	s_or_b64 exec, exec, s[6:7]
	s_movk_i32 s4, 0x7f
	v_cmp_gt_i16_sdwa s[6:7], v3, s4 src0_sel:BYTE_3 src1_sel:DWORD
	s_mov_b64 s[4:5], 0
                                        ; implicit-def: $sgpr10
	s_and_saveexec_b64 s[8:9], s[6:7]
	s_xor_b64 s[6:7], exec, s[8:9]
	s_cbranch_execz .LBB1_11965
; %bb.47805:
	s_getpc_b64 s[14:15]
.Lpost_getpc9566:
	s_add_u32 s14, s14, (.LBB1_26301-.Lpost_getpc9566)&4294967295
	s_addc_u32 s15, s15, (.LBB1_26301-.Lpost_getpc9566)>>32
	s_setpc_b64 s[14:15]
.LBB1_11965:
	s_or_saveexec_b64 s[6:7], s[6:7]
	v_mov_b32_e32 v6, s10
	s_xor_b64 exec, exec, s[6:7]
	s_cbranch_execz .LBB1_11966
; %bb.47807:
	s_getpc_b64 s[14:15]
.Lpost_getpc9567:
	s_add_u32 s14, s14, (.LBB1_26304-.Lpost_getpc9567)&4294967295
	s_addc_u32 s15, s15, (.LBB1_26304-.Lpost_getpc9567)>>32
	s_setpc_b64 s[14:15]
.LBB1_11966:
	s_or_b64 exec, exec, s[6:7]
	s_and_saveexec_b64 s[6:7], s[4:5]
	s_cbranch_execz .LBB1_11968
.LBB1_11967:
	v_bfe_u32 v6, v3, 24, 3
	v_ffbh_u32_e32 v14, v6
	v_min_u32_e32 v14, 32, v14
	v_lshrrev_b32_e32 v12, 27, v3
	v_subrev_u32_e32 v15, 28, v14
	v_and_b32_e32 v7, 0x80000000, v3
	v_and_b32_e32 v12, 15, v12
	v_bfe_u32 v13, v3, 27, 4
	v_lshlrev_b32_sdwa v3, v15, v3 dst_sel:DWORD dst_unused:UNUSED_PAD src0_sel:DWORD src1_sel:BYTE_3
	v_sub_u32_e32 v14, 29, v14
	v_and_b32_e32 v3, 7, v3
	v_cmp_eq_u16_e32 vcc, 0, v12
	v_cndmask_b32_e32 v3, v6, v3, vcc
	v_cndmask_b32_e32 v6, v13, v14, vcc
	v_mov_b32_e32 v12, 0x3b800000
	v_lshlrev_b32_e32 v3, 20, v3
	v_lshl_add_u32 v6, v6, 23, v12
	v_or3_b32 v6, v7, v6, v3
.LBB1_11968:
	s_or_b64 exec, exec, s[6:7]
	s_nop 0
	v_mfma_f32_16x16x4f32 a[0:3], v2, v6, a[0:3]
	s_movk_i32 s4, 0x7f
	v_cmp_gt_i16_sdwa s[6:7], v8, s4 src0_sel:BYTE_0 src1_sel:DWORD
	s_mov_b64 s[4:5], 0
                                        ; implicit-def: $sgpr10
	s_and_saveexec_b64 s[8:9], s[6:7]
	s_xor_b64 s[6:7], exec, s[8:9]
	s_cbranch_execz .LBB1_11969
; %bb.47809:
	s_getpc_b64 s[14:15]
.Lpost_getpc9568:
	s_add_u32 s14, s14, (.LBB1_26305-.Lpost_getpc9568)&4294967295
	s_addc_u32 s15, s15, (.LBB1_26305-.Lpost_getpc9568)>>32
	s_setpc_b64 s[14:15]
.LBB1_11969:
	s_or_saveexec_b64 s[6:7], s[6:7]
	v_mov_b32_e32 v2, s10
	s_xor_b64 exec, exec, s[6:7]
	s_cbranch_execz .LBB1_11970
; %bb.47811:
	s_getpc_b64 s[14:15]
.Lpost_getpc9569:
	s_add_u32 s14, s14, (.LBB1_26308-.Lpost_getpc9569)&4294967295
	s_addc_u32 s15, s15, (.LBB1_26308-.Lpost_getpc9569)>>32
	s_setpc_b64 s[14:15]
.LBB1_11970:
	s_or_b64 exec, exec, s[6:7]
	s_and_saveexec_b64 s[6:7], s[4:5]
	s_cbranch_execz .LBB1_11972
.LBB1_11971:
	v_and_b32_e32 v2, 7, v8
	v_ffbh_u32_e32 v6, v2
	v_min_u32_e32 v6, 32, v6
	v_lshrrev_b16_e32 v3, 3, v8
	v_subrev_u32_e32 v7, 28, v6
	v_and_b32_e32 v3, 15, v3
	v_lshlrev_b32_e32 v7, v7, v8
	v_sub_u32_e32 v6, 29, v6
	v_and_b32_e32 v7, 7, v7
	v_cmp_eq_u16_e32 vcc, 0, v3
	v_cndmask_b32_e32 v2, v2, v7, vcc
	v_cndmask_b32_e32 v3, v3, v6, vcc
	v_lshlrev_b32_e32 v6, 24, v8
	v_mov_b32_e32 v7, 0x3b800000
	v_lshlrev_b32_e32 v2, 20, v2
	v_and_b32_e32 v6, 0x80000000, v6
	v_lshl_add_u32 v3, v3, 23, v7
	v_or3_b32 v2, v6, v3, v2
.LBB1_11972:
	s_or_b64 exec, exec, s[6:7]
	s_movk_i32 s4, 0x7f
	v_cmp_gt_i16_sdwa s[6:7], v4, s4 src0_sel:BYTE_0 src1_sel:DWORD
	s_mov_b64 s[4:5], 0
                                        ; implicit-def: $sgpr10
	s_and_saveexec_b64 s[8:9], s[6:7]
	s_xor_b64 s[6:7], exec, s[8:9]
	s_cbranch_execz .LBB1_11973
; %bb.47813:
	s_getpc_b64 s[14:15]
.Lpost_getpc9570:
	s_add_u32 s14, s14, (.LBB1_26309-.Lpost_getpc9570)&4294967295
	s_addc_u32 s15, s15, (.LBB1_26309-.Lpost_getpc9570)>>32
	s_setpc_b64 s[14:15]
.LBB1_11973:
	s_or_saveexec_b64 s[6:7], s[6:7]
	v_mov_b32_e32 v3, s10
	s_xor_b64 exec, exec, s[6:7]
	s_cbranch_execz .LBB1_11974
; %bb.47815:
	s_getpc_b64 s[14:15]
.Lpost_getpc9571:
	s_add_u32 s14, s14, (.LBB1_26312-.Lpost_getpc9571)&4294967295
	s_addc_u32 s15, s15, (.LBB1_26312-.Lpost_getpc9571)>>32
	s_setpc_b64 s[14:15]
.LBB1_11974:
	s_or_b64 exec, exec, s[6:7]
	s_and_saveexec_b64 s[6:7], s[4:5]
	s_cbranch_execz .LBB1_11976
.LBB1_11975:
	v_and_b32_e32 v3, 7, v4
	v_ffbh_u32_e32 v7, v3
	v_min_u32_e32 v7, 32, v7
	v_lshrrev_b16_e32 v6, 3, v4
	v_subrev_u32_e32 v12, 28, v7
	v_and_b32_e32 v6, 15, v6
	v_lshlrev_b32_e32 v12, v12, v4
	v_sub_u32_e32 v7, 29, v7
	v_and_b32_e32 v12, 7, v12
	v_cmp_eq_u16_e32 vcc, 0, v6
	v_cndmask_b32_e32 v3, v3, v12, vcc
	v_cndmask_b32_e32 v6, v6, v7, vcc
	v_lshlrev_b32_e32 v7, 24, v4
	v_mov_b32_e32 v12, 0x3b800000
	v_lshlrev_b32_e32 v3, 20, v3
	v_and_b32_e32 v7, 0x80000000, v7
	v_lshl_add_u32 v6, v6, 23, v12
	v_or3_b32 v3, v7, v6, v3
.LBB1_11976:
	s_or_b64 exec, exec, s[6:7]
	s_nop 0
	v_mfma_f32_16x16x4f32 a[0:3], v2, v3, a[0:3]
	v_lshrrev_b32_e32 v3, 8, v8
	s_movk_i32 s4, 0x7f
	v_cmp_gt_i16_sdwa s[6:7], v3, s4 src0_sel:BYTE_0 src1_sel:DWORD
	s_mov_b64 s[4:5], 0
                                        ; implicit-def: $sgpr10
	s_and_saveexec_b64 s[8:9], s[6:7]
	s_xor_b64 s[6:7], exec, s[8:9]
	s_cbranch_execz .LBB1_11977
; %bb.47817:
	s_getpc_b64 s[14:15]
.Lpost_getpc9572:
	s_add_u32 s14, s14, (.LBB1_26313-.Lpost_getpc9572)&4294967295
	s_addc_u32 s15, s15, (.LBB1_26313-.Lpost_getpc9572)>>32
	s_setpc_b64 s[14:15]
.LBB1_11977:
	s_or_saveexec_b64 s[6:7], s[6:7]
	v_mov_b32_e32 v2, s10
	s_xor_b64 exec, exec, s[6:7]
	s_cbranch_execz .LBB1_11978
; %bb.47819:
	s_getpc_b64 s[14:15]
.Lpost_getpc9573:
	s_add_u32 s14, s14, (.LBB1_26316-.Lpost_getpc9573)&4294967295
	s_addc_u32 s15, s15, (.LBB1_26316-.Lpost_getpc9573)>>32
	s_setpc_b64 s[14:15]
.LBB1_11978:
	s_or_b64 exec, exec, s[6:7]
	s_and_saveexec_b64 s[6:7], s[4:5]
	s_cbranch_execz .LBB1_11980
.LBB1_11979:
	v_bfe_u32 v2, v8, 8, 3
	v_ffbh_u32_e32 v7, v2
	v_min_u32_e32 v7, 32, v7
	v_lshrrev_b16_e32 v6, 3, v3
	v_subrev_u32_e32 v12, 28, v7
	v_and_b32_e32 v6, 15, v6
	v_lshlrev_b32_e32 v3, v12, v3
	v_sub_u32_e32 v7, 29, v7
	v_and_b32_e32 v3, 7, v3
	v_cmp_eq_u16_e32 vcc, 0, v6
	v_cndmask_b32_e32 v2, v2, v3, vcc
	v_cndmask_b32_e32 v3, v6, v7, vcc
	v_lshlrev_b32_e32 v6, 16, v8
	v_mov_b32_e32 v7, 0x3b800000
	v_lshlrev_b32_e32 v2, 20, v2
	v_and_b32_e32 v6, 0x80000000, v6
	v_lshl_add_u32 v3, v3, 23, v7
	v_or3_b32 v2, v6, v3, v2
.LBB1_11980:
	s_or_b64 exec, exec, s[6:7]
	v_lshrrev_b32_e32 v3, 8, v4
	s_movk_i32 s4, 0x7f
	v_cmp_gt_i16_sdwa s[6:7], v3, s4 src0_sel:BYTE_0 src1_sel:DWORD
	s_mov_b64 s[4:5], 0
                                        ; implicit-def: $sgpr10
	s_and_saveexec_b64 s[8:9], s[6:7]
	s_xor_b64 s[6:7], exec, s[8:9]
	s_cbranch_execz .LBB1_11981
; %bb.47821:
	s_getpc_b64 s[14:15]
.Lpost_getpc9574:
	s_add_u32 s14, s14, (.LBB1_26317-.Lpost_getpc9574)&4294967295
	s_addc_u32 s15, s15, (.LBB1_26317-.Lpost_getpc9574)>>32
	s_setpc_b64 s[14:15]
.LBB1_11981:
	s_or_saveexec_b64 s[6:7], s[6:7]
	v_mov_b32_e32 v6, s10
	s_xor_b64 exec, exec, s[6:7]
	s_cbranch_execz .LBB1_11982
; %bb.47823:
	s_getpc_b64 s[14:15]
.Lpost_getpc9575:
	s_add_u32 s14, s14, (.LBB1_26320-.Lpost_getpc9575)&4294967295
	s_addc_u32 s15, s15, (.LBB1_26320-.Lpost_getpc9575)>>32
	s_setpc_b64 s[14:15]
.LBB1_11982:
	s_or_b64 exec, exec, s[6:7]
	s_and_saveexec_b64 s[6:7], s[4:5]
	s_cbranch_execz .LBB1_11984
.LBB1_11983:
	v_bfe_u32 v6, v4, 8, 3
	v_ffbh_u32_e32 v12, v6
	v_min_u32_e32 v12, 32, v12
	v_lshrrev_b16_e32 v7, 3, v3
	v_subrev_u32_e32 v13, 28, v12
	v_and_b32_e32 v7, 15, v7
	v_lshlrev_b32_e32 v3, v13, v3
	v_sub_u32_e32 v12, 29, v12
	v_and_b32_e32 v3, 7, v3
	v_cmp_eq_u16_e32 vcc, 0, v7
	v_cndmask_b32_e32 v3, v6, v3, vcc
	v_cndmask_b32_e32 v6, v7, v12, vcc
	v_lshlrev_b32_e32 v7, 16, v4
	v_mov_b32_e32 v12, 0x3b800000
	v_lshlrev_b32_e32 v3, 20, v3
	v_and_b32_e32 v7, 0x80000000, v7
	v_lshl_add_u32 v6, v6, 23, v12
	v_or3_b32 v6, v7, v6, v3
.LBB1_11984:
	s_or_b64 exec, exec, s[6:7]
	s_nop 0
	v_mfma_f32_16x16x4f32 a[0:3], v2, v6, a[0:3]
	s_movk_i32 s4, 0xff
	v_and_b32_sdwa v3, v8, s4 dst_sel:DWORD dst_unused:UNUSED_PAD src0_sel:WORD_1 src1_sel:DWORD
	s_movk_i32 s4, 0x7f
	v_cmp_lt_i16_e32 vcc, s4, v3
	s_mov_b64 s[4:5], 0
                                        ; implicit-def: $sgpr10
	s_and_saveexec_b64 s[6:7], vcc
	s_xor_b64 s[6:7], exec, s[6:7]
	s_cbranch_execz .LBB1_11985
; %bb.47825:
	s_getpc_b64 s[14:15]
.Lpost_getpc9576:
	s_add_u32 s14, s14, (.LBB1_26321-.Lpost_getpc9576)&4294967295
	s_addc_u32 s15, s15, (.LBB1_26321-.Lpost_getpc9576)>>32
	s_setpc_b64 s[14:15]
.LBB1_11985:
	s_or_saveexec_b64 s[6:7], s[6:7]
	v_mov_b32_e32 v2, s10
	s_xor_b64 exec, exec, s[6:7]
	s_cbranch_execz .LBB1_11986
; %bb.47827:
	s_getpc_b64 s[14:15]
.Lpost_getpc9577:
	s_add_u32 s14, s14, (.LBB1_26324-.Lpost_getpc9577)&4294967295
	s_addc_u32 s15, s15, (.LBB1_26324-.Lpost_getpc9577)>>32
	s_setpc_b64 s[14:15]
.LBB1_11986:
	s_or_b64 exec, exec, s[6:7]
	s_and_saveexec_b64 s[6:7], s[4:5]
	s_cbranch_execz .LBB1_11988
.LBB1_11987:
	v_bfe_u32 v2, v8, 16, 3
	v_ffbh_u32_e32 v7, v2
	v_min_u32_e32 v7, 32, v7
	v_lshrrev_b32_e32 v3, 19, v8
	v_subrev_u32_e32 v12, 28, v7
	v_and_b32_e32 v3, 15, v3
	v_lshlrev_b32_sdwa v12, v12, v8 dst_sel:DWORD dst_unused:UNUSED_PAD src0_sel:DWORD src1_sel:WORD_1
	v_bfe_u32 v6, v8, 19, 4
	v_sub_u32_e32 v7, 29, v7
	v_and_b32_e32 v12, 7, v12
	v_cmp_eq_u16_e32 vcc, 0, v3
	v_cndmask_b32_e32 v2, v2, v12, vcc
	v_cndmask_b32_e32 v3, v6, v7, vcc
	v_lshlrev_b32_e32 v6, 8, v8
	v_mov_b32_e32 v7, 0x3b800000
	v_lshlrev_b32_e32 v2, 20, v2
	v_and_b32_e32 v6, 0x80000000, v6
	v_lshl_add_u32 v3, v3, 23, v7
	v_or3_b32 v2, v6, v3, v2
.LBB1_11988:
	s_or_b64 exec, exec, s[6:7]
	s_movk_i32 s4, 0xff
	v_and_b32_sdwa v3, v4, s4 dst_sel:DWORD dst_unused:UNUSED_PAD src0_sel:WORD_1 src1_sel:DWORD
	s_movk_i32 s4, 0x7f
	v_cmp_lt_i16_e32 vcc, s4, v3
	s_mov_b64 s[4:5], 0
                                        ; implicit-def: $sgpr10
	s_and_saveexec_b64 s[6:7], vcc
	s_xor_b64 s[6:7], exec, s[6:7]
	s_cbranch_execz .LBB1_11989
; %bb.47829:
	s_getpc_b64 s[14:15]
.Lpost_getpc9578:
	s_add_u32 s14, s14, (.LBB1_26325-.Lpost_getpc9578)&4294967295
	s_addc_u32 s15, s15, (.LBB1_26325-.Lpost_getpc9578)>>32
	s_setpc_b64 s[14:15]
.LBB1_11989:
	s_or_saveexec_b64 s[6:7], s[6:7]
	v_mov_b32_e32 v6, s10
	s_xor_b64 exec, exec, s[6:7]
	s_cbranch_execz .LBB1_11990
; %bb.47831:
	s_getpc_b64 s[14:15]
.Lpost_getpc9579:
	s_add_u32 s14, s14, (.LBB1_26328-.Lpost_getpc9579)&4294967295
	s_addc_u32 s15, s15, (.LBB1_26328-.Lpost_getpc9579)>>32
	s_setpc_b64 s[14:15]
.LBB1_11990:
	s_or_b64 exec, exec, s[6:7]
	s_and_saveexec_b64 s[6:7], s[4:5]
	s_cbranch_execz .LBB1_11992
.LBB1_11991:
	v_bfe_u32 v3, v4, 16, 3
	v_ffbh_u32_e32 v12, v3
	v_min_u32_e32 v12, 32, v12
	v_lshrrev_b32_e32 v6, 19, v4
	v_subrev_u32_e32 v13, 28, v12
	v_and_b32_e32 v6, 15, v6
	v_lshlrev_b32_sdwa v13, v13, v4 dst_sel:DWORD dst_unused:UNUSED_PAD src0_sel:DWORD src1_sel:WORD_1
	v_bfe_u32 v7, v4, 19, 4
	v_sub_u32_e32 v12, 29, v12
	v_and_b32_e32 v13, 7, v13
	v_cmp_eq_u16_e32 vcc, 0, v6
	v_cndmask_b32_e32 v3, v3, v13, vcc
	v_cndmask_b32_e32 v6, v7, v12, vcc
	v_lshlrev_b32_e32 v7, 8, v4
	v_mov_b32_e32 v12, 0x3b800000
	v_lshlrev_b32_e32 v3, 20, v3
	v_and_b32_e32 v7, 0x80000000, v7
	v_lshl_add_u32 v6, v6, 23, v12
	v_or3_b32 v6, v7, v6, v3
.LBB1_11992:
	s_or_b64 exec, exec, s[6:7]
	s_nop 0
	v_mfma_f32_16x16x4f32 a[0:3], v2, v6, a[0:3]
	s_movk_i32 s4, 0x7f
	v_cmp_gt_i16_sdwa s[6:7], v8, s4 src0_sel:BYTE_3 src1_sel:DWORD
	s_mov_b64 s[4:5], 0
                                        ; implicit-def: $sgpr10
	s_and_saveexec_b64 s[8:9], s[6:7]
	s_xor_b64 s[6:7], exec, s[8:9]
	s_cbranch_execz .LBB1_11993
; %bb.47833:
	s_getpc_b64 s[14:15]
.Lpost_getpc9580:
	s_add_u32 s14, s14, (.LBB1_26329-.Lpost_getpc9580)&4294967295
	s_addc_u32 s15, s15, (.LBB1_26329-.Lpost_getpc9580)>>32
	s_setpc_b64 s[14:15]
.LBB1_11993:
	s_or_saveexec_b64 s[6:7], s[6:7]
	v_mov_b32_e32 v2, s10
	s_xor_b64 exec, exec, s[6:7]
	s_cbranch_execz .LBB1_11994
; %bb.47835:
	s_getpc_b64 s[14:15]
.Lpost_getpc9581:
	s_add_u32 s14, s14, (.LBB1_26332-.Lpost_getpc9581)&4294967295
	s_addc_u32 s15, s15, (.LBB1_26332-.Lpost_getpc9581)>>32
	s_setpc_b64 s[14:15]
.LBB1_11994:
	s_or_b64 exec, exec, s[6:7]
	s_and_saveexec_b64 s[6:7], s[4:5]
	s_cbranch_execz .LBB1_11996
.LBB1_11995:
	v_bfe_u32 v2, v8, 24, 3
	v_ffbh_u32_e32 v12, v2
	v_min_u32_e32 v12, 32, v12
	v_lshrrev_b32_e32 v6, 27, v8
	v_subrev_u32_e32 v13, 28, v12
	v_and_b32_e32 v3, 0x80000000, v8
	v_and_b32_e32 v6, 15, v6
	v_bfe_u32 v7, v8, 27, 4
	v_lshlrev_b32_sdwa v8, v13, v8 dst_sel:DWORD dst_unused:UNUSED_PAD src0_sel:DWORD src1_sel:BYTE_3
	v_sub_u32_e32 v12, 29, v12
	v_and_b32_e32 v8, 7, v8
	v_cmp_eq_u16_e32 vcc, 0, v6
	v_cndmask_b32_e32 v2, v2, v8, vcc
	v_cndmask_b32_e32 v6, v7, v12, vcc
	v_mov_b32_e32 v7, 0x3b800000
	v_lshlrev_b32_e32 v2, 20, v2
	v_lshl_add_u32 v6, v6, 23, v7
	v_or3_b32 v2, v3, v6, v2
.LBB1_11996:
	s_or_b64 exec, exec, s[6:7]
	s_movk_i32 s4, 0x7f
	v_cmp_gt_i16_sdwa s[6:7], v4, s4 src0_sel:BYTE_3 src1_sel:DWORD
	s_mov_b64 s[4:5], 0
                                        ; implicit-def: $sgpr10
	s_and_saveexec_b64 s[8:9], s[6:7]
	s_xor_b64 s[6:7], exec, s[8:9]
	s_cbranch_execz .LBB1_11997
; %bb.47837:
	s_getpc_b64 s[14:15]
.Lpost_getpc9582:
	s_add_u32 s14, s14, (.LBB1_26333-.Lpost_getpc9582)&4294967295
	s_addc_u32 s15, s15, (.LBB1_26333-.Lpost_getpc9582)>>32
	s_setpc_b64 s[14:15]
.LBB1_11997:
	s_or_saveexec_b64 s[6:7], s[6:7]
	v_mov_b32_e32 v3, s10
	s_xor_b64 exec, exec, s[6:7]
	s_cbranch_execz .LBB1_11998
; %bb.47839:
	s_getpc_b64 s[14:15]
.Lpost_getpc9583:
	s_add_u32 s14, s14, (.LBB1_26336-.Lpost_getpc9583)&4294967295
	s_addc_u32 s15, s15, (.LBB1_26336-.Lpost_getpc9583)>>32
	s_setpc_b64 s[14:15]
.LBB1_11998:
	s_or_b64 exec, exec, s[6:7]
	s_and_saveexec_b64 s[6:7], s[4:5]
	s_cbranch_execz .LBB1_12000
.LBB1_11999:
	v_bfe_u32 v3, v4, 24, 3
	v_ffbh_u32_e32 v12, v3
	v_min_u32_e32 v12, 32, v12
	v_lshrrev_b32_e32 v7, 27, v4
	v_subrev_u32_e32 v13, 28, v12
	v_and_b32_e32 v6, 0x80000000, v4
	v_and_b32_e32 v7, 15, v7
	v_bfe_u32 v8, v4, 27, 4
	v_lshlrev_b32_sdwa v4, v13, v4 dst_sel:DWORD dst_unused:UNUSED_PAD src0_sel:DWORD src1_sel:BYTE_3
	v_sub_u32_e32 v12, 29, v12
	v_and_b32_e32 v4, 7, v4
	v_cmp_eq_u16_e32 vcc, 0, v7
	v_cndmask_b32_e32 v3, v3, v4, vcc
	v_cndmask_b32_e32 v4, v8, v12, vcc
	v_mov_b32_e32 v7, 0x3b800000
	v_lshlrev_b32_e32 v3, 20, v3
	v_lshl_add_u32 v4, v4, 23, v7
	v_or3_b32 v3, v6, v4, v3
.LBB1_12000:
	s_or_b64 exec, exec, s[6:7]
	s_nop 0
	v_mfma_f32_16x16x4f32 a[0:3], v2, v3, a[0:3]
	s_movk_i32 s4, 0x7f
	v_cmp_gt_i16_sdwa s[6:7], v9, s4 src0_sel:BYTE_0 src1_sel:DWORD
	s_mov_b64 s[4:5], 0
                                        ; implicit-def: $sgpr10
	s_and_saveexec_b64 s[8:9], s[6:7]
	s_xor_b64 s[6:7], exec, s[8:9]
	s_cbranch_execz .LBB1_12001
; %bb.47841:
	s_getpc_b64 s[14:15]
.Lpost_getpc9584:
	s_add_u32 s14, s14, (.LBB1_26337-.Lpost_getpc9584)&4294967295
	s_addc_u32 s15, s15, (.LBB1_26337-.Lpost_getpc9584)>>32
	s_setpc_b64 s[14:15]
.LBB1_12001:
	s_or_saveexec_b64 s[6:7], s[6:7]
	v_mov_b32_e32 v2, s10
	s_xor_b64 exec, exec, s[6:7]
	s_cbranch_execz .LBB1_12002
; %bb.47843:
	s_getpc_b64 s[14:15]
.Lpost_getpc9585:
	s_add_u32 s14, s14, (.LBB1_26340-.Lpost_getpc9585)&4294967295
	s_addc_u32 s15, s15, (.LBB1_26340-.Lpost_getpc9585)>>32
	s_setpc_b64 s[14:15]
.LBB1_12002:
	s_or_b64 exec, exec, s[6:7]
	s_and_saveexec_b64 s[6:7], s[4:5]
	s_cbranch_execz .LBB1_12004
.LBB1_12003:
	v_mov_b32_e32 v2, 8
	v_and_b32_e32 v3, 7, v9
	v_lshrrev_b32_sdwa v2, v2, v9 dst_sel:BYTE_1 dst_unused:UNUSED_PAD src0_sel:DWORD src1_sel:DWORD
	v_ffbh_u32_e32 v4, v3
	v_or_b32_sdwa v2, v9, v2 dst_sel:DWORD dst_unused:UNUSED_PAD src0_sel:BYTE_0 src1_sel:DWORD
	v_min_u32_e32 v4, 32, v4
	v_lshrrev_b16_e32 v2, 3, v2
	v_subrev_u32_e32 v6, 28, v4
	v_and_b32_e32 v2, 15, v2
	v_lshlrev_b32_e32 v6, v6, v9
	v_sub_u32_e32 v4, 29, v4
	v_and_b32_e32 v6, 7, v6
	v_cmp_eq_u16_e32 vcc, 0, v2
	v_cndmask_b32_e32 v3, v3, v6, vcc
	v_cndmask_b32_e32 v2, v2, v4, vcc
	v_lshlrev_b32_e32 v4, 24, v9
	v_mov_b32_e32 v6, 0x3b800000
	v_lshlrev_b32_e32 v3, 20, v3
	v_and_b32_e32 v4, 0x80000000, v4
	v_lshl_add_u32 v2, v2, 23, v6
	v_or3_b32 v2, v4, v2, v3
.LBB1_12004:
	s_or_b64 exec, exec, s[6:7]
	s_movk_i32 s4, 0x7f
	v_cmp_gt_i16_sdwa s[6:7], v5, s4 src0_sel:BYTE_0 src1_sel:DWORD
	s_mov_b64 s[4:5], 0
                                        ; implicit-def: $sgpr10
	s_and_saveexec_b64 s[8:9], s[6:7]
	s_xor_b64 s[6:7], exec, s[8:9]
	s_cbranch_execz .LBB1_12005
; %bb.47845:
	s_getpc_b64 s[14:15]
.Lpost_getpc9586:
	s_add_u32 s14, s14, (.LBB1_26341-.Lpost_getpc9586)&4294967295
	s_addc_u32 s15, s15, (.LBB1_26341-.Lpost_getpc9586)>>32
	s_setpc_b64 s[14:15]
.LBB1_12005:
	s_or_saveexec_b64 s[6:7], s[6:7]
	v_mov_b32_e32 v3, s10
	s_xor_b64 exec, exec, s[6:7]
	s_cbranch_execz .LBB1_12006
; %bb.47847:
	s_getpc_b64 s[14:15]
.Lpost_getpc9587:
	s_add_u32 s14, s14, (.LBB1_26344-.Lpost_getpc9587)&4294967295
	s_addc_u32 s15, s15, (.LBB1_26344-.Lpost_getpc9587)>>32
	s_setpc_b64 s[14:15]
.LBB1_12006:
	s_or_b64 exec, exec, s[6:7]
	s_and_saveexec_b64 s[6:7], s[4:5]
	s_cbranch_execz .LBB1_12008
.LBB1_12007:
	v_mov_b32_e32 v3, 8
	v_and_b32_e32 v4, 7, v5
	v_lshrrev_b32_sdwa v3, v3, v5 dst_sel:BYTE_1 dst_unused:UNUSED_PAD src0_sel:DWORD src1_sel:DWORD
	v_ffbh_u32_e32 v6, v4
	v_or_b32_sdwa v3, v5, v3 dst_sel:DWORD dst_unused:UNUSED_PAD src0_sel:BYTE_0 src1_sel:DWORD
	v_min_u32_e32 v6, 32, v6
	v_lshrrev_b16_e32 v3, 3, v3
	v_subrev_u32_e32 v7, 28, v6
	v_and_b32_e32 v3, 15, v3
	v_lshlrev_b32_e32 v7, v7, v5
	v_sub_u32_e32 v6, 29, v6
	v_and_b32_e32 v7, 7, v7
	v_cmp_eq_u16_e32 vcc, 0, v3
	v_cndmask_b32_e32 v4, v4, v7, vcc
	v_cndmask_b32_e32 v3, v3, v6, vcc
	v_lshlrev_b32_e32 v6, 24, v5
	v_mov_b32_e32 v7, 0x3b800000
	v_lshlrev_b32_e32 v4, 20, v4
	v_and_b32_e32 v6, 0x80000000, v6
	v_lshl_add_u32 v3, v3, 23, v7
	v_or3_b32 v3, v6, v3, v4
.LBB1_12008:
	s_or_b64 exec, exec, s[6:7]
	s_nop 0
	v_mfma_f32_16x16x4f32 a[0:3], v2, v3, a[0:3]
	v_lshrrev_b32_e32 v3, 8, v9
	s_movk_i32 s4, 0x7f
	v_cmp_gt_i16_sdwa s[6:7], v3, s4 src0_sel:BYTE_0 src1_sel:DWORD
	s_mov_b64 s[4:5], 0
                                        ; implicit-def: $sgpr10
	s_and_saveexec_b64 s[8:9], s[6:7]
	s_xor_b64 s[6:7], exec, s[8:9]
	s_cbranch_execz .LBB1_12009
; %bb.47849:
	s_getpc_b64 s[14:15]
.Lpost_getpc9588:
	s_add_u32 s14, s14, (.LBB1_26345-.Lpost_getpc9588)&4294967295
	s_addc_u32 s15, s15, (.LBB1_26345-.Lpost_getpc9588)>>32
	s_setpc_b64 s[14:15]
.LBB1_12009:
	s_or_saveexec_b64 s[6:7], s[6:7]
	v_mov_b32_e32 v2, s10
	s_xor_b64 exec, exec, s[6:7]
	s_cbranch_execz .LBB1_12010
; %bb.47851:
	s_getpc_b64 s[14:15]
.Lpost_getpc9589:
	s_add_u32 s14, s14, (.LBB1_26348-.Lpost_getpc9589)&4294967295
	s_addc_u32 s15, s15, (.LBB1_26348-.Lpost_getpc9589)>>32
	s_setpc_b64 s[14:15]
.LBB1_12010:
	s_or_b64 exec, exec, s[6:7]
	s_and_saveexec_b64 s[6:7], s[4:5]
	s_cbranch_execz .LBB1_12012
.LBB1_12011:
	v_bfe_u32 v2, v9, 8, 3
	v_ffbh_u32_e32 v6, v2
	v_min_u32_e32 v6, 32, v6
	v_lshrrev_b16_e32 v4, 3, v3
	v_subrev_u32_e32 v7, 28, v6
	v_and_b32_e32 v4, 15, v4
	v_lshlrev_b32_e32 v3, v7, v3
	v_sub_u32_e32 v6, 29, v6
	v_and_b32_e32 v3, 7, v3
	v_cmp_eq_u16_e32 vcc, 0, v4
	v_cndmask_b32_e32 v2, v2, v3, vcc
	v_cndmask_b32_e32 v3, v4, v6, vcc
	v_lshlrev_b32_e32 v4, 16, v9
	v_mov_b32_e32 v6, 0x3b800000
	v_lshlrev_b32_e32 v2, 20, v2
	v_and_b32_e32 v4, 0x80000000, v4
	v_lshl_add_u32 v3, v3, 23, v6
	v_or3_b32 v2, v4, v3, v2
.LBB1_12012:
	s_or_b64 exec, exec, s[6:7]
	v_lshrrev_b32_e32 v3, 8, v5
	s_movk_i32 s4, 0x7f
	v_cmp_gt_i16_sdwa s[6:7], v3, s4 src0_sel:BYTE_0 src1_sel:DWORD
	s_mov_b64 s[4:5], 0
                                        ; implicit-def: $sgpr10
	s_and_saveexec_b64 s[8:9], s[6:7]
	s_xor_b64 s[6:7], exec, s[8:9]
	s_cbranch_execz .LBB1_12013
; %bb.47853:
	s_getpc_b64 s[14:15]
.Lpost_getpc9590:
	s_add_u32 s14, s14, (.LBB1_26349-.Lpost_getpc9590)&4294967295
	s_addc_u32 s15, s15, (.LBB1_26349-.Lpost_getpc9590)>>32
	s_setpc_b64 s[14:15]
.LBB1_12013:
	s_or_saveexec_b64 s[6:7], s[6:7]
	v_mov_b32_e32 v4, s10
	s_xor_b64 exec, exec, s[6:7]
	s_cbranch_execz .LBB1_12014
; %bb.47855:
	s_getpc_b64 s[14:15]
.Lpost_getpc9591:
	s_add_u32 s14, s14, (.LBB1_26352-.Lpost_getpc9591)&4294967295
	s_addc_u32 s15, s15, (.LBB1_26352-.Lpost_getpc9591)>>32
	s_setpc_b64 s[14:15]
.LBB1_12014:
	s_or_b64 exec, exec, s[6:7]
	s_and_saveexec_b64 s[6:7], s[4:5]
	s_cbranch_execz .LBB1_12016
.LBB1_12015:
	v_bfe_u32 v4, v5, 8, 3
	v_ffbh_u32_e32 v7, v4
	v_min_u32_e32 v7, 32, v7
	v_lshrrev_b16_e32 v6, 3, v3
	v_subrev_u32_e32 v8, 28, v7
	v_and_b32_e32 v6, 15, v6
	v_lshlrev_b32_e32 v3, v8, v3
	v_sub_u32_e32 v7, 29, v7
	v_and_b32_e32 v3, 7, v3
	v_cmp_eq_u16_e32 vcc, 0, v6
	v_cndmask_b32_e32 v3, v4, v3, vcc
	v_cndmask_b32_e32 v4, v6, v7, vcc
	v_lshlrev_b32_e32 v6, 16, v5
	v_mov_b32_e32 v7, 0x3b800000
	v_lshlrev_b32_e32 v3, 20, v3
	v_and_b32_e32 v6, 0x80000000, v6
	v_lshl_add_u32 v4, v4, 23, v7
	v_or3_b32 v4, v6, v4, v3
.LBB1_12016:
	s_or_b64 exec, exec, s[6:7]
	s_nop 0
	v_mfma_f32_16x16x4f32 a[0:3], v2, v4, a[0:3]
	s_movk_i32 s4, 0xff
	v_and_b32_sdwa v3, v9, s4 dst_sel:DWORD dst_unused:UNUSED_PAD src0_sel:WORD_1 src1_sel:DWORD
	s_movk_i32 s4, 0x7f
	v_cmp_lt_i16_e32 vcc, s4, v3
	s_mov_b64 s[4:5], 0
                                        ; implicit-def: $sgpr10
	s_and_saveexec_b64 s[6:7], vcc
	s_xor_b64 s[6:7], exec, s[6:7]
	s_cbranch_execz .LBB1_12017
; %bb.47857:
	s_getpc_b64 s[14:15]
.Lpost_getpc9592:
	s_add_u32 s14, s14, (.LBB1_26353-.Lpost_getpc9592)&4294967295
	s_addc_u32 s15, s15, (.LBB1_26353-.Lpost_getpc9592)>>32
	s_setpc_b64 s[14:15]
.LBB1_12017:
	s_or_saveexec_b64 s[6:7], s[6:7]
	v_mov_b32_e32 v2, s10
	s_xor_b64 exec, exec, s[6:7]
	s_cbranch_execz .LBB1_12018
; %bb.47859:
	s_getpc_b64 s[14:15]
.Lpost_getpc9593:
	s_add_u32 s14, s14, (.LBB1_26356-.Lpost_getpc9593)&4294967295
	s_addc_u32 s15, s15, (.LBB1_26356-.Lpost_getpc9593)>>32
	s_setpc_b64 s[14:15]
.LBB1_12018:
	s_or_b64 exec, exec, s[6:7]
	s_and_saveexec_b64 s[6:7], s[4:5]
	s_cbranch_execz .LBB1_12020
.LBB1_12019:
	v_bfe_u32 v2, v9, 16, 3
	v_ffbh_u32_e32 v6, v2
	v_min_u32_e32 v6, 32, v6
	v_lshrrev_b32_e32 v3, 19, v9
	v_subrev_u32_e32 v7, 28, v6
	v_and_b32_e32 v3, 15, v3
	v_lshlrev_b32_sdwa v7, v7, v9 dst_sel:DWORD dst_unused:UNUSED_PAD src0_sel:DWORD src1_sel:WORD_1
	v_bfe_u32 v4, v9, 19, 4
	v_sub_u32_e32 v6, 29, v6
	v_and_b32_e32 v7, 7, v7
	v_cmp_eq_u16_e32 vcc, 0, v3
	v_cndmask_b32_e32 v2, v2, v7, vcc
	v_cndmask_b32_e32 v3, v4, v6, vcc
	v_lshlrev_b32_e32 v4, 8, v9
	v_mov_b32_e32 v6, 0x3b800000
	v_lshlrev_b32_e32 v2, 20, v2
	v_and_b32_e32 v4, 0x80000000, v4
	v_lshl_add_u32 v3, v3, 23, v6
	v_or3_b32 v2, v4, v3, v2
.LBB1_12020:
	s_or_b64 exec, exec, s[6:7]
	s_movk_i32 s4, 0xff
	v_and_b32_sdwa v3, v5, s4 dst_sel:DWORD dst_unused:UNUSED_PAD src0_sel:WORD_1 src1_sel:DWORD
	s_movk_i32 s4, 0x7f
	v_cmp_lt_i16_e32 vcc, s4, v3
	s_mov_b64 s[4:5], 0
                                        ; implicit-def: $sgpr10
	s_and_saveexec_b64 s[6:7], vcc
	s_xor_b64 s[6:7], exec, s[6:7]
	s_cbranch_execz .LBB1_12021
; %bb.47861:
	s_getpc_b64 s[14:15]
.Lpost_getpc9594:
	s_add_u32 s14, s14, (.LBB1_26357-.Lpost_getpc9594)&4294967295
	s_addc_u32 s15, s15, (.LBB1_26357-.Lpost_getpc9594)>>32
	s_setpc_b64 s[14:15]
.LBB1_12021:
	s_or_saveexec_b64 s[6:7], s[6:7]
	v_mov_b32_e32 v4, s10
	s_xor_b64 exec, exec, s[6:7]
	s_cbranch_execz .LBB1_12022
; %bb.47863:
	s_getpc_b64 s[14:15]
.Lpost_getpc9595:
	s_add_u32 s14, s14, (.LBB1_26360-.Lpost_getpc9595)&4294967295
	s_addc_u32 s15, s15, (.LBB1_26360-.Lpost_getpc9595)>>32
	s_setpc_b64 s[14:15]
.LBB1_12022:
	s_or_b64 exec, exec, s[6:7]
	s_and_saveexec_b64 s[6:7], s[4:5]
	s_cbranch_execz .LBB1_12024
.LBB1_12023:
	v_bfe_u32 v3, v5, 16, 3
	v_ffbh_u32_e32 v7, v3
	v_min_u32_e32 v7, 32, v7
	v_lshrrev_b32_e32 v4, 19, v5
	v_subrev_u32_e32 v8, 28, v7
	v_and_b32_e32 v4, 15, v4
	v_lshlrev_b32_sdwa v8, v8, v5 dst_sel:DWORD dst_unused:UNUSED_PAD src0_sel:DWORD src1_sel:WORD_1
	v_bfe_u32 v6, v5, 19, 4
	v_sub_u32_e32 v7, 29, v7
	v_and_b32_e32 v8, 7, v8
	v_cmp_eq_u16_e32 vcc, 0, v4
	v_cndmask_b32_e32 v3, v3, v8, vcc
	v_cndmask_b32_e32 v4, v6, v7, vcc
	v_lshlrev_b32_e32 v6, 8, v5
	v_mov_b32_e32 v7, 0x3b800000
	v_lshlrev_b32_e32 v3, 20, v3
	v_and_b32_e32 v6, 0x80000000, v6
	v_lshl_add_u32 v4, v4, 23, v7
	v_or3_b32 v4, v6, v4, v3
.LBB1_12024:
	s_or_b64 exec, exec, s[6:7]
	s_nop 0
	v_mfma_f32_16x16x4f32 a[0:3], v2, v4, a[0:3]
	s_movk_i32 s4, 0x7f
	v_cmp_gt_i16_sdwa s[6:7], v9, s4 src0_sel:BYTE_3 src1_sel:DWORD
	s_mov_b64 s[4:5], 0
                                        ; implicit-def: $sgpr10
	s_and_saveexec_b64 s[8:9], s[6:7]
	s_xor_b64 s[6:7], exec, s[8:9]
	s_cbranch_execz .LBB1_12025
; %bb.47865:
	s_getpc_b64 s[14:15]
.Lpost_getpc9596:
	s_add_u32 s14, s14, (.LBB1_26361-.Lpost_getpc9596)&4294967295
	s_addc_u32 s15, s15, (.LBB1_26361-.Lpost_getpc9596)>>32
	s_setpc_b64 s[14:15]
.LBB1_12025:
	s_or_saveexec_b64 s[6:7], s[6:7]
	v_mov_b32_e32 v2, s10
	s_xor_b64 exec, exec, s[6:7]
	s_cbranch_execz .LBB1_12026
; %bb.47867:
	s_getpc_b64 s[14:15]
.Lpost_getpc9597:
	s_add_u32 s14, s14, (.LBB1_26364-.Lpost_getpc9597)&4294967295
	s_addc_u32 s15, s15, (.LBB1_26364-.Lpost_getpc9597)>>32
	s_setpc_b64 s[14:15]
.LBB1_12026:
	s_or_b64 exec, exec, s[6:7]
	s_and_saveexec_b64 s[6:7], s[4:5]
	s_cbranch_execz .LBB1_12028
.LBB1_12027:
	v_bfe_u32 v2, v9, 24, 3
	v_ffbh_u32_e32 v7, v2
	v_min_u32_e32 v7, 32, v7
	v_lshrrev_b32_e32 v4, 27, v9
	v_subrev_u32_e32 v8, 28, v7
	v_and_b32_e32 v4, 15, v4
	v_lshlrev_b32_sdwa v8, v8, v9 dst_sel:DWORD dst_unused:UNUSED_PAD src0_sel:DWORD src1_sel:BYTE_3
	v_bfe_u32 v6, v9, 27, 4
	v_sub_u32_e32 v7, 29, v7
	v_and_b32_e32 v8, 7, v8
	v_cmp_eq_u16_e32 vcc, 0, v4
	v_cndmask_b32_e32 v2, v2, v8, vcc
	v_cndmask_b32_e32 v4, v6, v7, vcc
	v_mov_b32_e32 v6, 0x3b800000
	v_and_b32_e32 v3, 0x80000000, v9
	v_lshlrev_b32_e32 v2, 20, v2
	v_lshl_add_u32 v4, v4, 23, v6
	v_or3_b32 v2, v3, v4, v2
.LBB1_12028:
	s_or_b64 exec, exec, s[6:7]
	s_movk_i32 s4, 0x7f
	v_cmp_gt_i16_sdwa s[6:7], v5, s4 src0_sel:BYTE_3 src1_sel:DWORD
	s_mov_b64 s[4:5], 0
                                        ; implicit-def: $sgpr10
	s_and_saveexec_b64 s[8:9], s[6:7]
	s_xor_b64 s[6:7], exec, s[8:9]
	s_cbranch_execz .LBB1_12029
; %bb.47869:
	s_getpc_b64 s[14:15]
.Lpost_getpc9598:
	s_add_u32 s14, s14, (.LBB1_26365-.Lpost_getpc9598)&4294967295
	s_addc_u32 s15, s15, (.LBB1_26365-.Lpost_getpc9598)>>32
	s_setpc_b64 s[14:15]
.LBB1_12029:
	s_or_saveexec_b64 s[6:7], s[6:7]
	v_mov_b32_e32 v3, s10
	s_xor_b64 exec, exec, s[6:7]
	s_cbranch_execz .LBB1_12030
; %bb.47871:
	s_getpc_b64 s[14:15]
.Lpost_getpc9599:
	s_add_u32 s14, s14, (.LBB1_26368-.Lpost_getpc9599)&4294967295
	s_addc_u32 s15, s15, (.LBB1_26368-.Lpost_getpc9599)>>32
	s_setpc_b64 s[14:15]
.LBB1_12030:
	s_or_b64 exec, exec, s[6:7]
	s_and_saveexec_b64 s[6:7], s[4:5]
	s_cbranch_execz .LBB1_12032
.LBB1_12031:
	v_bfe_u32 v3, v5, 24, 3
	v_ffbh_u32_e32 v8, v3
	v_min_u32_e32 v8, 32, v8
	v_lshrrev_b32_e32 v6, 27, v5
	v_subrev_u32_e32 v9, 28, v8
	v_and_b32_e32 v4, 0x80000000, v5
	v_and_b32_e32 v6, 15, v6
	v_bfe_u32 v7, v5, 27, 4
	v_lshlrev_b32_sdwa v5, v9, v5 dst_sel:DWORD dst_unused:UNUSED_PAD src0_sel:DWORD src1_sel:BYTE_3
	v_sub_u32_e32 v8, 29, v8
	v_and_b32_e32 v5, 7, v5
	v_cmp_eq_u16_e32 vcc, 0, v6
	v_cndmask_b32_e32 v3, v3, v5, vcc
	v_cndmask_b32_e32 v5, v7, v8, vcc
	v_mov_b32_e32 v6, 0x3b800000
	v_lshlrev_b32_e32 v3, 20, v3
	v_lshl_add_u32 v5, v5, 23, v6
	v_or3_b32 v3, v4, v5, v3
.LBB1_12032:
	s_or_b64 exec, exec, s[6:7]
	s_nop 0
	v_mfma_f32_16x16x4f32 a[0:3], v2, v3, a[0:3]
	s_movk_i32 s4, 0x7f
                                        ; implicit-def: $sgpr10
	s_nop 7
	s_nop 1
	flat_store_dwordx4 v[10:11], a[0:3] offset:592
	flat_load_dwordx4 v[12:15], v[0:1]
	s_nop 0
	flat_load_dwordx2 v[10:11], v[0:1] offset:16
	s_waitcnt vmcnt(0) lgkmcnt(0)
	flat_load_dwordx4 v[6:9], v[12:13] offset:176
	flat_load_dwordx4 v[2:5], v[14:15] offset:224
	s_waitcnt vmcnt(0) lgkmcnt(0)
	v_cmp_gt_i16_sdwa s[6:7], v6, s4 src0_sel:BYTE_0 src1_sel:DWORD
	s_mov_b64 s[4:5], 0
	s_and_saveexec_b64 s[8:9], s[6:7]
	s_xor_b64 s[6:7], exec, s[8:9]
	s_cbranch_execz .LBB1_12033
; %bb.47873:
	s_getpc_b64 s[14:15]
.Lpost_getpc9600:
	s_add_u32 s14, s14, (.LBB1_26369-.Lpost_getpc9600)&4294967295
	s_addc_u32 s15, s15, (.LBB1_26369-.Lpost_getpc9600)>>32
	s_setpc_b64 s[14:15]
.LBB1_12033:
	s_or_saveexec_b64 s[6:7], s[6:7]
	v_mov_b32_e32 v12, s10
	s_xor_b64 exec, exec, s[6:7]
	s_cbranch_execz .LBB1_12034
; %bb.47875:
	s_getpc_b64 s[14:15]
.Lpost_getpc9601:
	s_add_u32 s14, s14, (.LBB1_26372-.Lpost_getpc9601)&4294967295
	s_addc_u32 s15, s15, (.LBB1_26372-.Lpost_getpc9601)>>32
	s_setpc_b64 s[14:15]
.LBB1_12034:
	s_or_b64 exec, exec, s[6:7]
	s_and_saveexec_b64 s[6:7], s[4:5]
	s_cbranch_execz .LBB1_12036
.LBB1_12035:
	v_and_b32_e32 v12, 7, v6
	v_ffbh_u32_e32 v14, v12
	v_min_u32_e32 v14, 32, v14
	v_lshrrev_b16_e32 v13, 3, v6
	v_subrev_u32_e32 v15, 28, v14
	v_and_b32_e32 v13, 15, v13
	v_lshlrev_b32_e32 v15, v15, v6
	v_sub_u32_e32 v14, 29, v14
	v_and_b32_e32 v15, 7, v15
	v_cmp_eq_u16_e32 vcc, 0, v13
	v_cndmask_b32_e32 v12, v12, v15, vcc
	v_cndmask_b32_e32 v13, v13, v14, vcc
	v_lshlrev_b32_e32 v14, 24, v6
	v_mov_b32_e32 v15, 0x3b800000
	v_lshlrev_b32_e32 v12, 20, v12
	v_and_b32_e32 v14, 0x80000000, v14
	v_lshl_add_u32 v13, v13, 23, v15
	v_or3_b32 v12, v14, v13, v12
.LBB1_12036:
	s_or_b64 exec, exec, s[6:7]
	s_movk_i32 s4, 0x7f
	v_cmp_gt_i16_sdwa s[6:7], v2, s4 src0_sel:BYTE_0 src1_sel:DWORD
	s_mov_b64 s[4:5], 0
                                        ; implicit-def: $sgpr10
	s_and_saveexec_b64 s[8:9], s[6:7]
	s_xor_b64 s[6:7], exec, s[8:9]
	s_cbranch_execz .LBB1_12037
; %bb.47877:
	s_getpc_b64 s[14:15]
.Lpost_getpc9602:
	s_add_u32 s14, s14, (.LBB1_26373-.Lpost_getpc9602)&4294967295
	s_addc_u32 s15, s15, (.LBB1_26373-.Lpost_getpc9602)>>32
	s_setpc_b64 s[14:15]
.LBB1_12037:
	s_or_saveexec_b64 s[6:7], s[6:7]
	v_mov_b32_e32 v13, s10
	s_xor_b64 exec, exec, s[6:7]
	s_cbranch_execz .LBB1_12038
; %bb.47879:
	s_getpc_b64 s[14:15]
.Lpost_getpc9603:
	s_add_u32 s14, s14, (.LBB1_26376-.Lpost_getpc9603)&4294967295
	s_addc_u32 s15, s15, (.LBB1_26376-.Lpost_getpc9603)>>32
	s_setpc_b64 s[14:15]
.LBB1_12038:
	s_or_b64 exec, exec, s[6:7]
	s_and_saveexec_b64 s[6:7], s[4:5]
	s_cbranch_execz .LBB1_12040
.LBB1_12039:
	v_and_b32_e32 v13, 7, v2
	v_ffbh_u32_e32 v15, v13
	v_min_u32_e32 v15, 32, v15
	v_lshrrev_b16_e32 v14, 3, v2
	v_subrev_u32_e32 v16, 28, v15
	v_and_b32_e32 v14, 15, v14
	v_lshlrev_b32_e32 v16, v16, v2
	v_sub_u32_e32 v15, 29, v15
	v_and_b32_e32 v16, 7, v16
	v_cmp_eq_u16_e32 vcc, 0, v14
	v_cndmask_b32_e32 v13, v13, v16, vcc
	v_cndmask_b32_e32 v14, v14, v15, vcc
	v_lshlrev_b32_e32 v15, 24, v2
	v_mov_b32_e32 v16, 0x3b800000
	v_lshlrev_b32_e32 v13, 20, v13
	v_and_b32_e32 v15, 0x80000000, v15
	v_lshl_add_u32 v14, v14, 23, v16
	v_or3_b32 v13, v15, v14, v13
.LBB1_12040:
	s_or_b64 exec, exec, s[6:7]
	flat_load_dwordx4 a[0:3], v[10:11] offset:608
	s_movk_i32 s4, 0x7f
                                        ; implicit-def: $sgpr10
	s_waitcnt vmcnt(0) lgkmcnt(0)
	v_mfma_f32_16x16x4f32 a[0:3], v12, v13, a[0:3]
	v_lshrrev_b32_e32 v13, 8, v6
	v_cmp_gt_i16_sdwa s[6:7], v13, s4 src0_sel:BYTE_0 src1_sel:DWORD
	s_mov_b64 s[4:5], 0
	s_and_saveexec_b64 s[8:9], s[6:7]
	s_xor_b64 s[6:7], exec, s[8:9]
	s_cbranch_execz .LBB1_12041
; %bb.47881:
	s_getpc_b64 s[14:15]
.Lpost_getpc9604:
	s_add_u32 s14, s14, (.LBB1_26377-.Lpost_getpc9604)&4294967295
	s_addc_u32 s15, s15, (.LBB1_26377-.Lpost_getpc9604)>>32
	s_setpc_b64 s[14:15]
.LBB1_12041:
	s_or_saveexec_b64 s[6:7], s[6:7]
	v_mov_b32_e32 v12, s10
	s_xor_b64 exec, exec, s[6:7]
	s_cbranch_execz .LBB1_12042
; %bb.47883:
	s_getpc_b64 s[14:15]
.Lpost_getpc9605:
	s_add_u32 s14, s14, (.LBB1_26380-.Lpost_getpc9605)&4294967295
	s_addc_u32 s15, s15, (.LBB1_26380-.Lpost_getpc9605)>>32
	s_setpc_b64 s[14:15]
.LBB1_12042:
	s_or_b64 exec, exec, s[6:7]
	s_and_saveexec_b64 s[6:7], s[4:5]
	s_cbranch_execz .LBB1_12044
.LBB1_12043:
	v_bfe_u32 v12, v6, 8, 3
	v_ffbh_u32_e32 v15, v12
	v_min_u32_e32 v15, 32, v15
	v_lshrrev_b16_e32 v14, 3, v13
	v_subrev_u32_e32 v16, 28, v15
	v_and_b32_e32 v14, 15, v14
	v_lshlrev_b32_e32 v13, v16, v13
	v_sub_u32_e32 v15, 29, v15
	v_and_b32_e32 v13, 7, v13
	v_cmp_eq_u16_e32 vcc, 0, v14
	v_cndmask_b32_e32 v12, v12, v13, vcc
	v_cndmask_b32_e32 v13, v14, v15, vcc
	v_lshlrev_b32_e32 v14, 16, v6
	v_mov_b32_e32 v15, 0x3b800000
	v_lshlrev_b32_e32 v12, 20, v12
	v_and_b32_e32 v14, 0x80000000, v14
	v_lshl_add_u32 v13, v13, 23, v15
	v_or3_b32 v12, v14, v13, v12
.LBB1_12044:
	s_or_b64 exec, exec, s[6:7]
	v_lshrrev_b32_e32 v13, 8, v2
	s_movk_i32 s4, 0x7f
	v_cmp_gt_i16_sdwa s[6:7], v13, s4 src0_sel:BYTE_0 src1_sel:DWORD
	s_mov_b64 s[4:5], 0
                                        ; implicit-def: $sgpr10
	s_and_saveexec_b64 s[8:9], s[6:7]
	s_xor_b64 s[6:7], exec, s[8:9]
	s_cbranch_execz .LBB1_12045
; %bb.47885:
	s_getpc_b64 s[14:15]
.Lpost_getpc9606:
	s_add_u32 s14, s14, (.LBB1_26381-.Lpost_getpc9606)&4294967295
	s_addc_u32 s15, s15, (.LBB1_26381-.Lpost_getpc9606)>>32
	s_setpc_b64 s[14:15]
.LBB1_12045:
	s_or_saveexec_b64 s[6:7], s[6:7]
	v_mov_b32_e32 v14, s10
	s_xor_b64 exec, exec, s[6:7]
	s_cbranch_execz .LBB1_12046
; %bb.47887:
	s_getpc_b64 s[14:15]
.Lpost_getpc9607:
	s_add_u32 s14, s14, (.LBB1_26384-.Lpost_getpc9607)&4294967295
	s_addc_u32 s15, s15, (.LBB1_26384-.Lpost_getpc9607)>>32
	s_setpc_b64 s[14:15]
.LBB1_12046:
	s_or_b64 exec, exec, s[6:7]
	s_and_saveexec_b64 s[6:7], s[4:5]
	s_cbranch_execz .LBB1_12048
.LBB1_12047:
	v_bfe_u32 v14, v2, 8, 3
	v_ffbh_u32_e32 v16, v14
	v_min_u32_e32 v16, 32, v16
	v_lshrrev_b16_e32 v15, 3, v13
	v_subrev_u32_e32 v17, 28, v16
	v_and_b32_e32 v15, 15, v15
	v_lshlrev_b32_e32 v13, v17, v13
	v_sub_u32_e32 v16, 29, v16
	v_and_b32_e32 v13, 7, v13
	v_cmp_eq_u16_e32 vcc, 0, v15
	v_cndmask_b32_e32 v13, v14, v13, vcc
	v_cndmask_b32_e32 v14, v15, v16, vcc
	v_lshlrev_b32_e32 v15, 16, v2
	v_mov_b32_e32 v16, 0x3b800000
	v_lshlrev_b32_e32 v13, 20, v13
	v_and_b32_e32 v15, 0x80000000, v15
	v_lshl_add_u32 v14, v14, 23, v16
	v_or3_b32 v14, v15, v14, v13
.LBB1_12048:
	s_or_b64 exec, exec, s[6:7]
	s_nop 0
	v_mfma_f32_16x16x4f32 a[0:3], v12, v14, a[0:3]
	s_movk_i32 s4, 0xff
	v_and_b32_sdwa v13, v6, s4 dst_sel:DWORD dst_unused:UNUSED_PAD src0_sel:WORD_1 src1_sel:DWORD
	s_movk_i32 s4, 0x7f
	v_cmp_lt_i16_e32 vcc, s4, v13
	s_mov_b64 s[4:5], 0
                                        ; implicit-def: $sgpr10
	s_and_saveexec_b64 s[6:7], vcc
	s_xor_b64 s[6:7], exec, s[6:7]
	s_cbranch_execz .LBB1_12049
; %bb.47889:
	s_getpc_b64 s[14:15]
.Lpost_getpc9608:
	s_add_u32 s14, s14, (.LBB1_26385-.Lpost_getpc9608)&4294967295
	s_addc_u32 s15, s15, (.LBB1_26385-.Lpost_getpc9608)>>32
	s_setpc_b64 s[14:15]
.LBB1_12049:
	s_or_saveexec_b64 s[6:7], s[6:7]
	v_mov_b32_e32 v12, s10
	s_xor_b64 exec, exec, s[6:7]
	s_cbranch_execz .LBB1_12050
; %bb.47891:
	s_getpc_b64 s[14:15]
.Lpost_getpc9609:
	s_add_u32 s14, s14, (.LBB1_26388-.Lpost_getpc9609)&4294967295
	s_addc_u32 s15, s15, (.LBB1_26388-.Lpost_getpc9609)>>32
	s_setpc_b64 s[14:15]
.LBB1_12050:
	s_or_b64 exec, exec, s[6:7]
	s_and_saveexec_b64 s[6:7], s[4:5]
	s_cbranch_execz .LBB1_12052
.LBB1_12051:
	v_bfe_u32 v12, v6, 16, 3
	v_ffbh_u32_e32 v15, v12
	v_min_u32_e32 v15, 32, v15
	v_lshrrev_b32_e32 v13, 19, v6
	v_subrev_u32_e32 v16, 28, v15
	v_and_b32_e32 v13, 15, v13
	v_lshlrev_b32_sdwa v16, v16, v6 dst_sel:DWORD dst_unused:UNUSED_PAD src0_sel:DWORD src1_sel:WORD_1
	v_bfe_u32 v14, v6, 19, 4
	v_sub_u32_e32 v15, 29, v15
	v_and_b32_e32 v16, 7, v16
	v_cmp_eq_u16_e32 vcc, 0, v13
	v_cndmask_b32_e32 v12, v12, v16, vcc
	v_cndmask_b32_e32 v13, v14, v15, vcc
	v_lshlrev_b32_e32 v14, 8, v6
	v_mov_b32_e32 v15, 0x3b800000
	v_lshlrev_b32_e32 v12, 20, v12
	v_and_b32_e32 v14, 0x80000000, v14
	v_lshl_add_u32 v13, v13, 23, v15
	v_or3_b32 v12, v14, v13, v12
.LBB1_12052:
	s_or_b64 exec, exec, s[6:7]
	s_movk_i32 s4, 0xff
	v_and_b32_sdwa v13, v2, s4 dst_sel:DWORD dst_unused:UNUSED_PAD src0_sel:WORD_1 src1_sel:DWORD
	s_movk_i32 s4, 0x7f
	v_cmp_lt_i16_e32 vcc, s4, v13
	s_mov_b64 s[4:5], 0
                                        ; implicit-def: $sgpr10
	s_and_saveexec_b64 s[6:7], vcc
	s_xor_b64 s[6:7], exec, s[6:7]
	s_cbranch_execz .LBB1_12053
; %bb.47893:
	s_getpc_b64 s[14:15]
.Lpost_getpc9610:
	s_add_u32 s14, s14, (.LBB1_26389-.Lpost_getpc9610)&4294967295
	s_addc_u32 s15, s15, (.LBB1_26389-.Lpost_getpc9610)>>32
	s_setpc_b64 s[14:15]
.LBB1_12053:
	s_or_saveexec_b64 s[6:7], s[6:7]
	v_mov_b32_e32 v14, s10
	s_xor_b64 exec, exec, s[6:7]
	s_cbranch_execz .LBB1_12054
; %bb.47895:
	s_getpc_b64 s[14:15]
.Lpost_getpc9611:
	s_add_u32 s14, s14, (.LBB1_26392-.Lpost_getpc9611)&4294967295
	s_addc_u32 s15, s15, (.LBB1_26392-.Lpost_getpc9611)>>32
	s_setpc_b64 s[14:15]
.LBB1_12054:
	s_or_b64 exec, exec, s[6:7]
	s_and_saveexec_b64 s[6:7], s[4:5]
	s_cbranch_execz .LBB1_12056
.LBB1_12055:
	v_bfe_u32 v13, v2, 16, 3
	v_ffbh_u32_e32 v16, v13
	v_min_u32_e32 v16, 32, v16
	v_lshrrev_b32_e32 v14, 19, v2
	v_subrev_u32_e32 v17, 28, v16
	v_and_b32_e32 v14, 15, v14
	v_lshlrev_b32_sdwa v17, v17, v2 dst_sel:DWORD dst_unused:UNUSED_PAD src0_sel:DWORD src1_sel:WORD_1
	v_bfe_u32 v15, v2, 19, 4
	v_sub_u32_e32 v16, 29, v16
	v_and_b32_e32 v17, 7, v17
	v_cmp_eq_u16_e32 vcc, 0, v14
	v_cndmask_b32_e32 v13, v13, v17, vcc
	v_cndmask_b32_e32 v14, v15, v16, vcc
	v_lshlrev_b32_e32 v15, 8, v2
	v_mov_b32_e32 v16, 0x3b800000
	v_lshlrev_b32_e32 v13, 20, v13
	v_and_b32_e32 v15, 0x80000000, v15
	v_lshl_add_u32 v14, v14, 23, v16
	v_or3_b32 v14, v15, v14, v13
.LBB1_12056:
	s_or_b64 exec, exec, s[6:7]
	s_nop 0
	v_mfma_f32_16x16x4f32 a[0:3], v12, v14, a[0:3]
	s_movk_i32 s4, 0x7f
	v_cmp_gt_i16_sdwa s[6:7], v6, s4 src0_sel:BYTE_3 src1_sel:DWORD
	s_mov_b64 s[4:5], 0
                                        ; implicit-def: $sgpr10
	s_and_saveexec_b64 s[8:9], s[6:7]
	s_xor_b64 s[6:7], exec, s[8:9]
	s_cbranch_execz .LBB1_12057
; %bb.47897:
	s_getpc_b64 s[14:15]
.Lpost_getpc9612:
	s_add_u32 s14, s14, (.LBB1_26393-.Lpost_getpc9612)&4294967295
	s_addc_u32 s15, s15, (.LBB1_26393-.Lpost_getpc9612)>>32
	s_setpc_b64 s[14:15]
.LBB1_12057:
	s_or_saveexec_b64 s[6:7], s[6:7]
	v_mov_b32_e32 v12, s10
	s_xor_b64 exec, exec, s[6:7]
	s_cbranch_execz .LBB1_12058
; %bb.47899:
	s_getpc_b64 s[14:15]
.Lpost_getpc9613:
	s_add_u32 s14, s14, (.LBB1_26396-.Lpost_getpc9613)&4294967295
	s_addc_u32 s15, s15, (.LBB1_26396-.Lpost_getpc9613)>>32
	s_setpc_b64 s[14:15]
.LBB1_12058:
	s_or_b64 exec, exec, s[6:7]
	s_and_saveexec_b64 s[6:7], s[4:5]
	s_cbranch_execz .LBB1_12060
.LBB1_12059:
	v_bfe_u32 v12, v6, 24, 3
	v_ffbh_u32_e32 v16, v12
	v_min_u32_e32 v16, 32, v16
	v_lshrrev_b32_e32 v14, 27, v6
	v_subrev_u32_e32 v17, 28, v16
	v_and_b32_e32 v13, 0x80000000, v6
	v_and_b32_e32 v14, 15, v14
	v_bfe_u32 v15, v6, 27, 4
	v_lshlrev_b32_sdwa v6, v17, v6 dst_sel:DWORD dst_unused:UNUSED_PAD src0_sel:DWORD src1_sel:BYTE_3
	v_sub_u32_e32 v16, 29, v16
	v_and_b32_e32 v6, 7, v6
	v_cmp_eq_u16_e32 vcc, 0, v14
	v_cndmask_b32_e32 v6, v12, v6, vcc
	v_cndmask_b32_e32 v12, v15, v16, vcc
	v_mov_b32_e32 v14, 0x3b800000
	v_lshlrev_b32_e32 v6, 20, v6
	v_lshl_add_u32 v12, v12, 23, v14
	v_or3_b32 v12, v13, v12, v6
.LBB1_12060:
	s_or_b64 exec, exec, s[6:7]
	s_movk_i32 s4, 0x7f
	v_cmp_gt_i16_sdwa s[6:7], v2, s4 src0_sel:BYTE_3 src1_sel:DWORD
	s_mov_b64 s[4:5], 0
                                        ; implicit-def: $sgpr10
	s_and_saveexec_b64 s[8:9], s[6:7]
	s_xor_b64 s[6:7], exec, s[8:9]
	s_cbranch_execz .LBB1_12061
; %bb.47901:
	s_getpc_b64 s[14:15]
.Lpost_getpc9614:
	s_add_u32 s14, s14, (.LBB1_26397-.Lpost_getpc9614)&4294967295
	s_addc_u32 s15, s15, (.LBB1_26397-.Lpost_getpc9614)>>32
	s_setpc_b64 s[14:15]
.LBB1_12061:
	s_or_saveexec_b64 s[6:7], s[6:7]
	v_mov_b32_e32 v6, s10
	s_xor_b64 exec, exec, s[6:7]
	s_cbranch_execz .LBB1_12062
; %bb.47903:
	s_getpc_b64 s[14:15]
.Lpost_getpc9615:
	s_add_u32 s14, s14, (.LBB1_26400-.Lpost_getpc9615)&4294967295
	s_addc_u32 s15, s15, (.LBB1_26400-.Lpost_getpc9615)>>32
	s_setpc_b64 s[14:15]
.LBB1_12062:
	s_or_b64 exec, exec, s[6:7]
	s_and_saveexec_b64 s[6:7], s[4:5]
	s_cbranch_execz .LBB1_12064
.LBB1_12063:
	v_bfe_u32 v6, v2, 24, 3
	v_ffbh_u32_e32 v16, v6
	v_min_u32_e32 v16, 32, v16
	v_lshrrev_b32_e32 v14, 27, v2
	v_subrev_u32_e32 v17, 28, v16
	v_and_b32_e32 v13, 0x80000000, v2
	v_and_b32_e32 v14, 15, v14
	v_bfe_u32 v15, v2, 27, 4
	v_lshlrev_b32_sdwa v2, v17, v2 dst_sel:DWORD dst_unused:UNUSED_PAD src0_sel:DWORD src1_sel:BYTE_3
	v_sub_u32_e32 v16, 29, v16
	v_and_b32_e32 v2, 7, v2
	v_cmp_eq_u16_e32 vcc, 0, v14
	v_cndmask_b32_e32 v2, v6, v2, vcc
	v_cndmask_b32_e32 v6, v15, v16, vcc
	v_mov_b32_e32 v14, 0x3b800000
	v_lshlrev_b32_e32 v2, 20, v2
	v_lshl_add_u32 v6, v6, 23, v14
	v_or3_b32 v6, v13, v6, v2
.LBB1_12064:
	s_or_b64 exec, exec, s[6:7]
	s_nop 0
	v_mfma_f32_16x16x4f32 a[0:3], v12, v6, a[0:3]
	s_movk_i32 s4, 0x7f
	v_cmp_gt_i16_sdwa s[6:7], v7, s4 src0_sel:BYTE_0 src1_sel:DWORD
	s_mov_b64 s[4:5], 0
                                        ; implicit-def: $sgpr10
	s_and_saveexec_b64 s[8:9], s[6:7]
	s_xor_b64 s[6:7], exec, s[8:9]
	s_cbranch_execz .LBB1_12065
; %bb.47905:
	s_getpc_b64 s[14:15]
.Lpost_getpc9616:
	s_add_u32 s14, s14, (.LBB1_26401-.Lpost_getpc9616)&4294967295
	s_addc_u32 s15, s15, (.LBB1_26401-.Lpost_getpc9616)>>32
	s_setpc_b64 s[14:15]
.LBB1_12065:
	s_or_saveexec_b64 s[6:7], s[6:7]
	v_mov_b32_e32 v2, s10
	s_xor_b64 exec, exec, s[6:7]
	s_cbranch_execz .LBB1_12066
; %bb.47907:
	s_getpc_b64 s[14:15]
.Lpost_getpc9617:
	s_add_u32 s14, s14, (.LBB1_26404-.Lpost_getpc9617)&4294967295
	s_addc_u32 s15, s15, (.LBB1_26404-.Lpost_getpc9617)>>32
	s_setpc_b64 s[14:15]
.LBB1_12066:
	s_or_b64 exec, exec, s[6:7]
	s_and_saveexec_b64 s[6:7], s[4:5]
	s_cbranch_execz .LBB1_12068
.LBB1_12067:
	v_and_b32_e32 v2, 7, v7
	v_ffbh_u32_e32 v12, v2
	v_min_u32_e32 v12, 32, v12
	v_lshrrev_b16_e32 v6, 3, v7
	v_subrev_u32_e32 v13, 28, v12
	v_and_b32_e32 v6, 15, v6
	v_lshlrev_b32_e32 v13, v13, v7
	v_sub_u32_e32 v12, 29, v12
	v_and_b32_e32 v13, 7, v13
	v_cmp_eq_u16_e32 vcc, 0, v6
	v_cndmask_b32_e32 v2, v2, v13, vcc
	v_cndmask_b32_e32 v6, v6, v12, vcc
	v_lshlrev_b32_e32 v12, 24, v7
	v_mov_b32_e32 v13, 0x3b800000
	v_lshlrev_b32_e32 v2, 20, v2
	v_and_b32_e32 v12, 0x80000000, v12
	v_lshl_add_u32 v6, v6, 23, v13
	v_or3_b32 v2, v12, v6, v2
.LBB1_12068:
	s_or_b64 exec, exec, s[6:7]
	s_movk_i32 s4, 0x7f
	v_cmp_gt_i16_sdwa s[6:7], v3, s4 src0_sel:BYTE_0 src1_sel:DWORD
	s_mov_b64 s[4:5], 0
                                        ; implicit-def: $sgpr10
	s_and_saveexec_b64 s[8:9], s[6:7]
	s_xor_b64 s[6:7], exec, s[8:9]
	s_cbranch_execz .LBB1_12069
; %bb.47909:
	s_getpc_b64 s[14:15]
.Lpost_getpc9618:
	s_add_u32 s14, s14, (.LBB1_26405-.Lpost_getpc9618)&4294967295
	s_addc_u32 s15, s15, (.LBB1_26405-.Lpost_getpc9618)>>32
	s_setpc_b64 s[14:15]
.LBB1_12069:
	s_or_saveexec_b64 s[6:7], s[6:7]
	v_mov_b32_e32 v6, s10
	s_xor_b64 exec, exec, s[6:7]
	s_cbranch_execz .LBB1_12070
; %bb.47911:
	s_getpc_b64 s[14:15]
.Lpost_getpc9619:
	s_add_u32 s14, s14, (.LBB1_26408-.Lpost_getpc9619)&4294967295
	s_addc_u32 s15, s15, (.LBB1_26408-.Lpost_getpc9619)>>32
	s_setpc_b64 s[14:15]
.LBB1_12070:
	s_or_b64 exec, exec, s[6:7]
	s_and_saveexec_b64 s[6:7], s[4:5]
	s_cbranch_execz .LBB1_12072
.LBB1_12071:
	v_and_b32_e32 v6, 7, v3
	v_ffbh_u32_e32 v13, v6
	v_min_u32_e32 v13, 32, v13
	v_lshrrev_b16_e32 v12, 3, v3
	v_subrev_u32_e32 v14, 28, v13
	v_and_b32_e32 v12, 15, v12
	v_lshlrev_b32_e32 v14, v14, v3
	v_sub_u32_e32 v13, 29, v13
	v_and_b32_e32 v14, 7, v14
	v_cmp_eq_u16_e32 vcc, 0, v12
	v_cndmask_b32_e32 v6, v6, v14, vcc
	v_cndmask_b32_e32 v12, v12, v13, vcc
	v_lshlrev_b32_e32 v13, 24, v3
	v_mov_b32_e32 v14, 0x3b800000
	v_lshlrev_b32_e32 v6, 20, v6
	v_and_b32_e32 v13, 0x80000000, v13
	v_lshl_add_u32 v12, v12, 23, v14
	v_or3_b32 v6, v13, v12, v6
.LBB1_12072:
	s_or_b64 exec, exec, s[6:7]
	s_nop 0
	v_mfma_f32_16x16x4f32 a[0:3], v2, v6, a[0:3]
	v_lshrrev_b32_e32 v6, 8, v7
	s_movk_i32 s4, 0x7f
	v_cmp_gt_i16_sdwa s[6:7], v6, s4 src0_sel:BYTE_0 src1_sel:DWORD
	s_mov_b64 s[4:5], 0
                                        ; implicit-def: $sgpr10
	s_and_saveexec_b64 s[8:9], s[6:7]
	s_xor_b64 s[6:7], exec, s[8:9]
	s_cbranch_execz .LBB1_12073
; %bb.47913:
	s_getpc_b64 s[14:15]
.Lpost_getpc9620:
	s_add_u32 s14, s14, (.LBB1_26409-.Lpost_getpc9620)&4294967295
	s_addc_u32 s15, s15, (.LBB1_26409-.Lpost_getpc9620)>>32
	s_setpc_b64 s[14:15]
.LBB1_12073:
	s_or_saveexec_b64 s[6:7], s[6:7]
	v_mov_b32_e32 v2, s10
	s_xor_b64 exec, exec, s[6:7]
	s_cbranch_execz .LBB1_12074
; %bb.47915:
	s_getpc_b64 s[14:15]
.Lpost_getpc9621:
	s_add_u32 s14, s14, (.LBB1_26412-.Lpost_getpc9621)&4294967295
	s_addc_u32 s15, s15, (.LBB1_26412-.Lpost_getpc9621)>>32
	s_setpc_b64 s[14:15]
.LBB1_12074:
	s_or_b64 exec, exec, s[6:7]
	s_and_saveexec_b64 s[6:7], s[4:5]
	s_cbranch_execz .LBB1_12076
.LBB1_12075:
	v_bfe_u32 v2, v7, 8, 3
	v_ffbh_u32_e32 v13, v2
	v_min_u32_e32 v13, 32, v13
	v_lshrrev_b16_e32 v12, 3, v6
	v_subrev_u32_e32 v14, 28, v13
	v_and_b32_e32 v12, 15, v12
	v_lshlrev_b32_e32 v6, v14, v6
	v_sub_u32_e32 v13, 29, v13
	v_and_b32_e32 v6, 7, v6
	v_cmp_eq_u16_e32 vcc, 0, v12
	v_cndmask_b32_e32 v2, v2, v6, vcc
	v_cndmask_b32_e32 v6, v12, v13, vcc
	v_lshlrev_b32_e32 v12, 16, v7
	v_mov_b32_e32 v13, 0x3b800000
	v_lshlrev_b32_e32 v2, 20, v2
	v_and_b32_e32 v12, 0x80000000, v12
	v_lshl_add_u32 v6, v6, 23, v13
	v_or3_b32 v2, v12, v6, v2
.LBB1_12076:
	s_or_b64 exec, exec, s[6:7]
	v_lshrrev_b32_e32 v6, 8, v3
	s_movk_i32 s4, 0x7f
	v_cmp_gt_i16_sdwa s[6:7], v6, s4 src0_sel:BYTE_0 src1_sel:DWORD
	s_mov_b64 s[4:5], 0
                                        ; implicit-def: $sgpr10
	s_and_saveexec_b64 s[8:9], s[6:7]
	s_xor_b64 s[6:7], exec, s[8:9]
	s_cbranch_execz .LBB1_12077
; %bb.47917:
	s_getpc_b64 s[14:15]
.Lpost_getpc9622:
	s_add_u32 s14, s14, (.LBB1_26413-.Lpost_getpc9622)&4294967295
	s_addc_u32 s15, s15, (.LBB1_26413-.Lpost_getpc9622)>>32
	s_setpc_b64 s[14:15]
.LBB1_12077:
	s_or_saveexec_b64 s[6:7], s[6:7]
	v_mov_b32_e32 v12, s10
	s_xor_b64 exec, exec, s[6:7]
	s_cbranch_execz .LBB1_12078
; %bb.47919:
	s_getpc_b64 s[14:15]
.Lpost_getpc9623:
	s_add_u32 s14, s14, (.LBB1_26416-.Lpost_getpc9623)&4294967295
	s_addc_u32 s15, s15, (.LBB1_26416-.Lpost_getpc9623)>>32
	s_setpc_b64 s[14:15]
.LBB1_12078:
	s_or_b64 exec, exec, s[6:7]
	s_and_saveexec_b64 s[6:7], s[4:5]
	s_cbranch_execz .LBB1_12080
.LBB1_12079:
	v_bfe_u32 v12, v3, 8, 3
	v_ffbh_u32_e32 v14, v12
	v_min_u32_e32 v14, 32, v14
	v_lshrrev_b16_e32 v13, 3, v6
	v_subrev_u32_e32 v15, 28, v14
	v_and_b32_e32 v13, 15, v13
	v_lshlrev_b32_e32 v6, v15, v6
	v_sub_u32_e32 v14, 29, v14
	v_and_b32_e32 v6, 7, v6
	v_cmp_eq_u16_e32 vcc, 0, v13
	v_cndmask_b32_e32 v6, v12, v6, vcc
	v_cndmask_b32_e32 v12, v13, v14, vcc
	v_lshlrev_b32_e32 v13, 16, v3
	v_mov_b32_e32 v14, 0x3b800000
	v_lshlrev_b32_e32 v6, 20, v6
	v_and_b32_e32 v13, 0x80000000, v13
	v_lshl_add_u32 v12, v12, 23, v14
	v_or3_b32 v12, v13, v12, v6
.LBB1_12080:
	s_or_b64 exec, exec, s[6:7]
	s_nop 0
	v_mfma_f32_16x16x4f32 a[0:3], v2, v12, a[0:3]
	s_movk_i32 s4, 0xff
	v_and_b32_sdwa v6, v7, s4 dst_sel:DWORD dst_unused:UNUSED_PAD src0_sel:WORD_1 src1_sel:DWORD
	s_movk_i32 s4, 0x7f
	v_cmp_lt_i16_e32 vcc, s4, v6
	s_mov_b64 s[4:5], 0
                                        ; implicit-def: $sgpr10
	s_and_saveexec_b64 s[6:7], vcc
	s_xor_b64 s[6:7], exec, s[6:7]
	s_cbranch_execz .LBB1_12081
; %bb.47921:
	s_getpc_b64 s[14:15]
.Lpost_getpc9624:
	s_add_u32 s14, s14, (.LBB1_26417-.Lpost_getpc9624)&4294967295
	s_addc_u32 s15, s15, (.LBB1_26417-.Lpost_getpc9624)>>32
	s_setpc_b64 s[14:15]
.LBB1_12081:
	s_or_saveexec_b64 s[6:7], s[6:7]
	v_mov_b32_e32 v2, s10
	s_xor_b64 exec, exec, s[6:7]
	s_cbranch_execz .LBB1_12082
; %bb.47923:
	s_getpc_b64 s[14:15]
.Lpost_getpc9625:
	s_add_u32 s14, s14, (.LBB1_26420-.Lpost_getpc9625)&4294967295
	s_addc_u32 s15, s15, (.LBB1_26420-.Lpost_getpc9625)>>32
	s_setpc_b64 s[14:15]
.LBB1_12082:
	s_or_b64 exec, exec, s[6:7]
	s_and_saveexec_b64 s[6:7], s[4:5]
	s_cbranch_execz .LBB1_12084
.LBB1_12083:
	v_bfe_u32 v2, v7, 16, 3
	v_ffbh_u32_e32 v13, v2
	v_min_u32_e32 v13, 32, v13
	v_lshrrev_b32_e32 v6, 19, v7
	v_subrev_u32_e32 v14, 28, v13
	v_and_b32_e32 v6, 15, v6
	v_lshlrev_b32_sdwa v14, v14, v7 dst_sel:DWORD dst_unused:UNUSED_PAD src0_sel:DWORD src1_sel:WORD_1
	v_bfe_u32 v12, v7, 19, 4
	v_sub_u32_e32 v13, 29, v13
	v_and_b32_e32 v14, 7, v14
	v_cmp_eq_u16_e32 vcc, 0, v6
	v_cndmask_b32_e32 v2, v2, v14, vcc
	v_cndmask_b32_e32 v6, v12, v13, vcc
	v_lshlrev_b32_e32 v12, 8, v7
	v_mov_b32_e32 v13, 0x3b800000
	v_lshlrev_b32_e32 v2, 20, v2
	v_and_b32_e32 v12, 0x80000000, v12
	v_lshl_add_u32 v6, v6, 23, v13
	v_or3_b32 v2, v12, v6, v2
.LBB1_12084:
	s_or_b64 exec, exec, s[6:7]
	s_movk_i32 s4, 0xff
	v_and_b32_sdwa v6, v3, s4 dst_sel:DWORD dst_unused:UNUSED_PAD src0_sel:WORD_1 src1_sel:DWORD
	s_movk_i32 s4, 0x7f
	v_cmp_lt_i16_e32 vcc, s4, v6
	s_mov_b64 s[4:5], 0
                                        ; implicit-def: $sgpr10
	s_and_saveexec_b64 s[6:7], vcc
	s_xor_b64 s[6:7], exec, s[6:7]
	s_cbranch_execz .LBB1_12085
; %bb.47925:
	s_getpc_b64 s[14:15]
.Lpost_getpc9626:
	s_add_u32 s14, s14, (.LBB1_26421-.Lpost_getpc9626)&4294967295
	s_addc_u32 s15, s15, (.LBB1_26421-.Lpost_getpc9626)>>32
	s_setpc_b64 s[14:15]
.LBB1_12085:
	s_or_saveexec_b64 s[6:7], s[6:7]
	v_mov_b32_e32 v12, s10
	s_xor_b64 exec, exec, s[6:7]
	s_cbranch_execz .LBB1_12086
; %bb.47927:
	s_getpc_b64 s[14:15]
.Lpost_getpc9627:
	s_add_u32 s14, s14, (.LBB1_26424-.Lpost_getpc9627)&4294967295
	s_addc_u32 s15, s15, (.LBB1_26424-.Lpost_getpc9627)>>32
	s_setpc_b64 s[14:15]
.LBB1_12086:
	s_or_b64 exec, exec, s[6:7]
	s_and_saveexec_b64 s[6:7], s[4:5]
	s_cbranch_execz .LBB1_12088
.LBB1_12087:
	v_bfe_u32 v6, v3, 16, 3
	v_ffbh_u32_e32 v14, v6
	v_min_u32_e32 v14, 32, v14
	v_lshrrev_b32_e32 v12, 19, v3
	v_subrev_u32_e32 v15, 28, v14
	v_and_b32_e32 v12, 15, v12
	v_lshlrev_b32_sdwa v15, v15, v3 dst_sel:DWORD dst_unused:UNUSED_PAD src0_sel:DWORD src1_sel:WORD_1
	v_bfe_u32 v13, v3, 19, 4
	v_sub_u32_e32 v14, 29, v14
	v_and_b32_e32 v15, 7, v15
	v_cmp_eq_u16_e32 vcc, 0, v12
	v_cndmask_b32_e32 v6, v6, v15, vcc
	v_cndmask_b32_e32 v12, v13, v14, vcc
	v_lshlrev_b32_e32 v13, 8, v3
	v_mov_b32_e32 v14, 0x3b800000
	v_lshlrev_b32_e32 v6, 20, v6
	v_and_b32_e32 v13, 0x80000000, v13
	v_lshl_add_u32 v12, v12, 23, v14
	v_or3_b32 v12, v13, v12, v6
.LBB1_12088:
	s_or_b64 exec, exec, s[6:7]
	s_nop 0
	v_mfma_f32_16x16x4f32 a[0:3], v2, v12, a[0:3]
	s_movk_i32 s4, 0x7f
	v_cmp_gt_i16_sdwa s[6:7], v7, s4 src0_sel:BYTE_3 src1_sel:DWORD
	s_mov_b64 s[4:5], 0
                                        ; implicit-def: $sgpr10
	s_and_saveexec_b64 s[8:9], s[6:7]
	s_xor_b64 s[6:7], exec, s[8:9]
	s_cbranch_execz .LBB1_12089
; %bb.47929:
	s_getpc_b64 s[14:15]
.Lpost_getpc9628:
	s_add_u32 s14, s14, (.LBB1_26425-.Lpost_getpc9628)&4294967295
	s_addc_u32 s15, s15, (.LBB1_26425-.Lpost_getpc9628)>>32
	s_setpc_b64 s[14:15]
.LBB1_12089:
	s_or_saveexec_b64 s[6:7], s[6:7]
	v_mov_b32_e32 v2, s10
	s_xor_b64 exec, exec, s[6:7]
	s_cbranch_execz .LBB1_12090
; %bb.47931:
	s_getpc_b64 s[14:15]
.Lpost_getpc9629:
	s_add_u32 s14, s14, (.LBB1_26428-.Lpost_getpc9629)&4294967295
	s_addc_u32 s15, s15, (.LBB1_26428-.Lpost_getpc9629)>>32
	s_setpc_b64 s[14:15]
.LBB1_12090:
	s_or_b64 exec, exec, s[6:7]
	s_and_saveexec_b64 s[6:7], s[4:5]
	s_cbranch_execz .LBB1_12092
.LBB1_12091:
	v_bfe_u32 v2, v7, 24, 3
	v_ffbh_u32_e32 v14, v2
	v_min_u32_e32 v14, 32, v14
	v_lshrrev_b32_e32 v12, 27, v7
	v_subrev_u32_e32 v15, 28, v14
	v_and_b32_e32 v6, 0x80000000, v7
	v_and_b32_e32 v12, 15, v12
	v_bfe_u32 v13, v7, 27, 4
	v_lshlrev_b32_sdwa v7, v15, v7 dst_sel:DWORD dst_unused:UNUSED_PAD src0_sel:DWORD src1_sel:BYTE_3
	v_sub_u32_e32 v14, 29, v14
	v_and_b32_e32 v7, 7, v7
	v_cmp_eq_u16_e32 vcc, 0, v12
	v_cndmask_b32_e32 v2, v2, v7, vcc
	v_cndmask_b32_e32 v7, v13, v14, vcc
	v_mov_b32_e32 v12, 0x3b800000
	v_lshlrev_b32_e32 v2, 20, v2
	v_lshl_add_u32 v7, v7, 23, v12
	v_or3_b32 v2, v6, v7, v2
.LBB1_12092:
	s_or_b64 exec, exec, s[6:7]
	s_movk_i32 s4, 0x7f
	v_cmp_gt_i16_sdwa s[6:7], v3, s4 src0_sel:BYTE_3 src1_sel:DWORD
	s_mov_b64 s[4:5], 0
                                        ; implicit-def: $sgpr10
	s_and_saveexec_b64 s[8:9], s[6:7]
	s_xor_b64 s[6:7], exec, s[8:9]
	s_cbranch_execz .LBB1_12093
; %bb.47933:
	s_getpc_b64 s[14:15]
.Lpost_getpc9630:
	s_add_u32 s14, s14, (.LBB1_26429-.Lpost_getpc9630)&4294967295
	s_addc_u32 s15, s15, (.LBB1_26429-.Lpost_getpc9630)>>32
	s_setpc_b64 s[14:15]
.LBB1_12093:
	s_or_saveexec_b64 s[6:7], s[6:7]
	v_mov_b32_e32 v6, s10
	s_xor_b64 exec, exec, s[6:7]
	s_cbranch_execz .LBB1_12094
; %bb.47935:
	s_getpc_b64 s[14:15]
.Lpost_getpc9631:
	s_add_u32 s14, s14, (.LBB1_26432-.Lpost_getpc9631)&4294967295
	s_addc_u32 s15, s15, (.LBB1_26432-.Lpost_getpc9631)>>32
	s_setpc_b64 s[14:15]
.LBB1_12094:
	s_or_b64 exec, exec, s[6:7]
	s_and_saveexec_b64 s[6:7], s[4:5]
	s_cbranch_execz .LBB1_12096
.LBB1_12095:
	v_bfe_u32 v6, v3, 24, 3
	v_ffbh_u32_e32 v14, v6
	v_min_u32_e32 v14, 32, v14
	v_lshrrev_b32_e32 v12, 27, v3
	v_subrev_u32_e32 v15, 28, v14
	v_and_b32_e32 v7, 0x80000000, v3
	v_and_b32_e32 v12, 15, v12
	v_bfe_u32 v13, v3, 27, 4
	v_lshlrev_b32_sdwa v3, v15, v3 dst_sel:DWORD dst_unused:UNUSED_PAD src0_sel:DWORD src1_sel:BYTE_3
	v_sub_u32_e32 v14, 29, v14
	v_and_b32_e32 v3, 7, v3
	v_cmp_eq_u16_e32 vcc, 0, v12
	v_cndmask_b32_e32 v3, v6, v3, vcc
	v_cndmask_b32_e32 v6, v13, v14, vcc
	v_mov_b32_e32 v12, 0x3b800000
	v_lshlrev_b32_e32 v3, 20, v3
	v_lshl_add_u32 v6, v6, 23, v12
	v_or3_b32 v6, v7, v6, v3
.LBB1_12096:
	s_or_b64 exec, exec, s[6:7]
	s_nop 0
	v_mfma_f32_16x16x4f32 a[0:3], v2, v6, a[0:3]
	s_movk_i32 s4, 0x7f
	v_cmp_gt_i16_sdwa s[6:7], v8, s4 src0_sel:BYTE_0 src1_sel:DWORD
	s_mov_b64 s[4:5], 0
                                        ; implicit-def: $sgpr10
	s_and_saveexec_b64 s[8:9], s[6:7]
	s_xor_b64 s[6:7], exec, s[8:9]
	s_cbranch_execz .LBB1_12097
; %bb.47937:
	s_getpc_b64 s[14:15]
.Lpost_getpc9632:
	s_add_u32 s14, s14, (.LBB1_26433-.Lpost_getpc9632)&4294967295
	s_addc_u32 s15, s15, (.LBB1_26433-.Lpost_getpc9632)>>32
	s_setpc_b64 s[14:15]
.LBB1_12097:
	s_or_saveexec_b64 s[6:7], s[6:7]
	v_mov_b32_e32 v2, s10
	s_xor_b64 exec, exec, s[6:7]
	s_cbranch_execz .LBB1_12098
; %bb.47939:
	s_getpc_b64 s[14:15]
.Lpost_getpc9633:
	s_add_u32 s14, s14, (.LBB1_26436-.Lpost_getpc9633)&4294967295
	s_addc_u32 s15, s15, (.LBB1_26436-.Lpost_getpc9633)>>32
	s_setpc_b64 s[14:15]
.LBB1_12098:
	s_or_b64 exec, exec, s[6:7]
	s_and_saveexec_b64 s[6:7], s[4:5]
	s_cbranch_execz .LBB1_12100
.LBB1_12099:
	v_and_b32_e32 v2, 7, v8
	v_ffbh_u32_e32 v6, v2
	v_min_u32_e32 v6, 32, v6
	v_lshrrev_b16_e32 v3, 3, v8
	v_subrev_u32_e32 v7, 28, v6
	v_and_b32_e32 v3, 15, v3
	v_lshlrev_b32_e32 v7, v7, v8
	v_sub_u32_e32 v6, 29, v6
	v_and_b32_e32 v7, 7, v7
	v_cmp_eq_u16_e32 vcc, 0, v3
	v_cndmask_b32_e32 v2, v2, v7, vcc
	v_cndmask_b32_e32 v3, v3, v6, vcc
	v_lshlrev_b32_e32 v6, 24, v8
	v_mov_b32_e32 v7, 0x3b800000
	v_lshlrev_b32_e32 v2, 20, v2
	v_and_b32_e32 v6, 0x80000000, v6
	v_lshl_add_u32 v3, v3, 23, v7
	v_or3_b32 v2, v6, v3, v2
.LBB1_12100:
	s_or_b64 exec, exec, s[6:7]
	s_movk_i32 s4, 0x7f
	v_cmp_gt_i16_sdwa s[6:7], v4, s4 src0_sel:BYTE_0 src1_sel:DWORD
	s_mov_b64 s[4:5], 0
                                        ; implicit-def: $sgpr10
	s_and_saveexec_b64 s[8:9], s[6:7]
	s_xor_b64 s[6:7], exec, s[8:9]
	s_cbranch_execz .LBB1_12101
; %bb.47941:
	s_getpc_b64 s[14:15]
.Lpost_getpc9634:
	s_add_u32 s14, s14, (.LBB1_26437-.Lpost_getpc9634)&4294967295
	s_addc_u32 s15, s15, (.LBB1_26437-.Lpost_getpc9634)>>32
	s_setpc_b64 s[14:15]
.LBB1_12101:
	s_or_saveexec_b64 s[6:7], s[6:7]
	v_mov_b32_e32 v3, s10
	s_xor_b64 exec, exec, s[6:7]
	s_cbranch_execz .LBB1_12102
; %bb.47943:
	s_getpc_b64 s[14:15]
.Lpost_getpc9635:
	s_add_u32 s14, s14, (.LBB1_26440-.Lpost_getpc9635)&4294967295
	s_addc_u32 s15, s15, (.LBB1_26440-.Lpost_getpc9635)>>32
	s_setpc_b64 s[14:15]
.LBB1_12102:
	s_or_b64 exec, exec, s[6:7]
	s_and_saveexec_b64 s[6:7], s[4:5]
	s_cbranch_execz .LBB1_12104
.LBB1_12103:
	v_and_b32_e32 v3, 7, v4
	v_ffbh_u32_e32 v7, v3
	v_min_u32_e32 v7, 32, v7
	v_lshrrev_b16_e32 v6, 3, v4
	v_subrev_u32_e32 v12, 28, v7
	v_and_b32_e32 v6, 15, v6
	v_lshlrev_b32_e32 v12, v12, v4
	v_sub_u32_e32 v7, 29, v7
	v_and_b32_e32 v12, 7, v12
	v_cmp_eq_u16_e32 vcc, 0, v6
	v_cndmask_b32_e32 v3, v3, v12, vcc
	v_cndmask_b32_e32 v6, v6, v7, vcc
	v_lshlrev_b32_e32 v7, 24, v4
	v_mov_b32_e32 v12, 0x3b800000
	v_lshlrev_b32_e32 v3, 20, v3
	v_and_b32_e32 v7, 0x80000000, v7
	v_lshl_add_u32 v6, v6, 23, v12
	v_or3_b32 v3, v7, v6, v3
.LBB1_12104:
	s_or_b64 exec, exec, s[6:7]
	s_nop 0
	v_mfma_f32_16x16x4f32 a[0:3], v2, v3, a[0:3]
	v_lshrrev_b32_e32 v3, 8, v8
	s_movk_i32 s4, 0x7f
	v_cmp_gt_i16_sdwa s[6:7], v3, s4 src0_sel:BYTE_0 src1_sel:DWORD
	s_mov_b64 s[4:5], 0
                                        ; implicit-def: $sgpr10
	s_and_saveexec_b64 s[8:9], s[6:7]
	s_xor_b64 s[6:7], exec, s[8:9]
	s_cbranch_execz .LBB1_12105
; %bb.47945:
	s_getpc_b64 s[14:15]
.Lpost_getpc9636:
	s_add_u32 s14, s14, (.LBB1_26441-.Lpost_getpc9636)&4294967295
	s_addc_u32 s15, s15, (.LBB1_26441-.Lpost_getpc9636)>>32
	s_setpc_b64 s[14:15]
.LBB1_12105:
	s_or_saveexec_b64 s[6:7], s[6:7]
	v_mov_b32_e32 v2, s10
	s_xor_b64 exec, exec, s[6:7]
	s_cbranch_execz .LBB1_12106
; %bb.47947:
	s_getpc_b64 s[14:15]
.Lpost_getpc9637:
	s_add_u32 s14, s14, (.LBB1_26444-.Lpost_getpc9637)&4294967295
	s_addc_u32 s15, s15, (.LBB1_26444-.Lpost_getpc9637)>>32
	s_setpc_b64 s[14:15]
.LBB1_12106:
	s_or_b64 exec, exec, s[6:7]
	s_and_saveexec_b64 s[6:7], s[4:5]
	s_cbranch_execz .LBB1_12108
.LBB1_12107:
	v_bfe_u32 v2, v8, 8, 3
	v_ffbh_u32_e32 v7, v2
	v_min_u32_e32 v7, 32, v7
	v_lshrrev_b16_e32 v6, 3, v3
	v_subrev_u32_e32 v12, 28, v7
	v_and_b32_e32 v6, 15, v6
	v_lshlrev_b32_e32 v3, v12, v3
	v_sub_u32_e32 v7, 29, v7
	v_and_b32_e32 v3, 7, v3
	v_cmp_eq_u16_e32 vcc, 0, v6
	v_cndmask_b32_e32 v2, v2, v3, vcc
	v_cndmask_b32_e32 v3, v6, v7, vcc
	v_lshlrev_b32_e32 v6, 16, v8
	v_mov_b32_e32 v7, 0x3b800000
	v_lshlrev_b32_e32 v2, 20, v2
	v_and_b32_e32 v6, 0x80000000, v6
	v_lshl_add_u32 v3, v3, 23, v7
	v_or3_b32 v2, v6, v3, v2
.LBB1_12108:
	s_or_b64 exec, exec, s[6:7]
	v_lshrrev_b32_e32 v3, 8, v4
	s_movk_i32 s4, 0x7f
	v_cmp_gt_i16_sdwa s[6:7], v3, s4 src0_sel:BYTE_0 src1_sel:DWORD
	s_mov_b64 s[4:5], 0
                                        ; implicit-def: $sgpr10
	s_and_saveexec_b64 s[8:9], s[6:7]
	s_xor_b64 s[6:7], exec, s[8:9]
	s_cbranch_execz .LBB1_12109
; %bb.47949:
	s_getpc_b64 s[14:15]
.Lpost_getpc9638:
	s_add_u32 s14, s14, (.LBB1_26445-.Lpost_getpc9638)&4294967295
	s_addc_u32 s15, s15, (.LBB1_26445-.Lpost_getpc9638)>>32
	s_setpc_b64 s[14:15]
.LBB1_12109:
	s_or_saveexec_b64 s[6:7], s[6:7]
	v_mov_b32_e32 v6, s10
	s_xor_b64 exec, exec, s[6:7]
	s_cbranch_execz .LBB1_12110
; %bb.47951:
	s_getpc_b64 s[14:15]
.Lpost_getpc9639:
	s_add_u32 s14, s14, (.LBB1_26448-.Lpost_getpc9639)&4294967295
	s_addc_u32 s15, s15, (.LBB1_26448-.Lpost_getpc9639)>>32
	s_setpc_b64 s[14:15]
.LBB1_12110:
	s_or_b64 exec, exec, s[6:7]
	s_and_saveexec_b64 s[6:7], s[4:5]
	s_cbranch_execz .LBB1_12112
.LBB1_12111:
	v_bfe_u32 v6, v4, 8, 3
	v_ffbh_u32_e32 v12, v6
	v_min_u32_e32 v12, 32, v12
	v_lshrrev_b16_e32 v7, 3, v3
	v_subrev_u32_e32 v13, 28, v12
	v_and_b32_e32 v7, 15, v7
	v_lshlrev_b32_e32 v3, v13, v3
	v_sub_u32_e32 v12, 29, v12
	v_and_b32_e32 v3, 7, v3
	v_cmp_eq_u16_e32 vcc, 0, v7
	v_cndmask_b32_e32 v3, v6, v3, vcc
	v_cndmask_b32_e32 v6, v7, v12, vcc
	v_lshlrev_b32_e32 v7, 16, v4
	v_mov_b32_e32 v12, 0x3b800000
	v_lshlrev_b32_e32 v3, 20, v3
	v_and_b32_e32 v7, 0x80000000, v7
	v_lshl_add_u32 v6, v6, 23, v12
	v_or3_b32 v6, v7, v6, v3
.LBB1_12112:
	s_or_b64 exec, exec, s[6:7]
	s_nop 0
	v_mfma_f32_16x16x4f32 a[0:3], v2, v6, a[0:3]
	s_movk_i32 s4, 0xff
	v_and_b32_sdwa v3, v8, s4 dst_sel:DWORD dst_unused:UNUSED_PAD src0_sel:WORD_1 src1_sel:DWORD
	s_movk_i32 s4, 0x7f
	v_cmp_lt_i16_e32 vcc, s4, v3
	s_mov_b64 s[4:5], 0
                                        ; implicit-def: $sgpr10
	s_and_saveexec_b64 s[6:7], vcc
	s_xor_b64 s[6:7], exec, s[6:7]
	s_cbranch_execz .LBB1_12113
; %bb.47953:
	s_getpc_b64 s[14:15]
.Lpost_getpc9640:
	s_add_u32 s14, s14, (.LBB1_26449-.Lpost_getpc9640)&4294967295
	s_addc_u32 s15, s15, (.LBB1_26449-.Lpost_getpc9640)>>32
	s_setpc_b64 s[14:15]
.LBB1_12113:
	s_or_saveexec_b64 s[6:7], s[6:7]
	v_mov_b32_e32 v2, s10
	s_xor_b64 exec, exec, s[6:7]
	s_cbranch_execz .LBB1_12114
; %bb.47955:
	s_getpc_b64 s[14:15]
.Lpost_getpc9641:
	s_add_u32 s14, s14, (.LBB1_26452-.Lpost_getpc9641)&4294967295
	s_addc_u32 s15, s15, (.LBB1_26452-.Lpost_getpc9641)>>32
	s_setpc_b64 s[14:15]
.LBB1_12114:
	s_or_b64 exec, exec, s[6:7]
	s_and_saveexec_b64 s[6:7], s[4:5]
	s_cbranch_execz .LBB1_12116
.LBB1_12115:
	v_bfe_u32 v2, v8, 16, 3
	v_ffbh_u32_e32 v7, v2
	v_min_u32_e32 v7, 32, v7
	v_lshrrev_b32_e32 v3, 19, v8
	v_subrev_u32_e32 v12, 28, v7
	v_and_b32_e32 v3, 15, v3
	v_lshlrev_b32_sdwa v12, v12, v8 dst_sel:DWORD dst_unused:UNUSED_PAD src0_sel:DWORD src1_sel:WORD_1
	v_bfe_u32 v6, v8, 19, 4
	v_sub_u32_e32 v7, 29, v7
	v_and_b32_e32 v12, 7, v12
	v_cmp_eq_u16_e32 vcc, 0, v3
	v_cndmask_b32_e32 v2, v2, v12, vcc
	v_cndmask_b32_e32 v3, v6, v7, vcc
	v_lshlrev_b32_e32 v6, 8, v8
	v_mov_b32_e32 v7, 0x3b800000
	v_lshlrev_b32_e32 v2, 20, v2
	v_and_b32_e32 v6, 0x80000000, v6
	v_lshl_add_u32 v3, v3, 23, v7
	v_or3_b32 v2, v6, v3, v2
.LBB1_12116:
	s_or_b64 exec, exec, s[6:7]
	s_movk_i32 s4, 0xff
	v_and_b32_sdwa v3, v4, s4 dst_sel:DWORD dst_unused:UNUSED_PAD src0_sel:WORD_1 src1_sel:DWORD
	s_movk_i32 s4, 0x7f
	v_cmp_lt_i16_e32 vcc, s4, v3
	s_mov_b64 s[4:5], 0
                                        ; implicit-def: $sgpr10
	s_and_saveexec_b64 s[6:7], vcc
	s_xor_b64 s[6:7], exec, s[6:7]
	s_cbranch_execz .LBB1_12117
; %bb.47957:
	s_getpc_b64 s[14:15]
.Lpost_getpc9642:
	s_add_u32 s14, s14, (.LBB1_26453-.Lpost_getpc9642)&4294967295
	s_addc_u32 s15, s15, (.LBB1_26453-.Lpost_getpc9642)>>32
	s_setpc_b64 s[14:15]
.LBB1_12117:
	s_or_saveexec_b64 s[6:7], s[6:7]
	v_mov_b32_e32 v6, s10
	s_xor_b64 exec, exec, s[6:7]
	s_cbranch_execz .LBB1_12118
; %bb.47959:
	s_getpc_b64 s[14:15]
.Lpost_getpc9643:
	s_add_u32 s14, s14, (.LBB1_26456-.Lpost_getpc9643)&4294967295
	s_addc_u32 s15, s15, (.LBB1_26456-.Lpost_getpc9643)>>32
	s_setpc_b64 s[14:15]
.LBB1_12118:
	s_or_b64 exec, exec, s[6:7]
	s_and_saveexec_b64 s[6:7], s[4:5]
	s_cbranch_execz .LBB1_12120
.LBB1_12119:
	v_bfe_u32 v3, v4, 16, 3
	v_ffbh_u32_e32 v12, v3
	v_min_u32_e32 v12, 32, v12
	v_lshrrev_b32_e32 v6, 19, v4
	v_subrev_u32_e32 v13, 28, v12
	v_and_b32_e32 v6, 15, v6
	v_lshlrev_b32_sdwa v13, v13, v4 dst_sel:DWORD dst_unused:UNUSED_PAD src0_sel:DWORD src1_sel:WORD_1
	v_bfe_u32 v7, v4, 19, 4
	v_sub_u32_e32 v12, 29, v12
	v_and_b32_e32 v13, 7, v13
	v_cmp_eq_u16_e32 vcc, 0, v6
	v_cndmask_b32_e32 v3, v3, v13, vcc
	v_cndmask_b32_e32 v6, v7, v12, vcc
	v_lshlrev_b32_e32 v7, 8, v4
	v_mov_b32_e32 v12, 0x3b800000
	v_lshlrev_b32_e32 v3, 20, v3
	v_and_b32_e32 v7, 0x80000000, v7
	v_lshl_add_u32 v6, v6, 23, v12
	v_or3_b32 v6, v7, v6, v3
.LBB1_12120:
	s_or_b64 exec, exec, s[6:7]
	s_nop 0
	v_mfma_f32_16x16x4f32 a[0:3], v2, v6, a[0:3]
	s_movk_i32 s4, 0x7f
	v_cmp_gt_i16_sdwa s[6:7], v8, s4 src0_sel:BYTE_3 src1_sel:DWORD
	s_mov_b64 s[4:5], 0
                                        ; implicit-def: $sgpr10
	s_and_saveexec_b64 s[8:9], s[6:7]
	s_xor_b64 s[6:7], exec, s[8:9]
	s_cbranch_execz .LBB1_12121
; %bb.47961:
	s_getpc_b64 s[14:15]
.Lpost_getpc9644:
	s_add_u32 s14, s14, (.LBB1_26457-.Lpost_getpc9644)&4294967295
	s_addc_u32 s15, s15, (.LBB1_26457-.Lpost_getpc9644)>>32
	s_setpc_b64 s[14:15]
.LBB1_12121:
	s_or_saveexec_b64 s[6:7], s[6:7]
	v_mov_b32_e32 v2, s10
	s_xor_b64 exec, exec, s[6:7]
	s_cbranch_execz .LBB1_12122
; %bb.47963:
	s_getpc_b64 s[14:15]
.Lpost_getpc9645:
	s_add_u32 s14, s14, (.LBB1_26460-.Lpost_getpc9645)&4294967295
	s_addc_u32 s15, s15, (.LBB1_26460-.Lpost_getpc9645)>>32
	s_setpc_b64 s[14:15]
.LBB1_12122:
	s_or_b64 exec, exec, s[6:7]
	s_and_saveexec_b64 s[6:7], s[4:5]
	s_cbranch_execz .LBB1_12124
.LBB1_12123:
	v_bfe_u32 v2, v8, 24, 3
	v_ffbh_u32_e32 v12, v2
	v_min_u32_e32 v12, 32, v12
	v_lshrrev_b32_e32 v6, 27, v8
	v_subrev_u32_e32 v13, 28, v12
	v_and_b32_e32 v3, 0x80000000, v8
	v_and_b32_e32 v6, 15, v6
	v_bfe_u32 v7, v8, 27, 4
	v_lshlrev_b32_sdwa v8, v13, v8 dst_sel:DWORD dst_unused:UNUSED_PAD src0_sel:DWORD src1_sel:BYTE_3
	v_sub_u32_e32 v12, 29, v12
	v_and_b32_e32 v8, 7, v8
	v_cmp_eq_u16_e32 vcc, 0, v6
	v_cndmask_b32_e32 v2, v2, v8, vcc
	v_cndmask_b32_e32 v6, v7, v12, vcc
	v_mov_b32_e32 v7, 0x3b800000
	v_lshlrev_b32_e32 v2, 20, v2
	v_lshl_add_u32 v6, v6, 23, v7
	v_or3_b32 v2, v3, v6, v2
.LBB1_12124:
	s_or_b64 exec, exec, s[6:7]
	s_movk_i32 s4, 0x7f
	v_cmp_gt_i16_sdwa s[6:7], v4, s4 src0_sel:BYTE_3 src1_sel:DWORD
	s_mov_b64 s[4:5], 0
                                        ; implicit-def: $sgpr10
	s_and_saveexec_b64 s[8:9], s[6:7]
	s_xor_b64 s[6:7], exec, s[8:9]
	s_cbranch_execz .LBB1_12125
; %bb.47965:
	s_getpc_b64 s[14:15]
.Lpost_getpc9646:
	s_add_u32 s14, s14, (.LBB1_26461-.Lpost_getpc9646)&4294967295
	s_addc_u32 s15, s15, (.LBB1_26461-.Lpost_getpc9646)>>32
	s_setpc_b64 s[14:15]
.LBB1_12125:
	s_or_saveexec_b64 s[6:7], s[6:7]
	v_mov_b32_e32 v3, s10
	s_xor_b64 exec, exec, s[6:7]
	s_cbranch_execz .LBB1_12126
; %bb.47967:
	s_getpc_b64 s[14:15]
.Lpost_getpc9647:
	s_add_u32 s14, s14, (.LBB1_26464-.Lpost_getpc9647)&4294967295
	s_addc_u32 s15, s15, (.LBB1_26464-.Lpost_getpc9647)>>32
	s_setpc_b64 s[14:15]
.LBB1_12126:
	s_or_b64 exec, exec, s[6:7]
	s_and_saveexec_b64 s[6:7], s[4:5]
	s_cbranch_execz .LBB1_12128
.LBB1_12127:
	v_bfe_u32 v3, v4, 24, 3
	v_ffbh_u32_e32 v12, v3
	v_min_u32_e32 v12, 32, v12
	v_lshrrev_b32_e32 v7, 27, v4
	v_subrev_u32_e32 v13, 28, v12
	v_and_b32_e32 v6, 0x80000000, v4
	v_and_b32_e32 v7, 15, v7
	v_bfe_u32 v8, v4, 27, 4
	v_lshlrev_b32_sdwa v4, v13, v4 dst_sel:DWORD dst_unused:UNUSED_PAD src0_sel:DWORD src1_sel:BYTE_3
	v_sub_u32_e32 v12, 29, v12
	v_and_b32_e32 v4, 7, v4
	v_cmp_eq_u16_e32 vcc, 0, v7
	v_cndmask_b32_e32 v3, v3, v4, vcc
	v_cndmask_b32_e32 v4, v8, v12, vcc
	v_mov_b32_e32 v7, 0x3b800000
	v_lshlrev_b32_e32 v3, 20, v3
	v_lshl_add_u32 v4, v4, 23, v7
	v_or3_b32 v3, v6, v4, v3
.LBB1_12128:
	s_or_b64 exec, exec, s[6:7]
	s_nop 0
	v_mfma_f32_16x16x4f32 a[0:3], v2, v3, a[0:3]
	s_movk_i32 s4, 0x7f
	v_cmp_gt_i16_sdwa s[6:7], v9, s4 src0_sel:BYTE_0 src1_sel:DWORD
	s_mov_b64 s[4:5], 0
                                        ; implicit-def: $sgpr10
	s_and_saveexec_b64 s[8:9], s[6:7]
	s_xor_b64 s[6:7], exec, s[8:9]
	s_cbranch_execz .LBB1_12129
; %bb.47969:
	s_getpc_b64 s[14:15]
.Lpost_getpc9648:
	s_add_u32 s14, s14, (.LBB1_26465-.Lpost_getpc9648)&4294967295
	s_addc_u32 s15, s15, (.LBB1_26465-.Lpost_getpc9648)>>32
	s_setpc_b64 s[14:15]
.LBB1_12129:
	s_or_saveexec_b64 s[6:7], s[6:7]
	v_mov_b32_e32 v2, s10
	s_xor_b64 exec, exec, s[6:7]
	s_cbranch_execz .LBB1_12130
; %bb.47971:
	s_getpc_b64 s[14:15]
.Lpost_getpc9649:
	s_add_u32 s14, s14, (.LBB1_26468-.Lpost_getpc9649)&4294967295
	s_addc_u32 s15, s15, (.LBB1_26468-.Lpost_getpc9649)>>32
	s_setpc_b64 s[14:15]
.LBB1_12130:
	s_or_b64 exec, exec, s[6:7]
	s_and_saveexec_b64 s[6:7], s[4:5]
	s_cbranch_execz .LBB1_12132
.LBB1_12131:
	v_mov_b32_e32 v2, 8
	v_and_b32_e32 v3, 7, v9
	v_lshrrev_b32_sdwa v2, v2, v9 dst_sel:BYTE_1 dst_unused:UNUSED_PAD src0_sel:DWORD src1_sel:DWORD
	v_ffbh_u32_e32 v4, v3
	v_or_b32_sdwa v2, v9, v2 dst_sel:DWORD dst_unused:UNUSED_PAD src0_sel:BYTE_0 src1_sel:DWORD
	v_min_u32_e32 v4, 32, v4
	v_lshrrev_b16_e32 v2, 3, v2
	v_subrev_u32_e32 v6, 28, v4
	v_and_b32_e32 v2, 15, v2
	v_lshlrev_b32_e32 v6, v6, v9
	v_sub_u32_e32 v4, 29, v4
	v_and_b32_e32 v6, 7, v6
	v_cmp_eq_u16_e32 vcc, 0, v2
	v_cndmask_b32_e32 v3, v3, v6, vcc
	v_cndmask_b32_e32 v2, v2, v4, vcc
	v_lshlrev_b32_e32 v4, 24, v9
	v_mov_b32_e32 v6, 0x3b800000
	v_lshlrev_b32_e32 v3, 20, v3
	v_and_b32_e32 v4, 0x80000000, v4
	v_lshl_add_u32 v2, v2, 23, v6
	v_or3_b32 v2, v4, v2, v3
.LBB1_12132:
	s_or_b64 exec, exec, s[6:7]
	s_movk_i32 s4, 0x7f
	v_cmp_gt_i16_sdwa s[6:7], v5, s4 src0_sel:BYTE_0 src1_sel:DWORD
	s_mov_b64 s[4:5], 0
                                        ; implicit-def: $sgpr10
	s_and_saveexec_b64 s[8:9], s[6:7]
	s_xor_b64 s[6:7], exec, s[8:9]
	s_cbranch_execz .LBB1_12133
; %bb.47973:
	s_getpc_b64 s[14:15]
.Lpost_getpc9650:
	s_add_u32 s14, s14, (.LBB1_26469-.Lpost_getpc9650)&4294967295
	s_addc_u32 s15, s15, (.LBB1_26469-.Lpost_getpc9650)>>32
	s_setpc_b64 s[14:15]
.LBB1_12133:
	s_or_saveexec_b64 s[6:7], s[6:7]
	v_mov_b32_e32 v3, s10
	s_xor_b64 exec, exec, s[6:7]
	s_cbranch_execz .LBB1_12134
; %bb.47975:
	s_getpc_b64 s[14:15]
.Lpost_getpc9651:
	s_add_u32 s14, s14, (.LBB1_26472-.Lpost_getpc9651)&4294967295
	s_addc_u32 s15, s15, (.LBB1_26472-.Lpost_getpc9651)>>32
	s_setpc_b64 s[14:15]
.LBB1_12134:
	s_or_b64 exec, exec, s[6:7]
	s_and_saveexec_b64 s[6:7], s[4:5]
	s_cbranch_execz .LBB1_12136
.LBB1_12135:
	v_mov_b32_e32 v3, 8
	v_and_b32_e32 v4, 7, v5
	v_lshrrev_b32_sdwa v3, v3, v5 dst_sel:BYTE_1 dst_unused:UNUSED_PAD src0_sel:DWORD src1_sel:DWORD
	v_ffbh_u32_e32 v6, v4
	v_or_b32_sdwa v3, v5, v3 dst_sel:DWORD dst_unused:UNUSED_PAD src0_sel:BYTE_0 src1_sel:DWORD
	v_min_u32_e32 v6, 32, v6
	v_lshrrev_b16_e32 v3, 3, v3
	v_subrev_u32_e32 v7, 28, v6
	v_and_b32_e32 v3, 15, v3
	v_lshlrev_b32_e32 v7, v7, v5
	v_sub_u32_e32 v6, 29, v6
	v_and_b32_e32 v7, 7, v7
	v_cmp_eq_u16_e32 vcc, 0, v3
	v_cndmask_b32_e32 v4, v4, v7, vcc
	v_cndmask_b32_e32 v3, v3, v6, vcc
	v_lshlrev_b32_e32 v6, 24, v5
	v_mov_b32_e32 v7, 0x3b800000
	v_lshlrev_b32_e32 v4, 20, v4
	v_and_b32_e32 v6, 0x80000000, v6
	v_lshl_add_u32 v3, v3, 23, v7
	v_or3_b32 v3, v6, v3, v4
.LBB1_12136:
	s_or_b64 exec, exec, s[6:7]
	s_nop 0
	v_mfma_f32_16x16x4f32 a[0:3], v2, v3, a[0:3]
	v_lshrrev_b32_e32 v3, 8, v9
	s_movk_i32 s4, 0x7f
	v_cmp_gt_i16_sdwa s[6:7], v3, s4 src0_sel:BYTE_0 src1_sel:DWORD
	s_mov_b64 s[4:5], 0
                                        ; implicit-def: $sgpr10
	s_and_saveexec_b64 s[8:9], s[6:7]
	s_xor_b64 s[6:7], exec, s[8:9]
	s_cbranch_execz .LBB1_12137
; %bb.47977:
	s_getpc_b64 s[14:15]
.Lpost_getpc9652:
	s_add_u32 s14, s14, (.LBB1_26473-.Lpost_getpc9652)&4294967295
	s_addc_u32 s15, s15, (.LBB1_26473-.Lpost_getpc9652)>>32
	s_setpc_b64 s[14:15]
.LBB1_12137:
	s_or_saveexec_b64 s[6:7], s[6:7]
	v_mov_b32_e32 v2, s10
	s_xor_b64 exec, exec, s[6:7]
	s_cbranch_execz .LBB1_12138
; %bb.47979:
	s_getpc_b64 s[14:15]
.Lpost_getpc9653:
	s_add_u32 s14, s14, (.LBB1_26476-.Lpost_getpc9653)&4294967295
	s_addc_u32 s15, s15, (.LBB1_26476-.Lpost_getpc9653)>>32
	s_setpc_b64 s[14:15]
.LBB1_12138:
	s_or_b64 exec, exec, s[6:7]
	s_and_saveexec_b64 s[6:7], s[4:5]
	s_cbranch_execz .LBB1_12140
.LBB1_12139:
	v_bfe_u32 v2, v9, 8, 3
	v_ffbh_u32_e32 v6, v2
	v_min_u32_e32 v6, 32, v6
	v_lshrrev_b16_e32 v4, 3, v3
	v_subrev_u32_e32 v7, 28, v6
	v_and_b32_e32 v4, 15, v4
	v_lshlrev_b32_e32 v3, v7, v3
	v_sub_u32_e32 v6, 29, v6
	v_and_b32_e32 v3, 7, v3
	v_cmp_eq_u16_e32 vcc, 0, v4
	v_cndmask_b32_e32 v2, v2, v3, vcc
	v_cndmask_b32_e32 v3, v4, v6, vcc
	v_lshlrev_b32_e32 v4, 16, v9
	v_mov_b32_e32 v6, 0x3b800000
	v_lshlrev_b32_e32 v2, 20, v2
	v_and_b32_e32 v4, 0x80000000, v4
	v_lshl_add_u32 v3, v3, 23, v6
	v_or3_b32 v2, v4, v3, v2
.LBB1_12140:
	s_or_b64 exec, exec, s[6:7]
	v_lshrrev_b32_e32 v3, 8, v5
	s_movk_i32 s4, 0x7f
	v_cmp_gt_i16_sdwa s[6:7], v3, s4 src0_sel:BYTE_0 src1_sel:DWORD
	s_mov_b64 s[4:5], 0
                                        ; implicit-def: $sgpr10
	s_and_saveexec_b64 s[8:9], s[6:7]
	s_xor_b64 s[6:7], exec, s[8:9]
	s_cbranch_execz .LBB1_12141
; %bb.47981:
	s_getpc_b64 s[14:15]
.Lpost_getpc9654:
	s_add_u32 s14, s14, (.LBB1_26477-.Lpost_getpc9654)&4294967295
	s_addc_u32 s15, s15, (.LBB1_26477-.Lpost_getpc9654)>>32
	s_setpc_b64 s[14:15]
.LBB1_12141:
	s_or_saveexec_b64 s[6:7], s[6:7]
	v_mov_b32_e32 v4, s10
	s_xor_b64 exec, exec, s[6:7]
	s_cbranch_execz .LBB1_12142
; %bb.47983:
	s_getpc_b64 s[14:15]
.Lpost_getpc9655:
	s_add_u32 s14, s14, (.LBB1_26480-.Lpost_getpc9655)&4294967295
	s_addc_u32 s15, s15, (.LBB1_26480-.Lpost_getpc9655)>>32
	s_setpc_b64 s[14:15]
.LBB1_12142:
	s_or_b64 exec, exec, s[6:7]
	s_and_saveexec_b64 s[6:7], s[4:5]
	s_cbranch_execz .LBB1_12144
.LBB1_12143:
	v_bfe_u32 v4, v5, 8, 3
	v_ffbh_u32_e32 v7, v4
	v_min_u32_e32 v7, 32, v7
	v_lshrrev_b16_e32 v6, 3, v3
	v_subrev_u32_e32 v8, 28, v7
	v_and_b32_e32 v6, 15, v6
	v_lshlrev_b32_e32 v3, v8, v3
	v_sub_u32_e32 v7, 29, v7
	v_and_b32_e32 v3, 7, v3
	v_cmp_eq_u16_e32 vcc, 0, v6
	v_cndmask_b32_e32 v3, v4, v3, vcc
	v_cndmask_b32_e32 v4, v6, v7, vcc
	v_lshlrev_b32_e32 v6, 16, v5
	v_mov_b32_e32 v7, 0x3b800000
	v_lshlrev_b32_e32 v3, 20, v3
	v_and_b32_e32 v6, 0x80000000, v6
	v_lshl_add_u32 v4, v4, 23, v7
	v_or3_b32 v4, v6, v4, v3
.LBB1_12144:
	s_or_b64 exec, exec, s[6:7]
	s_nop 0
	v_mfma_f32_16x16x4f32 a[0:3], v2, v4, a[0:3]
	s_movk_i32 s4, 0xff
	v_and_b32_sdwa v3, v9, s4 dst_sel:DWORD dst_unused:UNUSED_PAD src0_sel:WORD_1 src1_sel:DWORD
	s_movk_i32 s4, 0x7f
	v_cmp_lt_i16_e32 vcc, s4, v3
	s_mov_b64 s[4:5], 0
                                        ; implicit-def: $sgpr10
	s_and_saveexec_b64 s[6:7], vcc
	s_xor_b64 s[6:7], exec, s[6:7]
	s_cbranch_execz .LBB1_12145
; %bb.47985:
	s_getpc_b64 s[14:15]
.Lpost_getpc9656:
	s_add_u32 s14, s14, (.LBB1_26481-.Lpost_getpc9656)&4294967295
	s_addc_u32 s15, s15, (.LBB1_26481-.Lpost_getpc9656)>>32
	s_setpc_b64 s[14:15]
.LBB1_12145:
	s_or_saveexec_b64 s[6:7], s[6:7]
	v_mov_b32_e32 v2, s10
	s_xor_b64 exec, exec, s[6:7]
	s_cbranch_execz .LBB1_12146
; %bb.47987:
	s_getpc_b64 s[14:15]
.Lpost_getpc9657:
	s_add_u32 s14, s14, (.LBB1_26484-.Lpost_getpc9657)&4294967295
	s_addc_u32 s15, s15, (.LBB1_26484-.Lpost_getpc9657)>>32
	s_setpc_b64 s[14:15]
.LBB1_12146:
	s_or_b64 exec, exec, s[6:7]
	s_and_saveexec_b64 s[6:7], s[4:5]
	s_cbranch_execz .LBB1_12148
.LBB1_12147:
	v_bfe_u32 v2, v9, 16, 3
	v_ffbh_u32_e32 v6, v2
	v_min_u32_e32 v6, 32, v6
	v_lshrrev_b32_e32 v3, 19, v9
	v_subrev_u32_e32 v7, 28, v6
	v_and_b32_e32 v3, 15, v3
	v_lshlrev_b32_sdwa v7, v7, v9 dst_sel:DWORD dst_unused:UNUSED_PAD src0_sel:DWORD src1_sel:WORD_1
	v_bfe_u32 v4, v9, 19, 4
	v_sub_u32_e32 v6, 29, v6
	v_and_b32_e32 v7, 7, v7
	v_cmp_eq_u16_e32 vcc, 0, v3
	v_cndmask_b32_e32 v2, v2, v7, vcc
	v_cndmask_b32_e32 v3, v4, v6, vcc
	v_lshlrev_b32_e32 v4, 8, v9
	v_mov_b32_e32 v6, 0x3b800000
	v_lshlrev_b32_e32 v2, 20, v2
	v_and_b32_e32 v4, 0x80000000, v4
	v_lshl_add_u32 v3, v3, 23, v6
	v_or3_b32 v2, v4, v3, v2
.LBB1_12148:
	s_or_b64 exec, exec, s[6:7]
	s_movk_i32 s4, 0xff
	v_and_b32_sdwa v3, v5, s4 dst_sel:DWORD dst_unused:UNUSED_PAD src0_sel:WORD_1 src1_sel:DWORD
	s_movk_i32 s4, 0x7f
	v_cmp_lt_i16_e32 vcc, s4, v3
	s_mov_b64 s[4:5], 0
                                        ; implicit-def: $sgpr10
	s_and_saveexec_b64 s[6:7], vcc
	s_xor_b64 s[6:7], exec, s[6:7]
	s_cbranch_execz .LBB1_12149
; %bb.47989:
	s_getpc_b64 s[14:15]
.Lpost_getpc9658:
	s_add_u32 s14, s14, (.LBB1_26485-.Lpost_getpc9658)&4294967295
	s_addc_u32 s15, s15, (.LBB1_26485-.Lpost_getpc9658)>>32
	s_setpc_b64 s[14:15]
.LBB1_12149:
	s_or_saveexec_b64 s[6:7], s[6:7]
	v_mov_b32_e32 v4, s10
	s_xor_b64 exec, exec, s[6:7]
	s_cbranch_execz .LBB1_12150
; %bb.47991:
	s_getpc_b64 s[14:15]
.Lpost_getpc9659:
	s_add_u32 s14, s14, (.LBB1_26488-.Lpost_getpc9659)&4294967295
	s_addc_u32 s15, s15, (.LBB1_26488-.Lpost_getpc9659)>>32
	s_setpc_b64 s[14:15]
.LBB1_12150:
	s_or_b64 exec, exec, s[6:7]
	s_and_saveexec_b64 s[6:7], s[4:5]
	s_cbranch_execz .LBB1_12152
.LBB1_12151:
	v_bfe_u32 v3, v5, 16, 3
	v_ffbh_u32_e32 v7, v3
	v_min_u32_e32 v7, 32, v7
	v_lshrrev_b32_e32 v4, 19, v5
	v_subrev_u32_e32 v8, 28, v7
	v_and_b32_e32 v4, 15, v4
	v_lshlrev_b32_sdwa v8, v8, v5 dst_sel:DWORD dst_unused:UNUSED_PAD src0_sel:DWORD src1_sel:WORD_1
	v_bfe_u32 v6, v5, 19, 4
	v_sub_u32_e32 v7, 29, v7
	v_and_b32_e32 v8, 7, v8
	v_cmp_eq_u16_e32 vcc, 0, v4
	v_cndmask_b32_e32 v3, v3, v8, vcc
	v_cndmask_b32_e32 v4, v6, v7, vcc
	v_lshlrev_b32_e32 v6, 8, v5
	v_mov_b32_e32 v7, 0x3b800000
	v_lshlrev_b32_e32 v3, 20, v3
	v_and_b32_e32 v6, 0x80000000, v6
	v_lshl_add_u32 v4, v4, 23, v7
	v_or3_b32 v4, v6, v4, v3
.LBB1_12152:
	s_or_b64 exec, exec, s[6:7]
	s_nop 0
	v_mfma_f32_16x16x4f32 a[0:3], v2, v4, a[0:3]
	s_movk_i32 s4, 0x7f
	v_cmp_gt_i16_sdwa s[6:7], v9, s4 src0_sel:BYTE_3 src1_sel:DWORD
	s_mov_b64 s[4:5], 0
                                        ; implicit-def: $sgpr10
	s_and_saveexec_b64 s[8:9], s[6:7]
	s_xor_b64 s[6:7], exec, s[8:9]
	s_cbranch_execz .LBB1_12153
; %bb.47993:
	s_getpc_b64 s[14:15]
.Lpost_getpc9660:
	s_add_u32 s14, s14, (.LBB1_26489-.Lpost_getpc9660)&4294967295
	s_addc_u32 s15, s15, (.LBB1_26489-.Lpost_getpc9660)>>32
	s_setpc_b64 s[14:15]
.LBB1_12153:
	s_or_saveexec_b64 s[6:7], s[6:7]
	v_mov_b32_e32 v2, s10
	s_xor_b64 exec, exec, s[6:7]
	s_cbranch_execz .LBB1_12154
; %bb.47995:
	s_getpc_b64 s[14:15]
.Lpost_getpc9661:
	s_add_u32 s14, s14, (.LBB1_26492-.Lpost_getpc9661)&4294967295
	s_addc_u32 s15, s15, (.LBB1_26492-.Lpost_getpc9661)>>32
	s_setpc_b64 s[14:15]
.LBB1_12154:
	s_or_b64 exec, exec, s[6:7]
	s_and_saveexec_b64 s[6:7], s[4:5]
	s_cbranch_execz .LBB1_12156
.LBB1_12155:
	v_bfe_u32 v2, v9, 24, 3
	v_ffbh_u32_e32 v7, v2
	v_min_u32_e32 v7, 32, v7
	v_lshrrev_b32_e32 v4, 27, v9
	v_subrev_u32_e32 v8, 28, v7
	v_and_b32_e32 v4, 15, v4
	v_lshlrev_b32_sdwa v8, v8, v9 dst_sel:DWORD dst_unused:UNUSED_PAD src0_sel:DWORD src1_sel:BYTE_3
	v_bfe_u32 v6, v9, 27, 4
	v_sub_u32_e32 v7, 29, v7
	v_and_b32_e32 v8, 7, v8
	v_cmp_eq_u16_e32 vcc, 0, v4
	v_cndmask_b32_e32 v2, v2, v8, vcc
	v_cndmask_b32_e32 v4, v6, v7, vcc
	v_mov_b32_e32 v6, 0x3b800000
	v_and_b32_e32 v3, 0x80000000, v9
	v_lshlrev_b32_e32 v2, 20, v2
	v_lshl_add_u32 v4, v4, 23, v6
	v_or3_b32 v2, v3, v4, v2
.LBB1_12156:
	s_or_b64 exec, exec, s[6:7]
	s_movk_i32 s4, 0x7f
	v_cmp_gt_i16_sdwa s[6:7], v5, s4 src0_sel:BYTE_3 src1_sel:DWORD
	s_mov_b64 s[4:5], 0
                                        ; implicit-def: $sgpr10
	s_and_saveexec_b64 s[8:9], s[6:7]
	s_xor_b64 s[6:7], exec, s[8:9]
	s_cbranch_execz .LBB1_12157
; %bb.47997:
	s_getpc_b64 s[14:15]
.Lpost_getpc9662:
	s_add_u32 s14, s14, (.LBB1_26493-.Lpost_getpc9662)&4294967295
	s_addc_u32 s15, s15, (.LBB1_26493-.Lpost_getpc9662)>>32
	s_setpc_b64 s[14:15]
.LBB1_12157:
	s_or_saveexec_b64 s[6:7], s[6:7]
	v_mov_b32_e32 v3, s10
	s_xor_b64 exec, exec, s[6:7]
	s_cbranch_execz .LBB1_12158
; %bb.47999:
	s_getpc_b64 s[14:15]
.Lpost_getpc9663:
	s_add_u32 s14, s14, (.LBB1_26496-.Lpost_getpc9663)&4294967295
	s_addc_u32 s15, s15, (.LBB1_26496-.Lpost_getpc9663)>>32
	s_setpc_b64 s[14:15]
.LBB1_12158:
	s_or_b64 exec, exec, s[6:7]
	s_and_saveexec_b64 s[6:7], s[4:5]
	s_cbranch_execz .LBB1_12160
.LBB1_12159:
	v_bfe_u32 v3, v5, 24, 3
	v_ffbh_u32_e32 v8, v3
	v_min_u32_e32 v8, 32, v8
	v_lshrrev_b32_e32 v6, 27, v5
	v_subrev_u32_e32 v9, 28, v8
	v_and_b32_e32 v4, 0x80000000, v5
	v_and_b32_e32 v6, 15, v6
	v_bfe_u32 v7, v5, 27, 4
	v_lshlrev_b32_sdwa v5, v9, v5 dst_sel:DWORD dst_unused:UNUSED_PAD src0_sel:DWORD src1_sel:BYTE_3
	v_sub_u32_e32 v8, 29, v8
	v_and_b32_e32 v5, 7, v5
	v_cmp_eq_u16_e32 vcc, 0, v6
	v_cndmask_b32_e32 v3, v3, v5, vcc
	v_cndmask_b32_e32 v5, v7, v8, vcc
	v_mov_b32_e32 v6, 0x3b800000
	v_lshlrev_b32_e32 v3, 20, v3
	v_lshl_add_u32 v5, v5, 23, v6
	v_or3_b32 v3, v4, v5, v3
.LBB1_12160:
	s_or_b64 exec, exec, s[6:7]
	s_nop 0
	v_mfma_f32_16x16x4f32 a[0:3], v2, v3, a[0:3]
	s_movk_i32 s4, 0x7f
                                        ; implicit-def: $sgpr10
	s_nop 7
	s_nop 1
	flat_store_dwordx4 v[10:11], a[0:3] offset:608
	flat_load_dwordx4 v[12:15], v[0:1]
	s_nop 0
	flat_load_dwordx2 v[10:11], v[0:1] offset:16
	s_waitcnt vmcnt(0) lgkmcnt(0)
	flat_load_dwordx4 v[6:9], v[12:13] offset:176
	flat_load_dwordx4 v[2:5], v[14:15] offset:240
	s_waitcnt vmcnt(0) lgkmcnt(0)
	v_cmp_gt_i16_sdwa s[6:7], v6, s4 src0_sel:BYTE_0 src1_sel:DWORD
	s_mov_b64 s[4:5], 0
	s_and_saveexec_b64 s[8:9], s[6:7]
	s_xor_b64 s[6:7], exec, s[8:9]
	s_cbranch_execz .LBB1_12161
; %bb.48001:
	s_getpc_b64 s[14:15]
.Lpost_getpc9664:
	s_add_u32 s14, s14, (.LBB1_26497-.Lpost_getpc9664)&4294967295
	s_addc_u32 s15, s15, (.LBB1_26497-.Lpost_getpc9664)>>32
	s_setpc_b64 s[14:15]
.LBB1_12161:
	s_or_saveexec_b64 s[6:7], s[6:7]
	v_mov_b32_e32 v12, s10
	s_xor_b64 exec, exec, s[6:7]
	s_cbranch_execz .LBB1_12162
; %bb.48003:
	s_getpc_b64 s[14:15]
.Lpost_getpc9665:
	s_add_u32 s14, s14, (.LBB1_26500-.Lpost_getpc9665)&4294967295
	s_addc_u32 s15, s15, (.LBB1_26500-.Lpost_getpc9665)>>32
	s_setpc_b64 s[14:15]
.LBB1_12162:
	s_or_b64 exec, exec, s[6:7]
	s_and_saveexec_b64 s[6:7], s[4:5]
	s_cbranch_execz .LBB1_12164
.LBB1_12163:
	v_and_b32_e32 v12, 7, v6
	v_ffbh_u32_e32 v14, v12
	v_min_u32_e32 v14, 32, v14
	v_lshrrev_b16_e32 v13, 3, v6
	v_subrev_u32_e32 v15, 28, v14
	v_and_b32_e32 v13, 15, v13
	v_lshlrev_b32_e32 v15, v15, v6
	v_sub_u32_e32 v14, 29, v14
	v_and_b32_e32 v15, 7, v15
	v_cmp_eq_u16_e32 vcc, 0, v13
	v_cndmask_b32_e32 v12, v12, v15, vcc
	v_cndmask_b32_e32 v13, v13, v14, vcc
	v_lshlrev_b32_e32 v14, 24, v6
	v_mov_b32_e32 v15, 0x3b800000
	v_lshlrev_b32_e32 v12, 20, v12
	v_and_b32_e32 v14, 0x80000000, v14
	v_lshl_add_u32 v13, v13, 23, v15
	v_or3_b32 v12, v14, v13, v12
.LBB1_12164:
	s_or_b64 exec, exec, s[6:7]
	s_movk_i32 s4, 0x7f
	v_cmp_gt_i16_sdwa s[6:7], v2, s4 src0_sel:BYTE_0 src1_sel:DWORD
	s_mov_b64 s[4:5], 0
                                        ; implicit-def: $sgpr10
	s_and_saveexec_b64 s[8:9], s[6:7]
	s_xor_b64 s[6:7], exec, s[8:9]
	s_cbranch_execz .LBB1_12165
; %bb.48005:
	s_getpc_b64 s[14:15]
.Lpost_getpc9666:
	s_add_u32 s14, s14, (.LBB1_26501-.Lpost_getpc9666)&4294967295
	s_addc_u32 s15, s15, (.LBB1_26501-.Lpost_getpc9666)>>32
	s_setpc_b64 s[14:15]
.LBB1_12165:
	s_or_saveexec_b64 s[6:7], s[6:7]
	v_mov_b32_e32 v13, s10
	s_xor_b64 exec, exec, s[6:7]
	s_cbranch_execz .LBB1_12166
; %bb.48007:
	s_getpc_b64 s[14:15]
.Lpost_getpc9667:
	s_add_u32 s14, s14, (.LBB1_26504-.Lpost_getpc9667)&4294967295
	s_addc_u32 s15, s15, (.LBB1_26504-.Lpost_getpc9667)>>32
	s_setpc_b64 s[14:15]
.LBB1_12166:
	s_or_b64 exec, exec, s[6:7]
	s_and_saveexec_b64 s[6:7], s[4:5]
	s_cbranch_execz .LBB1_12168
.LBB1_12167:
	v_and_b32_e32 v13, 7, v2
	v_ffbh_u32_e32 v15, v13
	v_min_u32_e32 v15, 32, v15
	v_lshrrev_b16_e32 v14, 3, v2
	v_subrev_u32_e32 v16, 28, v15
	v_and_b32_e32 v14, 15, v14
	v_lshlrev_b32_e32 v16, v16, v2
	v_sub_u32_e32 v15, 29, v15
	v_and_b32_e32 v16, 7, v16
	v_cmp_eq_u16_e32 vcc, 0, v14
	v_cndmask_b32_e32 v13, v13, v16, vcc
	v_cndmask_b32_e32 v14, v14, v15, vcc
	v_lshlrev_b32_e32 v15, 24, v2
	v_mov_b32_e32 v16, 0x3b800000
	v_lshlrev_b32_e32 v13, 20, v13
	v_and_b32_e32 v15, 0x80000000, v15
	v_lshl_add_u32 v14, v14, 23, v16
	v_or3_b32 v13, v15, v14, v13
.LBB1_12168:
	s_or_b64 exec, exec, s[6:7]
	flat_load_dwordx4 a[0:3], v[10:11] offset:624
	s_movk_i32 s4, 0x7f
                                        ; implicit-def: $sgpr10
	s_waitcnt vmcnt(0) lgkmcnt(0)
	v_mfma_f32_16x16x4f32 a[0:3], v12, v13, a[0:3]
	v_lshrrev_b32_e32 v13, 8, v6
	v_cmp_gt_i16_sdwa s[6:7], v13, s4 src0_sel:BYTE_0 src1_sel:DWORD
	s_mov_b64 s[4:5], 0
	s_and_saveexec_b64 s[8:9], s[6:7]
	s_xor_b64 s[6:7], exec, s[8:9]
	s_cbranch_execz .LBB1_12169
; %bb.48009:
	s_getpc_b64 s[14:15]
.Lpost_getpc9668:
	s_add_u32 s14, s14, (.LBB1_26505-.Lpost_getpc9668)&4294967295
	s_addc_u32 s15, s15, (.LBB1_26505-.Lpost_getpc9668)>>32
	s_setpc_b64 s[14:15]
.LBB1_12169:
	s_or_saveexec_b64 s[6:7], s[6:7]
	v_mov_b32_e32 v12, s10
	s_xor_b64 exec, exec, s[6:7]
	s_cbranch_execz .LBB1_12170
; %bb.48011:
	s_getpc_b64 s[14:15]
.Lpost_getpc9669:
	s_add_u32 s14, s14, (.LBB1_26508-.Lpost_getpc9669)&4294967295
	s_addc_u32 s15, s15, (.LBB1_26508-.Lpost_getpc9669)>>32
	s_setpc_b64 s[14:15]
.LBB1_12170:
	s_or_b64 exec, exec, s[6:7]
	s_and_saveexec_b64 s[6:7], s[4:5]
	s_cbranch_execz .LBB1_12172
.LBB1_12171:
	v_bfe_u32 v12, v6, 8, 3
	v_ffbh_u32_e32 v15, v12
	v_min_u32_e32 v15, 32, v15
	v_lshrrev_b16_e32 v14, 3, v13
	v_subrev_u32_e32 v16, 28, v15
	v_and_b32_e32 v14, 15, v14
	v_lshlrev_b32_e32 v13, v16, v13
	v_sub_u32_e32 v15, 29, v15
	v_and_b32_e32 v13, 7, v13
	v_cmp_eq_u16_e32 vcc, 0, v14
	v_cndmask_b32_e32 v12, v12, v13, vcc
	v_cndmask_b32_e32 v13, v14, v15, vcc
	v_lshlrev_b32_e32 v14, 16, v6
	v_mov_b32_e32 v15, 0x3b800000
	v_lshlrev_b32_e32 v12, 20, v12
	v_and_b32_e32 v14, 0x80000000, v14
	v_lshl_add_u32 v13, v13, 23, v15
	v_or3_b32 v12, v14, v13, v12
.LBB1_12172:
	s_or_b64 exec, exec, s[6:7]
	v_lshrrev_b32_e32 v13, 8, v2
	s_movk_i32 s4, 0x7f
	v_cmp_gt_i16_sdwa s[6:7], v13, s4 src0_sel:BYTE_0 src1_sel:DWORD
	s_mov_b64 s[4:5], 0
                                        ; implicit-def: $sgpr10
	s_and_saveexec_b64 s[8:9], s[6:7]
	s_xor_b64 s[6:7], exec, s[8:9]
	s_cbranch_execz .LBB1_12173
; %bb.48013:
	s_getpc_b64 s[14:15]
.Lpost_getpc9670:
	s_add_u32 s14, s14, (.LBB1_26509-.Lpost_getpc9670)&4294967295
	s_addc_u32 s15, s15, (.LBB1_26509-.Lpost_getpc9670)>>32
	s_setpc_b64 s[14:15]
.LBB1_12173:
	s_or_saveexec_b64 s[6:7], s[6:7]
	v_mov_b32_e32 v14, s10
	s_xor_b64 exec, exec, s[6:7]
	s_cbranch_execz .LBB1_12174
; %bb.48015:
	s_getpc_b64 s[14:15]
.Lpost_getpc9671:
	s_add_u32 s14, s14, (.LBB1_26512-.Lpost_getpc9671)&4294967295
	s_addc_u32 s15, s15, (.LBB1_26512-.Lpost_getpc9671)>>32
	s_setpc_b64 s[14:15]
.LBB1_12174:
	s_or_b64 exec, exec, s[6:7]
	s_and_saveexec_b64 s[6:7], s[4:5]
	s_cbranch_execz .LBB1_12176
.LBB1_12175:
	v_bfe_u32 v14, v2, 8, 3
	v_ffbh_u32_e32 v16, v14
	v_min_u32_e32 v16, 32, v16
	v_lshrrev_b16_e32 v15, 3, v13
	v_subrev_u32_e32 v17, 28, v16
	v_and_b32_e32 v15, 15, v15
	v_lshlrev_b32_e32 v13, v17, v13
	v_sub_u32_e32 v16, 29, v16
	v_and_b32_e32 v13, 7, v13
	v_cmp_eq_u16_e32 vcc, 0, v15
	v_cndmask_b32_e32 v13, v14, v13, vcc
	v_cndmask_b32_e32 v14, v15, v16, vcc
	v_lshlrev_b32_e32 v15, 16, v2
	v_mov_b32_e32 v16, 0x3b800000
	v_lshlrev_b32_e32 v13, 20, v13
	v_and_b32_e32 v15, 0x80000000, v15
	v_lshl_add_u32 v14, v14, 23, v16
	v_or3_b32 v14, v15, v14, v13
.LBB1_12176:
	s_or_b64 exec, exec, s[6:7]
	s_nop 0
	v_mfma_f32_16x16x4f32 a[0:3], v12, v14, a[0:3]
	s_movk_i32 s4, 0xff
	v_and_b32_sdwa v13, v6, s4 dst_sel:DWORD dst_unused:UNUSED_PAD src0_sel:WORD_1 src1_sel:DWORD
	s_movk_i32 s4, 0x7f
	v_cmp_lt_i16_e32 vcc, s4, v13
	s_mov_b64 s[4:5], 0
                                        ; implicit-def: $sgpr10
	s_and_saveexec_b64 s[6:7], vcc
	s_xor_b64 s[6:7], exec, s[6:7]
	s_cbranch_execz .LBB1_12177
; %bb.48017:
	s_getpc_b64 s[14:15]
.Lpost_getpc9672:
	s_add_u32 s14, s14, (.LBB1_26513-.Lpost_getpc9672)&4294967295
	s_addc_u32 s15, s15, (.LBB1_26513-.Lpost_getpc9672)>>32
	s_setpc_b64 s[14:15]
.LBB1_12177:
	s_or_saveexec_b64 s[6:7], s[6:7]
	v_mov_b32_e32 v12, s10
	s_xor_b64 exec, exec, s[6:7]
	s_cbranch_execz .LBB1_12178
; %bb.48019:
	s_getpc_b64 s[14:15]
.Lpost_getpc9673:
	s_add_u32 s14, s14, (.LBB1_26516-.Lpost_getpc9673)&4294967295
	s_addc_u32 s15, s15, (.LBB1_26516-.Lpost_getpc9673)>>32
	s_setpc_b64 s[14:15]
.LBB1_12178:
	s_or_b64 exec, exec, s[6:7]
	s_and_saveexec_b64 s[6:7], s[4:5]
	s_cbranch_execz .LBB1_12180
.LBB1_12179:
	v_bfe_u32 v12, v6, 16, 3
	v_ffbh_u32_e32 v15, v12
	v_min_u32_e32 v15, 32, v15
	v_lshrrev_b32_e32 v13, 19, v6
	v_subrev_u32_e32 v16, 28, v15
	v_and_b32_e32 v13, 15, v13
	v_lshlrev_b32_sdwa v16, v16, v6 dst_sel:DWORD dst_unused:UNUSED_PAD src0_sel:DWORD src1_sel:WORD_1
	v_bfe_u32 v14, v6, 19, 4
	v_sub_u32_e32 v15, 29, v15
	v_and_b32_e32 v16, 7, v16
	v_cmp_eq_u16_e32 vcc, 0, v13
	v_cndmask_b32_e32 v12, v12, v16, vcc
	v_cndmask_b32_e32 v13, v14, v15, vcc
	v_lshlrev_b32_e32 v14, 8, v6
	v_mov_b32_e32 v15, 0x3b800000
	v_lshlrev_b32_e32 v12, 20, v12
	v_and_b32_e32 v14, 0x80000000, v14
	v_lshl_add_u32 v13, v13, 23, v15
	v_or3_b32 v12, v14, v13, v12
.LBB1_12180:
	s_or_b64 exec, exec, s[6:7]
	s_movk_i32 s4, 0xff
	v_and_b32_sdwa v13, v2, s4 dst_sel:DWORD dst_unused:UNUSED_PAD src0_sel:WORD_1 src1_sel:DWORD
	s_movk_i32 s4, 0x7f
	v_cmp_lt_i16_e32 vcc, s4, v13
	s_mov_b64 s[4:5], 0
                                        ; implicit-def: $sgpr10
	s_and_saveexec_b64 s[6:7], vcc
	s_xor_b64 s[6:7], exec, s[6:7]
	s_cbranch_execz .LBB1_12181
; %bb.48021:
	s_getpc_b64 s[14:15]
.Lpost_getpc9674:
	s_add_u32 s14, s14, (.LBB1_26517-.Lpost_getpc9674)&4294967295
	s_addc_u32 s15, s15, (.LBB1_26517-.Lpost_getpc9674)>>32
	s_setpc_b64 s[14:15]
.LBB1_12181:
	s_or_saveexec_b64 s[6:7], s[6:7]
	v_mov_b32_e32 v14, s10
	s_xor_b64 exec, exec, s[6:7]
	s_cbranch_execz .LBB1_12182
; %bb.48023:
	s_getpc_b64 s[14:15]
.Lpost_getpc9675:
	s_add_u32 s14, s14, (.LBB1_26520-.Lpost_getpc9675)&4294967295
	s_addc_u32 s15, s15, (.LBB1_26520-.Lpost_getpc9675)>>32
	s_setpc_b64 s[14:15]
.LBB1_12182:
	s_or_b64 exec, exec, s[6:7]
	s_and_saveexec_b64 s[6:7], s[4:5]
	s_cbranch_execz .LBB1_12184
.LBB1_12183:
	v_bfe_u32 v13, v2, 16, 3
	v_ffbh_u32_e32 v16, v13
	v_min_u32_e32 v16, 32, v16
	v_lshrrev_b32_e32 v14, 19, v2
	v_subrev_u32_e32 v17, 28, v16
	v_and_b32_e32 v14, 15, v14
	v_lshlrev_b32_sdwa v17, v17, v2 dst_sel:DWORD dst_unused:UNUSED_PAD src0_sel:DWORD src1_sel:WORD_1
	v_bfe_u32 v15, v2, 19, 4
	v_sub_u32_e32 v16, 29, v16
	v_and_b32_e32 v17, 7, v17
	v_cmp_eq_u16_e32 vcc, 0, v14
	v_cndmask_b32_e32 v13, v13, v17, vcc
	v_cndmask_b32_e32 v14, v15, v16, vcc
	v_lshlrev_b32_e32 v15, 8, v2
	v_mov_b32_e32 v16, 0x3b800000
	v_lshlrev_b32_e32 v13, 20, v13
	v_and_b32_e32 v15, 0x80000000, v15
	v_lshl_add_u32 v14, v14, 23, v16
	v_or3_b32 v14, v15, v14, v13
.LBB1_12184:
	s_or_b64 exec, exec, s[6:7]
	s_nop 0
	v_mfma_f32_16x16x4f32 a[0:3], v12, v14, a[0:3]
	s_movk_i32 s4, 0x7f
	v_cmp_gt_i16_sdwa s[6:7], v6, s4 src0_sel:BYTE_3 src1_sel:DWORD
	s_mov_b64 s[4:5], 0
                                        ; implicit-def: $sgpr10
	s_and_saveexec_b64 s[8:9], s[6:7]
	s_xor_b64 s[6:7], exec, s[8:9]
	s_cbranch_execz .LBB1_12185
; %bb.48025:
	s_getpc_b64 s[14:15]
.Lpost_getpc9676:
	s_add_u32 s14, s14, (.LBB1_26521-.Lpost_getpc9676)&4294967295
	s_addc_u32 s15, s15, (.LBB1_26521-.Lpost_getpc9676)>>32
	s_setpc_b64 s[14:15]
.LBB1_12185:
	s_or_saveexec_b64 s[6:7], s[6:7]
	v_mov_b32_e32 v12, s10
	s_xor_b64 exec, exec, s[6:7]
	s_cbranch_execz .LBB1_12186
; %bb.48027:
	s_getpc_b64 s[14:15]
.Lpost_getpc9677:
	s_add_u32 s14, s14, (.LBB1_26524-.Lpost_getpc9677)&4294967295
	s_addc_u32 s15, s15, (.LBB1_26524-.Lpost_getpc9677)>>32
	s_setpc_b64 s[14:15]
.LBB1_12186:
	s_or_b64 exec, exec, s[6:7]
	s_and_saveexec_b64 s[6:7], s[4:5]
	s_cbranch_execz .LBB1_12188
.LBB1_12187:
	v_bfe_u32 v12, v6, 24, 3
	v_ffbh_u32_e32 v16, v12
	v_min_u32_e32 v16, 32, v16
	v_lshrrev_b32_e32 v14, 27, v6
	v_subrev_u32_e32 v17, 28, v16
	v_and_b32_e32 v13, 0x80000000, v6
	v_and_b32_e32 v14, 15, v14
	v_bfe_u32 v15, v6, 27, 4
	v_lshlrev_b32_sdwa v6, v17, v6 dst_sel:DWORD dst_unused:UNUSED_PAD src0_sel:DWORD src1_sel:BYTE_3
	v_sub_u32_e32 v16, 29, v16
	v_and_b32_e32 v6, 7, v6
	v_cmp_eq_u16_e32 vcc, 0, v14
	v_cndmask_b32_e32 v6, v12, v6, vcc
	v_cndmask_b32_e32 v12, v15, v16, vcc
	v_mov_b32_e32 v14, 0x3b800000
	v_lshlrev_b32_e32 v6, 20, v6
	v_lshl_add_u32 v12, v12, 23, v14
	v_or3_b32 v12, v13, v12, v6
.LBB1_12188:
	s_or_b64 exec, exec, s[6:7]
	s_movk_i32 s4, 0x7f
	v_cmp_gt_i16_sdwa s[6:7], v2, s4 src0_sel:BYTE_3 src1_sel:DWORD
	s_mov_b64 s[4:5], 0
                                        ; implicit-def: $sgpr10
	s_and_saveexec_b64 s[8:9], s[6:7]
	s_xor_b64 s[6:7], exec, s[8:9]
	s_cbranch_execz .LBB1_12189
; %bb.48029:
	s_getpc_b64 s[14:15]
.Lpost_getpc9678:
	s_add_u32 s14, s14, (.LBB1_26525-.Lpost_getpc9678)&4294967295
	s_addc_u32 s15, s15, (.LBB1_26525-.Lpost_getpc9678)>>32
	s_setpc_b64 s[14:15]
.LBB1_12189:
	s_or_saveexec_b64 s[6:7], s[6:7]
	v_mov_b32_e32 v6, s10
	s_xor_b64 exec, exec, s[6:7]
	s_cbranch_execz .LBB1_12190
; %bb.48031:
	s_getpc_b64 s[14:15]
.Lpost_getpc9679:
	s_add_u32 s14, s14, (.LBB1_26528-.Lpost_getpc9679)&4294967295
	s_addc_u32 s15, s15, (.LBB1_26528-.Lpost_getpc9679)>>32
	s_setpc_b64 s[14:15]
.LBB1_12190:
	s_or_b64 exec, exec, s[6:7]
	s_and_saveexec_b64 s[6:7], s[4:5]
	s_cbranch_execz .LBB1_12192
.LBB1_12191:
	v_bfe_u32 v6, v2, 24, 3
	v_ffbh_u32_e32 v16, v6
	v_min_u32_e32 v16, 32, v16
	v_lshrrev_b32_e32 v14, 27, v2
	v_subrev_u32_e32 v17, 28, v16
	v_and_b32_e32 v13, 0x80000000, v2
	v_and_b32_e32 v14, 15, v14
	v_bfe_u32 v15, v2, 27, 4
	v_lshlrev_b32_sdwa v2, v17, v2 dst_sel:DWORD dst_unused:UNUSED_PAD src0_sel:DWORD src1_sel:BYTE_3
	v_sub_u32_e32 v16, 29, v16
	v_and_b32_e32 v2, 7, v2
	v_cmp_eq_u16_e32 vcc, 0, v14
	v_cndmask_b32_e32 v2, v6, v2, vcc
	v_cndmask_b32_e32 v6, v15, v16, vcc
	v_mov_b32_e32 v14, 0x3b800000
	v_lshlrev_b32_e32 v2, 20, v2
	v_lshl_add_u32 v6, v6, 23, v14
	v_or3_b32 v6, v13, v6, v2
.LBB1_12192:
	s_or_b64 exec, exec, s[6:7]
	s_nop 0
	v_mfma_f32_16x16x4f32 a[0:3], v12, v6, a[0:3]
	s_movk_i32 s4, 0x7f
	v_cmp_gt_i16_sdwa s[6:7], v7, s4 src0_sel:BYTE_0 src1_sel:DWORD
	s_mov_b64 s[4:5], 0
                                        ; implicit-def: $sgpr10
	s_and_saveexec_b64 s[8:9], s[6:7]
	s_xor_b64 s[6:7], exec, s[8:9]
	s_cbranch_execz .LBB1_12193
; %bb.48033:
	s_getpc_b64 s[14:15]
.Lpost_getpc9680:
	s_add_u32 s14, s14, (.LBB1_26529-.Lpost_getpc9680)&4294967295
	s_addc_u32 s15, s15, (.LBB1_26529-.Lpost_getpc9680)>>32
	s_setpc_b64 s[14:15]
.LBB1_12193:
	s_or_saveexec_b64 s[6:7], s[6:7]
	v_mov_b32_e32 v2, s10
	s_xor_b64 exec, exec, s[6:7]
	s_cbranch_execz .LBB1_12194
; %bb.48035:
	s_getpc_b64 s[14:15]
.Lpost_getpc9681:
	s_add_u32 s14, s14, (.LBB1_26532-.Lpost_getpc9681)&4294967295
	s_addc_u32 s15, s15, (.LBB1_26532-.Lpost_getpc9681)>>32
	s_setpc_b64 s[14:15]
.LBB1_12194:
	s_or_b64 exec, exec, s[6:7]
	s_and_saveexec_b64 s[6:7], s[4:5]
	s_cbranch_execz .LBB1_12196
.LBB1_12195:
	v_and_b32_e32 v2, 7, v7
	v_ffbh_u32_e32 v12, v2
	v_min_u32_e32 v12, 32, v12
	v_lshrrev_b16_e32 v6, 3, v7
	v_subrev_u32_e32 v13, 28, v12
	v_and_b32_e32 v6, 15, v6
	v_lshlrev_b32_e32 v13, v13, v7
	v_sub_u32_e32 v12, 29, v12
	v_and_b32_e32 v13, 7, v13
	v_cmp_eq_u16_e32 vcc, 0, v6
	v_cndmask_b32_e32 v2, v2, v13, vcc
	v_cndmask_b32_e32 v6, v6, v12, vcc
	v_lshlrev_b32_e32 v12, 24, v7
	v_mov_b32_e32 v13, 0x3b800000
	v_lshlrev_b32_e32 v2, 20, v2
	v_and_b32_e32 v12, 0x80000000, v12
	v_lshl_add_u32 v6, v6, 23, v13
	v_or3_b32 v2, v12, v6, v2
.LBB1_12196:
	s_or_b64 exec, exec, s[6:7]
	s_movk_i32 s4, 0x7f
	v_cmp_gt_i16_sdwa s[6:7], v3, s4 src0_sel:BYTE_0 src1_sel:DWORD
	s_mov_b64 s[4:5], 0
                                        ; implicit-def: $sgpr10
	s_and_saveexec_b64 s[8:9], s[6:7]
	s_xor_b64 s[6:7], exec, s[8:9]
	s_cbranch_execz .LBB1_12197
; %bb.48037:
	s_getpc_b64 s[14:15]
.Lpost_getpc9682:
	s_add_u32 s14, s14, (.LBB1_26533-.Lpost_getpc9682)&4294967295
	s_addc_u32 s15, s15, (.LBB1_26533-.Lpost_getpc9682)>>32
	s_setpc_b64 s[14:15]
.LBB1_12197:
	s_or_saveexec_b64 s[6:7], s[6:7]
	v_mov_b32_e32 v6, s10
	s_xor_b64 exec, exec, s[6:7]
	s_cbranch_execz .LBB1_12198
; %bb.48039:
	s_getpc_b64 s[14:15]
.Lpost_getpc9683:
	s_add_u32 s14, s14, (.LBB1_26536-.Lpost_getpc9683)&4294967295
	s_addc_u32 s15, s15, (.LBB1_26536-.Lpost_getpc9683)>>32
	s_setpc_b64 s[14:15]
.LBB1_12198:
	s_or_b64 exec, exec, s[6:7]
	s_and_saveexec_b64 s[6:7], s[4:5]
	s_cbranch_execz .LBB1_12200
.LBB1_12199:
	v_and_b32_e32 v6, 7, v3
	v_ffbh_u32_e32 v13, v6
	v_min_u32_e32 v13, 32, v13
	v_lshrrev_b16_e32 v12, 3, v3
	v_subrev_u32_e32 v14, 28, v13
	v_and_b32_e32 v12, 15, v12
	v_lshlrev_b32_e32 v14, v14, v3
	v_sub_u32_e32 v13, 29, v13
	v_and_b32_e32 v14, 7, v14
	v_cmp_eq_u16_e32 vcc, 0, v12
	v_cndmask_b32_e32 v6, v6, v14, vcc
	v_cndmask_b32_e32 v12, v12, v13, vcc
	v_lshlrev_b32_e32 v13, 24, v3
	v_mov_b32_e32 v14, 0x3b800000
	v_lshlrev_b32_e32 v6, 20, v6
	v_and_b32_e32 v13, 0x80000000, v13
	v_lshl_add_u32 v12, v12, 23, v14
	v_or3_b32 v6, v13, v12, v6
.LBB1_12200:
	s_or_b64 exec, exec, s[6:7]
	s_nop 0
	v_mfma_f32_16x16x4f32 a[0:3], v2, v6, a[0:3]
	v_lshrrev_b32_e32 v6, 8, v7
	s_movk_i32 s4, 0x7f
	v_cmp_gt_i16_sdwa s[6:7], v6, s4 src0_sel:BYTE_0 src1_sel:DWORD
	s_mov_b64 s[4:5], 0
                                        ; implicit-def: $sgpr10
	s_and_saveexec_b64 s[8:9], s[6:7]
	s_xor_b64 s[6:7], exec, s[8:9]
	s_cbranch_execz .LBB1_12201
; %bb.48041:
	s_getpc_b64 s[14:15]
.Lpost_getpc9684:
	s_add_u32 s14, s14, (.LBB1_26537-.Lpost_getpc9684)&4294967295
	s_addc_u32 s15, s15, (.LBB1_26537-.Lpost_getpc9684)>>32
	s_setpc_b64 s[14:15]
.LBB1_12201:
	s_or_saveexec_b64 s[6:7], s[6:7]
	v_mov_b32_e32 v2, s10
	s_xor_b64 exec, exec, s[6:7]
	s_cbranch_execz .LBB1_12202
; %bb.48043:
	s_getpc_b64 s[14:15]
.Lpost_getpc9685:
	s_add_u32 s14, s14, (.LBB1_26540-.Lpost_getpc9685)&4294967295
	s_addc_u32 s15, s15, (.LBB1_26540-.Lpost_getpc9685)>>32
	s_setpc_b64 s[14:15]
.LBB1_12202:
	s_or_b64 exec, exec, s[6:7]
	s_and_saveexec_b64 s[6:7], s[4:5]
	s_cbranch_execz .LBB1_12204
.LBB1_12203:
	v_bfe_u32 v2, v7, 8, 3
	v_ffbh_u32_e32 v13, v2
	v_min_u32_e32 v13, 32, v13
	v_lshrrev_b16_e32 v12, 3, v6
	v_subrev_u32_e32 v14, 28, v13
	v_and_b32_e32 v12, 15, v12
	v_lshlrev_b32_e32 v6, v14, v6
	v_sub_u32_e32 v13, 29, v13
	v_and_b32_e32 v6, 7, v6
	v_cmp_eq_u16_e32 vcc, 0, v12
	v_cndmask_b32_e32 v2, v2, v6, vcc
	v_cndmask_b32_e32 v6, v12, v13, vcc
	v_lshlrev_b32_e32 v12, 16, v7
	v_mov_b32_e32 v13, 0x3b800000
	v_lshlrev_b32_e32 v2, 20, v2
	v_and_b32_e32 v12, 0x80000000, v12
	v_lshl_add_u32 v6, v6, 23, v13
	v_or3_b32 v2, v12, v6, v2
.LBB1_12204:
	s_or_b64 exec, exec, s[6:7]
	v_lshrrev_b32_e32 v6, 8, v3
	s_movk_i32 s4, 0x7f
	v_cmp_gt_i16_sdwa s[6:7], v6, s4 src0_sel:BYTE_0 src1_sel:DWORD
	s_mov_b64 s[4:5], 0
                                        ; implicit-def: $sgpr10
	s_and_saveexec_b64 s[8:9], s[6:7]
	s_xor_b64 s[6:7], exec, s[8:9]
	s_cbranch_execz .LBB1_12205
; %bb.48045:
	s_getpc_b64 s[14:15]
.Lpost_getpc9686:
	s_add_u32 s14, s14, (.LBB1_26541-.Lpost_getpc9686)&4294967295
	s_addc_u32 s15, s15, (.LBB1_26541-.Lpost_getpc9686)>>32
	s_setpc_b64 s[14:15]
.LBB1_12205:
	s_or_saveexec_b64 s[6:7], s[6:7]
	v_mov_b32_e32 v12, s10
	s_xor_b64 exec, exec, s[6:7]
	s_cbranch_execz .LBB1_12206
; %bb.48047:
	s_getpc_b64 s[14:15]
.Lpost_getpc9687:
	s_add_u32 s14, s14, (.LBB1_26544-.Lpost_getpc9687)&4294967295
	s_addc_u32 s15, s15, (.LBB1_26544-.Lpost_getpc9687)>>32
	s_setpc_b64 s[14:15]
.LBB1_12206:
	s_or_b64 exec, exec, s[6:7]
	s_and_saveexec_b64 s[6:7], s[4:5]
	s_cbranch_execz .LBB1_12208
.LBB1_12207:
	v_bfe_u32 v12, v3, 8, 3
	v_ffbh_u32_e32 v14, v12
	v_min_u32_e32 v14, 32, v14
	v_lshrrev_b16_e32 v13, 3, v6
	v_subrev_u32_e32 v15, 28, v14
	v_and_b32_e32 v13, 15, v13
	v_lshlrev_b32_e32 v6, v15, v6
	v_sub_u32_e32 v14, 29, v14
	v_and_b32_e32 v6, 7, v6
	v_cmp_eq_u16_e32 vcc, 0, v13
	v_cndmask_b32_e32 v6, v12, v6, vcc
	v_cndmask_b32_e32 v12, v13, v14, vcc
	v_lshlrev_b32_e32 v13, 16, v3
	v_mov_b32_e32 v14, 0x3b800000
	v_lshlrev_b32_e32 v6, 20, v6
	v_and_b32_e32 v13, 0x80000000, v13
	v_lshl_add_u32 v12, v12, 23, v14
	v_or3_b32 v12, v13, v12, v6
.LBB1_12208:
	s_or_b64 exec, exec, s[6:7]
	s_nop 0
	v_mfma_f32_16x16x4f32 a[0:3], v2, v12, a[0:3]
	s_movk_i32 s4, 0xff
	v_and_b32_sdwa v6, v7, s4 dst_sel:DWORD dst_unused:UNUSED_PAD src0_sel:WORD_1 src1_sel:DWORD
	s_movk_i32 s4, 0x7f
	v_cmp_lt_i16_e32 vcc, s4, v6
	s_mov_b64 s[4:5], 0
                                        ; implicit-def: $sgpr10
	s_and_saveexec_b64 s[6:7], vcc
	s_xor_b64 s[6:7], exec, s[6:7]
	s_cbranch_execz .LBB1_12209
; %bb.48049:
	s_getpc_b64 s[14:15]
.Lpost_getpc9688:
	s_add_u32 s14, s14, (.LBB1_26545-.Lpost_getpc9688)&4294967295
	s_addc_u32 s15, s15, (.LBB1_26545-.Lpost_getpc9688)>>32
	s_setpc_b64 s[14:15]
.LBB1_12209:
	s_or_saveexec_b64 s[6:7], s[6:7]
	v_mov_b32_e32 v2, s10
	s_xor_b64 exec, exec, s[6:7]
	s_cbranch_execz .LBB1_12210
; %bb.48051:
	s_getpc_b64 s[14:15]
.Lpost_getpc9689:
	s_add_u32 s14, s14, (.LBB1_26548-.Lpost_getpc9689)&4294967295
	s_addc_u32 s15, s15, (.LBB1_26548-.Lpost_getpc9689)>>32
	s_setpc_b64 s[14:15]
.LBB1_12210:
	s_or_b64 exec, exec, s[6:7]
	s_and_saveexec_b64 s[6:7], s[4:5]
	s_cbranch_execz .LBB1_12212
.LBB1_12211:
	v_bfe_u32 v2, v7, 16, 3
	v_ffbh_u32_e32 v13, v2
	v_min_u32_e32 v13, 32, v13
	v_lshrrev_b32_e32 v6, 19, v7
	v_subrev_u32_e32 v14, 28, v13
	v_and_b32_e32 v6, 15, v6
	v_lshlrev_b32_sdwa v14, v14, v7 dst_sel:DWORD dst_unused:UNUSED_PAD src0_sel:DWORD src1_sel:WORD_1
	v_bfe_u32 v12, v7, 19, 4
	v_sub_u32_e32 v13, 29, v13
	v_and_b32_e32 v14, 7, v14
	v_cmp_eq_u16_e32 vcc, 0, v6
	v_cndmask_b32_e32 v2, v2, v14, vcc
	v_cndmask_b32_e32 v6, v12, v13, vcc
	v_lshlrev_b32_e32 v12, 8, v7
	v_mov_b32_e32 v13, 0x3b800000
	v_lshlrev_b32_e32 v2, 20, v2
	v_and_b32_e32 v12, 0x80000000, v12
	v_lshl_add_u32 v6, v6, 23, v13
	v_or3_b32 v2, v12, v6, v2
.LBB1_12212:
	s_or_b64 exec, exec, s[6:7]
	s_movk_i32 s4, 0xff
	v_and_b32_sdwa v6, v3, s4 dst_sel:DWORD dst_unused:UNUSED_PAD src0_sel:WORD_1 src1_sel:DWORD
	s_movk_i32 s4, 0x7f
	v_cmp_lt_i16_e32 vcc, s4, v6
	s_mov_b64 s[4:5], 0
                                        ; implicit-def: $sgpr10
	s_and_saveexec_b64 s[6:7], vcc
	s_xor_b64 s[6:7], exec, s[6:7]
	s_cbranch_execz .LBB1_12213
; %bb.48053:
	s_getpc_b64 s[14:15]
.Lpost_getpc9690:
	s_add_u32 s14, s14, (.LBB1_26549-.Lpost_getpc9690)&4294967295
	s_addc_u32 s15, s15, (.LBB1_26549-.Lpost_getpc9690)>>32
	s_setpc_b64 s[14:15]
.LBB1_12213:
	s_or_saveexec_b64 s[6:7], s[6:7]
	v_mov_b32_e32 v12, s10
	s_xor_b64 exec, exec, s[6:7]
	s_cbranch_execz .LBB1_12214
; %bb.48055:
	s_getpc_b64 s[14:15]
.Lpost_getpc9691:
	s_add_u32 s14, s14, (.LBB1_26552-.Lpost_getpc9691)&4294967295
	s_addc_u32 s15, s15, (.LBB1_26552-.Lpost_getpc9691)>>32
	s_setpc_b64 s[14:15]
.LBB1_12214:
	s_or_b64 exec, exec, s[6:7]
	s_and_saveexec_b64 s[6:7], s[4:5]
	s_cbranch_execz .LBB1_12216
.LBB1_12215:
	v_bfe_u32 v6, v3, 16, 3
	v_ffbh_u32_e32 v14, v6
	v_min_u32_e32 v14, 32, v14
	v_lshrrev_b32_e32 v12, 19, v3
	v_subrev_u32_e32 v15, 28, v14
	v_and_b32_e32 v12, 15, v12
	v_lshlrev_b32_sdwa v15, v15, v3 dst_sel:DWORD dst_unused:UNUSED_PAD src0_sel:DWORD src1_sel:WORD_1
	v_bfe_u32 v13, v3, 19, 4
	v_sub_u32_e32 v14, 29, v14
	v_and_b32_e32 v15, 7, v15
	v_cmp_eq_u16_e32 vcc, 0, v12
	v_cndmask_b32_e32 v6, v6, v15, vcc
	v_cndmask_b32_e32 v12, v13, v14, vcc
	v_lshlrev_b32_e32 v13, 8, v3
	v_mov_b32_e32 v14, 0x3b800000
	v_lshlrev_b32_e32 v6, 20, v6
	v_and_b32_e32 v13, 0x80000000, v13
	v_lshl_add_u32 v12, v12, 23, v14
	v_or3_b32 v12, v13, v12, v6
.LBB1_12216:
	s_or_b64 exec, exec, s[6:7]
	s_nop 0
	v_mfma_f32_16x16x4f32 a[0:3], v2, v12, a[0:3]
	s_movk_i32 s4, 0x7f
	v_cmp_gt_i16_sdwa s[6:7], v7, s4 src0_sel:BYTE_3 src1_sel:DWORD
	s_mov_b64 s[4:5], 0
                                        ; implicit-def: $sgpr10
	s_and_saveexec_b64 s[8:9], s[6:7]
	s_xor_b64 s[6:7], exec, s[8:9]
	s_cbranch_execz .LBB1_12217
; %bb.48057:
	s_getpc_b64 s[14:15]
.Lpost_getpc9692:
	s_add_u32 s14, s14, (.LBB1_26553-.Lpost_getpc9692)&4294967295
	s_addc_u32 s15, s15, (.LBB1_26553-.Lpost_getpc9692)>>32
	s_setpc_b64 s[14:15]
.LBB1_12217:
	s_or_saveexec_b64 s[6:7], s[6:7]
	v_mov_b32_e32 v2, s10
	s_xor_b64 exec, exec, s[6:7]
	s_cbranch_execz .LBB1_12218
; %bb.48059:
	s_getpc_b64 s[14:15]
.Lpost_getpc9693:
	s_add_u32 s14, s14, (.LBB1_26556-.Lpost_getpc9693)&4294967295
	s_addc_u32 s15, s15, (.LBB1_26556-.Lpost_getpc9693)>>32
	s_setpc_b64 s[14:15]
.LBB1_12218:
	s_or_b64 exec, exec, s[6:7]
	s_and_saveexec_b64 s[6:7], s[4:5]
	s_cbranch_execz .LBB1_12220
.LBB1_12219:
	v_bfe_u32 v2, v7, 24, 3
	v_ffbh_u32_e32 v14, v2
	v_min_u32_e32 v14, 32, v14
	v_lshrrev_b32_e32 v12, 27, v7
	v_subrev_u32_e32 v15, 28, v14
	v_and_b32_e32 v6, 0x80000000, v7
	v_and_b32_e32 v12, 15, v12
	v_bfe_u32 v13, v7, 27, 4
	v_lshlrev_b32_sdwa v7, v15, v7 dst_sel:DWORD dst_unused:UNUSED_PAD src0_sel:DWORD src1_sel:BYTE_3
	v_sub_u32_e32 v14, 29, v14
	v_and_b32_e32 v7, 7, v7
	v_cmp_eq_u16_e32 vcc, 0, v12
	v_cndmask_b32_e32 v2, v2, v7, vcc
	v_cndmask_b32_e32 v7, v13, v14, vcc
	v_mov_b32_e32 v12, 0x3b800000
	v_lshlrev_b32_e32 v2, 20, v2
	v_lshl_add_u32 v7, v7, 23, v12
	v_or3_b32 v2, v6, v7, v2
.LBB1_12220:
	s_or_b64 exec, exec, s[6:7]
	s_movk_i32 s4, 0x7f
	v_cmp_gt_i16_sdwa s[6:7], v3, s4 src0_sel:BYTE_3 src1_sel:DWORD
	s_mov_b64 s[4:5], 0
                                        ; implicit-def: $sgpr10
	s_and_saveexec_b64 s[8:9], s[6:7]
	s_xor_b64 s[6:7], exec, s[8:9]
	s_cbranch_execz .LBB1_12221
; %bb.48061:
	s_getpc_b64 s[14:15]
.Lpost_getpc9694:
	s_add_u32 s14, s14, (.LBB1_26557-.Lpost_getpc9694)&4294967295
	s_addc_u32 s15, s15, (.LBB1_26557-.Lpost_getpc9694)>>32
	s_setpc_b64 s[14:15]
.LBB1_12221:
	s_or_saveexec_b64 s[6:7], s[6:7]
	v_mov_b32_e32 v6, s10
	s_xor_b64 exec, exec, s[6:7]
	s_cbranch_execz .LBB1_12222
; %bb.48063:
	s_getpc_b64 s[14:15]
.Lpost_getpc9695:
	s_add_u32 s14, s14, (.LBB1_26560-.Lpost_getpc9695)&4294967295
	s_addc_u32 s15, s15, (.LBB1_26560-.Lpost_getpc9695)>>32
	s_setpc_b64 s[14:15]
.LBB1_12222:
	s_or_b64 exec, exec, s[6:7]
	s_and_saveexec_b64 s[6:7], s[4:5]
	s_cbranch_execz .LBB1_12224
.LBB1_12223:
	v_bfe_u32 v6, v3, 24, 3
	v_ffbh_u32_e32 v14, v6
	v_min_u32_e32 v14, 32, v14
	v_lshrrev_b32_e32 v12, 27, v3
	v_subrev_u32_e32 v15, 28, v14
	v_and_b32_e32 v7, 0x80000000, v3
	v_and_b32_e32 v12, 15, v12
	v_bfe_u32 v13, v3, 27, 4
	v_lshlrev_b32_sdwa v3, v15, v3 dst_sel:DWORD dst_unused:UNUSED_PAD src0_sel:DWORD src1_sel:BYTE_3
	v_sub_u32_e32 v14, 29, v14
	v_and_b32_e32 v3, 7, v3
	v_cmp_eq_u16_e32 vcc, 0, v12
	v_cndmask_b32_e32 v3, v6, v3, vcc
	v_cndmask_b32_e32 v6, v13, v14, vcc
	v_mov_b32_e32 v12, 0x3b800000
	v_lshlrev_b32_e32 v3, 20, v3
	v_lshl_add_u32 v6, v6, 23, v12
	v_or3_b32 v6, v7, v6, v3
.LBB1_12224:
	s_or_b64 exec, exec, s[6:7]
	s_nop 0
	v_mfma_f32_16x16x4f32 a[0:3], v2, v6, a[0:3]
	s_movk_i32 s4, 0x7f
	v_cmp_gt_i16_sdwa s[6:7], v8, s4 src0_sel:BYTE_0 src1_sel:DWORD
	s_mov_b64 s[4:5], 0
                                        ; implicit-def: $sgpr10
	s_and_saveexec_b64 s[8:9], s[6:7]
	s_xor_b64 s[6:7], exec, s[8:9]
	s_cbranch_execz .LBB1_12225
; %bb.48065:
	s_getpc_b64 s[14:15]
.Lpost_getpc9696:
	s_add_u32 s14, s14, (.LBB1_26561-.Lpost_getpc9696)&4294967295
	s_addc_u32 s15, s15, (.LBB1_26561-.Lpost_getpc9696)>>32
	s_setpc_b64 s[14:15]
.LBB1_12225:
	s_or_saveexec_b64 s[6:7], s[6:7]
	v_mov_b32_e32 v2, s10
	s_xor_b64 exec, exec, s[6:7]
	s_cbranch_execz .LBB1_12226
; %bb.48067:
	s_getpc_b64 s[14:15]
.Lpost_getpc9697:
	s_add_u32 s14, s14, (.LBB1_26564-.Lpost_getpc9697)&4294967295
	s_addc_u32 s15, s15, (.LBB1_26564-.Lpost_getpc9697)>>32
	s_setpc_b64 s[14:15]
.LBB1_12226:
	s_or_b64 exec, exec, s[6:7]
	s_and_saveexec_b64 s[6:7], s[4:5]
	s_cbranch_execz .LBB1_12228
.LBB1_12227:
	v_and_b32_e32 v2, 7, v8
	v_ffbh_u32_e32 v6, v2
	v_min_u32_e32 v6, 32, v6
	v_lshrrev_b16_e32 v3, 3, v8
	v_subrev_u32_e32 v7, 28, v6
	v_and_b32_e32 v3, 15, v3
	v_lshlrev_b32_e32 v7, v7, v8
	v_sub_u32_e32 v6, 29, v6
	v_and_b32_e32 v7, 7, v7
	v_cmp_eq_u16_e32 vcc, 0, v3
	v_cndmask_b32_e32 v2, v2, v7, vcc
	v_cndmask_b32_e32 v3, v3, v6, vcc
	v_lshlrev_b32_e32 v6, 24, v8
	v_mov_b32_e32 v7, 0x3b800000
	v_lshlrev_b32_e32 v2, 20, v2
	v_and_b32_e32 v6, 0x80000000, v6
	v_lshl_add_u32 v3, v3, 23, v7
	v_or3_b32 v2, v6, v3, v2
.LBB1_12228:
	s_or_b64 exec, exec, s[6:7]
	s_movk_i32 s4, 0x7f
	v_cmp_gt_i16_sdwa s[6:7], v4, s4 src0_sel:BYTE_0 src1_sel:DWORD
	s_mov_b64 s[4:5], 0
                                        ; implicit-def: $sgpr10
	s_and_saveexec_b64 s[8:9], s[6:7]
	s_xor_b64 s[6:7], exec, s[8:9]
	s_cbranch_execz .LBB1_12229
; %bb.48069:
	s_getpc_b64 s[14:15]
.Lpost_getpc9698:
	s_add_u32 s14, s14, (.LBB1_26565-.Lpost_getpc9698)&4294967295
	s_addc_u32 s15, s15, (.LBB1_26565-.Lpost_getpc9698)>>32
	s_setpc_b64 s[14:15]
.LBB1_12229:
	s_or_saveexec_b64 s[6:7], s[6:7]
	v_mov_b32_e32 v3, s10
	s_xor_b64 exec, exec, s[6:7]
	s_cbranch_execz .LBB1_12230
; %bb.48071:
	s_getpc_b64 s[14:15]
.Lpost_getpc9699:
	s_add_u32 s14, s14, (.LBB1_26568-.Lpost_getpc9699)&4294967295
	s_addc_u32 s15, s15, (.LBB1_26568-.Lpost_getpc9699)>>32
	s_setpc_b64 s[14:15]
.LBB1_12230:
	s_or_b64 exec, exec, s[6:7]
	s_and_saveexec_b64 s[6:7], s[4:5]
	s_cbranch_execz .LBB1_12232
.LBB1_12231:
	v_and_b32_e32 v3, 7, v4
	v_ffbh_u32_e32 v7, v3
	v_min_u32_e32 v7, 32, v7
	v_lshrrev_b16_e32 v6, 3, v4
	v_subrev_u32_e32 v12, 28, v7
	v_and_b32_e32 v6, 15, v6
	v_lshlrev_b32_e32 v12, v12, v4
	v_sub_u32_e32 v7, 29, v7
	v_and_b32_e32 v12, 7, v12
	v_cmp_eq_u16_e32 vcc, 0, v6
	v_cndmask_b32_e32 v3, v3, v12, vcc
	v_cndmask_b32_e32 v6, v6, v7, vcc
	v_lshlrev_b32_e32 v7, 24, v4
	v_mov_b32_e32 v12, 0x3b800000
	v_lshlrev_b32_e32 v3, 20, v3
	v_and_b32_e32 v7, 0x80000000, v7
	v_lshl_add_u32 v6, v6, 23, v12
	v_or3_b32 v3, v7, v6, v3
.LBB1_12232:
	s_or_b64 exec, exec, s[6:7]
	s_nop 0
	v_mfma_f32_16x16x4f32 a[0:3], v2, v3, a[0:3]
	v_lshrrev_b32_e32 v3, 8, v8
	s_movk_i32 s4, 0x7f
	v_cmp_gt_i16_sdwa s[6:7], v3, s4 src0_sel:BYTE_0 src1_sel:DWORD
	s_mov_b64 s[4:5], 0
                                        ; implicit-def: $sgpr10
	s_and_saveexec_b64 s[8:9], s[6:7]
	s_xor_b64 s[6:7], exec, s[8:9]
	s_cbranch_execz .LBB1_12233
; %bb.48073:
	s_getpc_b64 s[14:15]
.Lpost_getpc9700:
	s_add_u32 s14, s14, (.LBB1_26569-.Lpost_getpc9700)&4294967295
	s_addc_u32 s15, s15, (.LBB1_26569-.Lpost_getpc9700)>>32
	s_setpc_b64 s[14:15]
.LBB1_12233:
	s_or_saveexec_b64 s[6:7], s[6:7]
	v_mov_b32_e32 v2, s10
	s_xor_b64 exec, exec, s[6:7]
	s_cbranch_execz .LBB1_12234
; %bb.48075:
	s_getpc_b64 s[14:15]
.Lpost_getpc9701:
	s_add_u32 s14, s14, (.LBB1_26572-.Lpost_getpc9701)&4294967295
	s_addc_u32 s15, s15, (.LBB1_26572-.Lpost_getpc9701)>>32
	s_setpc_b64 s[14:15]
.LBB1_12234:
	s_or_b64 exec, exec, s[6:7]
	s_and_saveexec_b64 s[6:7], s[4:5]
	s_cbranch_execz .LBB1_12236
.LBB1_12235:
	v_bfe_u32 v2, v8, 8, 3
	v_ffbh_u32_e32 v7, v2
	v_min_u32_e32 v7, 32, v7
	v_lshrrev_b16_e32 v6, 3, v3
	v_subrev_u32_e32 v12, 28, v7
	v_and_b32_e32 v6, 15, v6
	v_lshlrev_b32_e32 v3, v12, v3
	v_sub_u32_e32 v7, 29, v7
	v_and_b32_e32 v3, 7, v3
	v_cmp_eq_u16_e32 vcc, 0, v6
	v_cndmask_b32_e32 v2, v2, v3, vcc
	v_cndmask_b32_e32 v3, v6, v7, vcc
	v_lshlrev_b32_e32 v6, 16, v8
	v_mov_b32_e32 v7, 0x3b800000
	v_lshlrev_b32_e32 v2, 20, v2
	v_and_b32_e32 v6, 0x80000000, v6
	v_lshl_add_u32 v3, v3, 23, v7
	v_or3_b32 v2, v6, v3, v2
.LBB1_12236:
	s_or_b64 exec, exec, s[6:7]
	v_lshrrev_b32_e32 v3, 8, v4
	s_movk_i32 s4, 0x7f
	v_cmp_gt_i16_sdwa s[6:7], v3, s4 src0_sel:BYTE_0 src1_sel:DWORD
	s_mov_b64 s[4:5], 0
                                        ; implicit-def: $sgpr10
	s_and_saveexec_b64 s[8:9], s[6:7]
	s_xor_b64 s[6:7], exec, s[8:9]
	s_cbranch_execz .LBB1_12237
; %bb.48077:
	s_getpc_b64 s[14:15]
.Lpost_getpc9702:
	s_add_u32 s14, s14, (.LBB1_26573-.Lpost_getpc9702)&4294967295
	s_addc_u32 s15, s15, (.LBB1_26573-.Lpost_getpc9702)>>32
	s_setpc_b64 s[14:15]
.LBB1_12237:
	s_or_saveexec_b64 s[6:7], s[6:7]
	v_mov_b32_e32 v6, s10
	s_xor_b64 exec, exec, s[6:7]
	s_cbranch_execz .LBB1_12238
; %bb.48079:
	s_getpc_b64 s[14:15]
.Lpost_getpc9703:
	s_add_u32 s14, s14, (.LBB1_26576-.Lpost_getpc9703)&4294967295
	s_addc_u32 s15, s15, (.LBB1_26576-.Lpost_getpc9703)>>32
	s_setpc_b64 s[14:15]
.LBB1_12238:
	s_or_b64 exec, exec, s[6:7]
	s_and_saveexec_b64 s[6:7], s[4:5]
	s_cbranch_execz .LBB1_12240
.LBB1_12239:
	v_bfe_u32 v6, v4, 8, 3
	v_ffbh_u32_e32 v12, v6
	v_min_u32_e32 v12, 32, v12
	v_lshrrev_b16_e32 v7, 3, v3
	v_subrev_u32_e32 v13, 28, v12
	v_and_b32_e32 v7, 15, v7
	v_lshlrev_b32_e32 v3, v13, v3
	v_sub_u32_e32 v12, 29, v12
	v_and_b32_e32 v3, 7, v3
	v_cmp_eq_u16_e32 vcc, 0, v7
	v_cndmask_b32_e32 v3, v6, v3, vcc
	v_cndmask_b32_e32 v6, v7, v12, vcc
	v_lshlrev_b32_e32 v7, 16, v4
	v_mov_b32_e32 v12, 0x3b800000
	v_lshlrev_b32_e32 v3, 20, v3
	v_and_b32_e32 v7, 0x80000000, v7
	v_lshl_add_u32 v6, v6, 23, v12
	v_or3_b32 v6, v7, v6, v3
.LBB1_12240:
	s_or_b64 exec, exec, s[6:7]
	s_nop 0
	v_mfma_f32_16x16x4f32 a[0:3], v2, v6, a[0:3]
	s_movk_i32 s4, 0xff
	v_and_b32_sdwa v3, v8, s4 dst_sel:DWORD dst_unused:UNUSED_PAD src0_sel:WORD_1 src1_sel:DWORD
	s_movk_i32 s4, 0x7f
	v_cmp_lt_i16_e32 vcc, s4, v3
	s_mov_b64 s[4:5], 0
                                        ; implicit-def: $sgpr10
	s_and_saveexec_b64 s[6:7], vcc
	s_xor_b64 s[6:7], exec, s[6:7]
	s_cbranch_execz .LBB1_12241
; %bb.48081:
	s_getpc_b64 s[14:15]
.Lpost_getpc9704:
	s_add_u32 s14, s14, (.LBB1_26577-.Lpost_getpc9704)&4294967295
	s_addc_u32 s15, s15, (.LBB1_26577-.Lpost_getpc9704)>>32
	s_setpc_b64 s[14:15]
.LBB1_12241:
	s_or_saveexec_b64 s[6:7], s[6:7]
	v_mov_b32_e32 v2, s10
	s_xor_b64 exec, exec, s[6:7]
	s_cbranch_execz .LBB1_12242
; %bb.48083:
	s_getpc_b64 s[14:15]
.Lpost_getpc9705:
	s_add_u32 s14, s14, (.LBB1_26580-.Lpost_getpc9705)&4294967295
	s_addc_u32 s15, s15, (.LBB1_26580-.Lpost_getpc9705)>>32
	s_setpc_b64 s[14:15]
.LBB1_12242:
	s_or_b64 exec, exec, s[6:7]
	s_and_saveexec_b64 s[6:7], s[4:5]
	s_cbranch_execz .LBB1_12244
.LBB1_12243:
	v_bfe_u32 v2, v8, 16, 3
	v_ffbh_u32_e32 v7, v2
	v_min_u32_e32 v7, 32, v7
	v_lshrrev_b32_e32 v3, 19, v8
	v_subrev_u32_e32 v12, 28, v7
	v_and_b32_e32 v3, 15, v3
	v_lshlrev_b32_sdwa v12, v12, v8 dst_sel:DWORD dst_unused:UNUSED_PAD src0_sel:DWORD src1_sel:WORD_1
	v_bfe_u32 v6, v8, 19, 4
	v_sub_u32_e32 v7, 29, v7
	v_and_b32_e32 v12, 7, v12
	v_cmp_eq_u16_e32 vcc, 0, v3
	v_cndmask_b32_e32 v2, v2, v12, vcc
	v_cndmask_b32_e32 v3, v6, v7, vcc
	v_lshlrev_b32_e32 v6, 8, v8
	v_mov_b32_e32 v7, 0x3b800000
	v_lshlrev_b32_e32 v2, 20, v2
	v_and_b32_e32 v6, 0x80000000, v6
	v_lshl_add_u32 v3, v3, 23, v7
	v_or3_b32 v2, v6, v3, v2
.LBB1_12244:
	s_or_b64 exec, exec, s[6:7]
	s_movk_i32 s4, 0xff
	v_and_b32_sdwa v3, v4, s4 dst_sel:DWORD dst_unused:UNUSED_PAD src0_sel:WORD_1 src1_sel:DWORD
	s_movk_i32 s4, 0x7f
	v_cmp_lt_i16_e32 vcc, s4, v3
	s_mov_b64 s[4:5], 0
                                        ; implicit-def: $sgpr10
	s_and_saveexec_b64 s[6:7], vcc
	s_xor_b64 s[6:7], exec, s[6:7]
	s_cbranch_execz .LBB1_12245
; %bb.48085:
	s_getpc_b64 s[14:15]
.Lpost_getpc9706:
	s_add_u32 s14, s14, (.LBB1_26581-.Lpost_getpc9706)&4294967295
	s_addc_u32 s15, s15, (.LBB1_26581-.Lpost_getpc9706)>>32
	s_setpc_b64 s[14:15]
.LBB1_12245:
	s_or_saveexec_b64 s[6:7], s[6:7]
	v_mov_b32_e32 v6, s10
	s_xor_b64 exec, exec, s[6:7]
	s_cbranch_execz .LBB1_12246
; %bb.48087:
	s_getpc_b64 s[14:15]
.Lpost_getpc9707:
	s_add_u32 s14, s14, (.LBB1_26584-.Lpost_getpc9707)&4294967295
	s_addc_u32 s15, s15, (.LBB1_26584-.Lpost_getpc9707)>>32
	s_setpc_b64 s[14:15]
.LBB1_12246:
	s_or_b64 exec, exec, s[6:7]
	s_and_saveexec_b64 s[6:7], s[4:5]
	s_cbranch_execz .LBB1_12248
.LBB1_12247:
	v_bfe_u32 v3, v4, 16, 3
	v_ffbh_u32_e32 v12, v3
	v_min_u32_e32 v12, 32, v12
	v_lshrrev_b32_e32 v6, 19, v4
	v_subrev_u32_e32 v13, 28, v12
	v_and_b32_e32 v6, 15, v6
	v_lshlrev_b32_sdwa v13, v13, v4 dst_sel:DWORD dst_unused:UNUSED_PAD src0_sel:DWORD src1_sel:WORD_1
	v_bfe_u32 v7, v4, 19, 4
	v_sub_u32_e32 v12, 29, v12
	v_and_b32_e32 v13, 7, v13
	v_cmp_eq_u16_e32 vcc, 0, v6
	v_cndmask_b32_e32 v3, v3, v13, vcc
	v_cndmask_b32_e32 v6, v7, v12, vcc
	v_lshlrev_b32_e32 v7, 8, v4
	v_mov_b32_e32 v12, 0x3b800000
	v_lshlrev_b32_e32 v3, 20, v3
	v_and_b32_e32 v7, 0x80000000, v7
	v_lshl_add_u32 v6, v6, 23, v12
	v_or3_b32 v6, v7, v6, v3
.LBB1_12248:
	s_or_b64 exec, exec, s[6:7]
	s_nop 0
	v_mfma_f32_16x16x4f32 a[0:3], v2, v6, a[0:3]
	s_movk_i32 s4, 0x7f
	v_cmp_gt_i16_sdwa s[6:7], v8, s4 src0_sel:BYTE_3 src1_sel:DWORD
	s_mov_b64 s[4:5], 0
                                        ; implicit-def: $sgpr10
	s_and_saveexec_b64 s[8:9], s[6:7]
	s_xor_b64 s[6:7], exec, s[8:9]
	s_cbranch_execz .LBB1_12249
; %bb.48089:
	s_getpc_b64 s[14:15]
.Lpost_getpc9708:
	s_add_u32 s14, s14, (.LBB1_26585-.Lpost_getpc9708)&4294967295
	s_addc_u32 s15, s15, (.LBB1_26585-.Lpost_getpc9708)>>32
	s_setpc_b64 s[14:15]
.LBB1_12249:
	s_or_saveexec_b64 s[6:7], s[6:7]
	v_mov_b32_e32 v2, s10
	s_xor_b64 exec, exec, s[6:7]
	s_cbranch_execz .LBB1_12250
; %bb.48091:
	s_getpc_b64 s[14:15]
.Lpost_getpc9709:
	s_add_u32 s14, s14, (.LBB1_26588-.Lpost_getpc9709)&4294967295
	s_addc_u32 s15, s15, (.LBB1_26588-.Lpost_getpc9709)>>32
	s_setpc_b64 s[14:15]
.LBB1_12250:
	s_or_b64 exec, exec, s[6:7]
	s_and_saveexec_b64 s[6:7], s[4:5]
	s_cbranch_execz .LBB1_12252
.LBB1_12251:
	v_bfe_u32 v2, v8, 24, 3
	v_ffbh_u32_e32 v12, v2
	v_min_u32_e32 v12, 32, v12
	v_lshrrev_b32_e32 v6, 27, v8
	v_subrev_u32_e32 v13, 28, v12
	v_and_b32_e32 v3, 0x80000000, v8
	v_and_b32_e32 v6, 15, v6
	v_bfe_u32 v7, v8, 27, 4
	v_lshlrev_b32_sdwa v8, v13, v8 dst_sel:DWORD dst_unused:UNUSED_PAD src0_sel:DWORD src1_sel:BYTE_3
	v_sub_u32_e32 v12, 29, v12
	v_and_b32_e32 v8, 7, v8
	v_cmp_eq_u16_e32 vcc, 0, v6
	v_cndmask_b32_e32 v2, v2, v8, vcc
	v_cndmask_b32_e32 v6, v7, v12, vcc
	v_mov_b32_e32 v7, 0x3b800000
	v_lshlrev_b32_e32 v2, 20, v2
	v_lshl_add_u32 v6, v6, 23, v7
	v_or3_b32 v2, v3, v6, v2
.LBB1_12252:
	s_or_b64 exec, exec, s[6:7]
	s_movk_i32 s4, 0x7f
	v_cmp_gt_i16_sdwa s[6:7], v4, s4 src0_sel:BYTE_3 src1_sel:DWORD
	s_mov_b64 s[4:5], 0
                                        ; implicit-def: $sgpr10
	s_and_saveexec_b64 s[8:9], s[6:7]
	s_xor_b64 s[6:7], exec, s[8:9]
	s_cbranch_execz .LBB1_12253
; %bb.48093:
	s_getpc_b64 s[14:15]
.Lpost_getpc9710:
	s_add_u32 s14, s14, (.LBB1_26589-.Lpost_getpc9710)&4294967295
	s_addc_u32 s15, s15, (.LBB1_26589-.Lpost_getpc9710)>>32
	s_setpc_b64 s[14:15]
.LBB1_12253:
	s_or_saveexec_b64 s[6:7], s[6:7]
	v_mov_b32_e32 v3, s10
	s_xor_b64 exec, exec, s[6:7]
	s_cbranch_execz .LBB1_12254
; %bb.48095:
	s_getpc_b64 s[14:15]
.Lpost_getpc9711:
	s_add_u32 s14, s14, (.LBB1_26592-.Lpost_getpc9711)&4294967295
	s_addc_u32 s15, s15, (.LBB1_26592-.Lpost_getpc9711)>>32
	s_setpc_b64 s[14:15]
.LBB1_12254:
	s_or_b64 exec, exec, s[6:7]
	s_and_saveexec_b64 s[6:7], s[4:5]
	s_cbranch_execz .LBB1_12256
.LBB1_12255:
	v_bfe_u32 v3, v4, 24, 3
	v_ffbh_u32_e32 v12, v3
	v_min_u32_e32 v12, 32, v12
	v_lshrrev_b32_e32 v7, 27, v4
	v_subrev_u32_e32 v13, 28, v12
	v_and_b32_e32 v6, 0x80000000, v4
	v_and_b32_e32 v7, 15, v7
	v_bfe_u32 v8, v4, 27, 4
	v_lshlrev_b32_sdwa v4, v13, v4 dst_sel:DWORD dst_unused:UNUSED_PAD src0_sel:DWORD src1_sel:BYTE_3
	v_sub_u32_e32 v12, 29, v12
	v_and_b32_e32 v4, 7, v4
	v_cmp_eq_u16_e32 vcc, 0, v7
	v_cndmask_b32_e32 v3, v3, v4, vcc
	v_cndmask_b32_e32 v4, v8, v12, vcc
	v_mov_b32_e32 v7, 0x3b800000
	v_lshlrev_b32_e32 v3, 20, v3
	v_lshl_add_u32 v4, v4, 23, v7
	v_or3_b32 v3, v6, v4, v3
.LBB1_12256:
	s_or_b64 exec, exec, s[6:7]
	s_nop 0
	v_mfma_f32_16x16x4f32 a[0:3], v2, v3, a[0:3]
	s_movk_i32 s4, 0x7f
	v_cmp_gt_i16_sdwa s[6:7], v9, s4 src0_sel:BYTE_0 src1_sel:DWORD
	s_mov_b64 s[4:5], 0
                                        ; implicit-def: $sgpr10
	s_and_saveexec_b64 s[8:9], s[6:7]
	s_xor_b64 s[6:7], exec, s[8:9]
	s_cbranch_execz .LBB1_12257
; %bb.48097:
	s_getpc_b64 s[14:15]
.Lpost_getpc9712:
	s_add_u32 s14, s14, (.LBB1_26593-.Lpost_getpc9712)&4294967295
	s_addc_u32 s15, s15, (.LBB1_26593-.Lpost_getpc9712)>>32
	s_setpc_b64 s[14:15]
.LBB1_12257:
	s_or_saveexec_b64 s[6:7], s[6:7]
	v_mov_b32_e32 v2, s10
	s_xor_b64 exec, exec, s[6:7]
	s_cbranch_execz .LBB1_12258
; %bb.48099:
	s_getpc_b64 s[14:15]
.Lpost_getpc9713:
	s_add_u32 s14, s14, (.LBB1_26596-.Lpost_getpc9713)&4294967295
	s_addc_u32 s15, s15, (.LBB1_26596-.Lpost_getpc9713)>>32
	s_setpc_b64 s[14:15]
.LBB1_12258:
	s_or_b64 exec, exec, s[6:7]
	s_and_saveexec_b64 s[6:7], s[4:5]
	s_cbranch_execz .LBB1_12260
.LBB1_12259:
	v_mov_b32_e32 v2, 8
	v_and_b32_e32 v3, 7, v9
	v_lshrrev_b32_sdwa v2, v2, v9 dst_sel:BYTE_1 dst_unused:UNUSED_PAD src0_sel:DWORD src1_sel:DWORD
	v_ffbh_u32_e32 v4, v3
	v_or_b32_sdwa v2, v9, v2 dst_sel:DWORD dst_unused:UNUSED_PAD src0_sel:BYTE_0 src1_sel:DWORD
	v_min_u32_e32 v4, 32, v4
	v_lshrrev_b16_e32 v2, 3, v2
	v_subrev_u32_e32 v6, 28, v4
	v_and_b32_e32 v2, 15, v2
	v_lshlrev_b32_e32 v6, v6, v9
	v_sub_u32_e32 v4, 29, v4
	v_and_b32_e32 v6, 7, v6
	v_cmp_eq_u16_e32 vcc, 0, v2
	v_cndmask_b32_e32 v3, v3, v6, vcc
	v_cndmask_b32_e32 v2, v2, v4, vcc
	v_lshlrev_b32_e32 v4, 24, v9
	v_mov_b32_e32 v6, 0x3b800000
	v_lshlrev_b32_e32 v3, 20, v3
	v_and_b32_e32 v4, 0x80000000, v4
	v_lshl_add_u32 v2, v2, 23, v6
	v_or3_b32 v2, v4, v2, v3
.LBB1_12260:
	s_or_b64 exec, exec, s[6:7]
	s_movk_i32 s4, 0x7f
	v_cmp_gt_i16_sdwa s[6:7], v5, s4 src0_sel:BYTE_0 src1_sel:DWORD
	s_mov_b64 s[4:5], 0
                                        ; implicit-def: $sgpr10
	s_and_saveexec_b64 s[8:9], s[6:7]
	s_xor_b64 s[6:7], exec, s[8:9]
	s_cbranch_execz .LBB1_12261
; %bb.48101:
	s_getpc_b64 s[14:15]
.Lpost_getpc9714:
	s_add_u32 s14, s14, (.LBB1_26597-.Lpost_getpc9714)&4294967295
	s_addc_u32 s15, s15, (.LBB1_26597-.Lpost_getpc9714)>>32
	s_setpc_b64 s[14:15]
.LBB1_12261:
	s_or_saveexec_b64 s[6:7], s[6:7]
	v_mov_b32_e32 v3, s10
	s_xor_b64 exec, exec, s[6:7]
	s_cbranch_execz .LBB1_12262
; %bb.48103:
	s_getpc_b64 s[14:15]
.Lpost_getpc9715:
	s_add_u32 s14, s14, (.LBB1_26600-.Lpost_getpc9715)&4294967295
	s_addc_u32 s15, s15, (.LBB1_26600-.Lpost_getpc9715)>>32
	s_setpc_b64 s[14:15]
.LBB1_12262:
	s_or_b64 exec, exec, s[6:7]
	s_and_saveexec_b64 s[6:7], s[4:5]
	s_cbranch_execz .LBB1_12264
.LBB1_12263:
	v_mov_b32_e32 v3, 8
	v_and_b32_e32 v4, 7, v5
	v_lshrrev_b32_sdwa v3, v3, v5 dst_sel:BYTE_1 dst_unused:UNUSED_PAD src0_sel:DWORD src1_sel:DWORD
	v_ffbh_u32_e32 v6, v4
	v_or_b32_sdwa v3, v5, v3 dst_sel:DWORD dst_unused:UNUSED_PAD src0_sel:BYTE_0 src1_sel:DWORD
	v_min_u32_e32 v6, 32, v6
	v_lshrrev_b16_e32 v3, 3, v3
	v_subrev_u32_e32 v7, 28, v6
	v_and_b32_e32 v3, 15, v3
	v_lshlrev_b32_e32 v7, v7, v5
	v_sub_u32_e32 v6, 29, v6
	v_and_b32_e32 v7, 7, v7
	v_cmp_eq_u16_e32 vcc, 0, v3
	v_cndmask_b32_e32 v4, v4, v7, vcc
	v_cndmask_b32_e32 v3, v3, v6, vcc
	v_lshlrev_b32_e32 v6, 24, v5
	v_mov_b32_e32 v7, 0x3b800000
	v_lshlrev_b32_e32 v4, 20, v4
	v_and_b32_e32 v6, 0x80000000, v6
	v_lshl_add_u32 v3, v3, 23, v7
	v_or3_b32 v3, v6, v3, v4
.LBB1_12264:
	s_or_b64 exec, exec, s[6:7]
	s_nop 0
	v_mfma_f32_16x16x4f32 a[0:3], v2, v3, a[0:3]
	v_lshrrev_b32_e32 v3, 8, v9
	s_movk_i32 s4, 0x7f
	v_cmp_gt_i16_sdwa s[6:7], v3, s4 src0_sel:BYTE_0 src1_sel:DWORD
	s_mov_b64 s[4:5], 0
                                        ; implicit-def: $sgpr10
	s_and_saveexec_b64 s[8:9], s[6:7]
	s_xor_b64 s[6:7], exec, s[8:9]
	s_cbranch_execz .LBB1_12265
; %bb.48105:
	s_getpc_b64 s[14:15]
.Lpost_getpc9716:
	s_add_u32 s14, s14, (.LBB1_26601-.Lpost_getpc9716)&4294967295
	s_addc_u32 s15, s15, (.LBB1_26601-.Lpost_getpc9716)>>32
	s_setpc_b64 s[14:15]
.LBB1_12265:
	s_or_saveexec_b64 s[6:7], s[6:7]
	v_mov_b32_e32 v2, s10
	s_xor_b64 exec, exec, s[6:7]
	s_cbranch_execz .LBB1_12266
; %bb.48107:
	s_getpc_b64 s[14:15]
.Lpost_getpc9717:
	s_add_u32 s14, s14, (.LBB1_26604-.Lpost_getpc9717)&4294967295
	s_addc_u32 s15, s15, (.LBB1_26604-.Lpost_getpc9717)>>32
	s_setpc_b64 s[14:15]
.LBB1_12266:
	s_or_b64 exec, exec, s[6:7]
	s_and_saveexec_b64 s[6:7], s[4:5]
	s_cbranch_execz .LBB1_12268
.LBB1_12267:
	v_bfe_u32 v2, v9, 8, 3
	v_ffbh_u32_e32 v6, v2
	v_min_u32_e32 v6, 32, v6
	v_lshrrev_b16_e32 v4, 3, v3
	v_subrev_u32_e32 v7, 28, v6
	v_and_b32_e32 v4, 15, v4
	v_lshlrev_b32_e32 v3, v7, v3
	v_sub_u32_e32 v6, 29, v6
	v_and_b32_e32 v3, 7, v3
	v_cmp_eq_u16_e32 vcc, 0, v4
	v_cndmask_b32_e32 v2, v2, v3, vcc
	v_cndmask_b32_e32 v3, v4, v6, vcc
	v_lshlrev_b32_e32 v4, 16, v9
	v_mov_b32_e32 v6, 0x3b800000
	v_lshlrev_b32_e32 v2, 20, v2
	v_and_b32_e32 v4, 0x80000000, v4
	v_lshl_add_u32 v3, v3, 23, v6
	v_or3_b32 v2, v4, v3, v2
.LBB1_12268:
	s_or_b64 exec, exec, s[6:7]
	v_lshrrev_b32_e32 v3, 8, v5
	s_movk_i32 s4, 0x7f
	v_cmp_gt_i16_sdwa s[6:7], v3, s4 src0_sel:BYTE_0 src1_sel:DWORD
	s_mov_b64 s[4:5], 0
                                        ; implicit-def: $sgpr10
	s_and_saveexec_b64 s[8:9], s[6:7]
	s_xor_b64 s[6:7], exec, s[8:9]
	s_cbranch_execz .LBB1_12269
; %bb.48109:
	s_getpc_b64 s[14:15]
.Lpost_getpc9718:
	s_add_u32 s14, s14, (.LBB1_26605-.Lpost_getpc9718)&4294967295
	s_addc_u32 s15, s15, (.LBB1_26605-.Lpost_getpc9718)>>32
	s_setpc_b64 s[14:15]
.LBB1_12269:
	s_or_saveexec_b64 s[6:7], s[6:7]
	v_mov_b32_e32 v4, s10
	s_xor_b64 exec, exec, s[6:7]
	s_cbranch_execz .LBB1_12270
; %bb.48111:
	s_getpc_b64 s[14:15]
.Lpost_getpc9719:
	s_add_u32 s14, s14, (.LBB1_26608-.Lpost_getpc9719)&4294967295
	s_addc_u32 s15, s15, (.LBB1_26608-.Lpost_getpc9719)>>32
	s_setpc_b64 s[14:15]
.LBB1_12270:
	s_or_b64 exec, exec, s[6:7]
	s_and_saveexec_b64 s[6:7], s[4:5]
	s_cbranch_execz .LBB1_12272
.LBB1_12271:
	v_bfe_u32 v4, v5, 8, 3
	v_ffbh_u32_e32 v7, v4
	v_min_u32_e32 v7, 32, v7
	v_lshrrev_b16_e32 v6, 3, v3
	v_subrev_u32_e32 v8, 28, v7
	v_and_b32_e32 v6, 15, v6
	v_lshlrev_b32_e32 v3, v8, v3
	v_sub_u32_e32 v7, 29, v7
	v_and_b32_e32 v3, 7, v3
	v_cmp_eq_u16_e32 vcc, 0, v6
	v_cndmask_b32_e32 v3, v4, v3, vcc
	v_cndmask_b32_e32 v4, v6, v7, vcc
	v_lshlrev_b32_e32 v6, 16, v5
	v_mov_b32_e32 v7, 0x3b800000
	v_lshlrev_b32_e32 v3, 20, v3
	v_and_b32_e32 v6, 0x80000000, v6
	v_lshl_add_u32 v4, v4, 23, v7
	v_or3_b32 v4, v6, v4, v3
.LBB1_12272:
	s_or_b64 exec, exec, s[6:7]
	s_nop 0
	v_mfma_f32_16x16x4f32 a[0:3], v2, v4, a[0:3]
	s_movk_i32 s4, 0xff
	v_and_b32_sdwa v3, v9, s4 dst_sel:DWORD dst_unused:UNUSED_PAD src0_sel:WORD_1 src1_sel:DWORD
	s_movk_i32 s4, 0x7f
	v_cmp_lt_i16_e32 vcc, s4, v3
	s_mov_b64 s[4:5], 0
                                        ; implicit-def: $sgpr10
	s_and_saveexec_b64 s[6:7], vcc
	s_xor_b64 s[6:7], exec, s[6:7]
	s_cbranch_execz .LBB1_12273
; %bb.48113:
	s_getpc_b64 s[14:15]
.Lpost_getpc9720:
	s_add_u32 s14, s14, (.LBB1_26609-.Lpost_getpc9720)&4294967295
	s_addc_u32 s15, s15, (.LBB1_26609-.Lpost_getpc9720)>>32
	s_setpc_b64 s[14:15]
.LBB1_12273:
	s_or_saveexec_b64 s[6:7], s[6:7]
	v_mov_b32_e32 v2, s10
	s_xor_b64 exec, exec, s[6:7]
	s_cbranch_execz .LBB1_12274
; %bb.48115:
	s_getpc_b64 s[14:15]
.Lpost_getpc9721:
	s_add_u32 s14, s14, (.LBB1_26612-.Lpost_getpc9721)&4294967295
	s_addc_u32 s15, s15, (.LBB1_26612-.Lpost_getpc9721)>>32
	s_setpc_b64 s[14:15]
.LBB1_12274:
	s_or_b64 exec, exec, s[6:7]
	s_and_saveexec_b64 s[6:7], s[4:5]
	s_cbranch_execz .LBB1_12276
.LBB1_12275:
	v_bfe_u32 v2, v9, 16, 3
	v_ffbh_u32_e32 v6, v2
	v_min_u32_e32 v6, 32, v6
	v_lshrrev_b32_e32 v3, 19, v9
	v_subrev_u32_e32 v7, 28, v6
	v_and_b32_e32 v3, 15, v3
	v_lshlrev_b32_sdwa v7, v7, v9 dst_sel:DWORD dst_unused:UNUSED_PAD src0_sel:DWORD src1_sel:WORD_1
	v_bfe_u32 v4, v9, 19, 4
	v_sub_u32_e32 v6, 29, v6
	v_and_b32_e32 v7, 7, v7
	v_cmp_eq_u16_e32 vcc, 0, v3
	v_cndmask_b32_e32 v2, v2, v7, vcc
	v_cndmask_b32_e32 v3, v4, v6, vcc
	v_lshlrev_b32_e32 v4, 8, v9
	v_mov_b32_e32 v6, 0x3b800000
	v_lshlrev_b32_e32 v2, 20, v2
	v_and_b32_e32 v4, 0x80000000, v4
	v_lshl_add_u32 v3, v3, 23, v6
	v_or3_b32 v2, v4, v3, v2
.LBB1_12276:
	s_or_b64 exec, exec, s[6:7]
	s_movk_i32 s4, 0xff
	v_and_b32_sdwa v3, v5, s4 dst_sel:DWORD dst_unused:UNUSED_PAD src0_sel:WORD_1 src1_sel:DWORD
	s_movk_i32 s4, 0x7f
	v_cmp_lt_i16_e32 vcc, s4, v3
	s_mov_b64 s[4:5], 0
                                        ; implicit-def: $sgpr10
	s_and_saveexec_b64 s[6:7], vcc
	s_xor_b64 s[6:7], exec, s[6:7]
	s_cbranch_execz .LBB1_12277
; %bb.48117:
	s_getpc_b64 s[14:15]
.Lpost_getpc9722:
	s_add_u32 s14, s14, (.LBB1_26613-.Lpost_getpc9722)&4294967295
	s_addc_u32 s15, s15, (.LBB1_26613-.Lpost_getpc9722)>>32
	s_setpc_b64 s[14:15]
.LBB1_12277:
	s_or_saveexec_b64 s[6:7], s[6:7]
	v_mov_b32_e32 v4, s10
	s_xor_b64 exec, exec, s[6:7]
	s_cbranch_execz .LBB1_12278
; %bb.48119:
	s_getpc_b64 s[14:15]
.Lpost_getpc9723:
	s_add_u32 s14, s14, (.LBB1_26616-.Lpost_getpc9723)&4294967295
	s_addc_u32 s15, s15, (.LBB1_26616-.Lpost_getpc9723)>>32
	s_setpc_b64 s[14:15]
.LBB1_12278:
	s_or_b64 exec, exec, s[6:7]
	s_and_saveexec_b64 s[6:7], s[4:5]
	s_cbranch_execz .LBB1_12280
.LBB1_12279:
	v_bfe_u32 v3, v5, 16, 3
	v_ffbh_u32_e32 v7, v3
	v_min_u32_e32 v7, 32, v7
	v_lshrrev_b32_e32 v4, 19, v5
	v_subrev_u32_e32 v8, 28, v7
	v_and_b32_e32 v4, 15, v4
	v_lshlrev_b32_sdwa v8, v8, v5 dst_sel:DWORD dst_unused:UNUSED_PAD src0_sel:DWORD src1_sel:WORD_1
	v_bfe_u32 v6, v5, 19, 4
	v_sub_u32_e32 v7, 29, v7
	v_and_b32_e32 v8, 7, v8
	v_cmp_eq_u16_e32 vcc, 0, v4
	v_cndmask_b32_e32 v3, v3, v8, vcc
	v_cndmask_b32_e32 v4, v6, v7, vcc
	v_lshlrev_b32_e32 v6, 8, v5
	v_mov_b32_e32 v7, 0x3b800000
	v_lshlrev_b32_e32 v3, 20, v3
	v_and_b32_e32 v6, 0x80000000, v6
	v_lshl_add_u32 v4, v4, 23, v7
	v_or3_b32 v4, v6, v4, v3
.LBB1_12280:
	s_or_b64 exec, exec, s[6:7]
	s_nop 0
	v_mfma_f32_16x16x4f32 a[0:3], v2, v4, a[0:3]
	s_movk_i32 s4, 0x7f
	v_cmp_gt_i16_sdwa s[6:7], v9, s4 src0_sel:BYTE_3 src1_sel:DWORD
	s_mov_b64 s[4:5], 0
                                        ; implicit-def: $sgpr10
	s_and_saveexec_b64 s[8:9], s[6:7]
	s_xor_b64 s[6:7], exec, s[8:9]
	s_cbranch_execz .LBB1_12281
; %bb.48121:
	s_getpc_b64 s[14:15]
.Lpost_getpc9724:
	s_add_u32 s14, s14, (.LBB1_26617-.Lpost_getpc9724)&4294967295
	s_addc_u32 s15, s15, (.LBB1_26617-.Lpost_getpc9724)>>32
	s_setpc_b64 s[14:15]
.LBB1_12281:
	s_or_saveexec_b64 s[6:7], s[6:7]
	v_mov_b32_e32 v2, s10
	s_xor_b64 exec, exec, s[6:7]
	s_cbranch_execz .LBB1_12282
; %bb.48123:
	s_getpc_b64 s[14:15]
.Lpost_getpc9725:
	s_add_u32 s14, s14, (.LBB1_26620-.Lpost_getpc9725)&4294967295
	s_addc_u32 s15, s15, (.LBB1_26620-.Lpost_getpc9725)>>32
	s_setpc_b64 s[14:15]
.LBB1_12282:
	s_or_b64 exec, exec, s[6:7]
	s_and_saveexec_b64 s[6:7], s[4:5]
	s_cbranch_execz .LBB1_12284
.LBB1_12283:
	v_bfe_u32 v2, v9, 24, 3
	v_ffbh_u32_e32 v7, v2
	v_min_u32_e32 v7, 32, v7
	v_lshrrev_b32_e32 v4, 27, v9
	v_subrev_u32_e32 v8, 28, v7
	v_and_b32_e32 v4, 15, v4
	v_lshlrev_b32_sdwa v8, v8, v9 dst_sel:DWORD dst_unused:UNUSED_PAD src0_sel:DWORD src1_sel:BYTE_3
	v_bfe_u32 v6, v9, 27, 4
	v_sub_u32_e32 v7, 29, v7
	v_and_b32_e32 v8, 7, v8
	v_cmp_eq_u16_e32 vcc, 0, v4
	v_cndmask_b32_e32 v2, v2, v8, vcc
	v_cndmask_b32_e32 v4, v6, v7, vcc
	v_mov_b32_e32 v6, 0x3b800000
	v_and_b32_e32 v3, 0x80000000, v9
	v_lshlrev_b32_e32 v2, 20, v2
	v_lshl_add_u32 v4, v4, 23, v6
	v_or3_b32 v2, v3, v4, v2
.LBB1_12284:
	s_or_b64 exec, exec, s[6:7]
	s_movk_i32 s4, 0x7f
	v_cmp_gt_i16_sdwa s[6:7], v5, s4 src0_sel:BYTE_3 src1_sel:DWORD
	s_mov_b64 s[4:5], 0
                                        ; implicit-def: $sgpr10
	s_and_saveexec_b64 s[8:9], s[6:7]
	s_xor_b64 s[6:7], exec, s[8:9]
	s_cbranch_execz .LBB1_12285
; %bb.48125:
	s_getpc_b64 s[14:15]
.Lpost_getpc9726:
	s_add_u32 s14, s14, (.LBB1_26621-.Lpost_getpc9726)&4294967295
	s_addc_u32 s15, s15, (.LBB1_26621-.Lpost_getpc9726)>>32
	s_setpc_b64 s[14:15]
.LBB1_12285:
	s_or_saveexec_b64 s[6:7], s[6:7]
	v_mov_b32_e32 v3, s10
	s_xor_b64 exec, exec, s[6:7]
	s_cbranch_execz .LBB1_12286
; %bb.48127:
	s_getpc_b64 s[14:15]
.Lpost_getpc9727:
	s_add_u32 s14, s14, (.LBB1_26624-.Lpost_getpc9727)&4294967295
	s_addc_u32 s15, s15, (.LBB1_26624-.Lpost_getpc9727)>>32
	s_setpc_b64 s[14:15]
.LBB1_12286:
	s_or_b64 exec, exec, s[6:7]
	s_and_saveexec_b64 s[6:7], s[4:5]
	s_cbranch_execz .LBB1_12288
.LBB1_12287:
	v_bfe_u32 v3, v5, 24, 3
	v_ffbh_u32_e32 v8, v3
	v_min_u32_e32 v8, 32, v8
	v_lshrrev_b32_e32 v6, 27, v5
	v_subrev_u32_e32 v9, 28, v8
	v_and_b32_e32 v4, 0x80000000, v5
	v_and_b32_e32 v6, 15, v6
	v_bfe_u32 v7, v5, 27, 4
	v_lshlrev_b32_sdwa v5, v9, v5 dst_sel:DWORD dst_unused:UNUSED_PAD src0_sel:DWORD src1_sel:BYTE_3
	v_sub_u32_e32 v8, 29, v8
	v_and_b32_e32 v5, 7, v5
	v_cmp_eq_u16_e32 vcc, 0, v6
	v_cndmask_b32_e32 v3, v3, v5, vcc
	v_cndmask_b32_e32 v5, v7, v8, vcc
	v_mov_b32_e32 v6, 0x3b800000
	v_lshlrev_b32_e32 v3, 20, v3
	v_lshl_add_u32 v5, v5, 23, v6
	v_or3_b32 v3, v4, v5, v3
.LBB1_12288:
	s_or_b64 exec, exec, s[6:7]
	s_nop 0
	v_mfma_f32_16x16x4f32 a[0:3], v2, v3, a[0:3]
	s_movk_i32 s4, 0x7f
                                        ; implicit-def: $sgpr10
	s_nop 7
	s_nop 1
	flat_store_dwordx4 v[10:11], a[0:3] offset:624
	flat_load_dwordx4 v[12:15], v[0:1]
	s_nop 0
	flat_load_dwordx2 v[10:11], v[0:1] offset:16
	s_waitcnt vmcnt(0) lgkmcnt(0)
	flat_load_dwordx4 v[6:9], v[12:13] offset:192
	flat_load_dwordx4 v[2:5], v[14:15] offset:128
	s_waitcnt vmcnt(0) lgkmcnt(0)
	v_cmp_gt_i16_sdwa s[6:7], v6, s4 src0_sel:BYTE_0 src1_sel:DWORD
	s_mov_b64 s[4:5], 0
	s_and_saveexec_b64 s[8:9], s[6:7]
	s_xor_b64 s[6:7], exec, s[8:9]
	s_cbranch_execz .LBB1_12289
; %bb.48129:
	s_getpc_b64 s[14:15]
.Lpost_getpc9728:
	s_add_u32 s14, s14, (.LBB1_26625-.Lpost_getpc9728)&4294967295
	s_addc_u32 s15, s15, (.LBB1_26625-.Lpost_getpc9728)>>32
	s_setpc_b64 s[14:15]
.LBB1_12289:
	s_or_saveexec_b64 s[6:7], s[6:7]
	v_mov_b32_e32 v12, s10
	s_xor_b64 exec, exec, s[6:7]
	s_cbranch_execz .LBB1_12290
; %bb.48131:
	s_getpc_b64 s[14:15]
.Lpost_getpc9729:
	s_add_u32 s14, s14, (.LBB1_26628-.Lpost_getpc9729)&4294967295
	s_addc_u32 s15, s15, (.LBB1_26628-.Lpost_getpc9729)>>32
	s_setpc_b64 s[14:15]
.LBB1_12290:
	s_or_b64 exec, exec, s[6:7]
	s_and_saveexec_b64 s[6:7], s[4:5]
	s_cbranch_execz .LBB1_12292
.LBB1_12291:
	v_and_b32_e32 v12, 7, v6
	v_ffbh_u32_e32 v14, v12
	v_min_u32_e32 v14, 32, v14
	v_lshrrev_b16_e32 v13, 3, v6
	v_subrev_u32_e32 v15, 28, v14
	v_and_b32_e32 v13, 15, v13
	v_lshlrev_b32_e32 v15, v15, v6
	v_sub_u32_e32 v14, 29, v14
	v_and_b32_e32 v15, 7, v15
	v_cmp_eq_u16_e32 vcc, 0, v13
	v_cndmask_b32_e32 v12, v12, v15, vcc
	v_cndmask_b32_e32 v13, v13, v14, vcc
	v_lshlrev_b32_e32 v14, 24, v6
	v_mov_b32_e32 v15, 0x3b800000
	v_lshlrev_b32_e32 v12, 20, v12
	v_and_b32_e32 v14, 0x80000000, v14
	v_lshl_add_u32 v13, v13, 23, v15
	v_or3_b32 v12, v14, v13, v12
.LBB1_12292:
	s_or_b64 exec, exec, s[6:7]
	s_movk_i32 s4, 0x7f
	v_cmp_gt_i16_sdwa s[6:7], v2, s4 src0_sel:BYTE_0 src1_sel:DWORD
	s_mov_b64 s[4:5], 0
                                        ; implicit-def: $sgpr10
	s_and_saveexec_b64 s[8:9], s[6:7]
	s_xor_b64 s[6:7], exec, s[8:9]
	s_cbranch_execz .LBB1_12293
; %bb.48133:
	s_getpc_b64 s[14:15]
.Lpost_getpc9730:
	s_add_u32 s14, s14, (.LBB1_26629-.Lpost_getpc9730)&4294967295
	s_addc_u32 s15, s15, (.LBB1_26629-.Lpost_getpc9730)>>32
	s_setpc_b64 s[14:15]
.LBB1_12293:
	s_or_saveexec_b64 s[6:7], s[6:7]
	v_mov_b32_e32 v13, s10
	s_xor_b64 exec, exec, s[6:7]
	s_cbranch_execz .LBB1_12294
; %bb.48135:
	s_getpc_b64 s[14:15]
.Lpost_getpc9731:
	s_add_u32 s14, s14, (.LBB1_26632-.Lpost_getpc9731)&4294967295
	s_addc_u32 s15, s15, (.LBB1_26632-.Lpost_getpc9731)>>32
	s_setpc_b64 s[14:15]
.LBB1_12294:
	s_or_b64 exec, exec, s[6:7]
	s_and_saveexec_b64 s[6:7], s[4:5]
	s_cbranch_execz .LBB1_12296
.LBB1_12295:
	v_and_b32_e32 v13, 7, v2
	v_ffbh_u32_e32 v15, v13
	v_min_u32_e32 v15, 32, v15
	v_lshrrev_b16_e32 v14, 3, v2
	v_subrev_u32_e32 v16, 28, v15
	v_and_b32_e32 v14, 15, v14
	v_lshlrev_b32_e32 v16, v16, v2
	v_sub_u32_e32 v15, 29, v15
	v_and_b32_e32 v16, 7, v16
	v_cmp_eq_u16_e32 vcc, 0, v14
	v_cndmask_b32_e32 v13, v13, v16, vcc
	v_cndmask_b32_e32 v14, v14, v15, vcc
	v_lshlrev_b32_e32 v15, 24, v2
	v_mov_b32_e32 v16, 0x3b800000
	v_lshlrev_b32_e32 v13, 20, v13
	v_and_b32_e32 v15, 0x80000000, v15
	v_lshl_add_u32 v14, v14, 23, v16
	v_or3_b32 v13, v15, v14, v13
.LBB1_12296:
	s_or_b64 exec, exec, s[6:7]
	flat_load_dwordx4 a[0:3], v[10:11] offset:640
	s_movk_i32 s4, 0x7f
                                        ; implicit-def: $sgpr10
	s_waitcnt vmcnt(0) lgkmcnt(0)
	v_mfma_f32_16x16x4f32 a[0:3], v12, v13, a[0:3]
	v_lshrrev_b32_e32 v13, 8, v6
	v_cmp_gt_i16_sdwa s[6:7], v13, s4 src0_sel:BYTE_0 src1_sel:DWORD
	s_mov_b64 s[4:5], 0
	s_and_saveexec_b64 s[8:9], s[6:7]
	s_xor_b64 s[6:7], exec, s[8:9]
	s_cbranch_execz .LBB1_12297
; %bb.48137:
	s_getpc_b64 s[14:15]
.Lpost_getpc9732:
	s_add_u32 s14, s14, (.LBB1_26633-.Lpost_getpc9732)&4294967295
	s_addc_u32 s15, s15, (.LBB1_26633-.Lpost_getpc9732)>>32
	s_setpc_b64 s[14:15]
.LBB1_12297:
	s_or_saveexec_b64 s[6:7], s[6:7]
	v_mov_b32_e32 v12, s10
	s_xor_b64 exec, exec, s[6:7]
	s_cbranch_execz .LBB1_12298
; %bb.48139:
	s_getpc_b64 s[14:15]
.Lpost_getpc9733:
	s_add_u32 s14, s14, (.LBB1_26636-.Lpost_getpc9733)&4294967295
	s_addc_u32 s15, s15, (.LBB1_26636-.Lpost_getpc9733)>>32
	s_setpc_b64 s[14:15]
.LBB1_12298:
	s_or_b64 exec, exec, s[6:7]
	s_and_saveexec_b64 s[6:7], s[4:5]
	s_cbranch_execz .LBB1_12300
.LBB1_12299:
	v_bfe_u32 v12, v6, 8, 3
	v_ffbh_u32_e32 v15, v12
	v_min_u32_e32 v15, 32, v15
	v_lshrrev_b16_e32 v14, 3, v13
	v_subrev_u32_e32 v16, 28, v15
	v_and_b32_e32 v14, 15, v14
	v_lshlrev_b32_e32 v13, v16, v13
	v_sub_u32_e32 v15, 29, v15
	v_and_b32_e32 v13, 7, v13
	v_cmp_eq_u16_e32 vcc, 0, v14
	v_cndmask_b32_e32 v12, v12, v13, vcc
	v_cndmask_b32_e32 v13, v14, v15, vcc
	v_lshlrev_b32_e32 v14, 16, v6
	v_mov_b32_e32 v15, 0x3b800000
	v_lshlrev_b32_e32 v12, 20, v12
	v_and_b32_e32 v14, 0x80000000, v14
	v_lshl_add_u32 v13, v13, 23, v15
	v_or3_b32 v12, v14, v13, v12
.LBB1_12300:
	s_or_b64 exec, exec, s[6:7]
	v_lshrrev_b32_e32 v13, 8, v2
	s_movk_i32 s4, 0x7f
	v_cmp_gt_i16_sdwa s[6:7], v13, s4 src0_sel:BYTE_0 src1_sel:DWORD
	s_mov_b64 s[4:5], 0
                                        ; implicit-def: $sgpr10
	s_and_saveexec_b64 s[8:9], s[6:7]
	s_xor_b64 s[6:7], exec, s[8:9]
	s_cbranch_execz .LBB1_12301
; %bb.48141:
	s_getpc_b64 s[14:15]
.Lpost_getpc9734:
	s_add_u32 s14, s14, (.LBB1_26637-.Lpost_getpc9734)&4294967295
	s_addc_u32 s15, s15, (.LBB1_26637-.Lpost_getpc9734)>>32
	s_setpc_b64 s[14:15]
.LBB1_12301:
	s_or_saveexec_b64 s[6:7], s[6:7]
	v_mov_b32_e32 v14, s10
	s_xor_b64 exec, exec, s[6:7]
	s_cbranch_execz .LBB1_12302
; %bb.48143:
	s_getpc_b64 s[14:15]
.Lpost_getpc9735:
	s_add_u32 s14, s14, (.LBB1_26640-.Lpost_getpc9735)&4294967295
	s_addc_u32 s15, s15, (.LBB1_26640-.Lpost_getpc9735)>>32
	s_setpc_b64 s[14:15]
.LBB1_12302:
	s_or_b64 exec, exec, s[6:7]
	s_and_saveexec_b64 s[6:7], s[4:5]
	s_cbranch_execz .LBB1_12304
.LBB1_12303:
	v_bfe_u32 v14, v2, 8, 3
	v_ffbh_u32_e32 v16, v14
	v_min_u32_e32 v16, 32, v16
	v_lshrrev_b16_e32 v15, 3, v13
	v_subrev_u32_e32 v17, 28, v16
	v_and_b32_e32 v15, 15, v15
	v_lshlrev_b32_e32 v13, v17, v13
	v_sub_u32_e32 v16, 29, v16
	v_and_b32_e32 v13, 7, v13
	v_cmp_eq_u16_e32 vcc, 0, v15
	v_cndmask_b32_e32 v13, v14, v13, vcc
	v_cndmask_b32_e32 v14, v15, v16, vcc
	v_lshlrev_b32_e32 v15, 16, v2
	v_mov_b32_e32 v16, 0x3b800000
	v_lshlrev_b32_e32 v13, 20, v13
	v_and_b32_e32 v15, 0x80000000, v15
	v_lshl_add_u32 v14, v14, 23, v16
	v_or3_b32 v14, v15, v14, v13
.LBB1_12304:
	s_or_b64 exec, exec, s[6:7]
	s_nop 0
	v_mfma_f32_16x16x4f32 a[0:3], v12, v14, a[0:3]
	s_movk_i32 s4, 0xff
	v_and_b32_sdwa v13, v6, s4 dst_sel:DWORD dst_unused:UNUSED_PAD src0_sel:WORD_1 src1_sel:DWORD
	s_movk_i32 s4, 0x7f
	v_cmp_lt_i16_e32 vcc, s4, v13
	s_mov_b64 s[4:5], 0
                                        ; implicit-def: $sgpr10
	s_and_saveexec_b64 s[6:7], vcc
	s_xor_b64 s[6:7], exec, s[6:7]
	s_cbranch_execz .LBB1_12305
; %bb.48145:
	s_getpc_b64 s[14:15]
.Lpost_getpc9736:
	s_add_u32 s14, s14, (.LBB1_26641-.Lpost_getpc9736)&4294967295
	s_addc_u32 s15, s15, (.LBB1_26641-.Lpost_getpc9736)>>32
	s_setpc_b64 s[14:15]
.LBB1_12305:
	s_or_saveexec_b64 s[6:7], s[6:7]
	v_mov_b32_e32 v12, s10
	s_xor_b64 exec, exec, s[6:7]
	s_cbranch_execz .LBB1_12306
; %bb.48147:
	s_getpc_b64 s[14:15]
.Lpost_getpc9737:
	s_add_u32 s14, s14, (.LBB1_26644-.Lpost_getpc9737)&4294967295
	s_addc_u32 s15, s15, (.LBB1_26644-.Lpost_getpc9737)>>32
	s_setpc_b64 s[14:15]
.LBB1_12306:
	s_or_b64 exec, exec, s[6:7]
	s_and_saveexec_b64 s[6:7], s[4:5]
	s_cbranch_execz .LBB1_12308
.LBB1_12307:
	v_bfe_u32 v12, v6, 16, 3
	v_ffbh_u32_e32 v15, v12
	v_min_u32_e32 v15, 32, v15
	v_lshrrev_b32_e32 v13, 19, v6
	v_subrev_u32_e32 v16, 28, v15
	v_and_b32_e32 v13, 15, v13
	v_lshlrev_b32_sdwa v16, v16, v6 dst_sel:DWORD dst_unused:UNUSED_PAD src0_sel:DWORD src1_sel:WORD_1
	v_bfe_u32 v14, v6, 19, 4
	v_sub_u32_e32 v15, 29, v15
	v_and_b32_e32 v16, 7, v16
	v_cmp_eq_u16_e32 vcc, 0, v13
	v_cndmask_b32_e32 v12, v12, v16, vcc
	v_cndmask_b32_e32 v13, v14, v15, vcc
	v_lshlrev_b32_e32 v14, 8, v6
	v_mov_b32_e32 v15, 0x3b800000
	v_lshlrev_b32_e32 v12, 20, v12
	v_and_b32_e32 v14, 0x80000000, v14
	v_lshl_add_u32 v13, v13, 23, v15
	v_or3_b32 v12, v14, v13, v12
.LBB1_12308:
	s_or_b64 exec, exec, s[6:7]
	s_movk_i32 s4, 0xff
	v_and_b32_sdwa v13, v2, s4 dst_sel:DWORD dst_unused:UNUSED_PAD src0_sel:WORD_1 src1_sel:DWORD
	s_movk_i32 s4, 0x7f
	v_cmp_lt_i16_e32 vcc, s4, v13
	s_mov_b64 s[4:5], 0
                                        ; implicit-def: $sgpr10
	s_and_saveexec_b64 s[6:7], vcc
	s_xor_b64 s[6:7], exec, s[6:7]
	s_cbranch_execz .LBB1_12309
; %bb.48149:
	s_getpc_b64 s[14:15]
.Lpost_getpc9738:
	s_add_u32 s14, s14, (.LBB1_26645-.Lpost_getpc9738)&4294967295
	s_addc_u32 s15, s15, (.LBB1_26645-.Lpost_getpc9738)>>32
	s_setpc_b64 s[14:15]
.LBB1_12309:
	s_or_saveexec_b64 s[6:7], s[6:7]
	v_mov_b32_e32 v14, s10
	s_xor_b64 exec, exec, s[6:7]
	s_cbranch_execz .LBB1_12310
; %bb.48151:
	s_getpc_b64 s[14:15]
.Lpost_getpc9739:
	s_add_u32 s14, s14, (.LBB1_26648-.Lpost_getpc9739)&4294967295
	s_addc_u32 s15, s15, (.LBB1_26648-.Lpost_getpc9739)>>32
	s_setpc_b64 s[14:15]
.LBB1_12310:
	s_or_b64 exec, exec, s[6:7]
	s_and_saveexec_b64 s[6:7], s[4:5]
	s_cbranch_execz .LBB1_12312
.LBB1_12311:
	v_bfe_u32 v13, v2, 16, 3
	v_ffbh_u32_e32 v16, v13
	v_min_u32_e32 v16, 32, v16
	v_lshrrev_b32_e32 v14, 19, v2
	v_subrev_u32_e32 v17, 28, v16
	v_and_b32_e32 v14, 15, v14
	v_lshlrev_b32_sdwa v17, v17, v2 dst_sel:DWORD dst_unused:UNUSED_PAD src0_sel:DWORD src1_sel:WORD_1
	v_bfe_u32 v15, v2, 19, 4
	v_sub_u32_e32 v16, 29, v16
	v_and_b32_e32 v17, 7, v17
	v_cmp_eq_u16_e32 vcc, 0, v14
	v_cndmask_b32_e32 v13, v13, v17, vcc
	v_cndmask_b32_e32 v14, v15, v16, vcc
	v_lshlrev_b32_e32 v15, 8, v2
	v_mov_b32_e32 v16, 0x3b800000
	v_lshlrev_b32_e32 v13, 20, v13
	v_and_b32_e32 v15, 0x80000000, v15
	v_lshl_add_u32 v14, v14, 23, v16
	v_or3_b32 v14, v15, v14, v13
.LBB1_12312:
	s_or_b64 exec, exec, s[6:7]
	s_nop 0
	v_mfma_f32_16x16x4f32 a[0:3], v12, v14, a[0:3]
	s_movk_i32 s4, 0x7f
	v_cmp_gt_i16_sdwa s[6:7], v6, s4 src0_sel:BYTE_3 src1_sel:DWORD
	s_mov_b64 s[4:5], 0
                                        ; implicit-def: $sgpr10
	s_and_saveexec_b64 s[8:9], s[6:7]
	s_xor_b64 s[6:7], exec, s[8:9]
	s_cbranch_execz .LBB1_12313
; %bb.48153:
	s_getpc_b64 s[14:15]
.Lpost_getpc9740:
	s_add_u32 s14, s14, (.LBB1_26649-.Lpost_getpc9740)&4294967295
	s_addc_u32 s15, s15, (.LBB1_26649-.Lpost_getpc9740)>>32
	s_setpc_b64 s[14:15]
.LBB1_12313:
	s_or_saveexec_b64 s[6:7], s[6:7]
	v_mov_b32_e32 v12, s10
	s_xor_b64 exec, exec, s[6:7]
	s_cbranch_execz .LBB1_12314
; %bb.48155:
	s_getpc_b64 s[14:15]
.Lpost_getpc9741:
	s_add_u32 s14, s14, (.LBB1_26652-.Lpost_getpc9741)&4294967295
	s_addc_u32 s15, s15, (.LBB1_26652-.Lpost_getpc9741)>>32
	s_setpc_b64 s[14:15]
.LBB1_12314:
	s_or_b64 exec, exec, s[6:7]
	s_and_saveexec_b64 s[6:7], s[4:5]
	s_cbranch_execz .LBB1_12316
.LBB1_12315:
	v_bfe_u32 v12, v6, 24, 3
	v_ffbh_u32_e32 v16, v12
	v_min_u32_e32 v16, 32, v16
	v_lshrrev_b32_e32 v14, 27, v6
	v_subrev_u32_e32 v17, 28, v16
	v_and_b32_e32 v13, 0x80000000, v6
	v_and_b32_e32 v14, 15, v14
	v_bfe_u32 v15, v6, 27, 4
	v_lshlrev_b32_sdwa v6, v17, v6 dst_sel:DWORD dst_unused:UNUSED_PAD src0_sel:DWORD src1_sel:BYTE_3
	v_sub_u32_e32 v16, 29, v16
	v_and_b32_e32 v6, 7, v6
	v_cmp_eq_u16_e32 vcc, 0, v14
	v_cndmask_b32_e32 v6, v12, v6, vcc
	v_cndmask_b32_e32 v12, v15, v16, vcc
	v_mov_b32_e32 v14, 0x3b800000
	v_lshlrev_b32_e32 v6, 20, v6
	v_lshl_add_u32 v12, v12, 23, v14
	v_or3_b32 v12, v13, v12, v6
.LBB1_12316:
	s_or_b64 exec, exec, s[6:7]
	s_movk_i32 s4, 0x7f
	v_cmp_gt_i16_sdwa s[6:7], v2, s4 src0_sel:BYTE_3 src1_sel:DWORD
	s_mov_b64 s[4:5], 0
                                        ; implicit-def: $sgpr10
	s_and_saveexec_b64 s[8:9], s[6:7]
	s_xor_b64 s[6:7], exec, s[8:9]
	s_cbranch_execz .LBB1_12317
; %bb.48157:
	s_getpc_b64 s[14:15]
.Lpost_getpc9742:
	s_add_u32 s14, s14, (.LBB1_26653-.Lpost_getpc9742)&4294967295
	s_addc_u32 s15, s15, (.LBB1_26653-.Lpost_getpc9742)>>32
	s_setpc_b64 s[14:15]
.LBB1_12317:
	s_or_saveexec_b64 s[6:7], s[6:7]
	v_mov_b32_e32 v6, s10
	s_xor_b64 exec, exec, s[6:7]
	s_cbranch_execz .LBB1_12318
; %bb.48159:
	s_getpc_b64 s[14:15]
.Lpost_getpc9743:
	s_add_u32 s14, s14, (.LBB1_26656-.Lpost_getpc9743)&4294967295
	s_addc_u32 s15, s15, (.LBB1_26656-.Lpost_getpc9743)>>32
	s_setpc_b64 s[14:15]
.LBB1_12318:
	s_or_b64 exec, exec, s[6:7]
	s_and_saveexec_b64 s[6:7], s[4:5]
	s_cbranch_execz .LBB1_12320
.LBB1_12319:
	v_bfe_u32 v6, v2, 24, 3
	v_ffbh_u32_e32 v16, v6
	v_min_u32_e32 v16, 32, v16
	v_lshrrev_b32_e32 v14, 27, v2
	v_subrev_u32_e32 v17, 28, v16
	v_and_b32_e32 v13, 0x80000000, v2
	v_and_b32_e32 v14, 15, v14
	v_bfe_u32 v15, v2, 27, 4
	v_lshlrev_b32_sdwa v2, v17, v2 dst_sel:DWORD dst_unused:UNUSED_PAD src0_sel:DWORD src1_sel:BYTE_3
	v_sub_u32_e32 v16, 29, v16
	v_and_b32_e32 v2, 7, v2
	v_cmp_eq_u16_e32 vcc, 0, v14
	v_cndmask_b32_e32 v2, v6, v2, vcc
	v_cndmask_b32_e32 v6, v15, v16, vcc
	v_mov_b32_e32 v14, 0x3b800000
	v_lshlrev_b32_e32 v2, 20, v2
	v_lshl_add_u32 v6, v6, 23, v14
	v_or3_b32 v6, v13, v6, v2
.LBB1_12320:
	s_or_b64 exec, exec, s[6:7]
	s_nop 0
	v_mfma_f32_16x16x4f32 a[0:3], v12, v6, a[0:3]
	s_movk_i32 s4, 0x7f
	v_cmp_gt_i16_sdwa s[6:7], v7, s4 src0_sel:BYTE_0 src1_sel:DWORD
	s_mov_b64 s[4:5], 0
                                        ; implicit-def: $sgpr10
	s_and_saveexec_b64 s[8:9], s[6:7]
	s_xor_b64 s[6:7], exec, s[8:9]
	s_cbranch_execz .LBB1_12321
; %bb.48161:
	s_getpc_b64 s[14:15]
.Lpost_getpc9744:
	s_add_u32 s14, s14, (.LBB1_26657-.Lpost_getpc9744)&4294967295
	s_addc_u32 s15, s15, (.LBB1_26657-.Lpost_getpc9744)>>32
	s_setpc_b64 s[14:15]
.LBB1_12321:
	s_or_saveexec_b64 s[6:7], s[6:7]
	v_mov_b32_e32 v2, s10
	s_xor_b64 exec, exec, s[6:7]
	s_cbranch_execz .LBB1_12322
; %bb.48163:
	s_getpc_b64 s[14:15]
.Lpost_getpc9745:
	s_add_u32 s14, s14, (.LBB1_26660-.Lpost_getpc9745)&4294967295
	s_addc_u32 s15, s15, (.LBB1_26660-.Lpost_getpc9745)>>32
	s_setpc_b64 s[14:15]
.LBB1_12322:
	s_or_b64 exec, exec, s[6:7]
	s_and_saveexec_b64 s[6:7], s[4:5]
	s_cbranch_execz .LBB1_12324
.LBB1_12323:
	v_and_b32_e32 v2, 7, v7
	v_ffbh_u32_e32 v12, v2
	v_min_u32_e32 v12, 32, v12
	v_lshrrev_b16_e32 v6, 3, v7
	v_subrev_u32_e32 v13, 28, v12
	v_and_b32_e32 v6, 15, v6
	v_lshlrev_b32_e32 v13, v13, v7
	v_sub_u32_e32 v12, 29, v12
	v_and_b32_e32 v13, 7, v13
	v_cmp_eq_u16_e32 vcc, 0, v6
	v_cndmask_b32_e32 v2, v2, v13, vcc
	v_cndmask_b32_e32 v6, v6, v12, vcc
	v_lshlrev_b32_e32 v12, 24, v7
	v_mov_b32_e32 v13, 0x3b800000
	v_lshlrev_b32_e32 v2, 20, v2
	v_and_b32_e32 v12, 0x80000000, v12
	v_lshl_add_u32 v6, v6, 23, v13
	v_or3_b32 v2, v12, v6, v2
.LBB1_12324:
	s_or_b64 exec, exec, s[6:7]
	s_movk_i32 s4, 0x7f
	v_cmp_gt_i16_sdwa s[6:7], v3, s4 src0_sel:BYTE_0 src1_sel:DWORD
	s_mov_b64 s[4:5], 0
                                        ; implicit-def: $sgpr10
	s_and_saveexec_b64 s[8:9], s[6:7]
	s_xor_b64 s[6:7], exec, s[8:9]
	s_cbranch_execz .LBB1_12325
; %bb.48165:
	s_getpc_b64 s[14:15]
.Lpost_getpc9746:
	s_add_u32 s14, s14, (.LBB1_26661-.Lpost_getpc9746)&4294967295
	s_addc_u32 s15, s15, (.LBB1_26661-.Lpost_getpc9746)>>32
	s_setpc_b64 s[14:15]
.LBB1_12325:
	s_or_saveexec_b64 s[6:7], s[6:7]
	v_mov_b32_e32 v6, s10
	s_xor_b64 exec, exec, s[6:7]
	s_cbranch_execz .LBB1_12326
; %bb.48167:
	s_getpc_b64 s[14:15]
.Lpost_getpc9747:
	s_add_u32 s14, s14, (.LBB1_26664-.Lpost_getpc9747)&4294967295
	s_addc_u32 s15, s15, (.LBB1_26664-.Lpost_getpc9747)>>32
	s_setpc_b64 s[14:15]
.LBB1_12326:
	s_or_b64 exec, exec, s[6:7]
	s_and_saveexec_b64 s[6:7], s[4:5]
	s_cbranch_execz .LBB1_12328
.LBB1_12327:
	v_and_b32_e32 v6, 7, v3
	v_ffbh_u32_e32 v13, v6
	v_min_u32_e32 v13, 32, v13
	v_lshrrev_b16_e32 v12, 3, v3
	v_subrev_u32_e32 v14, 28, v13
	v_and_b32_e32 v12, 15, v12
	v_lshlrev_b32_e32 v14, v14, v3
	v_sub_u32_e32 v13, 29, v13
	v_and_b32_e32 v14, 7, v14
	v_cmp_eq_u16_e32 vcc, 0, v12
	v_cndmask_b32_e32 v6, v6, v14, vcc
	v_cndmask_b32_e32 v12, v12, v13, vcc
	v_lshlrev_b32_e32 v13, 24, v3
	v_mov_b32_e32 v14, 0x3b800000
	v_lshlrev_b32_e32 v6, 20, v6
	v_and_b32_e32 v13, 0x80000000, v13
	v_lshl_add_u32 v12, v12, 23, v14
	v_or3_b32 v6, v13, v12, v6
.LBB1_12328:
	s_or_b64 exec, exec, s[6:7]
	s_nop 0
	v_mfma_f32_16x16x4f32 a[0:3], v2, v6, a[0:3]
	v_lshrrev_b32_e32 v6, 8, v7
	s_movk_i32 s4, 0x7f
	v_cmp_gt_i16_sdwa s[6:7], v6, s4 src0_sel:BYTE_0 src1_sel:DWORD
	s_mov_b64 s[4:5], 0
                                        ; implicit-def: $sgpr10
	s_and_saveexec_b64 s[8:9], s[6:7]
	s_xor_b64 s[6:7], exec, s[8:9]
	s_cbranch_execz .LBB1_12329
; %bb.48169:
	s_getpc_b64 s[14:15]
.Lpost_getpc9748:
	s_add_u32 s14, s14, (.LBB1_26665-.Lpost_getpc9748)&4294967295
	s_addc_u32 s15, s15, (.LBB1_26665-.Lpost_getpc9748)>>32
	s_setpc_b64 s[14:15]
.LBB1_12329:
	s_or_saveexec_b64 s[6:7], s[6:7]
	v_mov_b32_e32 v2, s10
	s_xor_b64 exec, exec, s[6:7]
	s_cbranch_execz .LBB1_12330
; %bb.48171:
	s_getpc_b64 s[14:15]
.Lpost_getpc9749:
	s_add_u32 s14, s14, (.LBB1_26668-.Lpost_getpc9749)&4294967295
	s_addc_u32 s15, s15, (.LBB1_26668-.Lpost_getpc9749)>>32
	s_setpc_b64 s[14:15]
.LBB1_12330:
	s_or_b64 exec, exec, s[6:7]
	s_and_saveexec_b64 s[6:7], s[4:5]
	s_cbranch_execz .LBB1_12332
.LBB1_12331:
	v_bfe_u32 v2, v7, 8, 3
	v_ffbh_u32_e32 v13, v2
	v_min_u32_e32 v13, 32, v13
	v_lshrrev_b16_e32 v12, 3, v6
	v_subrev_u32_e32 v14, 28, v13
	v_and_b32_e32 v12, 15, v12
	v_lshlrev_b32_e32 v6, v14, v6
	v_sub_u32_e32 v13, 29, v13
	v_and_b32_e32 v6, 7, v6
	v_cmp_eq_u16_e32 vcc, 0, v12
	v_cndmask_b32_e32 v2, v2, v6, vcc
	v_cndmask_b32_e32 v6, v12, v13, vcc
	v_lshlrev_b32_e32 v12, 16, v7
	v_mov_b32_e32 v13, 0x3b800000
	v_lshlrev_b32_e32 v2, 20, v2
	v_and_b32_e32 v12, 0x80000000, v12
	v_lshl_add_u32 v6, v6, 23, v13
	v_or3_b32 v2, v12, v6, v2
.LBB1_12332:
	s_or_b64 exec, exec, s[6:7]
	v_lshrrev_b32_e32 v6, 8, v3
	s_movk_i32 s4, 0x7f
	v_cmp_gt_i16_sdwa s[6:7], v6, s4 src0_sel:BYTE_0 src1_sel:DWORD
	s_mov_b64 s[4:5], 0
                                        ; implicit-def: $sgpr10
	s_and_saveexec_b64 s[8:9], s[6:7]
	s_xor_b64 s[6:7], exec, s[8:9]
	s_cbranch_execz .LBB1_12333
; %bb.48173:
	s_getpc_b64 s[14:15]
.Lpost_getpc9750:
	s_add_u32 s14, s14, (.LBB1_26669-.Lpost_getpc9750)&4294967295
	s_addc_u32 s15, s15, (.LBB1_26669-.Lpost_getpc9750)>>32
	s_setpc_b64 s[14:15]
.LBB1_12333:
	s_or_saveexec_b64 s[6:7], s[6:7]
	v_mov_b32_e32 v12, s10
	s_xor_b64 exec, exec, s[6:7]
	s_cbranch_execz .LBB1_12334
; %bb.48175:
	s_getpc_b64 s[14:15]
.Lpost_getpc9751:
	s_add_u32 s14, s14, (.LBB1_26672-.Lpost_getpc9751)&4294967295
	s_addc_u32 s15, s15, (.LBB1_26672-.Lpost_getpc9751)>>32
	s_setpc_b64 s[14:15]
.LBB1_12334:
	s_or_b64 exec, exec, s[6:7]
	s_and_saveexec_b64 s[6:7], s[4:5]
	s_cbranch_execz .LBB1_12336
.LBB1_12335:
	v_bfe_u32 v12, v3, 8, 3
	v_ffbh_u32_e32 v14, v12
	v_min_u32_e32 v14, 32, v14
	v_lshrrev_b16_e32 v13, 3, v6
	v_subrev_u32_e32 v15, 28, v14
	v_and_b32_e32 v13, 15, v13
	v_lshlrev_b32_e32 v6, v15, v6
	v_sub_u32_e32 v14, 29, v14
	v_and_b32_e32 v6, 7, v6
	v_cmp_eq_u16_e32 vcc, 0, v13
	v_cndmask_b32_e32 v6, v12, v6, vcc
	v_cndmask_b32_e32 v12, v13, v14, vcc
	v_lshlrev_b32_e32 v13, 16, v3
	v_mov_b32_e32 v14, 0x3b800000
	v_lshlrev_b32_e32 v6, 20, v6
	v_and_b32_e32 v13, 0x80000000, v13
	v_lshl_add_u32 v12, v12, 23, v14
	v_or3_b32 v12, v13, v12, v6
.LBB1_12336:
	s_or_b64 exec, exec, s[6:7]
	s_nop 0
	v_mfma_f32_16x16x4f32 a[0:3], v2, v12, a[0:3]
	s_movk_i32 s4, 0xff
	v_and_b32_sdwa v6, v7, s4 dst_sel:DWORD dst_unused:UNUSED_PAD src0_sel:WORD_1 src1_sel:DWORD
	s_movk_i32 s4, 0x7f
	v_cmp_lt_i16_e32 vcc, s4, v6
	s_mov_b64 s[4:5], 0
                                        ; implicit-def: $sgpr10
	s_and_saveexec_b64 s[6:7], vcc
	s_xor_b64 s[6:7], exec, s[6:7]
	s_cbranch_execz .LBB1_12337
; %bb.48177:
	s_getpc_b64 s[14:15]
.Lpost_getpc9752:
	s_add_u32 s14, s14, (.LBB1_26673-.Lpost_getpc9752)&4294967295
	s_addc_u32 s15, s15, (.LBB1_26673-.Lpost_getpc9752)>>32
	s_setpc_b64 s[14:15]
.LBB1_12337:
	s_or_saveexec_b64 s[6:7], s[6:7]
	v_mov_b32_e32 v2, s10
	s_xor_b64 exec, exec, s[6:7]
	s_cbranch_execz .LBB1_12338
; %bb.48179:
	s_getpc_b64 s[14:15]
.Lpost_getpc9753:
	s_add_u32 s14, s14, (.LBB1_26676-.Lpost_getpc9753)&4294967295
	s_addc_u32 s15, s15, (.LBB1_26676-.Lpost_getpc9753)>>32
	s_setpc_b64 s[14:15]
.LBB1_12338:
	s_or_b64 exec, exec, s[6:7]
	s_and_saveexec_b64 s[6:7], s[4:5]
	s_cbranch_execz .LBB1_12340
.LBB1_12339:
	v_bfe_u32 v2, v7, 16, 3
	v_ffbh_u32_e32 v13, v2
	v_min_u32_e32 v13, 32, v13
	v_lshrrev_b32_e32 v6, 19, v7
	v_subrev_u32_e32 v14, 28, v13
	v_and_b32_e32 v6, 15, v6
	v_lshlrev_b32_sdwa v14, v14, v7 dst_sel:DWORD dst_unused:UNUSED_PAD src0_sel:DWORD src1_sel:WORD_1
	v_bfe_u32 v12, v7, 19, 4
	v_sub_u32_e32 v13, 29, v13
	v_and_b32_e32 v14, 7, v14
	v_cmp_eq_u16_e32 vcc, 0, v6
	v_cndmask_b32_e32 v2, v2, v14, vcc
	v_cndmask_b32_e32 v6, v12, v13, vcc
	v_lshlrev_b32_e32 v12, 8, v7
	v_mov_b32_e32 v13, 0x3b800000
	v_lshlrev_b32_e32 v2, 20, v2
	v_and_b32_e32 v12, 0x80000000, v12
	v_lshl_add_u32 v6, v6, 23, v13
	v_or3_b32 v2, v12, v6, v2
.LBB1_12340:
	s_or_b64 exec, exec, s[6:7]
	s_movk_i32 s4, 0xff
	v_and_b32_sdwa v6, v3, s4 dst_sel:DWORD dst_unused:UNUSED_PAD src0_sel:WORD_1 src1_sel:DWORD
	s_movk_i32 s4, 0x7f
	v_cmp_lt_i16_e32 vcc, s4, v6
	s_mov_b64 s[4:5], 0
                                        ; implicit-def: $sgpr10
	s_and_saveexec_b64 s[6:7], vcc
	s_xor_b64 s[6:7], exec, s[6:7]
	s_cbranch_execz .LBB1_12341
; %bb.48181:
	s_getpc_b64 s[14:15]
.Lpost_getpc9754:
	s_add_u32 s14, s14, (.LBB1_26677-.Lpost_getpc9754)&4294967295
	s_addc_u32 s15, s15, (.LBB1_26677-.Lpost_getpc9754)>>32
	s_setpc_b64 s[14:15]
.LBB1_12341:
	s_or_saveexec_b64 s[6:7], s[6:7]
	v_mov_b32_e32 v12, s10
	s_xor_b64 exec, exec, s[6:7]
	s_cbranch_execz .LBB1_12342
; %bb.48183:
	s_getpc_b64 s[14:15]
.Lpost_getpc9755:
	s_add_u32 s14, s14, (.LBB1_26680-.Lpost_getpc9755)&4294967295
	s_addc_u32 s15, s15, (.LBB1_26680-.Lpost_getpc9755)>>32
	s_setpc_b64 s[14:15]
.LBB1_12342:
	s_or_b64 exec, exec, s[6:7]
	s_and_saveexec_b64 s[6:7], s[4:5]
	s_cbranch_execz .LBB1_12344
.LBB1_12343:
	v_bfe_u32 v6, v3, 16, 3
	v_ffbh_u32_e32 v14, v6
	v_min_u32_e32 v14, 32, v14
	v_lshrrev_b32_e32 v12, 19, v3
	v_subrev_u32_e32 v15, 28, v14
	v_and_b32_e32 v12, 15, v12
	v_lshlrev_b32_sdwa v15, v15, v3 dst_sel:DWORD dst_unused:UNUSED_PAD src0_sel:DWORD src1_sel:WORD_1
	v_bfe_u32 v13, v3, 19, 4
	v_sub_u32_e32 v14, 29, v14
	v_and_b32_e32 v15, 7, v15
	v_cmp_eq_u16_e32 vcc, 0, v12
	v_cndmask_b32_e32 v6, v6, v15, vcc
	v_cndmask_b32_e32 v12, v13, v14, vcc
	v_lshlrev_b32_e32 v13, 8, v3
	v_mov_b32_e32 v14, 0x3b800000
	v_lshlrev_b32_e32 v6, 20, v6
	v_and_b32_e32 v13, 0x80000000, v13
	v_lshl_add_u32 v12, v12, 23, v14
	v_or3_b32 v12, v13, v12, v6
.LBB1_12344:
	s_or_b64 exec, exec, s[6:7]
	s_nop 0
	v_mfma_f32_16x16x4f32 a[0:3], v2, v12, a[0:3]
	s_movk_i32 s4, 0x7f
	v_cmp_gt_i16_sdwa s[6:7], v7, s4 src0_sel:BYTE_3 src1_sel:DWORD
	s_mov_b64 s[4:5], 0
                                        ; implicit-def: $sgpr10
	s_and_saveexec_b64 s[8:9], s[6:7]
	s_xor_b64 s[6:7], exec, s[8:9]
	s_cbranch_execz .LBB1_12345
; %bb.48185:
	s_getpc_b64 s[14:15]
.Lpost_getpc9756:
	s_add_u32 s14, s14, (.LBB1_26681-.Lpost_getpc9756)&4294967295
	s_addc_u32 s15, s15, (.LBB1_26681-.Lpost_getpc9756)>>32
	s_setpc_b64 s[14:15]
.LBB1_12345:
	s_or_saveexec_b64 s[6:7], s[6:7]
	v_mov_b32_e32 v2, s10
	s_xor_b64 exec, exec, s[6:7]
	s_cbranch_execz .LBB1_12346
; %bb.48187:
	s_getpc_b64 s[14:15]
.Lpost_getpc9757:
	s_add_u32 s14, s14, (.LBB1_26684-.Lpost_getpc9757)&4294967295
	s_addc_u32 s15, s15, (.LBB1_26684-.Lpost_getpc9757)>>32
	s_setpc_b64 s[14:15]
.LBB1_12346:
	s_or_b64 exec, exec, s[6:7]
	s_and_saveexec_b64 s[6:7], s[4:5]
	s_cbranch_execz .LBB1_12348
.LBB1_12347:
	v_bfe_u32 v2, v7, 24, 3
	v_ffbh_u32_e32 v14, v2
	v_min_u32_e32 v14, 32, v14
	v_lshrrev_b32_e32 v12, 27, v7
	v_subrev_u32_e32 v15, 28, v14
	v_and_b32_e32 v6, 0x80000000, v7
	v_and_b32_e32 v12, 15, v12
	v_bfe_u32 v13, v7, 27, 4
	v_lshlrev_b32_sdwa v7, v15, v7 dst_sel:DWORD dst_unused:UNUSED_PAD src0_sel:DWORD src1_sel:BYTE_3
	v_sub_u32_e32 v14, 29, v14
	v_and_b32_e32 v7, 7, v7
	v_cmp_eq_u16_e32 vcc, 0, v12
	v_cndmask_b32_e32 v2, v2, v7, vcc
	v_cndmask_b32_e32 v7, v13, v14, vcc
	v_mov_b32_e32 v12, 0x3b800000
	v_lshlrev_b32_e32 v2, 20, v2
	v_lshl_add_u32 v7, v7, 23, v12
	v_or3_b32 v2, v6, v7, v2
.LBB1_12348:
	s_or_b64 exec, exec, s[6:7]
	s_movk_i32 s4, 0x7f
	v_cmp_gt_i16_sdwa s[6:7], v3, s4 src0_sel:BYTE_3 src1_sel:DWORD
	s_mov_b64 s[4:5], 0
                                        ; implicit-def: $sgpr10
	s_and_saveexec_b64 s[8:9], s[6:7]
	s_xor_b64 s[6:7], exec, s[8:9]
	s_cbranch_execz .LBB1_12349
; %bb.48189:
	s_getpc_b64 s[14:15]
.Lpost_getpc9758:
	s_add_u32 s14, s14, (.LBB1_26685-.Lpost_getpc9758)&4294967295
	s_addc_u32 s15, s15, (.LBB1_26685-.Lpost_getpc9758)>>32
	s_setpc_b64 s[14:15]
.LBB1_12349:
	s_or_saveexec_b64 s[6:7], s[6:7]
	v_mov_b32_e32 v6, s10
	s_xor_b64 exec, exec, s[6:7]
	s_cbranch_execz .LBB1_12350
; %bb.48191:
	s_getpc_b64 s[14:15]
.Lpost_getpc9759:
	s_add_u32 s14, s14, (.LBB1_26688-.Lpost_getpc9759)&4294967295
	s_addc_u32 s15, s15, (.LBB1_26688-.Lpost_getpc9759)>>32
	s_setpc_b64 s[14:15]
.LBB1_12350:
	s_or_b64 exec, exec, s[6:7]
	s_and_saveexec_b64 s[6:7], s[4:5]
	s_cbranch_execz .LBB1_12352
.LBB1_12351:
	v_bfe_u32 v6, v3, 24, 3
	v_ffbh_u32_e32 v14, v6
	v_min_u32_e32 v14, 32, v14
	v_lshrrev_b32_e32 v12, 27, v3
	v_subrev_u32_e32 v15, 28, v14
	v_and_b32_e32 v7, 0x80000000, v3
	v_and_b32_e32 v12, 15, v12
	v_bfe_u32 v13, v3, 27, 4
	v_lshlrev_b32_sdwa v3, v15, v3 dst_sel:DWORD dst_unused:UNUSED_PAD src0_sel:DWORD src1_sel:BYTE_3
	v_sub_u32_e32 v14, 29, v14
	v_and_b32_e32 v3, 7, v3
	v_cmp_eq_u16_e32 vcc, 0, v12
	v_cndmask_b32_e32 v3, v6, v3, vcc
	v_cndmask_b32_e32 v6, v13, v14, vcc
	v_mov_b32_e32 v12, 0x3b800000
	v_lshlrev_b32_e32 v3, 20, v3
	v_lshl_add_u32 v6, v6, 23, v12
	v_or3_b32 v6, v7, v6, v3
.LBB1_12352:
	s_or_b64 exec, exec, s[6:7]
	s_nop 0
	v_mfma_f32_16x16x4f32 a[0:3], v2, v6, a[0:3]
	s_movk_i32 s4, 0x7f
	v_cmp_gt_i16_sdwa s[6:7], v8, s4 src0_sel:BYTE_0 src1_sel:DWORD
	s_mov_b64 s[4:5], 0
                                        ; implicit-def: $sgpr10
	s_and_saveexec_b64 s[8:9], s[6:7]
	s_xor_b64 s[6:7], exec, s[8:9]
	s_cbranch_execz .LBB1_12353
; %bb.48193:
	s_getpc_b64 s[14:15]
.Lpost_getpc9760:
	s_add_u32 s14, s14, (.LBB1_26689-.Lpost_getpc9760)&4294967295
	s_addc_u32 s15, s15, (.LBB1_26689-.Lpost_getpc9760)>>32
	s_setpc_b64 s[14:15]
.LBB1_12353:
	s_or_saveexec_b64 s[6:7], s[6:7]
	v_mov_b32_e32 v2, s10
	s_xor_b64 exec, exec, s[6:7]
	s_cbranch_execz .LBB1_12354
; %bb.48195:
	s_getpc_b64 s[14:15]
.Lpost_getpc9761:
	s_add_u32 s14, s14, (.LBB1_26692-.Lpost_getpc9761)&4294967295
	s_addc_u32 s15, s15, (.LBB1_26692-.Lpost_getpc9761)>>32
	s_setpc_b64 s[14:15]
.LBB1_12354:
	s_or_b64 exec, exec, s[6:7]
	s_and_saveexec_b64 s[6:7], s[4:5]
	s_cbranch_execz .LBB1_12356
.LBB1_12355:
	v_and_b32_e32 v2, 7, v8
	v_ffbh_u32_e32 v6, v2
	v_min_u32_e32 v6, 32, v6
	v_lshrrev_b16_e32 v3, 3, v8
	v_subrev_u32_e32 v7, 28, v6
	v_and_b32_e32 v3, 15, v3
	v_lshlrev_b32_e32 v7, v7, v8
	v_sub_u32_e32 v6, 29, v6
	v_and_b32_e32 v7, 7, v7
	v_cmp_eq_u16_e32 vcc, 0, v3
	v_cndmask_b32_e32 v2, v2, v7, vcc
	v_cndmask_b32_e32 v3, v3, v6, vcc
	v_lshlrev_b32_e32 v6, 24, v8
	v_mov_b32_e32 v7, 0x3b800000
	v_lshlrev_b32_e32 v2, 20, v2
	v_and_b32_e32 v6, 0x80000000, v6
	v_lshl_add_u32 v3, v3, 23, v7
	v_or3_b32 v2, v6, v3, v2
.LBB1_12356:
	s_or_b64 exec, exec, s[6:7]
	s_movk_i32 s4, 0x7f
	v_cmp_gt_i16_sdwa s[6:7], v4, s4 src0_sel:BYTE_0 src1_sel:DWORD
	s_mov_b64 s[4:5], 0
                                        ; implicit-def: $sgpr10
	s_and_saveexec_b64 s[8:9], s[6:7]
	s_xor_b64 s[6:7], exec, s[8:9]
	s_cbranch_execz .LBB1_12357
; %bb.48197:
	s_getpc_b64 s[14:15]
.Lpost_getpc9762:
	s_add_u32 s14, s14, (.LBB1_26693-.Lpost_getpc9762)&4294967295
	s_addc_u32 s15, s15, (.LBB1_26693-.Lpost_getpc9762)>>32
	s_setpc_b64 s[14:15]
.LBB1_12357:
	s_or_saveexec_b64 s[6:7], s[6:7]
	v_mov_b32_e32 v3, s10
	s_xor_b64 exec, exec, s[6:7]
	s_cbranch_execz .LBB1_12358
; %bb.48199:
	s_getpc_b64 s[14:15]
.Lpost_getpc9763:
	s_add_u32 s14, s14, (.LBB1_26696-.Lpost_getpc9763)&4294967295
	s_addc_u32 s15, s15, (.LBB1_26696-.Lpost_getpc9763)>>32
	s_setpc_b64 s[14:15]
.LBB1_12358:
	s_or_b64 exec, exec, s[6:7]
	s_and_saveexec_b64 s[6:7], s[4:5]
	s_cbranch_execz .LBB1_12360
.LBB1_12359:
	v_and_b32_e32 v3, 7, v4
	v_ffbh_u32_e32 v7, v3
	v_min_u32_e32 v7, 32, v7
	v_lshrrev_b16_e32 v6, 3, v4
	v_subrev_u32_e32 v12, 28, v7
	v_and_b32_e32 v6, 15, v6
	v_lshlrev_b32_e32 v12, v12, v4
	v_sub_u32_e32 v7, 29, v7
	v_and_b32_e32 v12, 7, v12
	v_cmp_eq_u16_e32 vcc, 0, v6
	v_cndmask_b32_e32 v3, v3, v12, vcc
	v_cndmask_b32_e32 v6, v6, v7, vcc
	v_lshlrev_b32_e32 v7, 24, v4
	v_mov_b32_e32 v12, 0x3b800000
	v_lshlrev_b32_e32 v3, 20, v3
	v_and_b32_e32 v7, 0x80000000, v7
	v_lshl_add_u32 v6, v6, 23, v12
	v_or3_b32 v3, v7, v6, v3
.LBB1_12360:
	s_or_b64 exec, exec, s[6:7]
	s_nop 0
	v_mfma_f32_16x16x4f32 a[0:3], v2, v3, a[0:3]
	v_lshrrev_b32_e32 v3, 8, v8
	s_movk_i32 s4, 0x7f
	v_cmp_gt_i16_sdwa s[6:7], v3, s4 src0_sel:BYTE_0 src1_sel:DWORD
	s_mov_b64 s[4:5], 0
                                        ; implicit-def: $sgpr10
	s_and_saveexec_b64 s[8:9], s[6:7]
	s_xor_b64 s[6:7], exec, s[8:9]
	s_cbranch_execz .LBB1_12361
; %bb.48201:
	s_getpc_b64 s[14:15]
.Lpost_getpc9764:
	s_add_u32 s14, s14, (.LBB1_26697-.Lpost_getpc9764)&4294967295
	s_addc_u32 s15, s15, (.LBB1_26697-.Lpost_getpc9764)>>32
	s_setpc_b64 s[14:15]
.LBB1_12361:
	s_or_saveexec_b64 s[6:7], s[6:7]
	v_mov_b32_e32 v2, s10
	s_xor_b64 exec, exec, s[6:7]
	s_cbranch_execz .LBB1_12362
; %bb.48203:
	s_getpc_b64 s[14:15]
.Lpost_getpc9765:
	s_add_u32 s14, s14, (.LBB1_26700-.Lpost_getpc9765)&4294967295
	s_addc_u32 s15, s15, (.LBB1_26700-.Lpost_getpc9765)>>32
	s_setpc_b64 s[14:15]
.LBB1_12362:
	s_or_b64 exec, exec, s[6:7]
	s_and_saveexec_b64 s[6:7], s[4:5]
	s_cbranch_execz .LBB1_12364
.LBB1_12363:
	v_bfe_u32 v2, v8, 8, 3
	v_ffbh_u32_e32 v7, v2
	v_min_u32_e32 v7, 32, v7
	v_lshrrev_b16_e32 v6, 3, v3
	v_subrev_u32_e32 v12, 28, v7
	v_and_b32_e32 v6, 15, v6
	v_lshlrev_b32_e32 v3, v12, v3
	v_sub_u32_e32 v7, 29, v7
	v_and_b32_e32 v3, 7, v3
	v_cmp_eq_u16_e32 vcc, 0, v6
	v_cndmask_b32_e32 v2, v2, v3, vcc
	v_cndmask_b32_e32 v3, v6, v7, vcc
	v_lshlrev_b32_e32 v6, 16, v8
	v_mov_b32_e32 v7, 0x3b800000
	v_lshlrev_b32_e32 v2, 20, v2
	v_and_b32_e32 v6, 0x80000000, v6
	v_lshl_add_u32 v3, v3, 23, v7
	v_or3_b32 v2, v6, v3, v2
.LBB1_12364:
	s_or_b64 exec, exec, s[6:7]
	v_lshrrev_b32_e32 v3, 8, v4
	s_movk_i32 s4, 0x7f
	v_cmp_gt_i16_sdwa s[6:7], v3, s4 src0_sel:BYTE_0 src1_sel:DWORD
	s_mov_b64 s[4:5], 0
                                        ; implicit-def: $sgpr10
	s_and_saveexec_b64 s[8:9], s[6:7]
	s_xor_b64 s[6:7], exec, s[8:9]
	s_cbranch_execz .LBB1_12365
; %bb.48205:
	s_getpc_b64 s[14:15]
.Lpost_getpc9766:
	s_add_u32 s14, s14, (.LBB1_26701-.Lpost_getpc9766)&4294967295
	s_addc_u32 s15, s15, (.LBB1_26701-.Lpost_getpc9766)>>32
	s_setpc_b64 s[14:15]
.LBB1_12365:
	s_or_saveexec_b64 s[6:7], s[6:7]
	v_mov_b32_e32 v6, s10
	s_xor_b64 exec, exec, s[6:7]
	s_cbranch_execz .LBB1_12366
; %bb.48207:
	s_getpc_b64 s[14:15]
.Lpost_getpc9767:
	s_add_u32 s14, s14, (.LBB1_26704-.Lpost_getpc9767)&4294967295
	s_addc_u32 s15, s15, (.LBB1_26704-.Lpost_getpc9767)>>32
	s_setpc_b64 s[14:15]
.LBB1_12366:
	s_or_b64 exec, exec, s[6:7]
	s_and_saveexec_b64 s[6:7], s[4:5]
	s_cbranch_execz .LBB1_12368
.LBB1_12367:
	v_bfe_u32 v6, v4, 8, 3
	v_ffbh_u32_e32 v12, v6
	v_min_u32_e32 v12, 32, v12
	v_lshrrev_b16_e32 v7, 3, v3
	v_subrev_u32_e32 v13, 28, v12
	v_and_b32_e32 v7, 15, v7
	v_lshlrev_b32_e32 v3, v13, v3
	v_sub_u32_e32 v12, 29, v12
	v_and_b32_e32 v3, 7, v3
	v_cmp_eq_u16_e32 vcc, 0, v7
	v_cndmask_b32_e32 v3, v6, v3, vcc
	v_cndmask_b32_e32 v6, v7, v12, vcc
	v_lshlrev_b32_e32 v7, 16, v4
	v_mov_b32_e32 v12, 0x3b800000
	v_lshlrev_b32_e32 v3, 20, v3
	v_and_b32_e32 v7, 0x80000000, v7
	v_lshl_add_u32 v6, v6, 23, v12
	v_or3_b32 v6, v7, v6, v3
.LBB1_12368:
	s_or_b64 exec, exec, s[6:7]
	s_nop 0
	v_mfma_f32_16x16x4f32 a[0:3], v2, v6, a[0:3]
	s_movk_i32 s4, 0xff
	v_and_b32_sdwa v3, v8, s4 dst_sel:DWORD dst_unused:UNUSED_PAD src0_sel:WORD_1 src1_sel:DWORD
	s_movk_i32 s4, 0x7f
	v_cmp_lt_i16_e32 vcc, s4, v3
	s_mov_b64 s[4:5], 0
                                        ; implicit-def: $sgpr10
	s_and_saveexec_b64 s[6:7], vcc
	s_xor_b64 s[6:7], exec, s[6:7]
	s_cbranch_execz .LBB1_12369
; %bb.48209:
	s_getpc_b64 s[14:15]
.Lpost_getpc9768:
	s_add_u32 s14, s14, (.LBB1_26705-.Lpost_getpc9768)&4294967295
	s_addc_u32 s15, s15, (.LBB1_26705-.Lpost_getpc9768)>>32
	s_setpc_b64 s[14:15]
.LBB1_12369:
	s_or_saveexec_b64 s[6:7], s[6:7]
	v_mov_b32_e32 v2, s10
	s_xor_b64 exec, exec, s[6:7]
	s_cbranch_execz .LBB1_12370
; %bb.48211:
	s_getpc_b64 s[14:15]
.Lpost_getpc9769:
	s_add_u32 s14, s14, (.LBB1_26708-.Lpost_getpc9769)&4294967295
	s_addc_u32 s15, s15, (.LBB1_26708-.Lpost_getpc9769)>>32
	s_setpc_b64 s[14:15]
.LBB1_12370:
	s_or_b64 exec, exec, s[6:7]
	s_and_saveexec_b64 s[6:7], s[4:5]
	s_cbranch_execz .LBB1_12372
.LBB1_12371:
	v_bfe_u32 v2, v8, 16, 3
	v_ffbh_u32_e32 v7, v2
	v_min_u32_e32 v7, 32, v7
	v_lshrrev_b32_e32 v3, 19, v8
	v_subrev_u32_e32 v12, 28, v7
	v_and_b32_e32 v3, 15, v3
	v_lshlrev_b32_sdwa v12, v12, v8 dst_sel:DWORD dst_unused:UNUSED_PAD src0_sel:DWORD src1_sel:WORD_1
	v_bfe_u32 v6, v8, 19, 4
	v_sub_u32_e32 v7, 29, v7
	v_and_b32_e32 v12, 7, v12
	v_cmp_eq_u16_e32 vcc, 0, v3
	v_cndmask_b32_e32 v2, v2, v12, vcc
	v_cndmask_b32_e32 v3, v6, v7, vcc
	v_lshlrev_b32_e32 v6, 8, v8
	v_mov_b32_e32 v7, 0x3b800000
	v_lshlrev_b32_e32 v2, 20, v2
	v_and_b32_e32 v6, 0x80000000, v6
	v_lshl_add_u32 v3, v3, 23, v7
	v_or3_b32 v2, v6, v3, v2
.LBB1_12372:
	s_or_b64 exec, exec, s[6:7]
	s_movk_i32 s4, 0xff
	v_and_b32_sdwa v3, v4, s4 dst_sel:DWORD dst_unused:UNUSED_PAD src0_sel:WORD_1 src1_sel:DWORD
	s_movk_i32 s4, 0x7f
	v_cmp_lt_i16_e32 vcc, s4, v3
	s_mov_b64 s[4:5], 0
                                        ; implicit-def: $sgpr10
	s_and_saveexec_b64 s[6:7], vcc
	s_xor_b64 s[6:7], exec, s[6:7]
	s_cbranch_execz .LBB1_12373
; %bb.48213:
	s_getpc_b64 s[14:15]
.Lpost_getpc9770:
	s_add_u32 s14, s14, (.LBB1_26709-.Lpost_getpc9770)&4294967295
	s_addc_u32 s15, s15, (.LBB1_26709-.Lpost_getpc9770)>>32
	s_setpc_b64 s[14:15]
.LBB1_12373:
	s_or_saveexec_b64 s[6:7], s[6:7]
	v_mov_b32_e32 v6, s10
	s_xor_b64 exec, exec, s[6:7]
	s_cbranch_execz .LBB1_12374
; %bb.48215:
	s_getpc_b64 s[14:15]
.Lpost_getpc9771:
	s_add_u32 s14, s14, (.LBB1_26712-.Lpost_getpc9771)&4294967295
	s_addc_u32 s15, s15, (.LBB1_26712-.Lpost_getpc9771)>>32
	s_setpc_b64 s[14:15]
.LBB1_12374:
	s_or_b64 exec, exec, s[6:7]
	s_and_saveexec_b64 s[6:7], s[4:5]
	s_cbranch_execz .LBB1_12376
.LBB1_12375:
	v_bfe_u32 v3, v4, 16, 3
	v_ffbh_u32_e32 v12, v3
	v_min_u32_e32 v12, 32, v12
	v_lshrrev_b32_e32 v6, 19, v4
	v_subrev_u32_e32 v13, 28, v12
	v_and_b32_e32 v6, 15, v6
	v_lshlrev_b32_sdwa v13, v13, v4 dst_sel:DWORD dst_unused:UNUSED_PAD src0_sel:DWORD src1_sel:WORD_1
	v_bfe_u32 v7, v4, 19, 4
	v_sub_u32_e32 v12, 29, v12
	v_and_b32_e32 v13, 7, v13
	v_cmp_eq_u16_e32 vcc, 0, v6
	v_cndmask_b32_e32 v3, v3, v13, vcc
	v_cndmask_b32_e32 v6, v7, v12, vcc
	v_lshlrev_b32_e32 v7, 8, v4
	v_mov_b32_e32 v12, 0x3b800000
	v_lshlrev_b32_e32 v3, 20, v3
	v_and_b32_e32 v7, 0x80000000, v7
	v_lshl_add_u32 v6, v6, 23, v12
	v_or3_b32 v6, v7, v6, v3
.LBB1_12376:
	s_or_b64 exec, exec, s[6:7]
	s_nop 0
	v_mfma_f32_16x16x4f32 a[0:3], v2, v6, a[0:3]
	s_movk_i32 s4, 0x7f
	v_cmp_gt_i16_sdwa s[6:7], v8, s4 src0_sel:BYTE_3 src1_sel:DWORD
	s_mov_b64 s[4:5], 0
                                        ; implicit-def: $sgpr10
	s_and_saveexec_b64 s[8:9], s[6:7]
	s_xor_b64 s[6:7], exec, s[8:9]
	s_cbranch_execz .LBB1_12377
; %bb.48217:
	s_getpc_b64 s[14:15]
.Lpost_getpc9772:
	s_add_u32 s14, s14, (.LBB1_26713-.Lpost_getpc9772)&4294967295
	s_addc_u32 s15, s15, (.LBB1_26713-.Lpost_getpc9772)>>32
	s_setpc_b64 s[14:15]
.LBB1_12377:
	s_or_saveexec_b64 s[6:7], s[6:7]
	v_mov_b32_e32 v2, s10
	s_xor_b64 exec, exec, s[6:7]
	s_cbranch_execz .LBB1_12378
; %bb.48219:
	s_getpc_b64 s[14:15]
.Lpost_getpc9773:
	s_add_u32 s14, s14, (.LBB1_26716-.Lpost_getpc9773)&4294967295
	s_addc_u32 s15, s15, (.LBB1_26716-.Lpost_getpc9773)>>32
	s_setpc_b64 s[14:15]
.LBB1_12378:
	s_or_b64 exec, exec, s[6:7]
	s_and_saveexec_b64 s[6:7], s[4:5]
	s_cbranch_execz .LBB1_12380
.LBB1_12379:
	v_bfe_u32 v2, v8, 24, 3
	v_ffbh_u32_e32 v12, v2
	v_min_u32_e32 v12, 32, v12
	v_lshrrev_b32_e32 v6, 27, v8
	v_subrev_u32_e32 v13, 28, v12
	v_and_b32_e32 v3, 0x80000000, v8
	v_and_b32_e32 v6, 15, v6
	v_bfe_u32 v7, v8, 27, 4
	v_lshlrev_b32_sdwa v8, v13, v8 dst_sel:DWORD dst_unused:UNUSED_PAD src0_sel:DWORD src1_sel:BYTE_3
	v_sub_u32_e32 v12, 29, v12
	v_and_b32_e32 v8, 7, v8
	v_cmp_eq_u16_e32 vcc, 0, v6
	v_cndmask_b32_e32 v2, v2, v8, vcc
	v_cndmask_b32_e32 v6, v7, v12, vcc
	v_mov_b32_e32 v7, 0x3b800000
	v_lshlrev_b32_e32 v2, 20, v2
	v_lshl_add_u32 v6, v6, 23, v7
	v_or3_b32 v2, v3, v6, v2
.LBB1_12380:
	s_or_b64 exec, exec, s[6:7]
	s_movk_i32 s4, 0x7f
	v_cmp_gt_i16_sdwa s[6:7], v4, s4 src0_sel:BYTE_3 src1_sel:DWORD
	s_mov_b64 s[4:5], 0
                                        ; implicit-def: $sgpr10
	s_and_saveexec_b64 s[8:9], s[6:7]
	s_xor_b64 s[6:7], exec, s[8:9]
	s_cbranch_execz .LBB1_12381
; %bb.48221:
	s_getpc_b64 s[14:15]
.Lpost_getpc9774:
	s_add_u32 s14, s14, (.LBB1_26717-.Lpost_getpc9774)&4294967295
	s_addc_u32 s15, s15, (.LBB1_26717-.Lpost_getpc9774)>>32
	s_setpc_b64 s[14:15]
.LBB1_12381:
	s_or_saveexec_b64 s[6:7], s[6:7]
	v_mov_b32_e32 v3, s10
	s_xor_b64 exec, exec, s[6:7]
	s_cbranch_execz .LBB1_12382
; %bb.48223:
	s_getpc_b64 s[14:15]
.Lpost_getpc9775:
	s_add_u32 s14, s14, (.LBB1_26720-.Lpost_getpc9775)&4294967295
	s_addc_u32 s15, s15, (.LBB1_26720-.Lpost_getpc9775)>>32
	s_setpc_b64 s[14:15]
.LBB1_12382:
	s_or_b64 exec, exec, s[6:7]
	s_and_saveexec_b64 s[6:7], s[4:5]
	s_cbranch_execz .LBB1_12384
.LBB1_12383:
	v_bfe_u32 v3, v4, 24, 3
	v_ffbh_u32_e32 v12, v3
	v_min_u32_e32 v12, 32, v12
	v_lshrrev_b32_e32 v7, 27, v4
	v_subrev_u32_e32 v13, 28, v12
	v_and_b32_e32 v6, 0x80000000, v4
	v_and_b32_e32 v7, 15, v7
	v_bfe_u32 v8, v4, 27, 4
	v_lshlrev_b32_sdwa v4, v13, v4 dst_sel:DWORD dst_unused:UNUSED_PAD src0_sel:DWORD src1_sel:BYTE_3
	v_sub_u32_e32 v12, 29, v12
	v_and_b32_e32 v4, 7, v4
	v_cmp_eq_u16_e32 vcc, 0, v7
	v_cndmask_b32_e32 v3, v3, v4, vcc
	v_cndmask_b32_e32 v4, v8, v12, vcc
	v_mov_b32_e32 v7, 0x3b800000
	v_lshlrev_b32_e32 v3, 20, v3
	v_lshl_add_u32 v4, v4, 23, v7
	v_or3_b32 v3, v6, v4, v3
.LBB1_12384:
	s_or_b64 exec, exec, s[6:7]
	s_nop 0
	v_mfma_f32_16x16x4f32 a[0:3], v2, v3, a[0:3]
	s_movk_i32 s4, 0x7f
	v_cmp_gt_i16_sdwa s[6:7], v9, s4 src0_sel:BYTE_0 src1_sel:DWORD
	s_mov_b64 s[4:5], 0
                                        ; implicit-def: $sgpr10
	s_and_saveexec_b64 s[8:9], s[6:7]
	s_xor_b64 s[6:7], exec, s[8:9]
	s_cbranch_execz .LBB1_12385
; %bb.48225:
	s_getpc_b64 s[14:15]
.Lpost_getpc9776:
	s_add_u32 s14, s14, (.LBB1_26721-.Lpost_getpc9776)&4294967295
	s_addc_u32 s15, s15, (.LBB1_26721-.Lpost_getpc9776)>>32
	s_setpc_b64 s[14:15]
.LBB1_12385:
	s_or_saveexec_b64 s[6:7], s[6:7]
	v_mov_b32_e32 v2, s10
	s_xor_b64 exec, exec, s[6:7]
	s_cbranch_execz .LBB1_12386
; %bb.48227:
	s_getpc_b64 s[14:15]
.Lpost_getpc9777:
	s_add_u32 s14, s14, (.LBB1_26724-.Lpost_getpc9777)&4294967295
	s_addc_u32 s15, s15, (.LBB1_26724-.Lpost_getpc9777)>>32
	s_setpc_b64 s[14:15]
.LBB1_12386:
	s_or_b64 exec, exec, s[6:7]
	s_and_saveexec_b64 s[6:7], s[4:5]
	s_cbranch_execz .LBB1_12388
.LBB1_12387:
	v_mov_b32_e32 v2, 8
	v_and_b32_e32 v3, 7, v9
	v_lshrrev_b32_sdwa v2, v2, v9 dst_sel:BYTE_1 dst_unused:UNUSED_PAD src0_sel:DWORD src1_sel:DWORD
	v_ffbh_u32_e32 v4, v3
	v_or_b32_sdwa v2, v9, v2 dst_sel:DWORD dst_unused:UNUSED_PAD src0_sel:BYTE_0 src1_sel:DWORD
	v_min_u32_e32 v4, 32, v4
	v_lshrrev_b16_e32 v2, 3, v2
	v_subrev_u32_e32 v6, 28, v4
	v_and_b32_e32 v2, 15, v2
	v_lshlrev_b32_e32 v6, v6, v9
	v_sub_u32_e32 v4, 29, v4
	v_and_b32_e32 v6, 7, v6
	v_cmp_eq_u16_e32 vcc, 0, v2
	v_cndmask_b32_e32 v3, v3, v6, vcc
	v_cndmask_b32_e32 v2, v2, v4, vcc
	v_lshlrev_b32_e32 v4, 24, v9
	v_mov_b32_e32 v6, 0x3b800000
	v_lshlrev_b32_e32 v3, 20, v3
	v_and_b32_e32 v4, 0x80000000, v4
	v_lshl_add_u32 v2, v2, 23, v6
	v_or3_b32 v2, v4, v2, v3
.LBB1_12388:
	s_or_b64 exec, exec, s[6:7]
	s_movk_i32 s4, 0x7f
	v_cmp_gt_i16_sdwa s[6:7], v5, s4 src0_sel:BYTE_0 src1_sel:DWORD
	s_mov_b64 s[4:5], 0
                                        ; implicit-def: $sgpr10
	s_and_saveexec_b64 s[8:9], s[6:7]
	s_xor_b64 s[6:7], exec, s[8:9]
	s_cbranch_execz .LBB1_12389
; %bb.48229:
	s_getpc_b64 s[14:15]
.Lpost_getpc9778:
	s_add_u32 s14, s14, (.LBB1_26725-.Lpost_getpc9778)&4294967295
	s_addc_u32 s15, s15, (.LBB1_26725-.Lpost_getpc9778)>>32
	s_setpc_b64 s[14:15]
.LBB1_12389:
	s_or_saveexec_b64 s[6:7], s[6:7]
	v_mov_b32_e32 v3, s10
	s_xor_b64 exec, exec, s[6:7]
	s_cbranch_execz .LBB1_12390
; %bb.48231:
	s_getpc_b64 s[14:15]
.Lpost_getpc9779:
	s_add_u32 s14, s14, (.LBB1_26728-.Lpost_getpc9779)&4294967295
	s_addc_u32 s15, s15, (.LBB1_26728-.Lpost_getpc9779)>>32
	s_setpc_b64 s[14:15]
.LBB1_12390:
	s_or_b64 exec, exec, s[6:7]
	s_and_saveexec_b64 s[6:7], s[4:5]
	s_cbranch_execz .LBB1_12392
.LBB1_12391:
	v_mov_b32_e32 v3, 8
	v_and_b32_e32 v4, 7, v5
	v_lshrrev_b32_sdwa v3, v3, v5 dst_sel:BYTE_1 dst_unused:UNUSED_PAD src0_sel:DWORD src1_sel:DWORD
	v_ffbh_u32_e32 v6, v4
	v_or_b32_sdwa v3, v5, v3 dst_sel:DWORD dst_unused:UNUSED_PAD src0_sel:BYTE_0 src1_sel:DWORD
	v_min_u32_e32 v6, 32, v6
	v_lshrrev_b16_e32 v3, 3, v3
	v_subrev_u32_e32 v7, 28, v6
	v_and_b32_e32 v3, 15, v3
	v_lshlrev_b32_e32 v7, v7, v5
	v_sub_u32_e32 v6, 29, v6
	v_and_b32_e32 v7, 7, v7
	v_cmp_eq_u16_e32 vcc, 0, v3
	v_cndmask_b32_e32 v4, v4, v7, vcc
	v_cndmask_b32_e32 v3, v3, v6, vcc
	v_lshlrev_b32_e32 v6, 24, v5
	v_mov_b32_e32 v7, 0x3b800000
	v_lshlrev_b32_e32 v4, 20, v4
	v_and_b32_e32 v6, 0x80000000, v6
	v_lshl_add_u32 v3, v3, 23, v7
	v_or3_b32 v3, v6, v3, v4
.LBB1_12392:
	s_or_b64 exec, exec, s[6:7]
	s_nop 0
	v_mfma_f32_16x16x4f32 a[0:3], v2, v3, a[0:3]
	v_lshrrev_b32_e32 v3, 8, v9
	s_movk_i32 s4, 0x7f
	v_cmp_gt_i16_sdwa s[6:7], v3, s4 src0_sel:BYTE_0 src1_sel:DWORD
	s_mov_b64 s[4:5], 0
                                        ; implicit-def: $sgpr10
	s_and_saveexec_b64 s[8:9], s[6:7]
	s_xor_b64 s[6:7], exec, s[8:9]
	s_cbranch_execz .LBB1_12393
; %bb.48233:
	s_getpc_b64 s[14:15]
.Lpost_getpc9780:
	s_add_u32 s14, s14, (.LBB1_26729-.Lpost_getpc9780)&4294967295
	s_addc_u32 s15, s15, (.LBB1_26729-.Lpost_getpc9780)>>32
	s_setpc_b64 s[14:15]
.LBB1_12393:
	s_or_saveexec_b64 s[6:7], s[6:7]
	v_mov_b32_e32 v2, s10
	s_xor_b64 exec, exec, s[6:7]
	s_cbranch_execz .LBB1_12394
; %bb.48235:
	s_getpc_b64 s[14:15]
.Lpost_getpc9781:
	s_add_u32 s14, s14, (.LBB1_26732-.Lpost_getpc9781)&4294967295
	s_addc_u32 s15, s15, (.LBB1_26732-.Lpost_getpc9781)>>32
	s_setpc_b64 s[14:15]
.LBB1_12394:
	s_or_b64 exec, exec, s[6:7]
	s_and_saveexec_b64 s[6:7], s[4:5]
	s_cbranch_execz .LBB1_12396
.LBB1_12395:
	v_bfe_u32 v2, v9, 8, 3
	v_ffbh_u32_e32 v6, v2
	v_min_u32_e32 v6, 32, v6
	v_lshrrev_b16_e32 v4, 3, v3
	v_subrev_u32_e32 v7, 28, v6
	v_and_b32_e32 v4, 15, v4
	v_lshlrev_b32_e32 v3, v7, v3
	v_sub_u32_e32 v6, 29, v6
	v_and_b32_e32 v3, 7, v3
	v_cmp_eq_u16_e32 vcc, 0, v4
	v_cndmask_b32_e32 v2, v2, v3, vcc
	v_cndmask_b32_e32 v3, v4, v6, vcc
	v_lshlrev_b32_e32 v4, 16, v9
	v_mov_b32_e32 v6, 0x3b800000
	v_lshlrev_b32_e32 v2, 20, v2
	v_and_b32_e32 v4, 0x80000000, v4
	v_lshl_add_u32 v3, v3, 23, v6
	v_or3_b32 v2, v4, v3, v2
.LBB1_12396:
	s_or_b64 exec, exec, s[6:7]
	v_lshrrev_b32_e32 v3, 8, v5
	s_movk_i32 s4, 0x7f
	v_cmp_gt_i16_sdwa s[6:7], v3, s4 src0_sel:BYTE_0 src1_sel:DWORD
	s_mov_b64 s[4:5], 0
                                        ; implicit-def: $sgpr10
	s_and_saveexec_b64 s[8:9], s[6:7]
	s_xor_b64 s[6:7], exec, s[8:9]
	s_cbranch_execz .LBB1_12397
; %bb.48237:
	s_getpc_b64 s[14:15]
.Lpost_getpc9782:
	s_add_u32 s14, s14, (.LBB1_26733-.Lpost_getpc9782)&4294967295
	s_addc_u32 s15, s15, (.LBB1_26733-.Lpost_getpc9782)>>32
	s_setpc_b64 s[14:15]
.LBB1_12397:
	s_or_saveexec_b64 s[6:7], s[6:7]
	v_mov_b32_e32 v4, s10
	s_xor_b64 exec, exec, s[6:7]
	s_cbranch_execz .LBB1_12398
; %bb.48239:
	s_getpc_b64 s[14:15]
.Lpost_getpc9783:
	s_add_u32 s14, s14, (.LBB1_26736-.Lpost_getpc9783)&4294967295
	s_addc_u32 s15, s15, (.LBB1_26736-.Lpost_getpc9783)>>32
	s_setpc_b64 s[14:15]
.LBB1_12398:
	s_or_b64 exec, exec, s[6:7]
	s_and_saveexec_b64 s[6:7], s[4:5]
	s_cbranch_execz .LBB1_12400
.LBB1_12399:
	v_bfe_u32 v4, v5, 8, 3
	v_ffbh_u32_e32 v7, v4
	v_min_u32_e32 v7, 32, v7
	v_lshrrev_b16_e32 v6, 3, v3
	v_subrev_u32_e32 v8, 28, v7
	v_and_b32_e32 v6, 15, v6
	v_lshlrev_b32_e32 v3, v8, v3
	v_sub_u32_e32 v7, 29, v7
	v_and_b32_e32 v3, 7, v3
	v_cmp_eq_u16_e32 vcc, 0, v6
	v_cndmask_b32_e32 v3, v4, v3, vcc
	v_cndmask_b32_e32 v4, v6, v7, vcc
	v_lshlrev_b32_e32 v6, 16, v5
	v_mov_b32_e32 v7, 0x3b800000
	v_lshlrev_b32_e32 v3, 20, v3
	v_and_b32_e32 v6, 0x80000000, v6
	v_lshl_add_u32 v4, v4, 23, v7
	v_or3_b32 v4, v6, v4, v3
.LBB1_12400:
	s_or_b64 exec, exec, s[6:7]
	s_nop 0
	v_mfma_f32_16x16x4f32 a[0:3], v2, v4, a[0:3]
	s_movk_i32 s4, 0xff
	v_and_b32_sdwa v3, v9, s4 dst_sel:DWORD dst_unused:UNUSED_PAD src0_sel:WORD_1 src1_sel:DWORD
	s_movk_i32 s4, 0x7f
	v_cmp_lt_i16_e32 vcc, s4, v3
	s_mov_b64 s[4:5], 0
                                        ; implicit-def: $sgpr10
	s_and_saveexec_b64 s[6:7], vcc
	s_xor_b64 s[6:7], exec, s[6:7]
	s_cbranch_execz .LBB1_12401
; %bb.48241:
	s_getpc_b64 s[14:15]
.Lpost_getpc9784:
	s_add_u32 s14, s14, (.LBB1_26737-.Lpost_getpc9784)&4294967295
	s_addc_u32 s15, s15, (.LBB1_26737-.Lpost_getpc9784)>>32
	s_setpc_b64 s[14:15]
.LBB1_12401:
	s_or_saveexec_b64 s[6:7], s[6:7]
	v_mov_b32_e32 v2, s10
	s_xor_b64 exec, exec, s[6:7]
	s_cbranch_execz .LBB1_12402
; %bb.48243:
	s_getpc_b64 s[14:15]
.Lpost_getpc9785:
	s_add_u32 s14, s14, (.LBB1_26740-.Lpost_getpc9785)&4294967295
	s_addc_u32 s15, s15, (.LBB1_26740-.Lpost_getpc9785)>>32
	s_setpc_b64 s[14:15]
.LBB1_12402:
	s_or_b64 exec, exec, s[6:7]
	s_and_saveexec_b64 s[6:7], s[4:5]
	s_cbranch_execz .LBB1_12404
.LBB1_12403:
	v_bfe_u32 v2, v9, 16, 3
	v_ffbh_u32_e32 v6, v2
	v_min_u32_e32 v6, 32, v6
	v_lshrrev_b32_e32 v3, 19, v9
	v_subrev_u32_e32 v7, 28, v6
	v_and_b32_e32 v3, 15, v3
	v_lshlrev_b32_sdwa v7, v7, v9 dst_sel:DWORD dst_unused:UNUSED_PAD src0_sel:DWORD src1_sel:WORD_1
	v_bfe_u32 v4, v9, 19, 4
	v_sub_u32_e32 v6, 29, v6
	v_and_b32_e32 v7, 7, v7
	v_cmp_eq_u16_e32 vcc, 0, v3
	v_cndmask_b32_e32 v2, v2, v7, vcc
	v_cndmask_b32_e32 v3, v4, v6, vcc
	v_lshlrev_b32_e32 v4, 8, v9
	v_mov_b32_e32 v6, 0x3b800000
	v_lshlrev_b32_e32 v2, 20, v2
	v_and_b32_e32 v4, 0x80000000, v4
	v_lshl_add_u32 v3, v3, 23, v6
	v_or3_b32 v2, v4, v3, v2
.LBB1_12404:
	s_or_b64 exec, exec, s[6:7]
	s_movk_i32 s4, 0xff
	v_and_b32_sdwa v3, v5, s4 dst_sel:DWORD dst_unused:UNUSED_PAD src0_sel:WORD_1 src1_sel:DWORD
	s_movk_i32 s4, 0x7f
	v_cmp_lt_i16_e32 vcc, s4, v3
	s_mov_b64 s[4:5], 0
                                        ; implicit-def: $sgpr10
	s_and_saveexec_b64 s[6:7], vcc
	s_xor_b64 s[6:7], exec, s[6:7]
	s_cbranch_execz .LBB1_12405
; %bb.48245:
	s_getpc_b64 s[14:15]
.Lpost_getpc9786:
	s_add_u32 s14, s14, (.LBB1_26741-.Lpost_getpc9786)&4294967295
	s_addc_u32 s15, s15, (.LBB1_26741-.Lpost_getpc9786)>>32
	s_setpc_b64 s[14:15]
.LBB1_12405:
	s_or_saveexec_b64 s[6:7], s[6:7]
	v_mov_b32_e32 v4, s10
	s_xor_b64 exec, exec, s[6:7]
	s_cbranch_execz .LBB1_12406
; %bb.48247:
	s_getpc_b64 s[14:15]
.Lpost_getpc9787:
	s_add_u32 s14, s14, (.LBB1_26744-.Lpost_getpc9787)&4294967295
	s_addc_u32 s15, s15, (.LBB1_26744-.Lpost_getpc9787)>>32
	s_setpc_b64 s[14:15]
.LBB1_12406:
	s_or_b64 exec, exec, s[6:7]
	s_and_saveexec_b64 s[6:7], s[4:5]
	s_cbranch_execz .LBB1_12408
.LBB1_12407:
	v_bfe_u32 v3, v5, 16, 3
	v_ffbh_u32_e32 v7, v3
	v_min_u32_e32 v7, 32, v7
	v_lshrrev_b32_e32 v4, 19, v5
	v_subrev_u32_e32 v8, 28, v7
	v_and_b32_e32 v4, 15, v4
	v_lshlrev_b32_sdwa v8, v8, v5 dst_sel:DWORD dst_unused:UNUSED_PAD src0_sel:DWORD src1_sel:WORD_1
	v_bfe_u32 v6, v5, 19, 4
	v_sub_u32_e32 v7, 29, v7
	v_and_b32_e32 v8, 7, v8
	v_cmp_eq_u16_e32 vcc, 0, v4
	v_cndmask_b32_e32 v3, v3, v8, vcc
	v_cndmask_b32_e32 v4, v6, v7, vcc
	v_lshlrev_b32_e32 v6, 8, v5
	v_mov_b32_e32 v7, 0x3b800000
	v_lshlrev_b32_e32 v3, 20, v3
	v_and_b32_e32 v6, 0x80000000, v6
	v_lshl_add_u32 v4, v4, 23, v7
	v_or3_b32 v4, v6, v4, v3
.LBB1_12408:
	s_or_b64 exec, exec, s[6:7]
	s_nop 0
	v_mfma_f32_16x16x4f32 a[0:3], v2, v4, a[0:3]
	s_movk_i32 s4, 0x7f
	v_cmp_gt_i16_sdwa s[6:7], v9, s4 src0_sel:BYTE_3 src1_sel:DWORD
	s_mov_b64 s[4:5], 0
                                        ; implicit-def: $sgpr10
	s_and_saveexec_b64 s[8:9], s[6:7]
	s_xor_b64 s[6:7], exec, s[8:9]
	s_cbranch_execz .LBB1_12409
; %bb.48249:
	s_getpc_b64 s[14:15]
.Lpost_getpc9788:
	s_add_u32 s14, s14, (.LBB1_26745-.Lpost_getpc9788)&4294967295
	s_addc_u32 s15, s15, (.LBB1_26745-.Lpost_getpc9788)>>32
	s_setpc_b64 s[14:15]
.LBB1_12409:
	s_or_saveexec_b64 s[6:7], s[6:7]
	v_mov_b32_e32 v2, s10
	s_xor_b64 exec, exec, s[6:7]
	s_cbranch_execz .LBB1_12410
; %bb.48251:
	s_getpc_b64 s[14:15]
.Lpost_getpc9789:
	s_add_u32 s14, s14, (.LBB1_26748-.Lpost_getpc9789)&4294967295
	s_addc_u32 s15, s15, (.LBB1_26748-.Lpost_getpc9789)>>32
	s_setpc_b64 s[14:15]
.LBB1_12410:
	s_or_b64 exec, exec, s[6:7]
	s_and_saveexec_b64 s[6:7], s[4:5]
	s_cbranch_execz .LBB1_12412
.LBB1_12411:
	v_bfe_u32 v2, v9, 24, 3
	v_ffbh_u32_e32 v7, v2
	v_min_u32_e32 v7, 32, v7
	v_lshrrev_b32_e32 v4, 27, v9
	v_subrev_u32_e32 v8, 28, v7
	v_and_b32_e32 v4, 15, v4
	v_lshlrev_b32_sdwa v8, v8, v9 dst_sel:DWORD dst_unused:UNUSED_PAD src0_sel:DWORD src1_sel:BYTE_3
	v_bfe_u32 v6, v9, 27, 4
	v_sub_u32_e32 v7, 29, v7
	v_and_b32_e32 v8, 7, v8
	v_cmp_eq_u16_e32 vcc, 0, v4
	v_cndmask_b32_e32 v2, v2, v8, vcc
	v_cndmask_b32_e32 v4, v6, v7, vcc
	v_mov_b32_e32 v6, 0x3b800000
	v_and_b32_e32 v3, 0x80000000, v9
	v_lshlrev_b32_e32 v2, 20, v2
	v_lshl_add_u32 v4, v4, 23, v6
	v_or3_b32 v2, v3, v4, v2
.LBB1_12412:
	s_or_b64 exec, exec, s[6:7]
	s_movk_i32 s4, 0x7f
	v_cmp_gt_i16_sdwa s[6:7], v5, s4 src0_sel:BYTE_3 src1_sel:DWORD
	s_mov_b64 s[4:5], 0
                                        ; implicit-def: $sgpr10
	s_and_saveexec_b64 s[8:9], s[6:7]
	s_xor_b64 s[6:7], exec, s[8:9]
	s_cbranch_execz .LBB1_12413
; %bb.48253:
	s_getpc_b64 s[14:15]
.Lpost_getpc9790:
	s_add_u32 s14, s14, (.LBB1_26749-.Lpost_getpc9790)&4294967295
	s_addc_u32 s15, s15, (.LBB1_26749-.Lpost_getpc9790)>>32
	s_setpc_b64 s[14:15]
.LBB1_12413:
	s_or_saveexec_b64 s[6:7], s[6:7]
	v_mov_b32_e32 v3, s10
	s_xor_b64 exec, exec, s[6:7]
	s_cbranch_execz .LBB1_12414
; %bb.48255:
	s_getpc_b64 s[14:15]
.Lpost_getpc9791:
	s_add_u32 s14, s14, (.LBB1_26752-.Lpost_getpc9791)&4294967295
	s_addc_u32 s15, s15, (.LBB1_26752-.Lpost_getpc9791)>>32
	s_setpc_b64 s[14:15]
.LBB1_12414:
	s_or_b64 exec, exec, s[6:7]
	s_and_saveexec_b64 s[6:7], s[4:5]
	s_cbranch_execz .LBB1_12416
.LBB1_12415:
	v_bfe_u32 v3, v5, 24, 3
	v_ffbh_u32_e32 v8, v3
	v_min_u32_e32 v8, 32, v8
	v_lshrrev_b32_e32 v6, 27, v5
	v_subrev_u32_e32 v9, 28, v8
	v_and_b32_e32 v4, 0x80000000, v5
	v_and_b32_e32 v6, 15, v6
	v_bfe_u32 v7, v5, 27, 4
	v_lshlrev_b32_sdwa v5, v9, v5 dst_sel:DWORD dst_unused:UNUSED_PAD src0_sel:DWORD src1_sel:BYTE_3
	v_sub_u32_e32 v8, 29, v8
	v_and_b32_e32 v5, 7, v5
	v_cmp_eq_u16_e32 vcc, 0, v6
	v_cndmask_b32_e32 v3, v3, v5, vcc
	v_cndmask_b32_e32 v5, v7, v8, vcc
	v_mov_b32_e32 v6, 0x3b800000
	v_lshlrev_b32_e32 v3, 20, v3
	v_lshl_add_u32 v5, v5, 23, v6
	v_or3_b32 v3, v4, v5, v3
.LBB1_12416:
	s_or_b64 exec, exec, s[6:7]
	s_nop 0
	v_mfma_f32_16x16x4f32 a[0:3], v2, v3, a[0:3]
	s_movk_i32 s4, 0x7f
                                        ; implicit-def: $sgpr10
	s_nop 7
	s_nop 1
	flat_store_dwordx4 v[10:11], a[0:3] offset:640
	flat_load_dwordx4 v[12:15], v[0:1]
	s_nop 0
	flat_load_dwordx2 v[10:11], v[0:1] offset:16
	s_waitcnt vmcnt(0) lgkmcnt(0)
	flat_load_dwordx4 v[6:9], v[12:13] offset:192
	flat_load_dwordx4 v[2:5], v[14:15] offset:144
	s_waitcnt vmcnt(0) lgkmcnt(0)
	v_cmp_gt_i16_sdwa s[6:7], v6, s4 src0_sel:BYTE_0 src1_sel:DWORD
	s_mov_b64 s[4:5], 0
	s_and_saveexec_b64 s[8:9], s[6:7]
	s_xor_b64 s[6:7], exec, s[8:9]
	s_cbranch_execz .LBB1_12417
; %bb.48257:
	s_getpc_b64 s[14:15]
.Lpost_getpc9792:
	s_add_u32 s14, s14, (.LBB1_26753-.Lpost_getpc9792)&4294967295
	s_addc_u32 s15, s15, (.LBB1_26753-.Lpost_getpc9792)>>32
	s_setpc_b64 s[14:15]
.LBB1_12417:
	s_or_saveexec_b64 s[6:7], s[6:7]
	v_mov_b32_e32 v12, s10
	s_xor_b64 exec, exec, s[6:7]
	s_cbranch_execz .LBB1_12418
; %bb.48259:
	s_getpc_b64 s[14:15]
.Lpost_getpc9793:
	s_add_u32 s14, s14, (.LBB1_26756-.Lpost_getpc9793)&4294967295
	s_addc_u32 s15, s15, (.LBB1_26756-.Lpost_getpc9793)>>32
	s_setpc_b64 s[14:15]
.LBB1_12418:
	s_or_b64 exec, exec, s[6:7]
	s_and_saveexec_b64 s[6:7], s[4:5]
	s_cbranch_execz .LBB1_12420
.LBB1_12419:
	v_and_b32_e32 v12, 7, v6
	v_ffbh_u32_e32 v14, v12
	v_min_u32_e32 v14, 32, v14
	v_lshrrev_b16_e32 v13, 3, v6
	v_subrev_u32_e32 v15, 28, v14
	v_and_b32_e32 v13, 15, v13
	v_lshlrev_b32_e32 v15, v15, v6
	v_sub_u32_e32 v14, 29, v14
	v_and_b32_e32 v15, 7, v15
	v_cmp_eq_u16_e32 vcc, 0, v13
	v_cndmask_b32_e32 v12, v12, v15, vcc
	v_cndmask_b32_e32 v13, v13, v14, vcc
	v_lshlrev_b32_e32 v14, 24, v6
	v_mov_b32_e32 v15, 0x3b800000
	v_lshlrev_b32_e32 v12, 20, v12
	v_and_b32_e32 v14, 0x80000000, v14
	v_lshl_add_u32 v13, v13, 23, v15
	v_or3_b32 v12, v14, v13, v12
.LBB1_12420:
	s_or_b64 exec, exec, s[6:7]
	s_movk_i32 s4, 0x7f
	v_cmp_gt_i16_sdwa s[6:7], v2, s4 src0_sel:BYTE_0 src1_sel:DWORD
	s_mov_b64 s[4:5], 0
                                        ; implicit-def: $sgpr10
	s_and_saveexec_b64 s[8:9], s[6:7]
	s_xor_b64 s[6:7], exec, s[8:9]
	s_cbranch_execz .LBB1_12421
; %bb.48261:
	s_getpc_b64 s[14:15]
.Lpost_getpc9794:
	s_add_u32 s14, s14, (.LBB1_26757-.Lpost_getpc9794)&4294967295
	s_addc_u32 s15, s15, (.LBB1_26757-.Lpost_getpc9794)>>32
	s_setpc_b64 s[14:15]
.LBB1_12421:
	s_or_saveexec_b64 s[6:7], s[6:7]
	v_mov_b32_e32 v13, s10
	s_xor_b64 exec, exec, s[6:7]
	s_cbranch_execz .LBB1_12422
; %bb.48263:
	s_getpc_b64 s[14:15]
.Lpost_getpc9795:
	s_add_u32 s14, s14, (.LBB1_26760-.Lpost_getpc9795)&4294967295
	s_addc_u32 s15, s15, (.LBB1_26760-.Lpost_getpc9795)>>32
	s_setpc_b64 s[14:15]
.LBB1_12422:
	s_or_b64 exec, exec, s[6:7]
	s_and_saveexec_b64 s[6:7], s[4:5]
	s_cbranch_execz .LBB1_12424
.LBB1_12423:
	v_and_b32_e32 v13, 7, v2
	v_ffbh_u32_e32 v15, v13
	v_min_u32_e32 v15, 32, v15
	v_lshrrev_b16_e32 v14, 3, v2
	v_subrev_u32_e32 v16, 28, v15
	v_and_b32_e32 v14, 15, v14
	v_lshlrev_b32_e32 v16, v16, v2
	v_sub_u32_e32 v15, 29, v15
	v_and_b32_e32 v16, 7, v16
	v_cmp_eq_u16_e32 vcc, 0, v14
	v_cndmask_b32_e32 v13, v13, v16, vcc
	v_cndmask_b32_e32 v14, v14, v15, vcc
	v_lshlrev_b32_e32 v15, 24, v2
	v_mov_b32_e32 v16, 0x3b800000
	v_lshlrev_b32_e32 v13, 20, v13
	v_and_b32_e32 v15, 0x80000000, v15
	v_lshl_add_u32 v14, v14, 23, v16
	v_or3_b32 v13, v15, v14, v13
.LBB1_12424:
	s_or_b64 exec, exec, s[6:7]
	flat_load_dwordx4 a[0:3], v[10:11] offset:656
	s_movk_i32 s4, 0x7f
                                        ; implicit-def: $sgpr10
	s_waitcnt vmcnt(0) lgkmcnt(0)
	v_mfma_f32_16x16x4f32 a[0:3], v12, v13, a[0:3]
	v_lshrrev_b32_e32 v13, 8, v6
	v_cmp_gt_i16_sdwa s[6:7], v13, s4 src0_sel:BYTE_0 src1_sel:DWORD
	s_mov_b64 s[4:5], 0
	s_and_saveexec_b64 s[8:9], s[6:7]
	s_xor_b64 s[6:7], exec, s[8:9]
	s_cbranch_execz .LBB1_12425
; %bb.48265:
	s_getpc_b64 s[14:15]
.Lpost_getpc9796:
	s_add_u32 s14, s14, (.LBB1_26761-.Lpost_getpc9796)&4294967295
	s_addc_u32 s15, s15, (.LBB1_26761-.Lpost_getpc9796)>>32
	s_setpc_b64 s[14:15]
.LBB1_12425:
	s_or_saveexec_b64 s[6:7], s[6:7]
	v_mov_b32_e32 v12, s10
	s_xor_b64 exec, exec, s[6:7]
	s_cbranch_execz .LBB1_12426
; %bb.48267:
	s_getpc_b64 s[14:15]
.Lpost_getpc9797:
	s_add_u32 s14, s14, (.LBB1_26764-.Lpost_getpc9797)&4294967295
	s_addc_u32 s15, s15, (.LBB1_26764-.Lpost_getpc9797)>>32
	s_setpc_b64 s[14:15]
.LBB1_12426:
	s_or_b64 exec, exec, s[6:7]
	s_and_saveexec_b64 s[6:7], s[4:5]
	s_cbranch_execz .LBB1_12428
.LBB1_12427:
	v_bfe_u32 v12, v6, 8, 3
	v_ffbh_u32_e32 v15, v12
	v_min_u32_e32 v15, 32, v15
	v_lshrrev_b16_e32 v14, 3, v13
	v_subrev_u32_e32 v16, 28, v15
	v_and_b32_e32 v14, 15, v14
	v_lshlrev_b32_e32 v13, v16, v13
	v_sub_u32_e32 v15, 29, v15
	v_and_b32_e32 v13, 7, v13
	v_cmp_eq_u16_e32 vcc, 0, v14
	v_cndmask_b32_e32 v12, v12, v13, vcc
	v_cndmask_b32_e32 v13, v14, v15, vcc
	v_lshlrev_b32_e32 v14, 16, v6
	v_mov_b32_e32 v15, 0x3b800000
	v_lshlrev_b32_e32 v12, 20, v12
	v_and_b32_e32 v14, 0x80000000, v14
	v_lshl_add_u32 v13, v13, 23, v15
	v_or3_b32 v12, v14, v13, v12
.LBB1_12428:
	s_or_b64 exec, exec, s[6:7]
	v_lshrrev_b32_e32 v13, 8, v2
	s_movk_i32 s4, 0x7f
	v_cmp_gt_i16_sdwa s[6:7], v13, s4 src0_sel:BYTE_0 src1_sel:DWORD
	s_mov_b64 s[4:5], 0
                                        ; implicit-def: $sgpr10
	s_and_saveexec_b64 s[8:9], s[6:7]
	s_xor_b64 s[6:7], exec, s[8:9]
	s_cbranch_execz .LBB1_12429
; %bb.48269:
	s_getpc_b64 s[14:15]
.Lpost_getpc9798:
	s_add_u32 s14, s14, (.LBB1_26765-.Lpost_getpc9798)&4294967295
	s_addc_u32 s15, s15, (.LBB1_26765-.Lpost_getpc9798)>>32
	s_setpc_b64 s[14:15]
.LBB1_12429:
	s_or_saveexec_b64 s[6:7], s[6:7]
	v_mov_b32_e32 v14, s10
	s_xor_b64 exec, exec, s[6:7]
	s_cbranch_execz .LBB1_12430
; %bb.48271:
	s_getpc_b64 s[14:15]
.Lpost_getpc9799:
	s_add_u32 s14, s14, (.LBB1_26768-.Lpost_getpc9799)&4294967295
	s_addc_u32 s15, s15, (.LBB1_26768-.Lpost_getpc9799)>>32
	s_setpc_b64 s[14:15]
.LBB1_12430:
	s_or_b64 exec, exec, s[6:7]
	s_and_saveexec_b64 s[6:7], s[4:5]
	s_cbranch_execz .LBB1_12432
.LBB1_12431:
	v_bfe_u32 v14, v2, 8, 3
	v_ffbh_u32_e32 v16, v14
	v_min_u32_e32 v16, 32, v16
	v_lshrrev_b16_e32 v15, 3, v13
	v_subrev_u32_e32 v17, 28, v16
	v_and_b32_e32 v15, 15, v15
	v_lshlrev_b32_e32 v13, v17, v13
	v_sub_u32_e32 v16, 29, v16
	v_and_b32_e32 v13, 7, v13
	v_cmp_eq_u16_e32 vcc, 0, v15
	v_cndmask_b32_e32 v13, v14, v13, vcc
	v_cndmask_b32_e32 v14, v15, v16, vcc
	v_lshlrev_b32_e32 v15, 16, v2
	v_mov_b32_e32 v16, 0x3b800000
	v_lshlrev_b32_e32 v13, 20, v13
	v_and_b32_e32 v15, 0x80000000, v15
	v_lshl_add_u32 v14, v14, 23, v16
	v_or3_b32 v14, v15, v14, v13
.LBB1_12432:
	s_or_b64 exec, exec, s[6:7]
	s_nop 0
	v_mfma_f32_16x16x4f32 a[0:3], v12, v14, a[0:3]
	s_movk_i32 s4, 0xff
	v_and_b32_sdwa v13, v6, s4 dst_sel:DWORD dst_unused:UNUSED_PAD src0_sel:WORD_1 src1_sel:DWORD
	s_movk_i32 s4, 0x7f
	v_cmp_lt_i16_e32 vcc, s4, v13
	s_mov_b64 s[4:5], 0
                                        ; implicit-def: $sgpr10
	s_and_saveexec_b64 s[6:7], vcc
	s_xor_b64 s[6:7], exec, s[6:7]
	s_cbranch_execz .LBB1_12433
; %bb.48273:
	s_getpc_b64 s[14:15]
.Lpost_getpc9800:
	s_add_u32 s14, s14, (.LBB1_26769-.Lpost_getpc9800)&4294967295
	s_addc_u32 s15, s15, (.LBB1_26769-.Lpost_getpc9800)>>32
	s_setpc_b64 s[14:15]
.LBB1_12433:
	s_or_saveexec_b64 s[6:7], s[6:7]
	v_mov_b32_e32 v12, s10
	s_xor_b64 exec, exec, s[6:7]
	s_cbranch_execz .LBB1_12434
; %bb.48275:
	s_getpc_b64 s[14:15]
.Lpost_getpc9801:
	s_add_u32 s14, s14, (.LBB1_26772-.Lpost_getpc9801)&4294967295
	s_addc_u32 s15, s15, (.LBB1_26772-.Lpost_getpc9801)>>32
	s_setpc_b64 s[14:15]
.LBB1_12434:
	s_or_b64 exec, exec, s[6:7]
	s_and_saveexec_b64 s[6:7], s[4:5]
	s_cbranch_execz .LBB1_12436
.LBB1_12435:
	v_bfe_u32 v12, v6, 16, 3
	v_ffbh_u32_e32 v15, v12
	v_min_u32_e32 v15, 32, v15
	v_lshrrev_b32_e32 v13, 19, v6
	v_subrev_u32_e32 v16, 28, v15
	v_and_b32_e32 v13, 15, v13
	v_lshlrev_b32_sdwa v16, v16, v6 dst_sel:DWORD dst_unused:UNUSED_PAD src0_sel:DWORD src1_sel:WORD_1
	v_bfe_u32 v14, v6, 19, 4
	v_sub_u32_e32 v15, 29, v15
	v_and_b32_e32 v16, 7, v16
	v_cmp_eq_u16_e32 vcc, 0, v13
	v_cndmask_b32_e32 v12, v12, v16, vcc
	v_cndmask_b32_e32 v13, v14, v15, vcc
	v_lshlrev_b32_e32 v14, 8, v6
	v_mov_b32_e32 v15, 0x3b800000
	v_lshlrev_b32_e32 v12, 20, v12
	v_and_b32_e32 v14, 0x80000000, v14
	v_lshl_add_u32 v13, v13, 23, v15
	v_or3_b32 v12, v14, v13, v12
.LBB1_12436:
	s_or_b64 exec, exec, s[6:7]
	s_movk_i32 s4, 0xff
	v_and_b32_sdwa v13, v2, s4 dst_sel:DWORD dst_unused:UNUSED_PAD src0_sel:WORD_1 src1_sel:DWORD
	s_movk_i32 s4, 0x7f
	v_cmp_lt_i16_e32 vcc, s4, v13
	s_mov_b64 s[4:5], 0
                                        ; implicit-def: $sgpr10
	s_and_saveexec_b64 s[6:7], vcc
	s_xor_b64 s[6:7], exec, s[6:7]
	s_cbranch_execz .LBB1_12437
; %bb.48277:
	s_getpc_b64 s[14:15]
.Lpost_getpc9802:
	s_add_u32 s14, s14, (.LBB1_26773-.Lpost_getpc9802)&4294967295
	s_addc_u32 s15, s15, (.LBB1_26773-.Lpost_getpc9802)>>32
	s_setpc_b64 s[14:15]
.LBB1_12437:
	s_or_saveexec_b64 s[6:7], s[6:7]
	v_mov_b32_e32 v14, s10
	s_xor_b64 exec, exec, s[6:7]
	s_cbranch_execz .LBB1_12438
; %bb.48279:
	s_getpc_b64 s[14:15]
.Lpost_getpc9803:
	s_add_u32 s14, s14, (.LBB1_26776-.Lpost_getpc9803)&4294967295
	s_addc_u32 s15, s15, (.LBB1_26776-.Lpost_getpc9803)>>32
	s_setpc_b64 s[14:15]
.LBB1_12438:
	s_or_b64 exec, exec, s[6:7]
	s_and_saveexec_b64 s[6:7], s[4:5]
	s_cbranch_execz .LBB1_12440
.LBB1_12439:
	v_bfe_u32 v13, v2, 16, 3
	v_ffbh_u32_e32 v16, v13
	v_min_u32_e32 v16, 32, v16
	v_lshrrev_b32_e32 v14, 19, v2
	v_subrev_u32_e32 v17, 28, v16
	v_and_b32_e32 v14, 15, v14
	v_lshlrev_b32_sdwa v17, v17, v2 dst_sel:DWORD dst_unused:UNUSED_PAD src0_sel:DWORD src1_sel:WORD_1
	v_bfe_u32 v15, v2, 19, 4
	v_sub_u32_e32 v16, 29, v16
	v_and_b32_e32 v17, 7, v17
	v_cmp_eq_u16_e32 vcc, 0, v14
	v_cndmask_b32_e32 v13, v13, v17, vcc
	v_cndmask_b32_e32 v14, v15, v16, vcc
	v_lshlrev_b32_e32 v15, 8, v2
	v_mov_b32_e32 v16, 0x3b800000
	v_lshlrev_b32_e32 v13, 20, v13
	v_and_b32_e32 v15, 0x80000000, v15
	v_lshl_add_u32 v14, v14, 23, v16
	v_or3_b32 v14, v15, v14, v13
.LBB1_12440:
	s_or_b64 exec, exec, s[6:7]
	s_nop 0
	v_mfma_f32_16x16x4f32 a[0:3], v12, v14, a[0:3]
	s_movk_i32 s4, 0x7f
	v_cmp_gt_i16_sdwa s[6:7], v6, s4 src0_sel:BYTE_3 src1_sel:DWORD
	s_mov_b64 s[4:5], 0
                                        ; implicit-def: $sgpr10
	s_and_saveexec_b64 s[8:9], s[6:7]
	s_xor_b64 s[6:7], exec, s[8:9]
	s_cbranch_execz .LBB1_12441
; %bb.48281:
	s_getpc_b64 s[14:15]
.Lpost_getpc9804:
	s_add_u32 s14, s14, (.LBB1_26777-.Lpost_getpc9804)&4294967295
	s_addc_u32 s15, s15, (.LBB1_26777-.Lpost_getpc9804)>>32
	s_setpc_b64 s[14:15]
.LBB1_12441:
	s_or_saveexec_b64 s[6:7], s[6:7]
	v_mov_b32_e32 v12, s10
	s_xor_b64 exec, exec, s[6:7]
	s_cbranch_execz .LBB1_12442
; %bb.48283:
	s_getpc_b64 s[14:15]
.Lpost_getpc9805:
	s_add_u32 s14, s14, (.LBB1_26780-.Lpost_getpc9805)&4294967295
	s_addc_u32 s15, s15, (.LBB1_26780-.Lpost_getpc9805)>>32
	s_setpc_b64 s[14:15]
.LBB1_12442:
	s_or_b64 exec, exec, s[6:7]
	s_and_saveexec_b64 s[6:7], s[4:5]
	s_cbranch_execz .LBB1_12444
.LBB1_12443:
	v_bfe_u32 v12, v6, 24, 3
	v_ffbh_u32_e32 v16, v12
	v_min_u32_e32 v16, 32, v16
	v_lshrrev_b32_e32 v14, 27, v6
	v_subrev_u32_e32 v17, 28, v16
	v_and_b32_e32 v13, 0x80000000, v6
	v_and_b32_e32 v14, 15, v14
	v_bfe_u32 v15, v6, 27, 4
	v_lshlrev_b32_sdwa v6, v17, v6 dst_sel:DWORD dst_unused:UNUSED_PAD src0_sel:DWORD src1_sel:BYTE_3
	v_sub_u32_e32 v16, 29, v16
	v_and_b32_e32 v6, 7, v6
	v_cmp_eq_u16_e32 vcc, 0, v14
	v_cndmask_b32_e32 v6, v12, v6, vcc
	v_cndmask_b32_e32 v12, v15, v16, vcc
	v_mov_b32_e32 v14, 0x3b800000
	v_lshlrev_b32_e32 v6, 20, v6
	v_lshl_add_u32 v12, v12, 23, v14
	v_or3_b32 v12, v13, v12, v6
.LBB1_12444:
	s_or_b64 exec, exec, s[6:7]
	s_movk_i32 s4, 0x7f
	v_cmp_gt_i16_sdwa s[6:7], v2, s4 src0_sel:BYTE_3 src1_sel:DWORD
	s_mov_b64 s[4:5], 0
                                        ; implicit-def: $sgpr10
	s_and_saveexec_b64 s[8:9], s[6:7]
	s_xor_b64 s[6:7], exec, s[8:9]
	s_cbranch_execz .LBB1_12445
; %bb.48285:
	s_getpc_b64 s[14:15]
.Lpost_getpc9806:
	s_add_u32 s14, s14, (.LBB1_26781-.Lpost_getpc9806)&4294967295
	s_addc_u32 s15, s15, (.LBB1_26781-.Lpost_getpc9806)>>32
	s_setpc_b64 s[14:15]
.LBB1_12445:
	s_or_saveexec_b64 s[6:7], s[6:7]
	v_mov_b32_e32 v6, s10
	s_xor_b64 exec, exec, s[6:7]
	s_cbranch_execz .LBB1_12446
; %bb.48287:
	s_getpc_b64 s[14:15]
.Lpost_getpc9807:
	s_add_u32 s14, s14, (.LBB1_26784-.Lpost_getpc9807)&4294967295
	s_addc_u32 s15, s15, (.LBB1_26784-.Lpost_getpc9807)>>32
	s_setpc_b64 s[14:15]
.LBB1_12446:
	s_or_b64 exec, exec, s[6:7]
	s_and_saveexec_b64 s[6:7], s[4:5]
	s_cbranch_execz .LBB1_12448
.LBB1_12447:
	v_bfe_u32 v6, v2, 24, 3
	v_ffbh_u32_e32 v16, v6
	v_min_u32_e32 v16, 32, v16
	v_lshrrev_b32_e32 v14, 27, v2
	v_subrev_u32_e32 v17, 28, v16
	v_and_b32_e32 v13, 0x80000000, v2
	v_and_b32_e32 v14, 15, v14
	v_bfe_u32 v15, v2, 27, 4
	v_lshlrev_b32_sdwa v2, v17, v2 dst_sel:DWORD dst_unused:UNUSED_PAD src0_sel:DWORD src1_sel:BYTE_3
	v_sub_u32_e32 v16, 29, v16
	v_and_b32_e32 v2, 7, v2
	v_cmp_eq_u16_e32 vcc, 0, v14
	v_cndmask_b32_e32 v2, v6, v2, vcc
	v_cndmask_b32_e32 v6, v15, v16, vcc
	v_mov_b32_e32 v14, 0x3b800000
	v_lshlrev_b32_e32 v2, 20, v2
	v_lshl_add_u32 v6, v6, 23, v14
	v_or3_b32 v6, v13, v6, v2
.LBB1_12448:
	s_or_b64 exec, exec, s[6:7]
	s_nop 0
	v_mfma_f32_16x16x4f32 a[0:3], v12, v6, a[0:3]
	s_movk_i32 s4, 0x7f
	v_cmp_gt_i16_sdwa s[6:7], v7, s4 src0_sel:BYTE_0 src1_sel:DWORD
	s_mov_b64 s[4:5], 0
                                        ; implicit-def: $sgpr10
	s_and_saveexec_b64 s[8:9], s[6:7]
	s_xor_b64 s[6:7], exec, s[8:9]
	s_cbranch_execz .LBB1_12449
; %bb.48289:
	s_getpc_b64 s[14:15]
.Lpost_getpc9808:
	s_add_u32 s14, s14, (.LBB1_26785-.Lpost_getpc9808)&4294967295
	s_addc_u32 s15, s15, (.LBB1_26785-.Lpost_getpc9808)>>32
	s_setpc_b64 s[14:15]
.LBB1_12449:
	s_or_saveexec_b64 s[6:7], s[6:7]
	v_mov_b32_e32 v2, s10
	s_xor_b64 exec, exec, s[6:7]
	s_cbranch_execz .LBB1_12450
; %bb.48291:
	s_getpc_b64 s[14:15]
.Lpost_getpc9809:
	s_add_u32 s14, s14, (.LBB1_26788-.Lpost_getpc9809)&4294967295
	s_addc_u32 s15, s15, (.LBB1_26788-.Lpost_getpc9809)>>32
	s_setpc_b64 s[14:15]
.LBB1_12450:
	s_or_b64 exec, exec, s[6:7]
	s_and_saveexec_b64 s[6:7], s[4:5]
	s_cbranch_execz .LBB1_12452
.LBB1_12451:
	v_and_b32_e32 v2, 7, v7
	v_ffbh_u32_e32 v12, v2
	v_min_u32_e32 v12, 32, v12
	v_lshrrev_b16_e32 v6, 3, v7
	v_subrev_u32_e32 v13, 28, v12
	v_and_b32_e32 v6, 15, v6
	v_lshlrev_b32_e32 v13, v13, v7
	v_sub_u32_e32 v12, 29, v12
	v_and_b32_e32 v13, 7, v13
	v_cmp_eq_u16_e32 vcc, 0, v6
	v_cndmask_b32_e32 v2, v2, v13, vcc
	v_cndmask_b32_e32 v6, v6, v12, vcc
	v_lshlrev_b32_e32 v12, 24, v7
	v_mov_b32_e32 v13, 0x3b800000
	v_lshlrev_b32_e32 v2, 20, v2
	v_and_b32_e32 v12, 0x80000000, v12
	v_lshl_add_u32 v6, v6, 23, v13
	v_or3_b32 v2, v12, v6, v2
.LBB1_12452:
	s_or_b64 exec, exec, s[6:7]
	s_movk_i32 s4, 0x7f
	v_cmp_gt_i16_sdwa s[6:7], v3, s4 src0_sel:BYTE_0 src1_sel:DWORD
	s_mov_b64 s[4:5], 0
                                        ; implicit-def: $sgpr10
	s_and_saveexec_b64 s[8:9], s[6:7]
	s_xor_b64 s[6:7], exec, s[8:9]
	s_cbranch_execz .LBB1_12453
; %bb.48293:
	s_getpc_b64 s[14:15]
.Lpost_getpc9810:
	s_add_u32 s14, s14, (.LBB1_26789-.Lpost_getpc9810)&4294967295
	s_addc_u32 s15, s15, (.LBB1_26789-.Lpost_getpc9810)>>32
	s_setpc_b64 s[14:15]
.LBB1_12453:
	s_or_saveexec_b64 s[6:7], s[6:7]
	v_mov_b32_e32 v6, s10
	s_xor_b64 exec, exec, s[6:7]
	s_cbranch_execz .LBB1_12454
; %bb.48295:
	s_getpc_b64 s[14:15]
.Lpost_getpc9811:
	s_add_u32 s14, s14, (.LBB1_26792-.Lpost_getpc9811)&4294967295
	s_addc_u32 s15, s15, (.LBB1_26792-.Lpost_getpc9811)>>32
	s_setpc_b64 s[14:15]
.LBB1_12454:
	s_or_b64 exec, exec, s[6:7]
	s_and_saveexec_b64 s[6:7], s[4:5]
	s_cbranch_execz .LBB1_12456
.LBB1_12455:
	v_and_b32_e32 v6, 7, v3
	v_ffbh_u32_e32 v13, v6
	v_min_u32_e32 v13, 32, v13
	v_lshrrev_b16_e32 v12, 3, v3
	v_subrev_u32_e32 v14, 28, v13
	v_and_b32_e32 v12, 15, v12
	v_lshlrev_b32_e32 v14, v14, v3
	v_sub_u32_e32 v13, 29, v13
	v_and_b32_e32 v14, 7, v14
	v_cmp_eq_u16_e32 vcc, 0, v12
	v_cndmask_b32_e32 v6, v6, v14, vcc
	v_cndmask_b32_e32 v12, v12, v13, vcc
	v_lshlrev_b32_e32 v13, 24, v3
	v_mov_b32_e32 v14, 0x3b800000
	v_lshlrev_b32_e32 v6, 20, v6
	v_and_b32_e32 v13, 0x80000000, v13
	v_lshl_add_u32 v12, v12, 23, v14
	v_or3_b32 v6, v13, v12, v6
.LBB1_12456:
	s_or_b64 exec, exec, s[6:7]
	s_nop 0
	v_mfma_f32_16x16x4f32 a[0:3], v2, v6, a[0:3]
	v_lshrrev_b32_e32 v6, 8, v7
	s_movk_i32 s4, 0x7f
	v_cmp_gt_i16_sdwa s[6:7], v6, s4 src0_sel:BYTE_0 src1_sel:DWORD
	s_mov_b64 s[4:5], 0
                                        ; implicit-def: $sgpr10
	s_and_saveexec_b64 s[8:9], s[6:7]
	s_xor_b64 s[6:7], exec, s[8:9]
	s_cbranch_execz .LBB1_12457
; %bb.48297:
	s_getpc_b64 s[14:15]
.Lpost_getpc9812:
	s_add_u32 s14, s14, (.LBB1_26793-.Lpost_getpc9812)&4294967295
	s_addc_u32 s15, s15, (.LBB1_26793-.Lpost_getpc9812)>>32
	s_setpc_b64 s[14:15]
.LBB1_12457:
	s_or_saveexec_b64 s[6:7], s[6:7]
	v_mov_b32_e32 v2, s10
	s_xor_b64 exec, exec, s[6:7]
	s_cbranch_execz .LBB1_12458
; %bb.48299:
	s_getpc_b64 s[14:15]
.Lpost_getpc9813:
	s_add_u32 s14, s14, (.LBB1_26796-.Lpost_getpc9813)&4294967295
	s_addc_u32 s15, s15, (.LBB1_26796-.Lpost_getpc9813)>>32
	s_setpc_b64 s[14:15]
.LBB1_12458:
	s_or_b64 exec, exec, s[6:7]
	s_and_saveexec_b64 s[6:7], s[4:5]
	s_cbranch_execz .LBB1_12460
.LBB1_12459:
	v_bfe_u32 v2, v7, 8, 3
	v_ffbh_u32_e32 v13, v2
	v_min_u32_e32 v13, 32, v13
	v_lshrrev_b16_e32 v12, 3, v6
	v_subrev_u32_e32 v14, 28, v13
	v_and_b32_e32 v12, 15, v12
	v_lshlrev_b32_e32 v6, v14, v6
	v_sub_u32_e32 v13, 29, v13
	v_and_b32_e32 v6, 7, v6
	v_cmp_eq_u16_e32 vcc, 0, v12
	v_cndmask_b32_e32 v2, v2, v6, vcc
	v_cndmask_b32_e32 v6, v12, v13, vcc
	v_lshlrev_b32_e32 v12, 16, v7
	v_mov_b32_e32 v13, 0x3b800000
	v_lshlrev_b32_e32 v2, 20, v2
	v_and_b32_e32 v12, 0x80000000, v12
	v_lshl_add_u32 v6, v6, 23, v13
	v_or3_b32 v2, v12, v6, v2
.LBB1_12460:
	s_or_b64 exec, exec, s[6:7]
	v_lshrrev_b32_e32 v6, 8, v3
	s_movk_i32 s4, 0x7f
	v_cmp_gt_i16_sdwa s[6:7], v6, s4 src0_sel:BYTE_0 src1_sel:DWORD
	s_mov_b64 s[4:5], 0
                                        ; implicit-def: $sgpr10
	s_and_saveexec_b64 s[8:9], s[6:7]
	s_xor_b64 s[6:7], exec, s[8:9]
	s_cbranch_execz .LBB1_12461
; %bb.48301:
	s_getpc_b64 s[14:15]
.Lpost_getpc9814:
	s_add_u32 s14, s14, (.LBB1_26797-.Lpost_getpc9814)&4294967295
	s_addc_u32 s15, s15, (.LBB1_26797-.Lpost_getpc9814)>>32
	s_setpc_b64 s[14:15]
.LBB1_12461:
	s_or_saveexec_b64 s[6:7], s[6:7]
	v_mov_b32_e32 v12, s10
	s_xor_b64 exec, exec, s[6:7]
	s_cbranch_execz .LBB1_12462
; %bb.48303:
	s_getpc_b64 s[14:15]
.Lpost_getpc9815:
	s_add_u32 s14, s14, (.LBB1_26800-.Lpost_getpc9815)&4294967295
	s_addc_u32 s15, s15, (.LBB1_26800-.Lpost_getpc9815)>>32
	s_setpc_b64 s[14:15]
.LBB1_12462:
	s_or_b64 exec, exec, s[6:7]
	s_and_saveexec_b64 s[6:7], s[4:5]
	s_cbranch_execz .LBB1_12464
.LBB1_12463:
	v_bfe_u32 v12, v3, 8, 3
	v_ffbh_u32_e32 v14, v12
	v_min_u32_e32 v14, 32, v14
	v_lshrrev_b16_e32 v13, 3, v6
	v_subrev_u32_e32 v15, 28, v14
	v_and_b32_e32 v13, 15, v13
	v_lshlrev_b32_e32 v6, v15, v6
	v_sub_u32_e32 v14, 29, v14
	v_and_b32_e32 v6, 7, v6
	v_cmp_eq_u16_e32 vcc, 0, v13
	v_cndmask_b32_e32 v6, v12, v6, vcc
	v_cndmask_b32_e32 v12, v13, v14, vcc
	v_lshlrev_b32_e32 v13, 16, v3
	v_mov_b32_e32 v14, 0x3b800000
	v_lshlrev_b32_e32 v6, 20, v6
	v_and_b32_e32 v13, 0x80000000, v13
	v_lshl_add_u32 v12, v12, 23, v14
	v_or3_b32 v12, v13, v12, v6
.LBB1_12464:
	s_or_b64 exec, exec, s[6:7]
	s_nop 0
	v_mfma_f32_16x16x4f32 a[0:3], v2, v12, a[0:3]
	s_movk_i32 s4, 0xff
	v_and_b32_sdwa v6, v7, s4 dst_sel:DWORD dst_unused:UNUSED_PAD src0_sel:WORD_1 src1_sel:DWORD
	s_movk_i32 s4, 0x7f
	v_cmp_lt_i16_e32 vcc, s4, v6
	s_mov_b64 s[4:5], 0
                                        ; implicit-def: $sgpr10
	s_and_saveexec_b64 s[6:7], vcc
	s_xor_b64 s[6:7], exec, s[6:7]
	s_cbranch_execz .LBB1_12465
; %bb.48305:
	s_getpc_b64 s[14:15]
.Lpost_getpc9816:
	s_add_u32 s14, s14, (.LBB1_26801-.Lpost_getpc9816)&4294967295
	s_addc_u32 s15, s15, (.LBB1_26801-.Lpost_getpc9816)>>32
	s_setpc_b64 s[14:15]
.LBB1_12465:
	s_or_saveexec_b64 s[6:7], s[6:7]
	v_mov_b32_e32 v2, s10
	s_xor_b64 exec, exec, s[6:7]
	s_cbranch_execz .LBB1_12466
; %bb.48307:
	s_getpc_b64 s[14:15]
.Lpost_getpc9817:
	s_add_u32 s14, s14, (.LBB1_26804-.Lpost_getpc9817)&4294967295
	s_addc_u32 s15, s15, (.LBB1_26804-.Lpost_getpc9817)>>32
	s_setpc_b64 s[14:15]
.LBB1_12466:
	s_or_b64 exec, exec, s[6:7]
	s_and_saveexec_b64 s[6:7], s[4:5]
	s_cbranch_execz .LBB1_12468
.LBB1_12467:
	v_bfe_u32 v2, v7, 16, 3
	v_ffbh_u32_e32 v13, v2
	v_min_u32_e32 v13, 32, v13
	v_lshrrev_b32_e32 v6, 19, v7
	v_subrev_u32_e32 v14, 28, v13
	v_and_b32_e32 v6, 15, v6
	v_lshlrev_b32_sdwa v14, v14, v7 dst_sel:DWORD dst_unused:UNUSED_PAD src0_sel:DWORD src1_sel:WORD_1
	v_bfe_u32 v12, v7, 19, 4
	v_sub_u32_e32 v13, 29, v13
	v_and_b32_e32 v14, 7, v14
	v_cmp_eq_u16_e32 vcc, 0, v6
	v_cndmask_b32_e32 v2, v2, v14, vcc
	v_cndmask_b32_e32 v6, v12, v13, vcc
	v_lshlrev_b32_e32 v12, 8, v7
	v_mov_b32_e32 v13, 0x3b800000
	v_lshlrev_b32_e32 v2, 20, v2
	v_and_b32_e32 v12, 0x80000000, v12
	v_lshl_add_u32 v6, v6, 23, v13
	v_or3_b32 v2, v12, v6, v2
.LBB1_12468:
	s_or_b64 exec, exec, s[6:7]
	s_movk_i32 s4, 0xff
	v_and_b32_sdwa v6, v3, s4 dst_sel:DWORD dst_unused:UNUSED_PAD src0_sel:WORD_1 src1_sel:DWORD
	s_movk_i32 s4, 0x7f
	v_cmp_lt_i16_e32 vcc, s4, v6
	s_mov_b64 s[4:5], 0
                                        ; implicit-def: $sgpr10
	s_and_saveexec_b64 s[6:7], vcc
	s_xor_b64 s[6:7], exec, s[6:7]
	s_cbranch_execz .LBB1_12469
; %bb.48309:
	s_getpc_b64 s[14:15]
.Lpost_getpc9818:
	s_add_u32 s14, s14, (.LBB1_26805-.Lpost_getpc9818)&4294967295
	s_addc_u32 s15, s15, (.LBB1_26805-.Lpost_getpc9818)>>32
	s_setpc_b64 s[14:15]
.LBB1_12469:
	s_or_saveexec_b64 s[6:7], s[6:7]
	v_mov_b32_e32 v12, s10
	s_xor_b64 exec, exec, s[6:7]
	s_cbranch_execz .LBB1_12470
; %bb.48311:
	s_getpc_b64 s[14:15]
.Lpost_getpc9819:
	s_add_u32 s14, s14, (.LBB1_26808-.Lpost_getpc9819)&4294967295
	s_addc_u32 s15, s15, (.LBB1_26808-.Lpost_getpc9819)>>32
	s_setpc_b64 s[14:15]
.LBB1_12470:
	s_or_b64 exec, exec, s[6:7]
	s_and_saveexec_b64 s[6:7], s[4:5]
	s_cbranch_execz .LBB1_12472
.LBB1_12471:
	v_bfe_u32 v6, v3, 16, 3
	v_ffbh_u32_e32 v14, v6
	v_min_u32_e32 v14, 32, v14
	v_lshrrev_b32_e32 v12, 19, v3
	v_subrev_u32_e32 v15, 28, v14
	v_and_b32_e32 v12, 15, v12
	v_lshlrev_b32_sdwa v15, v15, v3 dst_sel:DWORD dst_unused:UNUSED_PAD src0_sel:DWORD src1_sel:WORD_1
	v_bfe_u32 v13, v3, 19, 4
	v_sub_u32_e32 v14, 29, v14
	v_and_b32_e32 v15, 7, v15
	v_cmp_eq_u16_e32 vcc, 0, v12
	v_cndmask_b32_e32 v6, v6, v15, vcc
	v_cndmask_b32_e32 v12, v13, v14, vcc
	v_lshlrev_b32_e32 v13, 8, v3
	v_mov_b32_e32 v14, 0x3b800000
	v_lshlrev_b32_e32 v6, 20, v6
	v_and_b32_e32 v13, 0x80000000, v13
	v_lshl_add_u32 v12, v12, 23, v14
	v_or3_b32 v12, v13, v12, v6
.LBB1_12472:
	s_or_b64 exec, exec, s[6:7]
	s_nop 0
	v_mfma_f32_16x16x4f32 a[0:3], v2, v12, a[0:3]
	s_movk_i32 s4, 0x7f
	v_cmp_gt_i16_sdwa s[6:7], v7, s4 src0_sel:BYTE_3 src1_sel:DWORD
	s_mov_b64 s[4:5], 0
                                        ; implicit-def: $sgpr10
	s_and_saveexec_b64 s[8:9], s[6:7]
	s_xor_b64 s[6:7], exec, s[8:9]
	s_cbranch_execz .LBB1_12473
; %bb.48313:
	s_getpc_b64 s[14:15]
.Lpost_getpc9820:
	s_add_u32 s14, s14, (.LBB1_26809-.Lpost_getpc9820)&4294967295
	s_addc_u32 s15, s15, (.LBB1_26809-.Lpost_getpc9820)>>32
	s_setpc_b64 s[14:15]
.LBB1_12473:
	s_or_saveexec_b64 s[6:7], s[6:7]
	v_mov_b32_e32 v2, s10
	s_xor_b64 exec, exec, s[6:7]
	s_cbranch_execz .LBB1_12474
; %bb.48315:
	s_getpc_b64 s[14:15]
.Lpost_getpc9821:
	s_add_u32 s14, s14, (.LBB1_26812-.Lpost_getpc9821)&4294967295
	s_addc_u32 s15, s15, (.LBB1_26812-.Lpost_getpc9821)>>32
	s_setpc_b64 s[14:15]
.LBB1_12474:
	s_or_b64 exec, exec, s[6:7]
	s_and_saveexec_b64 s[6:7], s[4:5]
	s_cbranch_execz .LBB1_12476
.LBB1_12475:
	v_bfe_u32 v2, v7, 24, 3
	v_ffbh_u32_e32 v14, v2
	v_min_u32_e32 v14, 32, v14
	v_lshrrev_b32_e32 v12, 27, v7
	v_subrev_u32_e32 v15, 28, v14
	v_and_b32_e32 v6, 0x80000000, v7
	v_and_b32_e32 v12, 15, v12
	v_bfe_u32 v13, v7, 27, 4
	v_lshlrev_b32_sdwa v7, v15, v7 dst_sel:DWORD dst_unused:UNUSED_PAD src0_sel:DWORD src1_sel:BYTE_3
	v_sub_u32_e32 v14, 29, v14
	v_and_b32_e32 v7, 7, v7
	v_cmp_eq_u16_e32 vcc, 0, v12
	v_cndmask_b32_e32 v2, v2, v7, vcc
	v_cndmask_b32_e32 v7, v13, v14, vcc
	v_mov_b32_e32 v12, 0x3b800000
	v_lshlrev_b32_e32 v2, 20, v2
	v_lshl_add_u32 v7, v7, 23, v12
	v_or3_b32 v2, v6, v7, v2
.LBB1_12476:
	s_or_b64 exec, exec, s[6:7]
	s_movk_i32 s4, 0x7f
	v_cmp_gt_i16_sdwa s[6:7], v3, s4 src0_sel:BYTE_3 src1_sel:DWORD
	s_mov_b64 s[4:5], 0
                                        ; implicit-def: $sgpr10
	s_and_saveexec_b64 s[8:9], s[6:7]
	s_xor_b64 s[6:7], exec, s[8:9]
	s_cbranch_execz .LBB1_12477
; %bb.48317:
	s_getpc_b64 s[14:15]
.Lpost_getpc9822:
	s_add_u32 s14, s14, (.LBB1_26813-.Lpost_getpc9822)&4294967295
	s_addc_u32 s15, s15, (.LBB1_26813-.Lpost_getpc9822)>>32
	s_setpc_b64 s[14:15]
.LBB1_12477:
	s_or_saveexec_b64 s[6:7], s[6:7]
	v_mov_b32_e32 v6, s10
	s_xor_b64 exec, exec, s[6:7]
	s_cbranch_execz .LBB1_12478
; %bb.48319:
	s_getpc_b64 s[14:15]
.Lpost_getpc9823:
	s_add_u32 s14, s14, (.LBB1_26816-.Lpost_getpc9823)&4294967295
	s_addc_u32 s15, s15, (.LBB1_26816-.Lpost_getpc9823)>>32
	s_setpc_b64 s[14:15]
.LBB1_12478:
	s_or_b64 exec, exec, s[6:7]
	s_and_saveexec_b64 s[6:7], s[4:5]
	s_cbranch_execz .LBB1_12480
.LBB1_12479:
	v_bfe_u32 v6, v3, 24, 3
	v_ffbh_u32_e32 v14, v6
	v_min_u32_e32 v14, 32, v14
	v_lshrrev_b32_e32 v12, 27, v3
	v_subrev_u32_e32 v15, 28, v14
	v_and_b32_e32 v7, 0x80000000, v3
	v_and_b32_e32 v12, 15, v12
	v_bfe_u32 v13, v3, 27, 4
	v_lshlrev_b32_sdwa v3, v15, v3 dst_sel:DWORD dst_unused:UNUSED_PAD src0_sel:DWORD src1_sel:BYTE_3
	v_sub_u32_e32 v14, 29, v14
	v_and_b32_e32 v3, 7, v3
	v_cmp_eq_u16_e32 vcc, 0, v12
	v_cndmask_b32_e32 v3, v6, v3, vcc
	v_cndmask_b32_e32 v6, v13, v14, vcc
	v_mov_b32_e32 v12, 0x3b800000
	v_lshlrev_b32_e32 v3, 20, v3
	v_lshl_add_u32 v6, v6, 23, v12
	v_or3_b32 v6, v7, v6, v3
.LBB1_12480:
	s_or_b64 exec, exec, s[6:7]
	s_nop 0
	v_mfma_f32_16x16x4f32 a[0:3], v2, v6, a[0:3]
	s_movk_i32 s4, 0x7f
	v_cmp_gt_i16_sdwa s[6:7], v8, s4 src0_sel:BYTE_0 src1_sel:DWORD
	s_mov_b64 s[4:5], 0
                                        ; implicit-def: $sgpr10
	s_and_saveexec_b64 s[8:9], s[6:7]
	s_xor_b64 s[6:7], exec, s[8:9]
	s_cbranch_execz .LBB1_12481
; %bb.48321:
	s_getpc_b64 s[14:15]
.Lpost_getpc9824:
	s_add_u32 s14, s14, (.LBB1_26817-.Lpost_getpc9824)&4294967295
	s_addc_u32 s15, s15, (.LBB1_26817-.Lpost_getpc9824)>>32
	s_setpc_b64 s[14:15]
.LBB1_12481:
	s_or_saveexec_b64 s[6:7], s[6:7]
	v_mov_b32_e32 v2, s10
	s_xor_b64 exec, exec, s[6:7]
	s_cbranch_execz .LBB1_12482
; %bb.48323:
	s_getpc_b64 s[14:15]
.Lpost_getpc9825:
	s_add_u32 s14, s14, (.LBB1_26820-.Lpost_getpc9825)&4294967295
	s_addc_u32 s15, s15, (.LBB1_26820-.Lpost_getpc9825)>>32
	s_setpc_b64 s[14:15]
.LBB1_12482:
	s_or_b64 exec, exec, s[6:7]
	s_and_saveexec_b64 s[6:7], s[4:5]
	s_cbranch_execz .LBB1_12484
.LBB1_12483:
	v_and_b32_e32 v2, 7, v8
	v_ffbh_u32_e32 v6, v2
	v_min_u32_e32 v6, 32, v6
	v_lshrrev_b16_e32 v3, 3, v8
	v_subrev_u32_e32 v7, 28, v6
	v_and_b32_e32 v3, 15, v3
	v_lshlrev_b32_e32 v7, v7, v8
	v_sub_u32_e32 v6, 29, v6
	v_and_b32_e32 v7, 7, v7
	v_cmp_eq_u16_e32 vcc, 0, v3
	v_cndmask_b32_e32 v2, v2, v7, vcc
	v_cndmask_b32_e32 v3, v3, v6, vcc
	v_lshlrev_b32_e32 v6, 24, v8
	v_mov_b32_e32 v7, 0x3b800000
	v_lshlrev_b32_e32 v2, 20, v2
	v_and_b32_e32 v6, 0x80000000, v6
	v_lshl_add_u32 v3, v3, 23, v7
	v_or3_b32 v2, v6, v3, v2
.LBB1_12484:
	s_or_b64 exec, exec, s[6:7]
	s_movk_i32 s4, 0x7f
	v_cmp_gt_i16_sdwa s[6:7], v4, s4 src0_sel:BYTE_0 src1_sel:DWORD
	s_mov_b64 s[4:5], 0
                                        ; implicit-def: $sgpr10
	s_and_saveexec_b64 s[8:9], s[6:7]
	s_xor_b64 s[6:7], exec, s[8:9]
	s_cbranch_execz .LBB1_12485
; %bb.48325:
	s_getpc_b64 s[14:15]
.Lpost_getpc9826:
	s_add_u32 s14, s14, (.LBB1_26821-.Lpost_getpc9826)&4294967295
	s_addc_u32 s15, s15, (.LBB1_26821-.Lpost_getpc9826)>>32
	s_setpc_b64 s[14:15]
.LBB1_12485:
	s_or_saveexec_b64 s[6:7], s[6:7]
	v_mov_b32_e32 v3, s10
	s_xor_b64 exec, exec, s[6:7]
	s_cbranch_execz .LBB1_12486
; %bb.48327:
	s_getpc_b64 s[14:15]
.Lpost_getpc9827:
	s_add_u32 s14, s14, (.LBB1_26824-.Lpost_getpc9827)&4294967295
	s_addc_u32 s15, s15, (.LBB1_26824-.Lpost_getpc9827)>>32
	s_setpc_b64 s[14:15]
.LBB1_12486:
	s_or_b64 exec, exec, s[6:7]
	s_and_saveexec_b64 s[6:7], s[4:5]
	s_cbranch_execz .LBB1_12488
.LBB1_12487:
	v_and_b32_e32 v3, 7, v4
	v_ffbh_u32_e32 v7, v3
	v_min_u32_e32 v7, 32, v7
	v_lshrrev_b16_e32 v6, 3, v4
	v_subrev_u32_e32 v12, 28, v7
	v_and_b32_e32 v6, 15, v6
	v_lshlrev_b32_e32 v12, v12, v4
	v_sub_u32_e32 v7, 29, v7
	v_and_b32_e32 v12, 7, v12
	v_cmp_eq_u16_e32 vcc, 0, v6
	v_cndmask_b32_e32 v3, v3, v12, vcc
	v_cndmask_b32_e32 v6, v6, v7, vcc
	v_lshlrev_b32_e32 v7, 24, v4
	v_mov_b32_e32 v12, 0x3b800000
	v_lshlrev_b32_e32 v3, 20, v3
	v_and_b32_e32 v7, 0x80000000, v7
	v_lshl_add_u32 v6, v6, 23, v12
	v_or3_b32 v3, v7, v6, v3
.LBB1_12488:
	s_or_b64 exec, exec, s[6:7]
	s_nop 0
	v_mfma_f32_16x16x4f32 a[0:3], v2, v3, a[0:3]
	v_lshrrev_b32_e32 v3, 8, v8
	s_movk_i32 s4, 0x7f
	v_cmp_gt_i16_sdwa s[6:7], v3, s4 src0_sel:BYTE_0 src1_sel:DWORD
	s_mov_b64 s[4:5], 0
                                        ; implicit-def: $sgpr10
	s_and_saveexec_b64 s[8:9], s[6:7]
	s_xor_b64 s[6:7], exec, s[8:9]
	s_cbranch_execz .LBB1_12489
; %bb.48329:
	s_getpc_b64 s[14:15]
.Lpost_getpc9828:
	s_add_u32 s14, s14, (.LBB1_26825-.Lpost_getpc9828)&4294967295
	s_addc_u32 s15, s15, (.LBB1_26825-.Lpost_getpc9828)>>32
	s_setpc_b64 s[14:15]
.LBB1_12489:
	s_or_saveexec_b64 s[6:7], s[6:7]
	v_mov_b32_e32 v2, s10
	s_xor_b64 exec, exec, s[6:7]
	s_cbranch_execz .LBB1_12490
; %bb.48331:
	s_getpc_b64 s[14:15]
.Lpost_getpc9829:
	s_add_u32 s14, s14, (.LBB1_26828-.Lpost_getpc9829)&4294967295
	s_addc_u32 s15, s15, (.LBB1_26828-.Lpost_getpc9829)>>32
	s_setpc_b64 s[14:15]
.LBB1_12490:
	s_or_b64 exec, exec, s[6:7]
	s_and_saveexec_b64 s[6:7], s[4:5]
	s_cbranch_execz .LBB1_12492
.LBB1_12491:
	v_bfe_u32 v2, v8, 8, 3
	v_ffbh_u32_e32 v7, v2
	v_min_u32_e32 v7, 32, v7
	v_lshrrev_b16_e32 v6, 3, v3
	v_subrev_u32_e32 v12, 28, v7
	v_and_b32_e32 v6, 15, v6
	v_lshlrev_b32_e32 v3, v12, v3
	v_sub_u32_e32 v7, 29, v7
	v_and_b32_e32 v3, 7, v3
	v_cmp_eq_u16_e32 vcc, 0, v6
	v_cndmask_b32_e32 v2, v2, v3, vcc
	v_cndmask_b32_e32 v3, v6, v7, vcc
	v_lshlrev_b32_e32 v6, 16, v8
	v_mov_b32_e32 v7, 0x3b800000
	v_lshlrev_b32_e32 v2, 20, v2
	v_and_b32_e32 v6, 0x80000000, v6
	v_lshl_add_u32 v3, v3, 23, v7
	v_or3_b32 v2, v6, v3, v2
.LBB1_12492:
	s_or_b64 exec, exec, s[6:7]
	v_lshrrev_b32_e32 v3, 8, v4
	s_movk_i32 s4, 0x7f
	v_cmp_gt_i16_sdwa s[6:7], v3, s4 src0_sel:BYTE_0 src1_sel:DWORD
	s_mov_b64 s[4:5], 0
                                        ; implicit-def: $sgpr10
	s_and_saveexec_b64 s[8:9], s[6:7]
	s_xor_b64 s[6:7], exec, s[8:9]
	s_cbranch_execz .LBB1_12493
; %bb.48333:
	s_getpc_b64 s[14:15]
.Lpost_getpc9830:
	s_add_u32 s14, s14, (.LBB1_26829-.Lpost_getpc9830)&4294967295
	s_addc_u32 s15, s15, (.LBB1_26829-.Lpost_getpc9830)>>32
	s_setpc_b64 s[14:15]
.LBB1_12493:
	s_or_saveexec_b64 s[6:7], s[6:7]
	v_mov_b32_e32 v6, s10
	s_xor_b64 exec, exec, s[6:7]
	s_cbranch_execz .LBB1_12494
; %bb.48335:
	s_getpc_b64 s[14:15]
.Lpost_getpc9831:
	s_add_u32 s14, s14, (.LBB1_26832-.Lpost_getpc9831)&4294967295
	s_addc_u32 s15, s15, (.LBB1_26832-.Lpost_getpc9831)>>32
	s_setpc_b64 s[14:15]
.LBB1_12494:
	s_or_b64 exec, exec, s[6:7]
	s_and_saveexec_b64 s[6:7], s[4:5]
	s_cbranch_execz .LBB1_12496
.LBB1_12495:
	v_bfe_u32 v6, v4, 8, 3
	v_ffbh_u32_e32 v12, v6
	v_min_u32_e32 v12, 32, v12
	v_lshrrev_b16_e32 v7, 3, v3
	v_subrev_u32_e32 v13, 28, v12
	v_and_b32_e32 v7, 15, v7
	v_lshlrev_b32_e32 v3, v13, v3
	v_sub_u32_e32 v12, 29, v12
	v_and_b32_e32 v3, 7, v3
	v_cmp_eq_u16_e32 vcc, 0, v7
	v_cndmask_b32_e32 v3, v6, v3, vcc
	v_cndmask_b32_e32 v6, v7, v12, vcc
	v_lshlrev_b32_e32 v7, 16, v4
	v_mov_b32_e32 v12, 0x3b800000
	v_lshlrev_b32_e32 v3, 20, v3
	v_and_b32_e32 v7, 0x80000000, v7
	v_lshl_add_u32 v6, v6, 23, v12
	v_or3_b32 v6, v7, v6, v3
.LBB1_12496:
	s_or_b64 exec, exec, s[6:7]
	s_nop 0
	v_mfma_f32_16x16x4f32 a[0:3], v2, v6, a[0:3]
	s_movk_i32 s4, 0xff
	v_and_b32_sdwa v3, v8, s4 dst_sel:DWORD dst_unused:UNUSED_PAD src0_sel:WORD_1 src1_sel:DWORD
	s_movk_i32 s4, 0x7f
	v_cmp_lt_i16_e32 vcc, s4, v3
	s_mov_b64 s[4:5], 0
                                        ; implicit-def: $sgpr10
	s_and_saveexec_b64 s[6:7], vcc
	s_xor_b64 s[6:7], exec, s[6:7]
	s_cbranch_execz .LBB1_12497
; %bb.48337:
	s_getpc_b64 s[14:15]
.Lpost_getpc9832:
	s_add_u32 s14, s14, (.LBB1_26833-.Lpost_getpc9832)&4294967295
	s_addc_u32 s15, s15, (.LBB1_26833-.Lpost_getpc9832)>>32
	s_setpc_b64 s[14:15]
.LBB1_12497:
	s_or_saveexec_b64 s[6:7], s[6:7]
	v_mov_b32_e32 v2, s10
	s_xor_b64 exec, exec, s[6:7]
	s_cbranch_execz .LBB1_12498
; %bb.48339:
	s_getpc_b64 s[14:15]
.Lpost_getpc9833:
	s_add_u32 s14, s14, (.LBB1_26836-.Lpost_getpc9833)&4294967295
	s_addc_u32 s15, s15, (.LBB1_26836-.Lpost_getpc9833)>>32
	s_setpc_b64 s[14:15]
.LBB1_12498:
	s_or_b64 exec, exec, s[6:7]
	s_and_saveexec_b64 s[6:7], s[4:5]
	s_cbranch_execz .LBB1_12500
.LBB1_12499:
	v_bfe_u32 v2, v8, 16, 3
	v_ffbh_u32_e32 v7, v2
	v_min_u32_e32 v7, 32, v7
	v_lshrrev_b32_e32 v3, 19, v8
	v_subrev_u32_e32 v12, 28, v7
	v_and_b32_e32 v3, 15, v3
	v_lshlrev_b32_sdwa v12, v12, v8 dst_sel:DWORD dst_unused:UNUSED_PAD src0_sel:DWORD src1_sel:WORD_1
	v_bfe_u32 v6, v8, 19, 4
	v_sub_u32_e32 v7, 29, v7
	v_and_b32_e32 v12, 7, v12
	v_cmp_eq_u16_e32 vcc, 0, v3
	v_cndmask_b32_e32 v2, v2, v12, vcc
	v_cndmask_b32_e32 v3, v6, v7, vcc
	v_lshlrev_b32_e32 v6, 8, v8
	v_mov_b32_e32 v7, 0x3b800000
	v_lshlrev_b32_e32 v2, 20, v2
	v_and_b32_e32 v6, 0x80000000, v6
	v_lshl_add_u32 v3, v3, 23, v7
	v_or3_b32 v2, v6, v3, v2
.LBB1_12500:
	s_or_b64 exec, exec, s[6:7]
	s_movk_i32 s4, 0xff
	v_and_b32_sdwa v3, v4, s4 dst_sel:DWORD dst_unused:UNUSED_PAD src0_sel:WORD_1 src1_sel:DWORD
	s_movk_i32 s4, 0x7f
	v_cmp_lt_i16_e32 vcc, s4, v3
	s_mov_b64 s[4:5], 0
                                        ; implicit-def: $sgpr10
	s_and_saveexec_b64 s[6:7], vcc
	s_xor_b64 s[6:7], exec, s[6:7]
	s_cbranch_execz .LBB1_12501
; %bb.48341:
	s_getpc_b64 s[14:15]
.Lpost_getpc9834:
	s_add_u32 s14, s14, (.LBB1_26837-.Lpost_getpc9834)&4294967295
	s_addc_u32 s15, s15, (.LBB1_26837-.Lpost_getpc9834)>>32
	s_setpc_b64 s[14:15]
.LBB1_12501:
	s_or_saveexec_b64 s[6:7], s[6:7]
	v_mov_b32_e32 v6, s10
	s_xor_b64 exec, exec, s[6:7]
	s_cbranch_execz .LBB1_12502
; %bb.48343:
	s_getpc_b64 s[14:15]
.Lpost_getpc9835:
	s_add_u32 s14, s14, (.LBB1_26840-.Lpost_getpc9835)&4294967295
	s_addc_u32 s15, s15, (.LBB1_26840-.Lpost_getpc9835)>>32
	s_setpc_b64 s[14:15]
.LBB1_12502:
	s_or_b64 exec, exec, s[6:7]
	s_and_saveexec_b64 s[6:7], s[4:5]
	s_cbranch_execz .LBB1_12504
.LBB1_12503:
	v_bfe_u32 v3, v4, 16, 3
	v_ffbh_u32_e32 v12, v3
	v_min_u32_e32 v12, 32, v12
	v_lshrrev_b32_e32 v6, 19, v4
	v_subrev_u32_e32 v13, 28, v12
	v_and_b32_e32 v6, 15, v6
	v_lshlrev_b32_sdwa v13, v13, v4 dst_sel:DWORD dst_unused:UNUSED_PAD src0_sel:DWORD src1_sel:WORD_1
	v_bfe_u32 v7, v4, 19, 4
	v_sub_u32_e32 v12, 29, v12
	v_and_b32_e32 v13, 7, v13
	v_cmp_eq_u16_e32 vcc, 0, v6
	v_cndmask_b32_e32 v3, v3, v13, vcc
	v_cndmask_b32_e32 v6, v7, v12, vcc
	v_lshlrev_b32_e32 v7, 8, v4
	v_mov_b32_e32 v12, 0x3b800000
	v_lshlrev_b32_e32 v3, 20, v3
	v_and_b32_e32 v7, 0x80000000, v7
	v_lshl_add_u32 v6, v6, 23, v12
	v_or3_b32 v6, v7, v6, v3
.LBB1_12504:
	s_or_b64 exec, exec, s[6:7]
	s_nop 0
	v_mfma_f32_16x16x4f32 a[0:3], v2, v6, a[0:3]
	s_movk_i32 s4, 0x7f
	v_cmp_gt_i16_sdwa s[6:7], v8, s4 src0_sel:BYTE_3 src1_sel:DWORD
	s_mov_b64 s[4:5], 0
                                        ; implicit-def: $sgpr10
	s_and_saveexec_b64 s[8:9], s[6:7]
	s_xor_b64 s[6:7], exec, s[8:9]
	s_cbranch_execz .LBB1_12505
; %bb.48345:
	s_getpc_b64 s[14:15]
.Lpost_getpc9836:
	s_add_u32 s14, s14, (.LBB1_26841-.Lpost_getpc9836)&4294967295
	s_addc_u32 s15, s15, (.LBB1_26841-.Lpost_getpc9836)>>32
	s_setpc_b64 s[14:15]
.LBB1_12505:
	s_or_saveexec_b64 s[6:7], s[6:7]
	v_mov_b32_e32 v2, s10
	s_xor_b64 exec, exec, s[6:7]
	s_cbranch_execz .LBB1_12506
; %bb.48347:
	s_getpc_b64 s[14:15]
.Lpost_getpc9837:
	s_add_u32 s14, s14, (.LBB1_26844-.Lpost_getpc9837)&4294967295
	s_addc_u32 s15, s15, (.LBB1_26844-.Lpost_getpc9837)>>32
	s_setpc_b64 s[14:15]
.LBB1_12506:
	s_or_b64 exec, exec, s[6:7]
	s_and_saveexec_b64 s[6:7], s[4:5]
	s_cbranch_execz .LBB1_12508
.LBB1_12507:
	v_bfe_u32 v2, v8, 24, 3
	v_ffbh_u32_e32 v12, v2
	v_min_u32_e32 v12, 32, v12
	v_lshrrev_b32_e32 v6, 27, v8
	v_subrev_u32_e32 v13, 28, v12
	v_and_b32_e32 v3, 0x80000000, v8
	v_and_b32_e32 v6, 15, v6
	v_bfe_u32 v7, v8, 27, 4
	v_lshlrev_b32_sdwa v8, v13, v8 dst_sel:DWORD dst_unused:UNUSED_PAD src0_sel:DWORD src1_sel:BYTE_3
	v_sub_u32_e32 v12, 29, v12
	v_and_b32_e32 v8, 7, v8
	v_cmp_eq_u16_e32 vcc, 0, v6
	v_cndmask_b32_e32 v2, v2, v8, vcc
	v_cndmask_b32_e32 v6, v7, v12, vcc
	v_mov_b32_e32 v7, 0x3b800000
	v_lshlrev_b32_e32 v2, 20, v2
	v_lshl_add_u32 v6, v6, 23, v7
	v_or3_b32 v2, v3, v6, v2
.LBB1_12508:
	s_or_b64 exec, exec, s[6:7]
	s_movk_i32 s4, 0x7f
	v_cmp_gt_i16_sdwa s[6:7], v4, s4 src0_sel:BYTE_3 src1_sel:DWORD
	s_mov_b64 s[4:5], 0
                                        ; implicit-def: $sgpr10
	s_and_saveexec_b64 s[8:9], s[6:7]
	s_xor_b64 s[6:7], exec, s[8:9]
	s_cbranch_execz .LBB1_12509
; %bb.48349:
	s_getpc_b64 s[14:15]
.Lpost_getpc9838:
	s_add_u32 s14, s14, (.LBB1_26845-.Lpost_getpc9838)&4294967295
	s_addc_u32 s15, s15, (.LBB1_26845-.Lpost_getpc9838)>>32
	s_setpc_b64 s[14:15]
.LBB1_12509:
	s_or_saveexec_b64 s[6:7], s[6:7]
	v_mov_b32_e32 v3, s10
	s_xor_b64 exec, exec, s[6:7]
	s_cbranch_execz .LBB1_12510
; %bb.48351:
	s_getpc_b64 s[14:15]
.Lpost_getpc9839:
	s_add_u32 s14, s14, (.LBB1_26848-.Lpost_getpc9839)&4294967295
	s_addc_u32 s15, s15, (.LBB1_26848-.Lpost_getpc9839)>>32
	s_setpc_b64 s[14:15]
.LBB1_12510:
	s_or_b64 exec, exec, s[6:7]
	s_and_saveexec_b64 s[6:7], s[4:5]
	s_cbranch_execz .LBB1_12512
.LBB1_12511:
	v_bfe_u32 v3, v4, 24, 3
	v_ffbh_u32_e32 v12, v3
	v_min_u32_e32 v12, 32, v12
	v_lshrrev_b32_e32 v7, 27, v4
	v_subrev_u32_e32 v13, 28, v12
	v_and_b32_e32 v6, 0x80000000, v4
	v_and_b32_e32 v7, 15, v7
	v_bfe_u32 v8, v4, 27, 4
	v_lshlrev_b32_sdwa v4, v13, v4 dst_sel:DWORD dst_unused:UNUSED_PAD src0_sel:DWORD src1_sel:BYTE_3
	v_sub_u32_e32 v12, 29, v12
	v_and_b32_e32 v4, 7, v4
	v_cmp_eq_u16_e32 vcc, 0, v7
	v_cndmask_b32_e32 v3, v3, v4, vcc
	v_cndmask_b32_e32 v4, v8, v12, vcc
	v_mov_b32_e32 v7, 0x3b800000
	v_lshlrev_b32_e32 v3, 20, v3
	v_lshl_add_u32 v4, v4, 23, v7
	v_or3_b32 v3, v6, v4, v3
.LBB1_12512:
	s_or_b64 exec, exec, s[6:7]
	s_nop 0
	v_mfma_f32_16x16x4f32 a[0:3], v2, v3, a[0:3]
	s_movk_i32 s4, 0x7f
	v_cmp_gt_i16_sdwa s[6:7], v9, s4 src0_sel:BYTE_0 src1_sel:DWORD
	s_mov_b64 s[4:5], 0
                                        ; implicit-def: $sgpr10
	s_and_saveexec_b64 s[8:9], s[6:7]
	s_xor_b64 s[6:7], exec, s[8:9]
	s_cbranch_execz .LBB1_12513
; %bb.48353:
	s_getpc_b64 s[14:15]
.Lpost_getpc9840:
	s_add_u32 s14, s14, (.LBB1_26849-.Lpost_getpc9840)&4294967295
	s_addc_u32 s15, s15, (.LBB1_26849-.Lpost_getpc9840)>>32
	s_setpc_b64 s[14:15]
.LBB1_12513:
	s_or_saveexec_b64 s[6:7], s[6:7]
	v_mov_b32_e32 v2, s10
	s_xor_b64 exec, exec, s[6:7]
	s_cbranch_execz .LBB1_12514
; %bb.48355:
	s_getpc_b64 s[14:15]
.Lpost_getpc9841:
	s_add_u32 s14, s14, (.LBB1_26852-.Lpost_getpc9841)&4294967295
	s_addc_u32 s15, s15, (.LBB1_26852-.Lpost_getpc9841)>>32
	s_setpc_b64 s[14:15]
.LBB1_12514:
	s_or_b64 exec, exec, s[6:7]
	s_and_saveexec_b64 s[6:7], s[4:5]
	s_cbranch_execz .LBB1_12516
.LBB1_12515:
	v_mov_b32_e32 v2, 8
	v_and_b32_e32 v3, 7, v9
	v_lshrrev_b32_sdwa v2, v2, v9 dst_sel:BYTE_1 dst_unused:UNUSED_PAD src0_sel:DWORD src1_sel:DWORD
	v_ffbh_u32_e32 v4, v3
	v_or_b32_sdwa v2, v9, v2 dst_sel:DWORD dst_unused:UNUSED_PAD src0_sel:BYTE_0 src1_sel:DWORD
	v_min_u32_e32 v4, 32, v4
	v_lshrrev_b16_e32 v2, 3, v2
	v_subrev_u32_e32 v6, 28, v4
	v_and_b32_e32 v2, 15, v2
	v_lshlrev_b32_e32 v6, v6, v9
	v_sub_u32_e32 v4, 29, v4
	v_and_b32_e32 v6, 7, v6
	v_cmp_eq_u16_e32 vcc, 0, v2
	v_cndmask_b32_e32 v3, v3, v6, vcc
	v_cndmask_b32_e32 v2, v2, v4, vcc
	v_lshlrev_b32_e32 v4, 24, v9
	v_mov_b32_e32 v6, 0x3b800000
	v_lshlrev_b32_e32 v3, 20, v3
	v_and_b32_e32 v4, 0x80000000, v4
	v_lshl_add_u32 v2, v2, 23, v6
	v_or3_b32 v2, v4, v2, v3
.LBB1_12516:
	s_or_b64 exec, exec, s[6:7]
	s_movk_i32 s4, 0x7f
	v_cmp_gt_i16_sdwa s[6:7], v5, s4 src0_sel:BYTE_0 src1_sel:DWORD
	s_mov_b64 s[4:5], 0
                                        ; implicit-def: $sgpr10
	s_and_saveexec_b64 s[8:9], s[6:7]
	s_xor_b64 s[6:7], exec, s[8:9]
	s_cbranch_execz .LBB1_12517
; %bb.48357:
	s_getpc_b64 s[14:15]
.Lpost_getpc9842:
	s_add_u32 s14, s14, (.LBB1_26853-.Lpost_getpc9842)&4294967295
	s_addc_u32 s15, s15, (.LBB1_26853-.Lpost_getpc9842)>>32
	s_setpc_b64 s[14:15]
.LBB1_12517:
	s_or_saveexec_b64 s[6:7], s[6:7]
	v_mov_b32_e32 v3, s10
	s_xor_b64 exec, exec, s[6:7]
	s_cbranch_execz .LBB1_12518
; %bb.48359:
	s_getpc_b64 s[14:15]
.Lpost_getpc9843:
	s_add_u32 s14, s14, (.LBB1_26856-.Lpost_getpc9843)&4294967295
	s_addc_u32 s15, s15, (.LBB1_26856-.Lpost_getpc9843)>>32
	s_setpc_b64 s[14:15]
.LBB1_12518:
	s_or_b64 exec, exec, s[6:7]
	s_and_saveexec_b64 s[6:7], s[4:5]
	s_cbranch_execz .LBB1_12520
.LBB1_12519:
	v_mov_b32_e32 v3, 8
	v_and_b32_e32 v4, 7, v5
	v_lshrrev_b32_sdwa v3, v3, v5 dst_sel:BYTE_1 dst_unused:UNUSED_PAD src0_sel:DWORD src1_sel:DWORD
	v_ffbh_u32_e32 v6, v4
	v_or_b32_sdwa v3, v5, v3 dst_sel:DWORD dst_unused:UNUSED_PAD src0_sel:BYTE_0 src1_sel:DWORD
	v_min_u32_e32 v6, 32, v6
	v_lshrrev_b16_e32 v3, 3, v3
	v_subrev_u32_e32 v7, 28, v6
	v_and_b32_e32 v3, 15, v3
	v_lshlrev_b32_e32 v7, v7, v5
	v_sub_u32_e32 v6, 29, v6
	v_and_b32_e32 v7, 7, v7
	v_cmp_eq_u16_e32 vcc, 0, v3
	v_cndmask_b32_e32 v4, v4, v7, vcc
	v_cndmask_b32_e32 v3, v3, v6, vcc
	v_lshlrev_b32_e32 v6, 24, v5
	v_mov_b32_e32 v7, 0x3b800000
	v_lshlrev_b32_e32 v4, 20, v4
	v_and_b32_e32 v6, 0x80000000, v6
	v_lshl_add_u32 v3, v3, 23, v7
	v_or3_b32 v3, v6, v3, v4
.LBB1_12520:
	s_or_b64 exec, exec, s[6:7]
	s_nop 0
	v_mfma_f32_16x16x4f32 a[0:3], v2, v3, a[0:3]
	v_lshrrev_b32_e32 v3, 8, v9
	s_movk_i32 s4, 0x7f
	v_cmp_gt_i16_sdwa s[6:7], v3, s4 src0_sel:BYTE_0 src1_sel:DWORD
	s_mov_b64 s[4:5], 0
                                        ; implicit-def: $sgpr10
	s_and_saveexec_b64 s[8:9], s[6:7]
	s_xor_b64 s[6:7], exec, s[8:9]
	s_cbranch_execz .LBB1_12521
; %bb.48361:
	s_getpc_b64 s[14:15]
.Lpost_getpc9844:
	s_add_u32 s14, s14, (.LBB1_26857-.Lpost_getpc9844)&4294967295
	s_addc_u32 s15, s15, (.LBB1_26857-.Lpost_getpc9844)>>32
	s_setpc_b64 s[14:15]
.LBB1_12521:
	s_or_saveexec_b64 s[6:7], s[6:7]
	v_mov_b32_e32 v2, s10
	s_xor_b64 exec, exec, s[6:7]
	s_cbranch_execz .LBB1_12522
; %bb.48363:
	s_getpc_b64 s[14:15]
.Lpost_getpc9845:
	s_add_u32 s14, s14, (.LBB1_26860-.Lpost_getpc9845)&4294967295
	s_addc_u32 s15, s15, (.LBB1_26860-.Lpost_getpc9845)>>32
	s_setpc_b64 s[14:15]
.LBB1_12522:
	s_or_b64 exec, exec, s[6:7]
	s_and_saveexec_b64 s[6:7], s[4:5]
	s_cbranch_execz .LBB1_12524
.LBB1_12523:
	v_bfe_u32 v2, v9, 8, 3
	v_ffbh_u32_e32 v6, v2
	v_min_u32_e32 v6, 32, v6
	v_lshrrev_b16_e32 v4, 3, v3
	v_subrev_u32_e32 v7, 28, v6
	v_and_b32_e32 v4, 15, v4
	v_lshlrev_b32_e32 v3, v7, v3
	v_sub_u32_e32 v6, 29, v6
	v_and_b32_e32 v3, 7, v3
	v_cmp_eq_u16_e32 vcc, 0, v4
	v_cndmask_b32_e32 v2, v2, v3, vcc
	v_cndmask_b32_e32 v3, v4, v6, vcc
	v_lshlrev_b32_e32 v4, 16, v9
	v_mov_b32_e32 v6, 0x3b800000
	v_lshlrev_b32_e32 v2, 20, v2
	v_and_b32_e32 v4, 0x80000000, v4
	v_lshl_add_u32 v3, v3, 23, v6
	v_or3_b32 v2, v4, v3, v2
.LBB1_12524:
	s_or_b64 exec, exec, s[6:7]
	v_lshrrev_b32_e32 v3, 8, v5
	s_movk_i32 s4, 0x7f
	v_cmp_gt_i16_sdwa s[6:7], v3, s4 src0_sel:BYTE_0 src1_sel:DWORD
	s_mov_b64 s[4:5], 0
                                        ; implicit-def: $sgpr10
	s_and_saveexec_b64 s[8:9], s[6:7]
	s_xor_b64 s[6:7], exec, s[8:9]
	s_cbranch_execz .LBB1_12525
; %bb.48365:
	s_getpc_b64 s[14:15]
.Lpost_getpc9846:
	s_add_u32 s14, s14, (.LBB1_26861-.Lpost_getpc9846)&4294967295
	s_addc_u32 s15, s15, (.LBB1_26861-.Lpost_getpc9846)>>32
	s_setpc_b64 s[14:15]
.LBB1_12525:
	s_or_saveexec_b64 s[6:7], s[6:7]
	v_mov_b32_e32 v4, s10
	s_xor_b64 exec, exec, s[6:7]
	s_cbranch_execz .LBB1_12526
; %bb.48367:
	s_getpc_b64 s[14:15]
.Lpost_getpc9847:
	s_add_u32 s14, s14, (.LBB1_26864-.Lpost_getpc9847)&4294967295
	s_addc_u32 s15, s15, (.LBB1_26864-.Lpost_getpc9847)>>32
	s_setpc_b64 s[14:15]
.LBB1_12526:
	s_or_b64 exec, exec, s[6:7]
	s_and_saveexec_b64 s[6:7], s[4:5]
	s_cbranch_execz .LBB1_12528
.LBB1_12527:
	v_bfe_u32 v4, v5, 8, 3
	v_ffbh_u32_e32 v7, v4
	v_min_u32_e32 v7, 32, v7
	v_lshrrev_b16_e32 v6, 3, v3
	v_subrev_u32_e32 v8, 28, v7
	v_and_b32_e32 v6, 15, v6
	v_lshlrev_b32_e32 v3, v8, v3
	v_sub_u32_e32 v7, 29, v7
	v_and_b32_e32 v3, 7, v3
	v_cmp_eq_u16_e32 vcc, 0, v6
	v_cndmask_b32_e32 v3, v4, v3, vcc
	v_cndmask_b32_e32 v4, v6, v7, vcc
	v_lshlrev_b32_e32 v6, 16, v5
	v_mov_b32_e32 v7, 0x3b800000
	v_lshlrev_b32_e32 v3, 20, v3
	v_and_b32_e32 v6, 0x80000000, v6
	v_lshl_add_u32 v4, v4, 23, v7
	v_or3_b32 v4, v6, v4, v3
.LBB1_12528:
	s_or_b64 exec, exec, s[6:7]
	s_nop 0
	v_mfma_f32_16x16x4f32 a[0:3], v2, v4, a[0:3]
	s_movk_i32 s4, 0xff
	v_and_b32_sdwa v3, v9, s4 dst_sel:DWORD dst_unused:UNUSED_PAD src0_sel:WORD_1 src1_sel:DWORD
	s_movk_i32 s4, 0x7f
	v_cmp_lt_i16_e32 vcc, s4, v3
	s_mov_b64 s[4:5], 0
                                        ; implicit-def: $sgpr10
	s_and_saveexec_b64 s[6:7], vcc
	s_xor_b64 s[6:7], exec, s[6:7]
	s_cbranch_execz .LBB1_12529
; %bb.48369:
	s_getpc_b64 s[14:15]
.Lpost_getpc9848:
	s_add_u32 s14, s14, (.LBB1_26865-.Lpost_getpc9848)&4294967295
	s_addc_u32 s15, s15, (.LBB1_26865-.Lpost_getpc9848)>>32
	s_setpc_b64 s[14:15]
.LBB1_12529:
	s_or_saveexec_b64 s[6:7], s[6:7]
	v_mov_b32_e32 v2, s10
	s_xor_b64 exec, exec, s[6:7]
	s_cbranch_execz .LBB1_12530
; %bb.48371:
	s_getpc_b64 s[14:15]
.Lpost_getpc9849:
	s_add_u32 s14, s14, (.LBB1_26868-.Lpost_getpc9849)&4294967295
	s_addc_u32 s15, s15, (.LBB1_26868-.Lpost_getpc9849)>>32
	s_setpc_b64 s[14:15]
.LBB1_12530:
	s_or_b64 exec, exec, s[6:7]
	s_and_saveexec_b64 s[6:7], s[4:5]
	s_cbranch_execz .LBB1_12532
.LBB1_12531:
	v_bfe_u32 v2, v9, 16, 3
	v_ffbh_u32_e32 v6, v2
	v_min_u32_e32 v6, 32, v6
	v_lshrrev_b32_e32 v3, 19, v9
	v_subrev_u32_e32 v7, 28, v6
	v_and_b32_e32 v3, 15, v3
	v_lshlrev_b32_sdwa v7, v7, v9 dst_sel:DWORD dst_unused:UNUSED_PAD src0_sel:DWORD src1_sel:WORD_1
	v_bfe_u32 v4, v9, 19, 4
	v_sub_u32_e32 v6, 29, v6
	v_and_b32_e32 v7, 7, v7
	v_cmp_eq_u16_e32 vcc, 0, v3
	v_cndmask_b32_e32 v2, v2, v7, vcc
	v_cndmask_b32_e32 v3, v4, v6, vcc
	v_lshlrev_b32_e32 v4, 8, v9
	v_mov_b32_e32 v6, 0x3b800000
	v_lshlrev_b32_e32 v2, 20, v2
	v_and_b32_e32 v4, 0x80000000, v4
	v_lshl_add_u32 v3, v3, 23, v6
	v_or3_b32 v2, v4, v3, v2
.LBB1_12532:
	s_or_b64 exec, exec, s[6:7]
	s_movk_i32 s4, 0xff
	v_and_b32_sdwa v3, v5, s4 dst_sel:DWORD dst_unused:UNUSED_PAD src0_sel:WORD_1 src1_sel:DWORD
	s_movk_i32 s4, 0x7f
	v_cmp_lt_i16_e32 vcc, s4, v3
	s_mov_b64 s[4:5], 0
                                        ; implicit-def: $sgpr10
	s_and_saveexec_b64 s[6:7], vcc
	s_xor_b64 s[6:7], exec, s[6:7]
	s_cbranch_execz .LBB1_12533
; %bb.48373:
	s_getpc_b64 s[14:15]
.Lpost_getpc9850:
	s_add_u32 s14, s14, (.LBB1_26869-.Lpost_getpc9850)&4294967295
	s_addc_u32 s15, s15, (.LBB1_26869-.Lpost_getpc9850)>>32
	s_setpc_b64 s[14:15]
.LBB1_12533:
	s_or_saveexec_b64 s[6:7], s[6:7]
	v_mov_b32_e32 v4, s10
	s_xor_b64 exec, exec, s[6:7]
	s_cbranch_execz .LBB1_12534
; %bb.48375:
	s_getpc_b64 s[14:15]
.Lpost_getpc9851:
	s_add_u32 s14, s14, (.LBB1_26872-.Lpost_getpc9851)&4294967295
	s_addc_u32 s15, s15, (.LBB1_26872-.Lpost_getpc9851)>>32
	s_setpc_b64 s[14:15]
.LBB1_12534:
	s_or_b64 exec, exec, s[6:7]
	s_and_saveexec_b64 s[6:7], s[4:5]
	s_cbranch_execz .LBB1_12536
.LBB1_12535:
	v_bfe_u32 v3, v5, 16, 3
	v_ffbh_u32_e32 v7, v3
	v_min_u32_e32 v7, 32, v7
	v_lshrrev_b32_e32 v4, 19, v5
	v_subrev_u32_e32 v8, 28, v7
	v_and_b32_e32 v4, 15, v4
	v_lshlrev_b32_sdwa v8, v8, v5 dst_sel:DWORD dst_unused:UNUSED_PAD src0_sel:DWORD src1_sel:WORD_1
	v_bfe_u32 v6, v5, 19, 4
	v_sub_u32_e32 v7, 29, v7
	v_and_b32_e32 v8, 7, v8
	v_cmp_eq_u16_e32 vcc, 0, v4
	v_cndmask_b32_e32 v3, v3, v8, vcc
	v_cndmask_b32_e32 v4, v6, v7, vcc
	v_lshlrev_b32_e32 v6, 8, v5
	v_mov_b32_e32 v7, 0x3b800000
	v_lshlrev_b32_e32 v3, 20, v3
	v_and_b32_e32 v6, 0x80000000, v6
	v_lshl_add_u32 v4, v4, 23, v7
	v_or3_b32 v4, v6, v4, v3
.LBB1_12536:
	s_or_b64 exec, exec, s[6:7]
	s_nop 0
	v_mfma_f32_16x16x4f32 a[0:3], v2, v4, a[0:3]
	s_movk_i32 s4, 0x7f
	v_cmp_gt_i16_sdwa s[6:7], v9, s4 src0_sel:BYTE_3 src1_sel:DWORD
	s_mov_b64 s[4:5], 0
                                        ; implicit-def: $sgpr10
	s_and_saveexec_b64 s[8:9], s[6:7]
	s_xor_b64 s[6:7], exec, s[8:9]
	s_cbranch_execz .LBB1_12537
; %bb.48377:
	s_getpc_b64 s[14:15]
.Lpost_getpc9852:
	s_add_u32 s14, s14, (.LBB1_26873-.Lpost_getpc9852)&4294967295
	s_addc_u32 s15, s15, (.LBB1_26873-.Lpost_getpc9852)>>32
	s_setpc_b64 s[14:15]
.LBB1_12537:
	s_or_saveexec_b64 s[6:7], s[6:7]
	v_mov_b32_e32 v2, s10
	s_xor_b64 exec, exec, s[6:7]
	s_cbranch_execz .LBB1_12538
; %bb.48379:
	s_getpc_b64 s[14:15]
.Lpost_getpc9853:
	s_add_u32 s14, s14, (.LBB1_26876-.Lpost_getpc9853)&4294967295
	s_addc_u32 s15, s15, (.LBB1_26876-.Lpost_getpc9853)>>32
	s_setpc_b64 s[14:15]
.LBB1_12538:
	s_or_b64 exec, exec, s[6:7]
	s_and_saveexec_b64 s[6:7], s[4:5]
	s_cbranch_execz .LBB1_12540
.LBB1_12539:
	v_bfe_u32 v2, v9, 24, 3
	v_ffbh_u32_e32 v7, v2
	v_min_u32_e32 v7, 32, v7
	v_lshrrev_b32_e32 v4, 27, v9
	v_subrev_u32_e32 v8, 28, v7
	v_and_b32_e32 v4, 15, v4
	v_lshlrev_b32_sdwa v8, v8, v9 dst_sel:DWORD dst_unused:UNUSED_PAD src0_sel:DWORD src1_sel:BYTE_3
	v_bfe_u32 v6, v9, 27, 4
	v_sub_u32_e32 v7, 29, v7
	v_and_b32_e32 v8, 7, v8
	v_cmp_eq_u16_e32 vcc, 0, v4
	v_cndmask_b32_e32 v2, v2, v8, vcc
	v_cndmask_b32_e32 v4, v6, v7, vcc
	v_mov_b32_e32 v6, 0x3b800000
	v_and_b32_e32 v3, 0x80000000, v9
	v_lshlrev_b32_e32 v2, 20, v2
	v_lshl_add_u32 v4, v4, 23, v6
	v_or3_b32 v2, v3, v4, v2
.LBB1_12540:
	s_or_b64 exec, exec, s[6:7]
	s_movk_i32 s4, 0x7f
	v_cmp_gt_i16_sdwa s[6:7], v5, s4 src0_sel:BYTE_3 src1_sel:DWORD
	s_mov_b64 s[4:5], 0
                                        ; implicit-def: $sgpr10
	s_and_saveexec_b64 s[8:9], s[6:7]
	s_xor_b64 s[6:7], exec, s[8:9]
	s_cbranch_execz .LBB1_12541
; %bb.48381:
	s_getpc_b64 s[14:15]
.Lpost_getpc9854:
	s_add_u32 s14, s14, (.LBB1_26877-.Lpost_getpc9854)&4294967295
	s_addc_u32 s15, s15, (.LBB1_26877-.Lpost_getpc9854)>>32
	s_setpc_b64 s[14:15]
.LBB1_12541:
	s_or_saveexec_b64 s[6:7], s[6:7]
	v_mov_b32_e32 v3, s10
	s_xor_b64 exec, exec, s[6:7]
	s_cbranch_execz .LBB1_12542
; %bb.48383:
	s_getpc_b64 s[14:15]
.Lpost_getpc9855:
	s_add_u32 s14, s14, (.LBB1_26880-.Lpost_getpc9855)&4294967295
	s_addc_u32 s15, s15, (.LBB1_26880-.Lpost_getpc9855)>>32
	s_setpc_b64 s[14:15]
.LBB1_12542:
	s_or_b64 exec, exec, s[6:7]
	s_and_saveexec_b64 s[6:7], s[4:5]
	s_cbranch_execz .LBB1_12544
.LBB1_12543:
	v_bfe_u32 v3, v5, 24, 3
	v_ffbh_u32_e32 v8, v3
	v_min_u32_e32 v8, 32, v8
	v_lshrrev_b32_e32 v6, 27, v5
	v_subrev_u32_e32 v9, 28, v8
	v_and_b32_e32 v4, 0x80000000, v5
	v_and_b32_e32 v6, 15, v6
	v_bfe_u32 v7, v5, 27, 4
	v_lshlrev_b32_sdwa v5, v9, v5 dst_sel:DWORD dst_unused:UNUSED_PAD src0_sel:DWORD src1_sel:BYTE_3
	v_sub_u32_e32 v8, 29, v8
	v_and_b32_e32 v5, 7, v5
	v_cmp_eq_u16_e32 vcc, 0, v6
	v_cndmask_b32_e32 v3, v3, v5, vcc
	v_cndmask_b32_e32 v5, v7, v8, vcc
	v_mov_b32_e32 v6, 0x3b800000
	v_lshlrev_b32_e32 v3, 20, v3
	v_lshl_add_u32 v5, v5, 23, v6
	v_or3_b32 v3, v4, v5, v3
.LBB1_12544:
	s_or_b64 exec, exec, s[6:7]
	s_nop 0
	v_mfma_f32_16x16x4f32 a[0:3], v2, v3, a[0:3]
	s_movk_i32 s4, 0x7f
                                        ; implicit-def: $sgpr10
	s_nop 7
	s_nop 1
	flat_store_dwordx4 v[10:11], a[0:3] offset:656
	flat_load_dwordx4 v[12:15], v[0:1]
	s_nop 0
	flat_load_dwordx2 v[10:11], v[0:1] offset:16
	s_waitcnt vmcnt(0) lgkmcnt(0)
	flat_load_dwordx4 v[6:9], v[12:13] offset:192
	flat_load_dwordx4 v[2:5], v[14:15] offset:160
	s_waitcnt vmcnt(0) lgkmcnt(0)
	v_cmp_gt_i16_sdwa s[6:7], v6, s4 src0_sel:BYTE_0 src1_sel:DWORD
	s_mov_b64 s[4:5], 0
	s_and_saveexec_b64 s[8:9], s[6:7]
	s_xor_b64 s[6:7], exec, s[8:9]
	s_cbranch_execz .LBB1_12545
; %bb.48385:
	s_getpc_b64 s[14:15]
.Lpost_getpc9856:
	s_add_u32 s14, s14, (.LBB1_26881-.Lpost_getpc9856)&4294967295
	s_addc_u32 s15, s15, (.LBB1_26881-.Lpost_getpc9856)>>32
	s_setpc_b64 s[14:15]
.LBB1_12545:
	s_or_saveexec_b64 s[6:7], s[6:7]
	v_mov_b32_e32 v12, s10
	s_xor_b64 exec, exec, s[6:7]
	s_cbranch_execz .LBB1_12546
; %bb.48387:
	s_getpc_b64 s[14:15]
.Lpost_getpc9857:
	s_add_u32 s14, s14, (.LBB1_26884-.Lpost_getpc9857)&4294967295
	s_addc_u32 s15, s15, (.LBB1_26884-.Lpost_getpc9857)>>32
	s_setpc_b64 s[14:15]
.LBB1_12546:
	s_or_b64 exec, exec, s[6:7]
	s_and_saveexec_b64 s[6:7], s[4:5]
	s_cbranch_execz .LBB1_12548
.LBB1_12547:
	v_and_b32_e32 v12, 7, v6
	v_ffbh_u32_e32 v14, v12
	v_min_u32_e32 v14, 32, v14
	v_lshrrev_b16_e32 v13, 3, v6
	v_subrev_u32_e32 v15, 28, v14
	v_and_b32_e32 v13, 15, v13
	v_lshlrev_b32_e32 v15, v15, v6
	v_sub_u32_e32 v14, 29, v14
	v_and_b32_e32 v15, 7, v15
	v_cmp_eq_u16_e32 vcc, 0, v13
	v_cndmask_b32_e32 v12, v12, v15, vcc
	v_cndmask_b32_e32 v13, v13, v14, vcc
	v_lshlrev_b32_e32 v14, 24, v6
	v_mov_b32_e32 v15, 0x3b800000
	v_lshlrev_b32_e32 v12, 20, v12
	v_and_b32_e32 v14, 0x80000000, v14
	v_lshl_add_u32 v13, v13, 23, v15
	v_or3_b32 v12, v14, v13, v12
.LBB1_12548:
	s_or_b64 exec, exec, s[6:7]
	s_movk_i32 s4, 0x7f
	v_cmp_gt_i16_sdwa s[6:7], v2, s4 src0_sel:BYTE_0 src1_sel:DWORD
	s_mov_b64 s[4:5], 0
                                        ; implicit-def: $sgpr10
	s_and_saveexec_b64 s[8:9], s[6:7]
	s_xor_b64 s[6:7], exec, s[8:9]
	s_cbranch_execz .LBB1_12549
; %bb.48389:
	s_getpc_b64 s[14:15]
.Lpost_getpc9858:
	s_add_u32 s14, s14, (.LBB1_26885-.Lpost_getpc9858)&4294967295
	s_addc_u32 s15, s15, (.LBB1_26885-.Lpost_getpc9858)>>32
	s_setpc_b64 s[14:15]
.LBB1_12549:
	s_or_saveexec_b64 s[6:7], s[6:7]
	v_mov_b32_e32 v13, s10
	s_xor_b64 exec, exec, s[6:7]
	s_cbranch_execz .LBB1_12550
; %bb.48391:
	s_getpc_b64 s[14:15]
.Lpost_getpc9859:
	s_add_u32 s14, s14, (.LBB1_26888-.Lpost_getpc9859)&4294967295
	s_addc_u32 s15, s15, (.LBB1_26888-.Lpost_getpc9859)>>32
	s_setpc_b64 s[14:15]
.LBB1_12550:
	s_or_b64 exec, exec, s[6:7]
	s_and_saveexec_b64 s[6:7], s[4:5]
	s_cbranch_execz .LBB1_12552
.LBB1_12551:
	v_and_b32_e32 v13, 7, v2
	v_ffbh_u32_e32 v15, v13
	v_min_u32_e32 v15, 32, v15
	v_lshrrev_b16_e32 v14, 3, v2
	v_subrev_u32_e32 v16, 28, v15
	v_and_b32_e32 v14, 15, v14
	v_lshlrev_b32_e32 v16, v16, v2
	v_sub_u32_e32 v15, 29, v15
	v_and_b32_e32 v16, 7, v16
	v_cmp_eq_u16_e32 vcc, 0, v14
	v_cndmask_b32_e32 v13, v13, v16, vcc
	v_cndmask_b32_e32 v14, v14, v15, vcc
	v_lshlrev_b32_e32 v15, 24, v2
	v_mov_b32_e32 v16, 0x3b800000
	v_lshlrev_b32_e32 v13, 20, v13
	v_and_b32_e32 v15, 0x80000000, v15
	v_lshl_add_u32 v14, v14, 23, v16
	v_or3_b32 v13, v15, v14, v13
.LBB1_12552:
	s_or_b64 exec, exec, s[6:7]
	flat_load_dwordx4 a[0:3], v[10:11] offset:672
	s_movk_i32 s4, 0x7f
                                        ; implicit-def: $sgpr10
	s_waitcnt vmcnt(0) lgkmcnt(0)
	v_mfma_f32_16x16x4f32 a[0:3], v12, v13, a[0:3]
	v_lshrrev_b32_e32 v13, 8, v6
	v_cmp_gt_i16_sdwa s[6:7], v13, s4 src0_sel:BYTE_0 src1_sel:DWORD
	s_mov_b64 s[4:5], 0
	s_and_saveexec_b64 s[8:9], s[6:7]
	s_xor_b64 s[6:7], exec, s[8:9]
	s_cbranch_execz .LBB1_12553
; %bb.48393:
	s_getpc_b64 s[14:15]
.Lpost_getpc9860:
	s_add_u32 s14, s14, (.LBB1_26889-.Lpost_getpc9860)&4294967295
	s_addc_u32 s15, s15, (.LBB1_26889-.Lpost_getpc9860)>>32
	s_setpc_b64 s[14:15]
.LBB1_12553:
	s_or_saveexec_b64 s[6:7], s[6:7]
	v_mov_b32_e32 v12, s10
	s_xor_b64 exec, exec, s[6:7]
	s_cbranch_execz .LBB1_12554
; %bb.48395:
	s_getpc_b64 s[14:15]
.Lpost_getpc9861:
	s_add_u32 s14, s14, (.LBB1_26892-.Lpost_getpc9861)&4294967295
	s_addc_u32 s15, s15, (.LBB1_26892-.Lpost_getpc9861)>>32
	s_setpc_b64 s[14:15]
.LBB1_12554:
	s_or_b64 exec, exec, s[6:7]
	s_and_saveexec_b64 s[6:7], s[4:5]
	s_cbranch_execz .LBB1_12556
.LBB1_12555:
	v_bfe_u32 v12, v6, 8, 3
	v_ffbh_u32_e32 v15, v12
	v_min_u32_e32 v15, 32, v15
	v_lshrrev_b16_e32 v14, 3, v13
	v_subrev_u32_e32 v16, 28, v15
	v_and_b32_e32 v14, 15, v14
	v_lshlrev_b32_e32 v13, v16, v13
	v_sub_u32_e32 v15, 29, v15
	v_and_b32_e32 v13, 7, v13
	v_cmp_eq_u16_e32 vcc, 0, v14
	v_cndmask_b32_e32 v12, v12, v13, vcc
	v_cndmask_b32_e32 v13, v14, v15, vcc
	v_lshlrev_b32_e32 v14, 16, v6
	v_mov_b32_e32 v15, 0x3b800000
	v_lshlrev_b32_e32 v12, 20, v12
	v_and_b32_e32 v14, 0x80000000, v14
	v_lshl_add_u32 v13, v13, 23, v15
	v_or3_b32 v12, v14, v13, v12
.LBB1_12556:
	s_or_b64 exec, exec, s[6:7]
	v_lshrrev_b32_e32 v13, 8, v2
	s_movk_i32 s4, 0x7f
	v_cmp_gt_i16_sdwa s[6:7], v13, s4 src0_sel:BYTE_0 src1_sel:DWORD
	s_mov_b64 s[4:5], 0
                                        ; implicit-def: $sgpr10
	s_and_saveexec_b64 s[8:9], s[6:7]
	s_xor_b64 s[6:7], exec, s[8:9]
	s_cbranch_execz .LBB1_12557
; %bb.48397:
	s_getpc_b64 s[14:15]
.Lpost_getpc9862:
	s_add_u32 s14, s14, (.LBB1_26893-.Lpost_getpc9862)&4294967295
	s_addc_u32 s15, s15, (.LBB1_26893-.Lpost_getpc9862)>>32
	s_setpc_b64 s[14:15]
.LBB1_12557:
	s_or_saveexec_b64 s[6:7], s[6:7]
	v_mov_b32_e32 v14, s10
	s_xor_b64 exec, exec, s[6:7]
	s_cbranch_execz .LBB1_12558
; %bb.48399:
	s_getpc_b64 s[14:15]
.Lpost_getpc9863:
	s_add_u32 s14, s14, (.LBB1_26896-.Lpost_getpc9863)&4294967295
	s_addc_u32 s15, s15, (.LBB1_26896-.Lpost_getpc9863)>>32
	s_setpc_b64 s[14:15]
.LBB1_12558:
	s_or_b64 exec, exec, s[6:7]
	s_and_saveexec_b64 s[6:7], s[4:5]
	s_cbranch_execz .LBB1_12560
.LBB1_12559:
	v_bfe_u32 v14, v2, 8, 3
	v_ffbh_u32_e32 v16, v14
	v_min_u32_e32 v16, 32, v16
	v_lshrrev_b16_e32 v15, 3, v13
	v_subrev_u32_e32 v17, 28, v16
	v_and_b32_e32 v15, 15, v15
	v_lshlrev_b32_e32 v13, v17, v13
	v_sub_u32_e32 v16, 29, v16
	v_and_b32_e32 v13, 7, v13
	v_cmp_eq_u16_e32 vcc, 0, v15
	v_cndmask_b32_e32 v13, v14, v13, vcc
	v_cndmask_b32_e32 v14, v15, v16, vcc
	v_lshlrev_b32_e32 v15, 16, v2
	v_mov_b32_e32 v16, 0x3b800000
	v_lshlrev_b32_e32 v13, 20, v13
	v_and_b32_e32 v15, 0x80000000, v15
	v_lshl_add_u32 v14, v14, 23, v16
	v_or3_b32 v14, v15, v14, v13
.LBB1_12560:
	s_or_b64 exec, exec, s[6:7]
	s_nop 0
	v_mfma_f32_16x16x4f32 a[0:3], v12, v14, a[0:3]
	s_movk_i32 s4, 0xff
	v_and_b32_sdwa v13, v6, s4 dst_sel:DWORD dst_unused:UNUSED_PAD src0_sel:WORD_1 src1_sel:DWORD
	s_movk_i32 s4, 0x7f
	v_cmp_lt_i16_e32 vcc, s4, v13
	s_mov_b64 s[4:5], 0
                                        ; implicit-def: $sgpr10
	s_and_saveexec_b64 s[6:7], vcc
	s_xor_b64 s[6:7], exec, s[6:7]
	s_cbranch_execz .LBB1_12561
; %bb.48401:
	s_getpc_b64 s[14:15]
.Lpost_getpc9864:
	s_add_u32 s14, s14, (.LBB1_26897-.Lpost_getpc9864)&4294967295
	s_addc_u32 s15, s15, (.LBB1_26897-.Lpost_getpc9864)>>32
	s_setpc_b64 s[14:15]
.LBB1_12561:
	s_or_saveexec_b64 s[6:7], s[6:7]
	v_mov_b32_e32 v12, s10
	s_xor_b64 exec, exec, s[6:7]
	s_cbranch_execz .LBB1_12562
; %bb.48403:
	s_getpc_b64 s[14:15]
.Lpost_getpc9865:
	s_add_u32 s14, s14, (.LBB1_26900-.Lpost_getpc9865)&4294967295
	s_addc_u32 s15, s15, (.LBB1_26900-.Lpost_getpc9865)>>32
	s_setpc_b64 s[14:15]
.LBB1_12562:
	s_or_b64 exec, exec, s[6:7]
	s_and_saveexec_b64 s[6:7], s[4:5]
	s_cbranch_execz .LBB1_12564
.LBB1_12563:
	v_bfe_u32 v12, v6, 16, 3
	v_ffbh_u32_e32 v15, v12
	v_min_u32_e32 v15, 32, v15
	v_lshrrev_b32_e32 v13, 19, v6
	v_subrev_u32_e32 v16, 28, v15
	v_and_b32_e32 v13, 15, v13
	v_lshlrev_b32_sdwa v16, v16, v6 dst_sel:DWORD dst_unused:UNUSED_PAD src0_sel:DWORD src1_sel:WORD_1
	v_bfe_u32 v14, v6, 19, 4
	v_sub_u32_e32 v15, 29, v15
	v_and_b32_e32 v16, 7, v16
	v_cmp_eq_u16_e32 vcc, 0, v13
	v_cndmask_b32_e32 v12, v12, v16, vcc
	v_cndmask_b32_e32 v13, v14, v15, vcc
	v_lshlrev_b32_e32 v14, 8, v6
	v_mov_b32_e32 v15, 0x3b800000
	v_lshlrev_b32_e32 v12, 20, v12
	v_and_b32_e32 v14, 0x80000000, v14
	v_lshl_add_u32 v13, v13, 23, v15
	v_or3_b32 v12, v14, v13, v12
.LBB1_12564:
	s_or_b64 exec, exec, s[6:7]
	s_movk_i32 s4, 0xff
	v_and_b32_sdwa v13, v2, s4 dst_sel:DWORD dst_unused:UNUSED_PAD src0_sel:WORD_1 src1_sel:DWORD
	s_movk_i32 s4, 0x7f
	v_cmp_lt_i16_e32 vcc, s4, v13
	s_mov_b64 s[4:5], 0
                                        ; implicit-def: $sgpr10
	s_and_saveexec_b64 s[6:7], vcc
	s_xor_b64 s[6:7], exec, s[6:7]
	s_cbranch_execz .LBB1_12565
; %bb.48405:
	s_getpc_b64 s[14:15]
.Lpost_getpc9866:
	s_add_u32 s14, s14, (.LBB1_26901-.Lpost_getpc9866)&4294967295
	s_addc_u32 s15, s15, (.LBB1_26901-.Lpost_getpc9866)>>32
	s_setpc_b64 s[14:15]
.LBB1_12565:
	s_or_saveexec_b64 s[6:7], s[6:7]
	v_mov_b32_e32 v14, s10
	s_xor_b64 exec, exec, s[6:7]
	s_cbranch_execz .LBB1_12566
; %bb.48407:
	s_getpc_b64 s[14:15]
.Lpost_getpc9867:
	s_add_u32 s14, s14, (.LBB1_26904-.Lpost_getpc9867)&4294967295
	s_addc_u32 s15, s15, (.LBB1_26904-.Lpost_getpc9867)>>32
	s_setpc_b64 s[14:15]
.LBB1_12566:
	s_or_b64 exec, exec, s[6:7]
	s_and_saveexec_b64 s[6:7], s[4:5]
	s_cbranch_execz .LBB1_12568
.LBB1_12567:
	v_bfe_u32 v13, v2, 16, 3
	v_ffbh_u32_e32 v16, v13
	v_min_u32_e32 v16, 32, v16
	v_lshrrev_b32_e32 v14, 19, v2
	v_subrev_u32_e32 v17, 28, v16
	v_and_b32_e32 v14, 15, v14
	v_lshlrev_b32_sdwa v17, v17, v2 dst_sel:DWORD dst_unused:UNUSED_PAD src0_sel:DWORD src1_sel:WORD_1
	v_bfe_u32 v15, v2, 19, 4
	v_sub_u32_e32 v16, 29, v16
	v_and_b32_e32 v17, 7, v17
	v_cmp_eq_u16_e32 vcc, 0, v14
	v_cndmask_b32_e32 v13, v13, v17, vcc
	v_cndmask_b32_e32 v14, v15, v16, vcc
	v_lshlrev_b32_e32 v15, 8, v2
	v_mov_b32_e32 v16, 0x3b800000
	v_lshlrev_b32_e32 v13, 20, v13
	v_and_b32_e32 v15, 0x80000000, v15
	v_lshl_add_u32 v14, v14, 23, v16
	v_or3_b32 v14, v15, v14, v13
.LBB1_12568:
	s_or_b64 exec, exec, s[6:7]
	s_nop 0
	v_mfma_f32_16x16x4f32 a[0:3], v12, v14, a[0:3]
	s_movk_i32 s4, 0x7f
	v_cmp_gt_i16_sdwa s[6:7], v6, s4 src0_sel:BYTE_3 src1_sel:DWORD
	s_mov_b64 s[4:5], 0
                                        ; implicit-def: $sgpr10
	s_and_saveexec_b64 s[8:9], s[6:7]
	s_xor_b64 s[6:7], exec, s[8:9]
	s_cbranch_execz .LBB1_12569
; %bb.48409:
	s_getpc_b64 s[14:15]
.Lpost_getpc9868:
	s_add_u32 s14, s14, (.LBB1_26905-.Lpost_getpc9868)&4294967295
	s_addc_u32 s15, s15, (.LBB1_26905-.Lpost_getpc9868)>>32
	s_setpc_b64 s[14:15]
.LBB1_12569:
	s_or_saveexec_b64 s[6:7], s[6:7]
	v_mov_b32_e32 v12, s10
	s_xor_b64 exec, exec, s[6:7]
	s_cbranch_execz .LBB1_12570
; %bb.48411:
	s_getpc_b64 s[14:15]
.Lpost_getpc9869:
	s_add_u32 s14, s14, (.LBB1_26908-.Lpost_getpc9869)&4294967295
	s_addc_u32 s15, s15, (.LBB1_26908-.Lpost_getpc9869)>>32
	s_setpc_b64 s[14:15]
.LBB1_12570:
	s_or_b64 exec, exec, s[6:7]
	s_and_saveexec_b64 s[6:7], s[4:5]
	s_cbranch_execz .LBB1_12572
.LBB1_12571:
	v_bfe_u32 v12, v6, 24, 3
	v_ffbh_u32_e32 v16, v12
	v_min_u32_e32 v16, 32, v16
	v_lshrrev_b32_e32 v14, 27, v6
	v_subrev_u32_e32 v17, 28, v16
	v_and_b32_e32 v13, 0x80000000, v6
	v_and_b32_e32 v14, 15, v14
	v_bfe_u32 v15, v6, 27, 4
	v_lshlrev_b32_sdwa v6, v17, v6 dst_sel:DWORD dst_unused:UNUSED_PAD src0_sel:DWORD src1_sel:BYTE_3
	v_sub_u32_e32 v16, 29, v16
	v_and_b32_e32 v6, 7, v6
	v_cmp_eq_u16_e32 vcc, 0, v14
	v_cndmask_b32_e32 v6, v12, v6, vcc
	v_cndmask_b32_e32 v12, v15, v16, vcc
	v_mov_b32_e32 v14, 0x3b800000
	v_lshlrev_b32_e32 v6, 20, v6
	v_lshl_add_u32 v12, v12, 23, v14
	v_or3_b32 v12, v13, v12, v6
.LBB1_12572:
	s_or_b64 exec, exec, s[6:7]
	s_movk_i32 s4, 0x7f
	v_cmp_gt_i16_sdwa s[6:7], v2, s4 src0_sel:BYTE_3 src1_sel:DWORD
	s_mov_b64 s[4:5], 0
                                        ; implicit-def: $sgpr10
	s_and_saveexec_b64 s[8:9], s[6:7]
	s_xor_b64 s[6:7], exec, s[8:9]
	s_cbranch_execz .LBB1_12573
; %bb.48413:
	s_getpc_b64 s[14:15]
.Lpost_getpc9870:
	s_add_u32 s14, s14, (.LBB1_26909-.Lpost_getpc9870)&4294967295
	s_addc_u32 s15, s15, (.LBB1_26909-.Lpost_getpc9870)>>32
	s_setpc_b64 s[14:15]
.LBB1_12573:
	s_or_saveexec_b64 s[6:7], s[6:7]
	v_mov_b32_e32 v6, s10
	s_xor_b64 exec, exec, s[6:7]
	s_cbranch_execz .LBB1_12574
; %bb.48415:
	s_getpc_b64 s[14:15]
.Lpost_getpc9871:
	s_add_u32 s14, s14, (.LBB1_26912-.Lpost_getpc9871)&4294967295
	s_addc_u32 s15, s15, (.LBB1_26912-.Lpost_getpc9871)>>32
	s_setpc_b64 s[14:15]
.LBB1_12574:
	s_or_b64 exec, exec, s[6:7]
	s_and_saveexec_b64 s[6:7], s[4:5]
	s_cbranch_execz .LBB1_12576
.LBB1_12575:
	v_bfe_u32 v6, v2, 24, 3
	v_ffbh_u32_e32 v16, v6
	v_min_u32_e32 v16, 32, v16
	v_lshrrev_b32_e32 v14, 27, v2
	v_subrev_u32_e32 v17, 28, v16
	v_and_b32_e32 v13, 0x80000000, v2
	v_and_b32_e32 v14, 15, v14
	v_bfe_u32 v15, v2, 27, 4
	v_lshlrev_b32_sdwa v2, v17, v2 dst_sel:DWORD dst_unused:UNUSED_PAD src0_sel:DWORD src1_sel:BYTE_3
	v_sub_u32_e32 v16, 29, v16
	v_and_b32_e32 v2, 7, v2
	v_cmp_eq_u16_e32 vcc, 0, v14
	v_cndmask_b32_e32 v2, v6, v2, vcc
	v_cndmask_b32_e32 v6, v15, v16, vcc
	v_mov_b32_e32 v14, 0x3b800000
	v_lshlrev_b32_e32 v2, 20, v2
	v_lshl_add_u32 v6, v6, 23, v14
	v_or3_b32 v6, v13, v6, v2
.LBB1_12576:
	s_or_b64 exec, exec, s[6:7]
	s_nop 0
	v_mfma_f32_16x16x4f32 a[0:3], v12, v6, a[0:3]
	s_movk_i32 s4, 0x7f
	v_cmp_gt_i16_sdwa s[6:7], v7, s4 src0_sel:BYTE_0 src1_sel:DWORD
	s_mov_b64 s[4:5], 0
                                        ; implicit-def: $sgpr10
	s_and_saveexec_b64 s[8:9], s[6:7]
	s_xor_b64 s[6:7], exec, s[8:9]
	s_cbranch_execz .LBB1_12577
; %bb.48417:
	s_getpc_b64 s[14:15]
.Lpost_getpc9872:
	s_add_u32 s14, s14, (.LBB1_26913-.Lpost_getpc9872)&4294967295
	s_addc_u32 s15, s15, (.LBB1_26913-.Lpost_getpc9872)>>32
	s_setpc_b64 s[14:15]
.LBB1_12577:
	s_or_saveexec_b64 s[6:7], s[6:7]
	v_mov_b32_e32 v2, s10
	s_xor_b64 exec, exec, s[6:7]
	s_cbranch_execz .LBB1_12578
; %bb.48419:
	s_getpc_b64 s[14:15]
.Lpost_getpc9873:
	s_add_u32 s14, s14, (.LBB1_26916-.Lpost_getpc9873)&4294967295
	s_addc_u32 s15, s15, (.LBB1_26916-.Lpost_getpc9873)>>32
	s_setpc_b64 s[14:15]
.LBB1_12578:
	s_or_b64 exec, exec, s[6:7]
	s_and_saveexec_b64 s[6:7], s[4:5]
	s_cbranch_execz .LBB1_12580
.LBB1_12579:
	v_and_b32_e32 v2, 7, v7
	v_ffbh_u32_e32 v12, v2
	v_min_u32_e32 v12, 32, v12
	v_lshrrev_b16_e32 v6, 3, v7
	v_subrev_u32_e32 v13, 28, v12
	v_and_b32_e32 v6, 15, v6
	v_lshlrev_b32_e32 v13, v13, v7
	v_sub_u32_e32 v12, 29, v12
	v_and_b32_e32 v13, 7, v13
	v_cmp_eq_u16_e32 vcc, 0, v6
	v_cndmask_b32_e32 v2, v2, v13, vcc
	v_cndmask_b32_e32 v6, v6, v12, vcc
	v_lshlrev_b32_e32 v12, 24, v7
	v_mov_b32_e32 v13, 0x3b800000
	v_lshlrev_b32_e32 v2, 20, v2
	v_and_b32_e32 v12, 0x80000000, v12
	v_lshl_add_u32 v6, v6, 23, v13
	v_or3_b32 v2, v12, v6, v2
.LBB1_12580:
	s_or_b64 exec, exec, s[6:7]
	s_movk_i32 s4, 0x7f
	v_cmp_gt_i16_sdwa s[6:7], v3, s4 src0_sel:BYTE_0 src1_sel:DWORD
	s_mov_b64 s[4:5], 0
                                        ; implicit-def: $sgpr10
	s_and_saveexec_b64 s[8:9], s[6:7]
	s_xor_b64 s[6:7], exec, s[8:9]
	s_cbranch_execz .LBB1_12581
; %bb.48421:
	s_getpc_b64 s[14:15]
.Lpost_getpc9874:
	s_add_u32 s14, s14, (.LBB1_26917-.Lpost_getpc9874)&4294967295
	s_addc_u32 s15, s15, (.LBB1_26917-.Lpost_getpc9874)>>32
	s_setpc_b64 s[14:15]
.LBB1_12581:
	s_or_saveexec_b64 s[6:7], s[6:7]
	v_mov_b32_e32 v6, s10
	s_xor_b64 exec, exec, s[6:7]
	s_cbranch_execz .LBB1_12582
; %bb.48423:
	s_getpc_b64 s[14:15]
.Lpost_getpc9875:
	s_add_u32 s14, s14, (.LBB1_26920-.Lpost_getpc9875)&4294967295
	s_addc_u32 s15, s15, (.LBB1_26920-.Lpost_getpc9875)>>32
	s_setpc_b64 s[14:15]
.LBB1_12582:
	s_or_b64 exec, exec, s[6:7]
	s_and_saveexec_b64 s[6:7], s[4:5]
	s_cbranch_execz .LBB1_12584
.LBB1_12583:
	v_and_b32_e32 v6, 7, v3
	v_ffbh_u32_e32 v13, v6
	v_min_u32_e32 v13, 32, v13
	v_lshrrev_b16_e32 v12, 3, v3
	v_subrev_u32_e32 v14, 28, v13
	v_and_b32_e32 v12, 15, v12
	v_lshlrev_b32_e32 v14, v14, v3
	v_sub_u32_e32 v13, 29, v13
	v_and_b32_e32 v14, 7, v14
	v_cmp_eq_u16_e32 vcc, 0, v12
	v_cndmask_b32_e32 v6, v6, v14, vcc
	v_cndmask_b32_e32 v12, v12, v13, vcc
	v_lshlrev_b32_e32 v13, 24, v3
	v_mov_b32_e32 v14, 0x3b800000
	v_lshlrev_b32_e32 v6, 20, v6
	v_and_b32_e32 v13, 0x80000000, v13
	v_lshl_add_u32 v12, v12, 23, v14
	v_or3_b32 v6, v13, v12, v6
.LBB1_12584:
	s_or_b64 exec, exec, s[6:7]
	s_nop 0
	v_mfma_f32_16x16x4f32 a[0:3], v2, v6, a[0:3]
	v_lshrrev_b32_e32 v6, 8, v7
	s_movk_i32 s4, 0x7f
	v_cmp_gt_i16_sdwa s[6:7], v6, s4 src0_sel:BYTE_0 src1_sel:DWORD
	s_mov_b64 s[4:5], 0
                                        ; implicit-def: $sgpr10
	s_and_saveexec_b64 s[8:9], s[6:7]
	s_xor_b64 s[6:7], exec, s[8:9]
	s_cbranch_execz .LBB1_12585
; %bb.48425:
	s_getpc_b64 s[14:15]
.Lpost_getpc9876:
	s_add_u32 s14, s14, (.LBB1_26921-.Lpost_getpc9876)&4294967295
	s_addc_u32 s15, s15, (.LBB1_26921-.Lpost_getpc9876)>>32
	s_setpc_b64 s[14:15]
.LBB1_12585:
	s_or_saveexec_b64 s[6:7], s[6:7]
	v_mov_b32_e32 v2, s10
	s_xor_b64 exec, exec, s[6:7]
	s_cbranch_execz .LBB1_12586
; %bb.48427:
	s_getpc_b64 s[14:15]
.Lpost_getpc9877:
	s_add_u32 s14, s14, (.LBB1_26924-.Lpost_getpc9877)&4294967295
	s_addc_u32 s15, s15, (.LBB1_26924-.Lpost_getpc9877)>>32
	s_setpc_b64 s[14:15]
.LBB1_12586:
	s_or_b64 exec, exec, s[6:7]
	s_and_saveexec_b64 s[6:7], s[4:5]
	s_cbranch_execz .LBB1_12588
.LBB1_12587:
	v_bfe_u32 v2, v7, 8, 3
	v_ffbh_u32_e32 v13, v2
	v_min_u32_e32 v13, 32, v13
	v_lshrrev_b16_e32 v12, 3, v6
	v_subrev_u32_e32 v14, 28, v13
	v_and_b32_e32 v12, 15, v12
	v_lshlrev_b32_e32 v6, v14, v6
	v_sub_u32_e32 v13, 29, v13
	v_and_b32_e32 v6, 7, v6
	v_cmp_eq_u16_e32 vcc, 0, v12
	v_cndmask_b32_e32 v2, v2, v6, vcc
	v_cndmask_b32_e32 v6, v12, v13, vcc
	v_lshlrev_b32_e32 v12, 16, v7
	v_mov_b32_e32 v13, 0x3b800000
	v_lshlrev_b32_e32 v2, 20, v2
	v_and_b32_e32 v12, 0x80000000, v12
	v_lshl_add_u32 v6, v6, 23, v13
	v_or3_b32 v2, v12, v6, v2
.LBB1_12588:
	s_or_b64 exec, exec, s[6:7]
	v_lshrrev_b32_e32 v6, 8, v3
	s_movk_i32 s4, 0x7f
	v_cmp_gt_i16_sdwa s[6:7], v6, s4 src0_sel:BYTE_0 src1_sel:DWORD
	s_mov_b64 s[4:5], 0
                                        ; implicit-def: $sgpr10
	s_and_saveexec_b64 s[8:9], s[6:7]
	s_xor_b64 s[6:7], exec, s[8:9]
	s_cbranch_execz .LBB1_12589
; %bb.48429:
	s_getpc_b64 s[14:15]
.Lpost_getpc9878:
	s_add_u32 s14, s14, (.LBB1_26925-.Lpost_getpc9878)&4294967295
	s_addc_u32 s15, s15, (.LBB1_26925-.Lpost_getpc9878)>>32
	s_setpc_b64 s[14:15]
.LBB1_12589:
	s_or_saveexec_b64 s[6:7], s[6:7]
	v_mov_b32_e32 v12, s10
	s_xor_b64 exec, exec, s[6:7]
	s_cbranch_execz .LBB1_12590
; %bb.48431:
	s_getpc_b64 s[14:15]
.Lpost_getpc9879:
	s_add_u32 s14, s14, (.LBB1_26928-.Lpost_getpc9879)&4294967295
	s_addc_u32 s15, s15, (.LBB1_26928-.Lpost_getpc9879)>>32
	s_setpc_b64 s[14:15]
.LBB1_12590:
	s_or_b64 exec, exec, s[6:7]
	s_and_saveexec_b64 s[6:7], s[4:5]
	s_cbranch_execz .LBB1_12592
.LBB1_12591:
	v_bfe_u32 v12, v3, 8, 3
	v_ffbh_u32_e32 v14, v12
	v_min_u32_e32 v14, 32, v14
	v_lshrrev_b16_e32 v13, 3, v6
	v_subrev_u32_e32 v15, 28, v14
	v_and_b32_e32 v13, 15, v13
	v_lshlrev_b32_e32 v6, v15, v6
	v_sub_u32_e32 v14, 29, v14
	v_and_b32_e32 v6, 7, v6
	v_cmp_eq_u16_e32 vcc, 0, v13
	v_cndmask_b32_e32 v6, v12, v6, vcc
	v_cndmask_b32_e32 v12, v13, v14, vcc
	v_lshlrev_b32_e32 v13, 16, v3
	v_mov_b32_e32 v14, 0x3b800000
	v_lshlrev_b32_e32 v6, 20, v6
	v_and_b32_e32 v13, 0x80000000, v13
	v_lshl_add_u32 v12, v12, 23, v14
	v_or3_b32 v12, v13, v12, v6
.LBB1_12592:
	s_or_b64 exec, exec, s[6:7]
	s_nop 0
	v_mfma_f32_16x16x4f32 a[0:3], v2, v12, a[0:3]
	s_movk_i32 s4, 0xff
	v_and_b32_sdwa v6, v7, s4 dst_sel:DWORD dst_unused:UNUSED_PAD src0_sel:WORD_1 src1_sel:DWORD
	s_movk_i32 s4, 0x7f
	v_cmp_lt_i16_e32 vcc, s4, v6
	s_mov_b64 s[4:5], 0
                                        ; implicit-def: $sgpr10
	s_and_saveexec_b64 s[6:7], vcc
	s_xor_b64 s[6:7], exec, s[6:7]
	s_cbranch_execz .LBB1_12593
; %bb.48433:
	s_getpc_b64 s[14:15]
.Lpost_getpc9880:
	s_add_u32 s14, s14, (.LBB1_26929-.Lpost_getpc9880)&4294967295
	s_addc_u32 s15, s15, (.LBB1_26929-.Lpost_getpc9880)>>32
	s_setpc_b64 s[14:15]
.LBB1_12593:
	s_or_saveexec_b64 s[6:7], s[6:7]
	v_mov_b32_e32 v2, s10
	s_xor_b64 exec, exec, s[6:7]
	s_cbranch_execz .LBB1_12594
; %bb.48435:
	s_getpc_b64 s[14:15]
.Lpost_getpc9881:
	s_add_u32 s14, s14, (.LBB1_26932-.Lpost_getpc9881)&4294967295
	s_addc_u32 s15, s15, (.LBB1_26932-.Lpost_getpc9881)>>32
	s_setpc_b64 s[14:15]
.LBB1_12594:
	s_or_b64 exec, exec, s[6:7]
	s_and_saveexec_b64 s[6:7], s[4:5]
	s_cbranch_execz .LBB1_12596
.LBB1_12595:
	v_bfe_u32 v2, v7, 16, 3
	v_ffbh_u32_e32 v13, v2
	v_min_u32_e32 v13, 32, v13
	v_lshrrev_b32_e32 v6, 19, v7
	v_subrev_u32_e32 v14, 28, v13
	v_and_b32_e32 v6, 15, v6
	v_lshlrev_b32_sdwa v14, v14, v7 dst_sel:DWORD dst_unused:UNUSED_PAD src0_sel:DWORD src1_sel:WORD_1
	v_bfe_u32 v12, v7, 19, 4
	v_sub_u32_e32 v13, 29, v13
	v_and_b32_e32 v14, 7, v14
	v_cmp_eq_u16_e32 vcc, 0, v6
	v_cndmask_b32_e32 v2, v2, v14, vcc
	v_cndmask_b32_e32 v6, v12, v13, vcc
	v_lshlrev_b32_e32 v12, 8, v7
	v_mov_b32_e32 v13, 0x3b800000
	v_lshlrev_b32_e32 v2, 20, v2
	v_and_b32_e32 v12, 0x80000000, v12
	v_lshl_add_u32 v6, v6, 23, v13
	v_or3_b32 v2, v12, v6, v2
.LBB1_12596:
	s_or_b64 exec, exec, s[6:7]
	s_movk_i32 s4, 0xff
	v_and_b32_sdwa v6, v3, s4 dst_sel:DWORD dst_unused:UNUSED_PAD src0_sel:WORD_1 src1_sel:DWORD
	s_movk_i32 s4, 0x7f
	v_cmp_lt_i16_e32 vcc, s4, v6
	s_mov_b64 s[4:5], 0
                                        ; implicit-def: $sgpr10
	s_and_saveexec_b64 s[6:7], vcc
	s_xor_b64 s[6:7], exec, s[6:7]
	s_cbranch_execz .LBB1_12597
; %bb.48437:
	s_getpc_b64 s[14:15]
.Lpost_getpc9882:
	s_add_u32 s14, s14, (.LBB1_26933-.Lpost_getpc9882)&4294967295
	s_addc_u32 s15, s15, (.LBB1_26933-.Lpost_getpc9882)>>32
	s_setpc_b64 s[14:15]
.LBB1_12597:
	s_or_saveexec_b64 s[6:7], s[6:7]
	v_mov_b32_e32 v12, s10
	s_xor_b64 exec, exec, s[6:7]
	s_cbranch_execz .LBB1_12598
; %bb.48439:
	s_getpc_b64 s[14:15]
.Lpost_getpc9883:
	s_add_u32 s14, s14, (.LBB1_26936-.Lpost_getpc9883)&4294967295
	s_addc_u32 s15, s15, (.LBB1_26936-.Lpost_getpc9883)>>32
	s_setpc_b64 s[14:15]
.LBB1_12598:
	s_or_b64 exec, exec, s[6:7]
	s_and_saveexec_b64 s[6:7], s[4:5]
	s_cbranch_execz .LBB1_12600
.LBB1_12599:
	v_bfe_u32 v6, v3, 16, 3
	v_ffbh_u32_e32 v14, v6
	v_min_u32_e32 v14, 32, v14
	v_lshrrev_b32_e32 v12, 19, v3
	v_subrev_u32_e32 v15, 28, v14
	v_and_b32_e32 v12, 15, v12
	v_lshlrev_b32_sdwa v15, v15, v3 dst_sel:DWORD dst_unused:UNUSED_PAD src0_sel:DWORD src1_sel:WORD_1
	v_bfe_u32 v13, v3, 19, 4
	v_sub_u32_e32 v14, 29, v14
	v_and_b32_e32 v15, 7, v15
	v_cmp_eq_u16_e32 vcc, 0, v12
	v_cndmask_b32_e32 v6, v6, v15, vcc
	v_cndmask_b32_e32 v12, v13, v14, vcc
	v_lshlrev_b32_e32 v13, 8, v3
	v_mov_b32_e32 v14, 0x3b800000
	v_lshlrev_b32_e32 v6, 20, v6
	v_and_b32_e32 v13, 0x80000000, v13
	v_lshl_add_u32 v12, v12, 23, v14
	v_or3_b32 v12, v13, v12, v6
.LBB1_12600:
	s_or_b64 exec, exec, s[6:7]
	s_nop 0
	v_mfma_f32_16x16x4f32 a[0:3], v2, v12, a[0:3]
	s_movk_i32 s4, 0x7f
	v_cmp_gt_i16_sdwa s[6:7], v7, s4 src0_sel:BYTE_3 src1_sel:DWORD
	s_mov_b64 s[4:5], 0
                                        ; implicit-def: $sgpr10
	s_and_saveexec_b64 s[8:9], s[6:7]
	s_xor_b64 s[6:7], exec, s[8:9]
	s_cbranch_execz .LBB1_12601
; %bb.48441:
	s_getpc_b64 s[14:15]
.Lpost_getpc9884:
	s_add_u32 s14, s14, (.LBB1_26937-.Lpost_getpc9884)&4294967295
	s_addc_u32 s15, s15, (.LBB1_26937-.Lpost_getpc9884)>>32
	s_setpc_b64 s[14:15]
.LBB1_12601:
	s_or_saveexec_b64 s[6:7], s[6:7]
	v_mov_b32_e32 v2, s10
	s_xor_b64 exec, exec, s[6:7]
	s_cbranch_execz .LBB1_12602
; %bb.48443:
	s_getpc_b64 s[14:15]
.Lpost_getpc9885:
	s_add_u32 s14, s14, (.LBB1_26940-.Lpost_getpc9885)&4294967295
	s_addc_u32 s15, s15, (.LBB1_26940-.Lpost_getpc9885)>>32
	s_setpc_b64 s[14:15]
.LBB1_12602:
	s_or_b64 exec, exec, s[6:7]
	s_and_saveexec_b64 s[6:7], s[4:5]
	s_cbranch_execz .LBB1_12604
.LBB1_12603:
	v_bfe_u32 v2, v7, 24, 3
	v_ffbh_u32_e32 v14, v2
	v_min_u32_e32 v14, 32, v14
	v_lshrrev_b32_e32 v12, 27, v7
	v_subrev_u32_e32 v15, 28, v14
	v_and_b32_e32 v6, 0x80000000, v7
	v_and_b32_e32 v12, 15, v12
	v_bfe_u32 v13, v7, 27, 4
	v_lshlrev_b32_sdwa v7, v15, v7 dst_sel:DWORD dst_unused:UNUSED_PAD src0_sel:DWORD src1_sel:BYTE_3
	v_sub_u32_e32 v14, 29, v14
	v_and_b32_e32 v7, 7, v7
	v_cmp_eq_u16_e32 vcc, 0, v12
	v_cndmask_b32_e32 v2, v2, v7, vcc
	v_cndmask_b32_e32 v7, v13, v14, vcc
	v_mov_b32_e32 v12, 0x3b800000
	v_lshlrev_b32_e32 v2, 20, v2
	v_lshl_add_u32 v7, v7, 23, v12
	v_or3_b32 v2, v6, v7, v2
.LBB1_12604:
	s_or_b64 exec, exec, s[6:7]
	s_movk_i32 s4, 0x7f
	v_cmp_gt_i16_sdwa s[6:7], v3, s4 src0_sel:BYTE_3 src1_sel:DWORD
	s_mov_b64 s[4:5], 0
                                        ; implicit-def: $sgpr10
	s_and_saveexec_b64 s[8:9], s[6:7]
	s_xor_b64 s[6:7], exec, s[8:9]
	s_cbranch_execz .LBB1_12605
; %bb.48445:
	s_getpc_b64 s[14:15]
.Lpost_getpc9886:
	s_add_u32 s14, s14, (.LBB1_26941-.Lpost_getpc9886)&4294967295
	s_addc_u32 s15, s15, (.LBB1_26941-.Lpost_getpc9886)>>32
	s_setpc_b64 s[14:15]
.LBB1_12605:
	s_or_saveexec_b64 s[6:7], s[6:7]
	v_mov_b32_e32 v6, s10
	s_xor_b64 exec, exec, s[6:7]
	s_cbranch_execz .LBB1_12606
; %bb.48447:
	s_getpc_b64 s[14:15]
.Lpost_getpc9887:
	s_add_u32 s14, s14, (.LBB1_26944-.Lpost_getpc9887)&4294967295
	s_addc_u32 s15, s15, (.LBB1_26944-.Lpost_getpc9887)>>32
	s_setpc_b64 s[14:15]
.LBB1_12606:
	s_or_b64 exec, exec, s[6:7]
	s_and_saveexec_b64 s[6:7], s[4:5]
	s_cbranch_execz .LBB1_12608
.LBB1_12607:
	v_bfe_u32 v6, v3, 24, 3
	v_ffbh_u32_e32 v14, v6
	v_min_u32_e32 v14, 32, v14
	v_lshrrev_b32_e32 v12, 27, v3
	v_subrev_u32_e32 v15, 28, v14
	v_and_b32_e32 v7, 0x80000000, v3
	v_and_b32_e32 v12, 15, v12
	v_bfe_u32 v13, v3, 27, 4
	v_lshlrev_b32_sdwa v3, v15, v3 dst_sel:DWORD dst_unused:UNUSED_PAD src0_sel:DWORD src1_sel:BYTE_3
	v_sub_u32_e32 v14, 29, v14
	v_and_b32_e32 v3, 7, v3
	v_cmp_eq_u16_e32 vcc, 0, v12
	v_cndmask_b32_e32 v3, v6, v3, vcc
	v_cndmask_b32_e32 v6, v13, v14, vcc
	v_mov_b32_e32 v12, 0x3b800000
	v_lshlrev_b32_e32 v3, 20, v3
	v_lshl_add_u32 v6, v6, 23, v12
	v_or3_b32 v6, v7, v6, v3
.LBB1_12608:
	s_or_b64 exec, exec, s[6:7]
	s_nop 0
	v_mfma_f32_16x16x4f32 a[0:3], v2, v6, a[0:3]
	s_movk_i32 s4, 0x7f
	v_cmp_gt_i16_sdwa s[6:7], v8, s4 src0_sel:BYTE_0 src1_sel:DWORD
	s_mov_b64 s[4:5], 0
                                        ; implicit-def: $sgpr10
	s_and_saveexec_b64 s[8:9], s[6:7]
	s_xor_b64 s[6:7], exec, s[8:9]
	s_cbranch_execz .LBB1_12609
; %bb.48449:
	s_getpc_b64 s[14:15]
.Lpost_getpc9888:
	s_add_u32 s14, s14, (.LBB1_26945-.Lpost_getpc9888)&4294967295
	s_addc_u32 s15, s15, (.LBB1_26945-.Lpost_getpc9888)>>32
	s_setpc_b64 s[14:15]
.LBB1_12609:
	s_or_saveexec_b64 s[6:7], s[6:7]
	v_mov_b32_e32 v2, s10
	s_xor_b64 exec, exec, s[6:7]
	s_cbranch_execz .LBB1_12610
; %bb.48451:
	s_getpc_b64 s[14:15]
.Lpost_getpc9889:
	s_add_u32 s14, s14, (.LBB1_26948-.Lpost_getpc9889)&4294967295
	s_addc_u32 s15, s15, (.LBB1_26948-.Lpost_getpc9889)>>32
	s_setpc_b64 s[14:15]
.LBB1_12610:
	s_or_b64 exec, exec, s[6:7]
	s_and_saveexec_b64 s[6:7], s[4:5]
	s_cbranch_execz .LBB1_12612
.LBB1_12611:
	v_and_b32_e32 v2, 7, v8
	v_ffbh_u32_e32 v6, v2
	v_min_u32_e32 v6, 32, v6
	v_lshrrev_b16_e32 v3, 3, v8
	v_subrev_u32_e32 v7, 28, v6
	v_and_b32_e32 v3, 15, v3
	v_lshlrev_b32_e32 v7, v7, v8
	v_sub_u32_e32 v6, 29, v6
	v_and_b32_e32 v7, 7, v7
	v_cmp_eq_u16_e32 vcc, 0, v3
	v_cndmask_b32_e32 v2, v2, v7, vcc
	v_cndmask_b32_e32 v3, v3, v6, vcc
	v_lshlrev_b32_e32 v6, 24, v8
	v_mov_b32_e32 v7, 0x3b800000
	v_lshlrev_b32_e32 v2, 20, v2
	v_and_b32_e32 v6, 0x80000000, v6
	v_lshl_add_u32 v3, v3, 23, v7
	v_or3_b32 v2, v6, v3, v2
.LBB1_12612:
	s_or_b64 exec, exec, s[6:7]
	s_movk_i32 s4, 0x7f
	v_cmp_gt_i16_sdwa s[6:7], v4, s4 src0_sel:BYTE_0 src1_sel:DWORD
	s_mov_b64 s[4:5], 0
                                        ; implicit-def: $sgpr10
	s_and_saveexec_b64 s[8:9], s[6:7]
	s_xor_b64 s[6:7], exec, s[8:9]
	s_cbranch_execz .LBB1_12613
; %bb.48453:
	s_getpc_b64 s[14:15]
.Lpost_getpc9890:
	s_add_u32 s14, s14, (.LBB1_26949-.Lpost_getpc9890)&4294967295
	s_addc_u32 s15, s15, (.LBB1_26949-.Lpost_getpc9890)>>32
	s_setpc_b64 s[14:15]
.LBB1_12613:
	s_or_saveexec_b64 s[6:7], s[6:7]
	v_mov_b32_e32 v3, s10
	s_xor_b64 exec, exec, s[6:7]
	s_cbranch_execz .LBB1_12614
; %bb.48455:
	s_getpc_b64 s[14:15]
.Lpost_getpc9891:
	s_add_u32 s14, s14, (.LBB1_26952-.Lpost_getpc9891)&4294967295
	s_addc_u32 s15, s15, (.LBB1_26952-.Lpost_getpc9891)>>32
	s_setpc_b64 s[14:15]
.LBB1_12614:
	s_or_b64 exec, exec, s[6:7]
	s_and_saveexec_b64 s[6:7], s[4:5]
	s_cbranch_execz .LBB1_12616
.LBB1_12615:
	v_and_b32_e32 v3, 7, v4
	v_ffbh_u32_e32 v7, v3
	v_min_u32_e32 v7, 32, v7
	v_lshrrev_b16_e32 v6, 3, v4
	v_subrev_u32_e32 v12, 28, v7
	v_and_b32_e32 v6, 15, v6
	v_lshlrev_b32_e32 v12, v12, v4
	v_sub_u32_e32 v7, 29, v7
	v_and_b32_e32 v12, 7, v12
	v_cmp_eq_u16_e32 vcc, 0, v6
	v_cndmask_b32_e32 v3, v3, v12, vcc
	v_cndmask_b32_e32 v6, v6, v7, vcc
	v_lshlrev_b32_e32 v7, 24, v4
	v_mov_b32_e32 v12, 0x3b800000
	v_lshlrev_b32_e32 v3, 20, v3
	v_and_b32_e32 v7, 0x80000000, v7
	v_lshl_add_u32 v6, v6, 23, v12
	v_or3_b32 v3, v7, v6, v3
.LBB1_12616:
	s_or_b64 exec, exec, s[6:7]
	s_nop 0
	v_mfma_f32_16x16x4f32 a[0:3], v2, v3, a[0:3]
	v_lshrrev_b32_e32 v3, 8, v8
	s_movk_i32 s4, 0x7f
	v_cmp_gt_i16_sdwa s[6:7], v3, s4 src0_sel:BYTE_0 src1_sel:DWORD
	s_mov_b64 s[4:5], 0
                                        ; implicit-def: $sgpr10
	s_and_saveexec_b64 s[8:9], s[6:7]
	s_xor_b64 s[6:7], exec, s[8:9]
	s_cbranch_execz .LBB1_12617
; %bb.48457:
	s_getpc_b64 s[14:15]
.Lpost_getpc9892:
	s_add_u32 s14, s14, (.LBB1_26953-.Lpost_getpc9892)&4294967295
	s_addc_u32 s15, s15, (.LBB1_26953-.Lpost_getpc9892)>>32
	s_setpc_b64 s[14:15]
.LBB1_12617:
	s_or_saveexec_b64 s[6:7], s[6:7]
	v_mov_b32_e32 v2, s10
	s_xor_b64 exec, exec, s[6:7]
	s_cbranch_execz .LBB1_12618
; %bb.48459:
	s_getpc_b64 s[14:15]
.Lpost_getpc9893:
	s_add_u32 s14, s14, (.LBB1_26956-.Lpost_getpc9893)&4294967295
	s_addc_u32 s15, s15, (.LBB1_26956-.Lpost_getpc9893)>>32
	s_setpc_b64 s[14:15]
.LBB1_12618:
	s_or_b64 exec, exec, s[6:7]
	s_and_saveexec_b64 s[6:7], s[4:5]
	s_cbranch_execz .LBB1_12620
.LBB1_12619:
	v_bfe_u32 v2, v8, 8, 3
	v_ffbh_u32_e32 v7, v2
	v_min_u32_e32 v7, 32, v7
	v_lshrrev_b16_e32 v6, 3, v3
	v_subrev_u32_e32 v12, 28, v7
	v_and_b32_e32 v6, 15, v6
	v_lshlrev_b32_e32 v3, v12, v3
	v_sub_u32_e32 v7, 29, v7
	v_and_b32_e32 v3, 7, v3
	v_cmp_eq_u16_e32 vcc, 0, v6
	v_cndmask_b32_e32 v2, v2, v3, vcc
	v_cndmask_b32_e32 v3, v6, v7, vcc
	v_lshlrev_b32_e32 v6, 16, v8
	v_mov_b32_e32 v7, 0x3b800000
	v_lshlrev_b32_e32 v2, 20, v2
	v_and_b32_e32 v6, 0x80000000, v6
	v_lshl_add_u32 v3, v3, 23, v7
	v_or3_b32 v2, v6, v3, v2
.LBB1_12620:
	s_or_b64 exec, exec, s[6:7]
	v_lshrrev_b32_e32 v3, 8, v4
	s_movk_i32 s4, 0x7f
	v_cmp_gt_i16_sdwa s[6:7], v3, s4 src0_sel:BYTE_0 src1_sel:DWORD
	s_mov_b64 s[4:5], 0
                                        ; implicit-def: $sgpr10
	s_and_saveexec_b64 s[8:9], s[6:7]
	s_xor_b64 s[6:7], exec, s[8:9]
	s_cbranch_execz .LBB1_12621
; %bb.48461:
	s_getpc_b64 s[14:15]
.Lpost_getpc9894:
	s_add_u32 s14, s14, (.LBB1_26957-.Lpost_getpc9894)&4294967295
	s_addc_u32 s15, s15, (.LBB1_26957-.Lpost_getpc9894)>>32
	s_setpc_b64 s[14:15]
.LBB1_12621:
	s_or_saveexec_b64 s[6:7], s[6:7]
	v_mov_b32_e32 v6, s10
	s_xor_b64 exec, exec, s[6:7]
	s_cbranch_execz .LBB1_12622
; %bb.48463:
	s_getpc_b64 s[14:15]
.Lpost_getpc9895:
	s_add_u32 s14, s14, (.LBB1_26960-.Lpost_getpc9895)&4294967295
	s_addc_u32 s15, s15, (.LBB1_26960-.Lpost_getpc9895)>>32
	s_setpc_b64 s[14:15]
.LBB1_12622:
	s_or_b64 exec, exec, s[6:7]
	s_and_saveexec_b64 s[6:7], s[4:5]
	s_cbranch_execz .LBB1_12624
.LBB1_12623:
	v_bfe_u32 v6, v4, 8, 3
	v_ffbh_u32_e32 v12, v6
	v_min_u32_e32 v12, 32, v12
	v_lshrrev_b16_e32 v7, 3, v3
	v_subrev_u32_e32 v13, 28, v12
	v_and_b32_e32 v7, 15, v7
	v_lshlrev_b32_e32 v3, v13, v3
	v_sub_u32_e32 v12, 29, v12
	v_and_b32_e32 v3, 7, v3
	v_cmp_eq_u16_e32 vcc, 0, v7
	v_cndmask_b32_e32 v3, v6, v3, vcc
	v_cndmask_b32_e32 v6, v7, v12, vcc
	v_lshlrev_b32_e32 v7, 16, v4
	v_mov_b32_e32 v12, 0x3b800000
	v_lshlrev_b32_e32 v3, 20, v3
	v_and_b32_e32 v7, 0x80000000, v7
	v_lshl_add_u32 v6, v6, 23, v12
	v_or3_b32 v6, v7, v6, v3
.LBB1_12624:
	s_or_b64 exec, exec, s[6:7]
	s_nop 0
	v_mfma_f32_16x16x4f32 a[0:3], v2, v6, a[0:3]
	s_movk_i32 s4, 0xff
	v_and_b32_sdwa v3, v8, s4 dst_sel:DWORD dst_unused:UNUSED_PAD src0_sel:WORD_1 src1_sel:DWORD
	s_movk_i32 s4, 0x7f
	v_cmp_lt_i16_e32 vcc, s4, v3
	s_mov_b64 s[4:5], 0
                                        ; implicit-def: $sgpr10
	s_and_saveexec_b64 s[6:7], vcc
	s_xor_b64 s[6:7], exec, s[6:7]
	s_cbranch_execz .LBB1_12625
; %bb.48465:
	s_getpc_b64 s[14:15]
.Lpost_getpc9896:
	s_add_u32 s14, s14, (.LBB1_26961-.Lpost_getpc9896)&4294967295
	s_addc_u32 s15, s15, (.LBB1_26961-.Lpost_getpc9896)>>32
	s_setpc_b64 s[14:15]
.LBB1_12625:
	s_or_saveexec_b64 s[6:7], s[6:7]
	v_mov_b32_e32 v2, s10
	s_xor_b64 exec, exec, s[6:7]
	s_cbranch_execz .LBB1_12626
; %bb.48467:
	s_getpc_b64 s[14:15]
.Lpost_getpc9897:
	s_add_u32 s14, s14, (.LBB1_26964-.Lpost_getpc9897)&4294967295
	s_addc_u32 s15, s15, (.LBB1_26964-.Lpost_getpc9897)>>32
	s_setpc_b64 s[14:15]
.LBB1_12626:
	s_or_b64 exec, exec, s[6:7]
	s_and_saveexec_b64 s[6:7], s[4:5]
	s_cbranch_execz .LBB1_12628
.LBB1_12627:
	v_bfe_u32 v2, v8, 16, 3
	v_ffbh_u32_e32 v7, v2
	v_min_u32_e32 v7, 32, v7
	v_lshrrev_b32_e32 v3, 19, v8
	v_subrev_u32_e32 v12, 28, v7
	v_and_b32_e32 v3, 15, v3
	v_lshlrev_b32_sdwa v12, v12, v8 dst_sel:DWORD dst_unused:UNUSED_PAD src0_sel:DWORD src1_sel:WORD_1
	v_bfe_u32 v6, v8, 19, 4
	v_sub_u32_e32 v7, 29, v7
	v_and_b32_e32 v12, 7, v12
	v_cmp_eq_u16_e32 vcc, 0, v3
	v_cndmask_b32_e32 v2, v2, v12, vcc
	v_cndmask_b32_e32 v3, v6, v7, vcc
	v_lshlrev_b32_e32 v6, 8, v8
	v_mov_b32_e32 v7, 0x3b800000
	v_lshlrev_b32_e32 v2, 20, v2
	v_and_b32_e32 v6, 0x80000000, v6
	v_lshl_add_u32 v3, v3, 23, v7
	v_or3_b32 v2, v6, v3, v2
.LBB1_12628:
	s_or_b64 exec, exec, s[6:7]
	s_movk_i32 s4, 0xff
	v_and_b32_sdwa v3, v4, s4 dst_sel:DWORD dst_unused:UNUSED_PAD src0_sel:WORD_1 src1_sel:DWORD
	s_movk_i32 s4, 0x7f
	v_cmp_lt_i16_e32 vcc, s4, v3
	s_mov_b64 s[4:5], 0
                                        ; implicit-def: $sgpr10
	s_and_saveexec_b64 s[6:7], vcc
	s_xor_b64 s[6:7], exec, s[6:7]
	s_cbranch_execz .LBB1_12629
; %bb.48469:
	s_getpc_b64 s[14:15]
.Lpost_getpc9898:
	s_add_u32 s14, s14, (.LBB1_26965-.Lpost_getpc9898)&4294967295
	s_addc_u32 s15, s15, (.LBB1_26965-.Lpost_getpc9898)>>32
	s_setpc_b64 s[14:15]
.LBB1_12629:
	s_or_saveexec_b64 s[6:7], s[6:7]
	v_mov_b32_e32 v6, s10
	s_xor_b64 exec, exec, s[6:7]
	s_cbranch_execz .LBB1_12630
; %bb.48471:
	s_getpc_b64 s[14:15]
.Lpost_getpc9899:
	s_add_u32 s14, s14, (.LBB1_26968-.Lpost_getpc9899)&4294967295
	s_addc_u32 s15, s15, (.LBB1_26968-.Lpost_getpc9899)>>32
	s_setpc_b64 s[14:15]
.LBB1_12630:
	s_or_b64 exec, exec, s[6:7]
	s_and_saveexec_b64 s[6:7], s[4:5]
	s_cbranch_execz .LBB1_12632
.LBB1_12631:
	v_bfe_u32 v3, v4, 16, 3
	v_ffbh_u32_e32 v12, v3
	v_min_u32_e32 v12, 32, v12
	v_lshrrev_b32_e32 v6, 19, v4
	v_subrev_u32_e32 v13, 28, v12
	v_and_b32_e32 v6, 15, v6
	v_lshlrev_b32_sdwa v13, v13, v4 dst_sel:DWORD dst_unused:UNUSED_PAD src0_sel:DWORD src1_sel:WORD_1
	v_bfe_u32 v7, v4, 19, 4
	v_sub_u32_e32 v12, 29, v12
	v_and_b32_e32 v13, 7, v13
	v_cmp_eq_u16_e32 vcc, 0, v6
	v_cndmask_b32_e32 v3, v3, v13, vcc
	v_cndmask_b32_e32 v6, v7, v12, vcc
	v_lshlrev_b32_e32 v7, 8, v4
	v_mov_b32_e32 v12, 0x3b800000
	v_lshlrev_b32_e32 v3, 20, v3
	v_and_b32_e32 v7, 0x80000000, v7
	v_lshl_add_u32 v6, v6, 23, v12
	v_or3_b32 v6, v7, v6, v3
.LBB1_12632:
	s_or_b64 exec, exec, s[6:7]
	s_nop 0
	v_mfma_f32_16x16x4f32 a[0:3], v2, v6, a[0:3]
	s_movk_i32 s4, 0x7f
	v_cmp_gt_i16_sdwa s[6:7], v8, s4 src0_sel:BYTE_3 src1_sel:DWORD
	s_mov_b64 s[4:5], 0
                                        ; implicit-def: $sgpr10
	s_and_saveexec_b64 s[8:9], s[6:7]
	s_xor_b64 s[6:7], exec, s[8:9]
	s_cbranch_execz .LBB1_12633
; %bb.48473:
	s_getpc_b64 s[14:15]
.Lpost_getpc9900:
	s_add_u32 s14, s14, (.LBB1_26969-.Lpost_getpc9900)&4294967295
	s_addc_u32 s15, s15, (.LBB1_26969-.Lpost_getpc9900)>>32
	s_setpc_b64 s[14:15]
.LBB1_12633:
	s_or_saveexec_b64 s[6:7], s[6:7]
	v_mov_b32_e32 v2, s10
	s_xor_b64 exec, exec, s[6:7]
	s_cbranch_execz .LBB1_12634
; %bb.48475:
	s_getpc_b64 s[14:15]
.Lpost_getpc9901:
	s_add_u32 s14, s14, (.LBB1_26972-.Lpost_getpc9901)&4294967295
	s_addc_u32 s15, s15, (.LBB1_26972-.Lpost_getpc9901)>>32
	s_setpc_b64 s[14:15]
.LBB1_12634:
	s_or_b64 exec, exec, s[6:7]
	s_and_saveexec_b64 s[6:7], s[4:5]
	s_cbranch_execz .LBB1_12636
.LBB1_12635:
	v_bfe_u32 v2, v8, 24, 3
	v_ffbh_u32_e32 v12, v2
	v_min_u32_e32 v12, 32, v12
	v_lshrrev_b32_e32 v6, 27, v8
	v_subrev_u32_e32 v13, 28, v12
	v_and_b32_e32 v3, 0x80000000, v8
	v_and_b32_e32 v6, 15, v6
	v_bfe_u32 v7, v8, 27, 4
	v_lshlrev_b32_sdwa v8, v13, v8 dst_sel:DWORD dst_unused:UNUSED_PAD src0_sel:DWORD src1_sel:BYTE_3
	v_sub_u32_e32 v12, 29, v12
	v_and_b32_e32 v8, 7, v8
	v_cmp_eq_u16_e32 vcc, 0, v6
	v_cndmask_b32_e32 v2, v2, v8, vcc
	v_cndmask_b32_e32 v6, v7, v12, vcc
	v_mov_b32_e32 v7, 0x3b800000
	v_lshlrev_b32_e32 v2, 20, v2
	v_lshl_add_u32 v6, v6, 23, v7
	v_or3_b32 v2, v3, v6, v2
.LBB1_12636:
	s_or_b64 exec, exec, s[6:7]
	s_movk_i32 s4, 0x7f
	v_cmp_gt_i16_sdwa s[6:7], v4, s4 src0_sel:BYTE_3 src1_sel:DWORD
	s_mov_b64 s[4:5], 0
                                        ; implicit-def: $sgpr10
	s_and_saveexec_b64 s[8:9], s[6:7]
	s_xor_b64 s[6:7], exec, s[8:9]
	s_cbranch_execz .LBB1_12637
; %bb.48477:
	s_getpc_b64 s[14:15]
.Lpost_getpc9902:
	s_add_u32 s14, s14, (.LBB1_26973-.Lpost_getpc9902)&4294967295
	s_addc_u32 s15, s15, (.LBB1_26973-.Lpost_getpc9902)>>32
	s_setpc_b64 s[14:15]
.LBB1_12637:
	s_or_saveexec_b64 s[6:7], s[6:7]
	v_mov_b32_e32 v3, s10
	s_xor_b64 exec, exec, s[6:7]
	s_cbranch_execz .LBB1_12638
; %bb.48479:
	s_getpc_b64 s[14:15]
.Lpost_getpc9903:
	s_add_u32 s14, s14, (.LBB1_26976-.Lpost_getpc9903)&4294967295
	s_addc_u32 s15, s15, (.LBB1_26976-.Lpost_getpc9903)>>32
	s_setpc_b64 s[14:15]
.LBB1_12638:
	s_or_b64 exec, exec, s[6:7]
	s_and_saveexec_b64 s[6:7], s[4:5]
	s_cbranch_execz .LBB1_12640
.LBB1_12639:
	v_bfe_u32 v3, v4, 24, 3
	v_ffbh_u32_e32 v12, v3
	v_min_u32_e32 v12, 32, v12
	v_lshrrev_b32_e32 v7, 27, v4
	v_subrev_u32_e32 v13, 28, v12
	v_and_b32_e32 v6, 0x80000000, v4
	v_and_b32_e32 v7, 15, v7
	v_bfe_u32 v8, v4, 27, 4
	v_lshlrev_b32_sdwa v4, v13, v4 dst_sel:DWORD dst_unused:UNUSED_PAD src0_sel:DWORD src1_sel:BYTE_3
	v_sub_u32_e32 v12, 29, v12
	v_and_b32_e32 v4, 7, v4
	v_cmp_eq_u16_e32 vcc, 0, v7
	v_cndmask_b32_e32 v3, v3, v4, vcc
	v_cndmask_b32_e32 v4, v8, v12, vcc
	v_mov_b32_e32 v7, 0x3b800000
	v_lshlrev_b32_e32 v3, 20, v3
	v_lshl_add_u32 v4, v4, 23, v7
	v_or3_b32 v3, v6, v4, v3
.LBB1_12640:
	s_or_b64 exec, exec, s[6:7]
	s_nop 0
	v_mfma_f32_16x16x4f32 a[0:3], v2, v3, a[0:3]
	s_movk_i32 s4, 0x7f
	v_cmp_gt_i16_sdwa s[6:7], v9, s4 src0_sel:BYTE_0 src1_sel:DWORD
	s_mov_b64 s[4:5], 0
                                        ; implicit-def: $sgpr10
	s_and_saveexec_b64 s[8:9], s[6:7]
	s_xor_b64 s[6:7], exec, s[8:9]
	s_cbranch_execz .LBB1_12641
; %bb.48481:
	s_getpc_b64 s[14:15]
.Lpost_getpc9904:
	s_add_u32 s14, s14, (.LBB1_26977-.Lpost_getpc9904)&4294967295
	s_addc_u32 s15, s15, (.LBB1_26977-.Lpost_getpc9904)>>32
	s_setpc_b64 s[14:15]
.LBB1_12641:
	s_or_saveexec_b64 s[6:7], s[6:7]
	v_mov_b32_e32 v2, s10
	s_xor_b64 exec, exec, s[6:7]
	s_cbranch_execz .LBB1_12642
; %bb.48483:
	s_getpc_b64 s[14:15]
.Lpost_getpc9905:
	s_add_u32 s14, s14, (.LBB1_26980-.Lpost_getpc9905)&4294967295
	s_addc_u32 s15, s15, (.LBB1_26980-.Lpost_getpc9905)>>32
	s_setpc_b64 s[14:15]
.LBB1_12642:
	s_or_b64 exec, exec, s[6:7]
	s_and_saveexec_b64 s[6:7], s[4:5]
	s_cbranch_execz .LBB1_12644
.LBB1_12643:
	v_mov_b32_e32 v2, 8
	v_and_b32_e32 v3, 7, v9
	v_lshrrev_b32_sdwa v2, v2, v9 dst_sel:BYTE_1 dst_unused:UNUSED_PAD src0_sel:DWORD src1_sel:DWORD
	v_ffbh_u32_e32 v4, v3
	v_or_b32_sdwa v2, v9, v2 dst_sel:DWORD dst_unused:UNUSED_PAD src0_sel:BYTE_0 src1_sel:DWORD
	v_min_u32_e32 v4, 32, v4
	v_lshrrev_b16_e32 v2, 3, v2
	v_subrev_u32_e32 v6, 28, v4
	v_and_b32_e32 v2, 15, v2
	v_lshlrev_b32_e32 v6, v6, v9
	v_sub_u32_e32 v4, 29, v4
	v_and_b32_e32 v6, 7, v6
	v_cmp_eq_u16_e32 vcc, 0, v2
	v_cndmask_b32_e32 v3, v3, v6, vcc
	v_cndmask_b32_e32 v2, v2, v4, vcc
	v_lshlrev_b32_e32 v4, 24, v9
	v_mov_b32_e32 v6, 0x3b800000
	v_lshlrev_b32_e32 v3, 20, v3
	v_and_b32_e32 v4, 0x80000000, v4
	v_lshl_add_u32 v2, v2, 23, v6
	v_or3_b32 v2, v4, v2, v3
.LBB1_12644:
	s_or_b64 exec, exec, s[6:7]
	s_movk_i32 s4, 0x7f
	v_cmp_gt_i16_sdwa s[6:7], v5, s4 src0_sel:BYTE_0 src1_sel:DWORD
	s_mov_b64 s[4:5], 0
                                        ; implicit-def: $sgpr10
	s_and_saveexec_b64 s[8:9], s[6:7]
	s_xor_b64 s[6:7], exec, s[8:9]
	s_cbranch_execz .LBB1_12645
; %bb.48485:
	s_getpc_b64 s[14:15]
.Lpost_getpc9906:
	s_add_u32 s14, s14, (.LBB1_26981-.Lpost_getpc9906)&4294967295
	s_addc_u32 s15, s15, (.LBB1_26981-.Lpost_getpc9906)>>32
	s_setpc_b64 s[14:15]
.LBB1_12645:
	s_or_saveexec_b64 s[6:7], s[6:7]
	v_mov_b32_e32 v3, s10
	s_xor_b64 exec, exec, s[6:7]
	s_cbranch_execz .LBB1_12646
; %bb.48487:
	s_getpc_b64 s[14:15]
.Lpost_getpc9907:
	s_add_u32 s14, s14, (.LBB1_26984-.Lpost_getpc9907)&4294967295
	s_addc_u32 s15, s15, (.LBB1_26984-.Lpost_getpc9907)>>32
	s_setpc_b64 s[14:15]
.LBB1_12646:
	s_or_b64 exec, exec, s[6:7]
	s_and_saveexec_b64 s[6:7], s[4:5]
	s_cbranch_execz .LBB1_12648
.LBB1_12647:
	v_mov_b32_e32 v3, 8
	v_and_b32_e32 v4, 7, v5
	v_lshrrev_b32_sdwa v3, v3, v5 dst_sel:BYTE_1 dst_unused:UNUSED_PAD src0_sel:DWORD src1_sel:DWORD
	v_ffbh_u32_e32 v6, v4
	v_or_b32_sdwa v3, v5, v3 dst_sel:DWORD dst_unused:UNUSED_PAD src0_sel:BYTE_0 src1_sel:DWORD
	v_min_u32_e32 v6, 32, v6
	v_lshrrev_b16_e32 v3, 3, v3
	v_subrev_u32_e32 v7, 28, v6
	v_and_b32_e32 v3, 15, v3
	v_lshlrev_b32_e32 v7, v7, v5
	v_sub_u32_e32 v6, 29, v6
	v_and_b32_e32 v7, 7, v7
	v_cmp_eq_u16_e32 vcc, 0, v3
	v_cndmask_b32_e32 v4, v4, v7, vcc
	v_cndmask_b32_e32 v3, v3, v6, vcc
	v_lshlrev_b32_e32 v6, 24, v5
	v_mov_b32_e32 v7, 0x3b800000
	v_lshlrev_b32_e32 v4, 20, v4
	v_and_b32_e32 v6, 0x80000000, v6
	v_lshl_add_u32 v3, v3, 23, v7
	v_or3_b32 v3, v6, v3, v4
.LBB1_12648:
	s_or_b64 exec, exec, s[6:7]
	s_nop 0
	v_mfma_f32_16x16x4f32 a[0:3], v2, v3, a[0:3]
	v_lshrrev_b32_e32 v3, 8, v9
	s_movk_i32 s4, 0x7f
	v_cmp_gt_i16_sdwa s[6:7], v3, s4 src0_sel:BYTE_0 src1_sel:DWORD
	s_mov_b64 s[4:5], 0
                                        ; implicit-def: $sgpr10
	s_and_saveexec_b64 s[8:9], s[6:7]
	s_xor_b64 s[6:7], exec, s[8:9]
	s_cbranch_execz .LBB1_12649
; %bb.48489:
	s_getpc_b64 s[14:15]
.Lpost_getpc9908:
	s_add_u32 s14, s14, (.LBB1_26985-.Lpost_getpc9908)&4294967295
	s_addc_u32 s15, s15, (.LBB1_26985-.Lpost_getpc9908)>>32
	s_setpc_b64 s[14:15]
.LBB1_12649:
	s_or_saveexec_b64 s[6:7], s[6:7]
	v_mov_b32_e32 v2, s10
	s_xor_b64 exec, exec, s[6:7]
	s_cbranch_execz .LBB1_12650
; %bb.48491:
	s_getpc_b64 s[14:15]
.Lpost_getpc9909:
	s_add_u32 s14, s14, (.LBB1_26988-.Lpost_getpc9909)&4294967295
	s_addc_u32 s15, s15, (.LBB1_26988-.Lpost_getpc9909)>>32
	s_setpc_b64 s[14:15]
.LBB1_12650:
	s_or_b64 exec, exec, s[6:7]
	s_and_saveexec_b64 s[6:7], s[4:5]
	s_cbranch_execz .LBB1_12652
.LBB1_12651:
	v_bfe_u32 v2, v9, 8, 3
	v_ffbh_u32_e32 v6, v2
	v_min_u32_e32 v6, 32, v6
	v_lshrrev_b16_e32 v4, 3, v3
	v_subrev_u32_e32 v7, 28, v6
	v_and_b32_e32 v4, 15, v4
	v_lshlrev_b32_e32 v3, v7, v3
	v_sub_u32_e32 v6, 29, v6
	v_and_b32_e32 v3, 7, v3
	v_cmp_eq_u16_e32 vcc, 0, v4
	v_cndmask_b32_e32 v2, v2, v3, vcc
	v_cndmask_b32_e32 v3, v4, v6, vcc
	v_lshlrev_b32_e32 v4, 16, v9
	v_mov_b32_e32 v6, 0x3b800000
	v_lshlrev_b32_e32 v2, 20, v2
	v_and_b32_e32 v4, 0x80000000, v4
	v_lshl_add_u32 v3, v3, 23, v6
	v_or3_b32 v2, v4, v3, v2
.LBB1_12652:
	s_or_b64 exec, exec, s[6:7]
	v_lshrrev_b32_e32 v3, 8, v5
	s_movk_i32 s4, 0x7f
	v_cmp_gt_i16_sdwa s[6:7], v3, s4 src0_sel:BYTE_0 src1_sel:DWORD
	s_mov_b64 s[4:5], 0
                                        ; implicit-def: $sgpr10
	s_and_saveexec_b64 s[8:9], s[6:7]
	s_xor_b64 s[6:7], exec, s[8:9]
	s_cbranch_execz .LBB1_12653
; %bb.48493:
	s_getpc_b64 s[14:15]
.Lpost_getpc9910:
	s_add_u32 s14, s14, (.LBB1_26989-.Lpost_getpc9910)&4294967295
	s_addc_u32 s15, s15, (.LBB1_26989-.Lpost_getpc9910)>>32
	s_setpc_b64 s[14:15]
.LBB1_12653:
	s_or_saveexec_b64 s[6:7], s[6:7]
	v_mov_b32_e32 v4, s10
	s_xor_b64 exec, exec, s[6:7]
	s_cbranch_execz .LBB1_12654
; %bb.48495:
	s_getpc_b64 s[14:15]
.Lpost_getpc9911:
	s_add_u32 s14, s14, (.LBB1_26992-.Lpost_getpc9911)&4294967295
	s_addc_u32 s15, s15, (.LBB1_26992-.Lpost_getpc9911)>>32
	s_setpc_b64 s[14:15]
.LBB1_12654:
	s_or_b64 exec, exec, s[6:7]
	s_and_saveexec_b64 s[6:7], s[4:5]
	s_cbranch_execz .LBB1_12656
.LBB1_12655:
	v_bfe_u32 v4, v5, 8, 3
	v_ffbh_u32_e32 v7, v4
	v_min_u32_e32 v7, 32, v7
	v_lshrrev_b16_e32 v6, 3, v3
	v_subrev_u32_e32 v8, 28, v7
	v_and_b32_e32 v6, 15, v6
	v_lshlrev_b32_e32 v3, v8, v3
	v_sub_u32_e32 v7, 29, v7
	v_and_b32_e32 v3, 7, v3
	v_cmp_eq_u16_e32 vcc, 0, v6
	v_cndmask_b32_e32 v3, v4, v3, vcc
	v_cndmask_b32_e32 v4, v6, v7, vcc
	v_lshlrev_b32_e32 v6, 16, v5
	v_mov_b32_e32 v7, 0x3b800000
	v_lshlrev_b32_e32 v3, 20, v3
	v_and_b32_e32 v6, 0x80000000, v6
	v_lshl_add_u32 v4, v4, 23, v7
	v_or3_b32 v4, v6, v4, v3
.LBB1_12656:
	s_or_b64 exec, exec, s[6:7]
	s_nop 0
	v_mfma_f32_16x16x4f32 a[0:3], v2, v4, a[0:3]
	s_movk_i32 s4, 0xff
	v_and_b32_sdwa v3, v9, s4 dst_sel:DWORD dst_unused:UNUSED_PAD src0_sel:WORD_1 src1_sel:DWORD
	s_movk_i32 s4, 0x7f
	v_cmp_lt_i16_e32 vcc, s4, v3
	s_mov_b64 s[4:5], 0
                                        ; implicit-def: $sgpr10
	s_and_saveexec_b64 s[6:7], vcc
	s_xor_b64 s[6:7], exec, s[6:7]
	s_cbranch_execz .LBB1_12657
; %bb.48497:
	s_getpc_b64 s[14:15]
.Lpost_getpc9912:
	s_add_u32 s14, s14, (.LBB1_26993-.Lpost_getpc9912)&4294967295
	s_addc_u32 s15, s15, (.LBB1_26993-.Lpost_getpc9912)>>32
	s_setpc_b64 s[14:15]
.LBB1_12657:
	s_or_saveexec_b64 s[6:7], s[6:7]
	v_mov_b32_e32 v2, s10
	s_xor_b64 exec, exec, s[6:7]
	s_cbranch_execz .LBB1_12658
; %bb.48499:
	s_getpc_b64 s[14:15]
.Lpost_getpc9913:
	s_add_u32 s14, s14, (.LBB1_26996-.Lpost_getpc9913)&4294967295
	s_addc_u32 s15, s15, (.LBB1_26996-.Lpost_getpc9913)>>32
	s_setpc_b64 s[14:15]
.LBB1_12658:
	s_or_b64 exec, exec, s[6:7]
	s_and_saveexec_b64 s[6:7], s[4:5]
	s_cbranch_execz .LBB1_12660
.LBB1_12659:
	v_bfe_u32 v2, v9, 16, 3
	v_ffbh_u32_e32 v6, v2
	v_min_u32_e32 v6, 32, v6
	v_lshrrev_b32_e32 v3, 19, v9
	v_subrev_u32_e32 v7, 28, v6
	v_and_b32_e32 v3, 15, v3
	v_lshlrev_b32_sdwa v7, v7, v9 dst_sel:DWORD dst_unused:UNUSED_PAD src0_sel:DWORD src1_sel:WORD_1
	v_bfe_u32 v4, v9, 19, 4
	v_sub_u32_e32 v6, 29, v6
	v_and_b32_e32 v7, 7, v7
	v_cmp_eq_u16_e32 vcc, 0, v3
	v_cndmask_b32_e32 v2, v2, v7, vcc
	v_cndmask_b32_e32 v3, v4, v6, vcc
	v_lshlrev_b32_e32 v4, 8, v9
	v_mov_b32_e32 v6, 0x3b800000
	v_lshlrev_b32_e32 v2, 20, v2
	v_and_b32_e32 v4, 0x80000000, v4
	v_lshl_add_u32 v3, v3, 23, v6
	v_or3_b32 v2, v4, v3, v2
.LBB1_12660:
	s_or_b64 exec, exec, s[6:7]
	s_movk_i32 s4, 0xff
	v_and_b32_sdwa v3, v5, s4 dst_sel:DWORD dst_unused:UNUSED_PAD src0_sel:WORD_1 src1_sel:DWORD
	s_movk_i32 s4, 0x7f
	v_cmp_lt_i16_e32 vcc, s4, v3
	s_mov_b64 s[4:5], 0
                                        ; implicit-def: $sgpr10
	s_and_saveexec_b64 s[6:7], vcc
	s_xor_b64 s[6:7], exec, s[6:7]
	s_cbranch_execz .LBB1_12661
; %bb.48501:
	s_getpc_b64 s[14:15]
.Lpost_getpc9914:
	s_add_u32 s14, s14, (.LBB1_26997-.Lpost_getpc9914)&4294967295
	s_addc_u32 s15, s15, (.LBB1_26997-.Lpost_getpc9914)>>32
	s_setpc_b64 s[14:15]
.LBB1_12661:
	s_or_saveexec_b64 s[6:7], s[6:7]
	v_mov_b32_e32 v4, s10
	s_xor_b64 exec, exec, s[6:7]
	s_cbranch_execz .LBB1_12662
; %bb.48503:
	s_getpc_b64 s[14:15]
.Lpost_getpc9915:
	s_add_u32 s14, s14, (.LBB1_27000-.Lpost_getpc9915)&4294967295
	s_addc_u32 s15, s15, (.LBB1_27000-.Lpost_getpc9915)>>32
	s_setpc_b64 s[14:15]
.LBB1_12662:
	s_or_b64 exec, exec, s[6:7]
	s_and_saveexec_b64 s[6:7], s[4:5]
	s_cbranch_execz .LBB1_12664
.LBB1_12663:
	v_bfe_u32 v3, v5, 16, 3
	v_ffbh_u32_e32 v7, v3
	v_min_u32_e32 v7, 32, v7
	v_lshrrev_b32_e32 v4, 19, v5
	v_subrev_u32_e32 v8, 28, v7
	v_and_b32_e32 v4, 15, v4
	v_lshlrev_b32_sdwa v8, v8, v5 dst_sel:DWORD dst_unused:UNUSED_PAD src0_sel:DWORD src1_sel:WORD_1
	v_bfe_u32 v6, v5, 19, 4
	v_sub_u32_e32 v7, 29, v7
	v_and_b32_e32 v8, 7, v8
	v_cmp_eq_u16_e32 vcc, 0, v4
	v_cndmask_b32_e32 v3, v3, v8, vcc
	v_cndmask_b32_e32 v4, v6, v7, vcc
	v_lshlrev_b32_e32 v6, 8, v5
	v_mov_b32_e32 v7, 0x3b800000
	v_lshlrev_b32_e32 v3, 20, v3
	v_and_b32_e32 v6, 0x80000000, v6
	v_lshl_add_u32 v4, v4, 23, v7
	v_or3_b32 v4, v6, v4, v3
.LBB1_12664:
	s_or_b64 exec, exec, s[6:7]
	s_nop 0
	v_mfma_f32_16x16x4f32 a[0:3], v2, v4, a[0:3]
	s_movk_i32 s4, 0x7f
	v_cmp_gt_i16_sdwa s[6:7], v9, s4 src0_sel:BYTE_3 src1_sel:DWORD
	s_mov_b64 s[4:5], 0
                                        ; implicit-def: $sgpr10
	s_and_saveexec_b64 s[8:9], s[6:7]
	s_xor_b64 s[6:7], exec, s[8:9]
	s_cbranch_execz .LBB1_12665
; %bb.48505:
	s_getpc_b64 s[14:15]
.Lpost_getpc9916:
	s_add_u32 s14, s14, (.LBB1_27001-.Lpost_getpc9916)&4294967295
	s_addc_u32 s15, s15, (.LBB1_27001-.Lpost_getpc9916)>>32
	s_setpc_b64 s[14:15]
.LBB1_12665:
	s_or_saveexec_b64 s[6:7], s[6:7]
	v_mov_b32_e32 v2, s10
	s_xor_b64 exec, exec, s[6:7]
	s_cbranch_execz .LBB1_12666
; %bb.48507:
	s_getpc_b64 s[14:15]
.Lpost_getpc9917:
	s_add_u32 s14, s14, (.LBB1_27004-.Lpost_getpc9917)&4294967295
	s_addc_u32 s15, s15, (.LBB1_27004-.Lpost_getpc9917)>>32
	s_setpc_b64 s[14:15]
.LBB1_12666:
	s_or_b64 exec, exec, s[6:7]
	s_and_saveexec_b64 s[6:7], s[4:5]
	s_cbranch_execz .LBB1_12668
.LBB1_12667:
	v_bfe_u32 v2, v9, 24, 3
	v_ffbh_u32_e32 v7, v2
	v_min_u32_e32 v7, 32, v7
	v_lshrrev_b32_e32 v4, 27, v9
	v_subrev_u32_e32 v8, 28, v7
	v_and_b32_e32 v4, 15, v4
	v_lshlrev_b32_sdwa v8, v8, v9 dst_sel:DWORD dst_unused:UNUSED_PAD src0_sel:DWORD src1_sel:BYTE_3
	v_bfe_u32 v6, v9, 27, 4
	v_sub_u32_e32 v7, 29, v7
	v_and_b32_e32 v8, 7, v8
	v_cmp_eq_u16_e32 vcc, 0, v4
	v_cndmask_b32_e32 v2, v2, v8, vcc
	v_cndmask_b32_e32 v4, v6, v7, vcc
	v_mov_b32_e32 v6, 0x3b800000
	v_and_b32_e32 v3, 0x80000000, v9
	v_lshlrev_b32_e32 v2, 20, v2
	v_lshl_add_u32 v4, v4, 23, v6
	v_or3_b32 v2, v3, v4, v2
.LBB1_12668:
	s_or_b64 exec, exec, s[6:7]
	s_movk_i32 s4, 0x7f
	v_cmp_gt_i16_sdwa s[6:7], v5, s4 src0_sel:BYTE_3 src1_sel:DWORD
	s_mov_b64 s[4:5], 0
                                        ; implicit-def: $sgpr10
	s_and_saveexec_b64 s[8:9], s[6:7]
	s_xor_b64 s[6:7], exec, s[8:9]
	s_cbranch_execz .LBB1_12669
; %bb.48509:
	s_getpc_b64 s[14:15]
.Lpost_getpc9918:
	s_add_u32 s14, s14, (.LBB1_27005-.Lpost_getpc9918)&4294967295
	s_addc_u32 s15, s15, (.LBB1_27005-.Lpost_getpc9918)>>32
	s_setpc_b64 s[14:15]
.LBB1_12669:
	s_or_saveexec_b64 s[6:7], s[6:7]
	v_mov_b32_e32 v3, s10
	s_xor_b64 exec, exec, s[6:7]
	s_cbranch_execz .LBB1_12670
; %bb.48511:
	s_getpc_b64 s[14:15]
.Lpost_getpc9919:
	s_add_u32 s14, s14, (.LBB1_27008-.Lpost_getpc9919)&4294967295
	s_addc_u32 s15, s15, (.LBB1_27008-.Lpost_getpc9919)>>32
	s_setpc_b64 s[14:15]
.LBB1_12670:
	s_or_b64 exec, exec, s[6:7]
	s_and_saveexec_b64 s[6:7], s[4:5]
	s_cbranch_execz .LBB1_12672
.LBB1_12671:
	v_bfe_u32 v3, v5, 24, 3
	v_ffbh_u32_e32 v8, v3
	v_min_u32_e32 v8, 32, v8
	v_lshrrev_b32_e32 v6, 27, v5
	v_subrev_u32_e32 v9, 28, v8
	v_and_b32_e32 v4, 0x80000000, v5
	v_and_b32_e32 v6, 15, v6
	v_bfe_u32 v7, v5, 27, 4
	v_lshlrev_b32_sdwa v5, v9, v5 dst_sel:DWORD dst_unused:UNUSED_PAD src0_sel:DWORD src1_sel:BYTE_3
	v_sub_u32_e32 v8, 29, v8
	v_and_b32_e32 v5, 7, v5
	v_cmp_eq_u16_e32 vcc, 0, v6
	v_cndmask_b32_e32 v3, v3, v5, vcc
	v_cndmask_b32_e32 v5, v7, v8, vcc
	v_mov_b32_e32 v6, 0x3b800000
	v_lshlrev_b32_e32 v3, 20, v3
	v_lshl_add_u32 v5, v5, 23, v6
	v_or3_b32 v3, v4, v5, v3
.LBB1_12672:
	s_or_b64 exec, exec, s[6:7]
	s_nop 0
	v_mfma_f32_16x16x4f32 a[0:3], v2, v3, a[0:3]
	s_movk_i32 s4, 0x7f
                                        ; implicit-def: $sgpr10
	s_nop 7
	s_nop 1
	flat_store_dwordx4 v[10:11], a[0:3] offset:672
	flat_load_dwordx4 v[12:15], v[0:1]
	s_nop 0
	flat_load_dwordx2 v[10:11], v[0:1] offset:16
	s_waitcnt vmcnt(0) lgkmcnt(0)
	flat_load_dwordx4 v[6:9], v[12:13] offset:192
	flat_load_dwordx4 v[2:5], v[14:15] offset:176
	s_waitcnt vmcnt(0) lgkmcnt(0)
	v_cmp_gt_i16_sdwa s[6:7], v6, s4 src0_sel:BYTE_0 src1_sel:DWORD
	s_mov_b64 s[4:5], 0
	s_and_saveexec_b64 s[8:9], s[6:7]
	s_xor_b64 s[6:7], exec, s[8:9]
	s_cbranch_execz .LBB1_12673
; %bb.48513:
	s_getpc_b64 s[14:15]
.Lpost_getpc9920:
	s_add_u32 s14, s14, (.LBB1_27009-.Lpost_getpc9920)&4294967295
	s_addc_u32 s15, s15, (.LBB1_27009-.Lpost_getpc9920)>>32
	s_setpc_b64 s[14:15]
.LBB1_12673:
	s_or_saveexec_b64 s[6:7], s[6:7]
	v_mov_b32_e32 v12, s10
	s_xor_b64 exec, exec, s[6:7]
	s_cbranch_execz .LBB1_12674
; %bb.48515:
	s_getpc_b64 s[14:15]
.Lpost_getpc9921:
	s_add_u32 s14, s14, (.LBB1_27012-.Lpost_getpc9921)&4294967295
	s_addc_u32 s15, s15, (.LBB1_27012-.Lpost_getpc9921)>>32
	s_setpc_b64 s[14:15]
.LBB1_12674:
	s_or_b64 exec, exec, s[6:7]
	s_and_saveexec_b64 s[6:7], s[4:5]
	s_cbranch_execz .LBB1_12676
.LBB1_12675:
	v_and_b32_e32 v12, 7, v6
	v_ffbh_u32_e32 v14, v12
	v_min_u32_e32 v14, 32, v14
	v_lshrrev_b16_e32 v13, 3, v6
	v_subrev_u32_e32 v15, 28, v14
	v_and_b32_e32 v13, 15, v13
	v_lshlrev_b32_e32 v15, v15, v6
	v_sub_u32_e32 v14, 29, v14
	v_and_b32_e32 v15, 7, v15
	v_cmp_eq_u16_e32 vcc, 0, v13
	v_cndmask_b32_e32 v12, v12, v15, vcc
	v_cndmask_b32_e32 v13, v13, v14, vcc
	v_lshlrev_b32_e32 v14, 24, v6
	v_mov_b32_e32 v15, 0x3b800000
	v_lshlrev_b32_e32 v12, 20, v12
	v_and_b32_e32 v14, 0x80000000, v14
	v_lshl_add_u32 v13, v13, 23, v15
	v_or3_b32 v12, v14, v13, v12
.LBB1_12676:
	s_or_b64 exec, exec, s[6:7]
	s_movk_i32 s4, 0x7f
	v_cmp_gt_i16_sdwa s[6:7], v2, s4 src0_sel:BYTE_0 src1_sel:DWORD
	s_mov_b64 s[4:5], 0
                                        ; implicit-def: $sgpr10
	s_and_saveexec_b64 s[8:9], s[6:7]
	s_xor_b64 s[6:7], exec, s[8:9]
	s_cbranch_execz .LBB1_12677
; %bb.48517:
	s_getpc_b64 s[14:15]
.Lpost_getpc9922:
	s_add_u32 s14, s14, (.LBB1_27013-.Lpost_getpc9922)&4294967295
	s_addc_u32 s15, s15, (.LBB1_27013-.Lpost_getpc9922)>>32
	s_setpc_b64 s[14:15]
.LBB1_12677:
	s_or_saveexec_b64 s[6:7], s[6:7]
	v_mov_b32_e32 v13, s10
	s_xor_b64 exec, exec, s[6:7]
	s_cbranch_execz .LBB1_12678
; %bb.48519:
	s_getpc_b64 s[14:15]
.Lpost_getpc9923:
	s_add_u32 s14, s14, (.LBB1_27016-.Lpost_getpc9923)&4294967295
	s_addc_u32 s15, s15, (.LBB1_27016-.Lpost_getpc9923)>>32
	s_setpc_b64 s[14:15]
.LBB1_12678:
	s_or_b64 exec, exec, s[6:7]
	s_and_saveexec_b64 s[6:7], s[4:5]
	s_cbranch_execz .LBB1_12680
.LBB1_12679:
	v_and_b32_e32 v13, 7, v2
	v_ffbh_u32_e32 v15, v13
	v_min_u32_e32 v15, 32, v15
	v_lshrrev_b16_e32 v14, 3, v2
	v_subrev_u32_e32 v16, 28, v15
	v_and_b32_e32 v14, 15, v14
	v_lshlrev_b32_e32 v16, v16, v2
	v_sub_u32_e32 v15, 29, v15
	v_and_b32_e32 v16, 7, v16
	v_cmp_eq_u16_e32 vcc, 0, v14
	v_cndmask_b32_e32 v13, v13, v16, vcc
	v_cndmask_b32_e32 v14, v14, v15, vcc
	v_lshlrev_b32_e32 v15, 24, v2
	v_mov_b32_e32 v16, 0x3b800000
	v_lshlrev_b32_e32 v13, 20, v13
	v_and_b32_e32 v15, 0x80000000, v15
	v_lshl_add_u32 v14, v14, 23, v16
	v_or3_b32 v13, v15, v14, v13
.LBB1_12680:
	s_or_b64 exec, exec, s[6:7]
	flat_load_dwordx4 a[0:3], v[10:11] offset:688
	s_movk_i32 s4, 0x7f
                                        ; implicit-def: $sgpr10
	s_waitcnt vmcnt(0) lgkmcnt(0)
	v_mfma_f32_16x16x4f32 a[0:3], v12, v13, a[0:3]
	v_lshrrev_b32_e32 v13, 8, v6
	v_cmp_gt_i16_sdwa s[6:7], v13, s4 src0_sel:BYTE_0 src1_sel:DWORD
	s_mov_b64 s[4:5], 0
	s_and_saveexec_b64 s[8:9], s[6:7]
	s_xor_b64 s[6:7], exec, s[8:9]
	s_cbranch_execz .LBB1_12681
; %bb.48521:
	s_getpc_b64 s[14:15]
.Lpost_getpc9924:
	s_add_u32 s14, s14, (.LBB1_27017-.Lpost_getpc9924)&4294967295
	s_addc_u32 s15, s15, (.LBB1_27017-.Lpost_getpc9924)>>32
	s_setpc_b64 s[14:15]
.LBB1_12681:
	s_or_saveexec_b64 s[6:7], s[6:7]
	v_mov_b32_e32 v12, s10
	s_xor_b64 exec, exec, s[6:7]
	s_cbranch_execz .LBB1_12682
; %bb.48523:
	s_getpc_b64 s[14:15]
.Lpost_getpc9925:
	s_add_u32 s14, s14, (.LBB1_27020-.Lpost_getpc9925)&4294967295
	s_addc_u32 s15, s15, (.LBB1_27020-.Lpost_getpc9925)>>32
	s_setpc_b64 s[14:15]
.LBB1_12682:
	s_or_b64 exec, exec, s[6:7]
	s_and_saveexec_b64 s[6:7], s[4:5]
	s_cbranch_execz .LBB1_12684
.LBB1_12683:
	v_bfe_u32 v12, v6, 8, 3
	v_ffbh_u32_e32 v15, v12
	v_min_u32_e32 v15, 32, v15
	v_lshrrev_b16_e32 v14, 3, v13
	v_subrev_u32_e32 v16, 28, v15
	v_and_b32_e32 v14, 15, v14
	v_lshlrev_b32_e32 v13, v16, v13
	v_sub_u32_e32 v15, 29, v15
	v_and_b32_e32 v13, 7, v13
	v_cmp_eq_u16_e32 vcc, 0, v14
	v_cndmask_b32_e32 v12, v12, v13, vcc
	v_cndmask_b32_e32 v13, v14, v15, vcc
	v_lshlrev_b32_e32 v14, 16, v6
	v_mov_b32_e32 v15, 0x3b800000
	v_lshlrev_b32_e32 v12, 20, v12
	v_and_b32_e32 v14, 0x80000000, v14
	v_lshl_add_u32 v13, v13, 23, v15
	v_or3_b32 v12, v14, v13, v12
.LBB1_12684:
	s_or_b64 exec, exec, s[6:7]
	v_lshrrev_b32_e32 v13, 8, v2
	s_movk_i32 s4, 0x7f
	v_cmp_gt_i16_sdwa s[6:7], v13, s4 src0_sel:BYTE_0 src1_sel:DWORD
	s_mov_b64 s[4:5], 0
                                        ; implicit-def: $sgpr10
	s_and_saveexec_b64 s[8:9], s[6:7]
	s_xor_b64 s[6:7], exec, s[8:9]
	s_cbranch_execz .LBB1_12685
; %bb.48525:
	s_getpc_b64 s[14:15]
.Lpost_getpc9926:
	s_add_u32 s14, s14, (.LBB1_27021-.Lpost_getpc9926)&4294967295
	s_addc_u32 s15, s15, (.LBB1_27021-.Lpost_getpc9926)>>32
	s_setpc_b64 s[14:15]
.LBB1_12685:
	s_or_saveexec_b64 s[6:7], s[6:7]
	v_mov_b32_e32 v14, s10
	s_xor_b64 exec, exec, s[6:7]
	s_cbranch_execz .LBB1_12686
; %bb.48527:
	s_getpc_b64 s[14:15]
.Lpost_getpc9927:
	s_add_u32 s14, s14, (.LBB1_27024-.Lpost_getpc9927)&4294967295
	s_addc_u32 s15, s15, (.LBB1_27024-.Lpost_getpc9927)>>32
	s_setpc_b64 s[14:15]
.LBB1_12686:
	s_or_b64 exec, exec, s[6:7]
	s_and_saveexec_b64 s[6:7], s[4:5]
	s_cbranch_execz .LBB1_12688
.LBB1_12687:
	v_bfe_u32 v14, v2, 8, 3
	v_ffbh_u32_e32 v16, v14
	v_min_u32_e32 v16, 32, v16
	v_lshrrev_b16_e32 v15, 3, v13
	v_subrev_u32_e32 v17, 28, v16
	v_and_b32_e32 v15, 15, v15
	v_lshlrev_b32_e32 v13, v17, v13
	v_sub_u32_e32 v16, 29, v16
	v_and_b32_e32 v13, 7, v13
	v_cmp_eq_u16_e32 vcc, 0, v15
	v_cndmask_b32_e32 v13, v14, v13, vcc
	v_cndmask_b32_e32 v14, v15, v16, vcc
	v_lshlrev_b32_e32 v15, 16, v2
	v_mov_b32_e32 v16, 0x3b800000
	v_lshlrev_b32_e32 v13, 20, v13
	v_and_b32_e32 v15, 0x80000000, v15
	v_lshl_add_u32 v14, v14, 23, v16
	v_or3_b32 v14, v15, v14, v13
.LBB1_12688:
	s_or_b64 exec, exec, s[6:7]
	s_nop 0
	v_mfma_f32_16x16x4f32 a[0:3], v12, v14, a[0:3]
	s_movk_i32 s4, 0xff
	v_and_b32_sdwa v13, v6, s4 dst_sel:DWORD dst_unused:UNUSED_PAD src0_sel:WORD_1 src1_sel:DWORD
	s_movk_i32 s4, 0x7f
	v_cmp_lt_i16_e32 vcc, s4, v13
	s_mov_b64 s[4:5], 0
                                        ; implicit-def: $sgpr10
	s_and_saveexec_b64 s[6:7], vcc
	s_xor_b64 s[6:7], exec, s[6:7]
	s_cbranch_execz .LBB1_12689
; %bb.48529:
	s_getpc_b64 s[14:15]
.Lpost_getpc9928:
	s_add_u32 s14, s14, (.LBB1_27025-.Lpost_getpc9928)&4294967295
	s_addc_u32 s15, s15, (.LBB1_27025-.Lpost_getpc9928)>>32
	s_setpc_b64 s[14:15]
.LBB1_12689:
	s_or_saveexec_b64 s[6:7], s[6:7]
	v_mov_b32_e32 v12, s10
	s_xor_b64 exec, exec, s[6:7]
	s_cbranch_execz .LBB1_12690
; %bb.48531:
	s_getpc_b64 s[14:15]
.Lpost_getpc9929:
	s_add_u32 s14, s14, (.LBB1_27028-.Lpost_getpc9929)&4294967295
	s_addc_u32 s15, s15, (.LBB1_27028-.Lpost_getpc9929)>>32
	s_setpc_b64 s[14:15]
.LBB1_12690:
	s_or_b64 exec, exec, s[6:7]
	s_and_saveexec_b64 s[6:7], s[4:5]
	s_cbranch_execz .LBB1_12692
.LBB1_12691:
	v_bfe_u32 v12, v6, 16, 3
	v_ffbh_u32_e32 v15, v12
	v_min_u32_e32 v15, 32, v15
	v_lshrrev_b32_e32 v13, 19, v6
	v_subrev_u32_e32 v16, 28, v15
	v_and_b32_e32 v13, 15, v13
	v_lshlrev_b32_sdwa v16, v16, v6 dst_sel:DWORD dst_unused:UNUSED_PAD src0_sel:DWORD src1_sel:WORD_1
	v_bfe_u32 v14, v6, 19, 4
	v_sub_u32_e32 v15, 29, v15
	v_and_b32_e32 v16, 7, v16
	v_cmp_eq_u16_e32 vcc, 0, v13
	v_cndmask_b32_e32 v12, v12, v16, vcc
	v_cndmask_b32_e32 v13, v14, v15, vcc
	v_lshlrev_b32_e32 v14, 8, v6
	v_mov_b32_e32 v15, 0x3b800000
	v_lshlrev_b32_e32 v12, 20, v12
	v_and_b32_e32 v14, 0x80000000, v14
	v_lshl_add_u32 v13, v13, 23, v15
	v_or3_b32 v12, v14, v13, v12
.LBB1_12692:
	s_or_b64 exec, exec, s[6:7]
	s_movk_i32 s4, 0xff
	v_and_b32_sdwa v13, v2, s4 dst_sel:DWORD dst_unused:UNUSED_PAD src0_sel:WORD_1 src1_sel:DWORD
	s_movk_i32 s4, 0x7f
	v_cmp_lt_i16_e32 vcc, s4, v13
	s_mov_b64 s[4:5], 0
                                        ; implicit-def: $sgpr10
	s_and_saveexec_b64 s[6:7], vcc
	s_xor_b64 s[6:7], exec, s[6:7]
	s_cbranch_execz .LBB1_12693
; %bb.48533:
	s_getpc_b64 s[14:15]
.Lpost_getpc9930:
	s_add_u32 s14, s14, (.LBB1_27029-.Lpost_getpc9930)&4294967295
	s_addc_u32 s15, s15, (.LBB1_27029-.Lpost_getpc9930)>>32
	s_setpc_b64 s[14:15]
.LBB1_12693:
	s_or_saveexec_b64 s[6:7], s[6:7]
	v_mov_b32_e32 v14, s10
	s_xor_b64 exec, exec, s[6:7]
	s_cbranch_execz .LBB1_12694
; %bb.48535:
	s_getpc_b64 s[14:15]
.Lpost_getpc9931:
	s_add_u32 s14, s14, (.LBB1_27032-.Lpost_getpc9931)&4294967295
	s_addc_u32 s15, s15, (.LBB1_27032-.Lpost_getpc9931)>>32
	s_setpc_b64 s[14:15]
.LBB1_12694:
	s_or_b64 exec, exec, s[6:7]
	s_and_saveexec_b64 s[6:7], s[4:5]
	s_cbranch_execz .LBB1_12696
.LBB1_12695:
	v_bfe_u32 v13, v2, 16, 3
	v_ffbh_u32_e32 v16, v13
	v_min_u32_e32 v16, 32, v16
	v_lshrrev_b32_e32 v14, 19, v2
	v_subrev_u32_e32 v17, 28, v16
	v_and_b32_e32 v14, 15, v14
	v_lshlrev_b32_sdwa v17, v17, v2 dst_sel:DWORD dst_unused:UNUSED_PAD src0_sel:DWORD src1_sel:WORD_1
	v_bfe_u32 v15, v2, 19, 4
	v_sub_u32_e32 v16, 29, v16
	v_and_b32_e32 v17, 7, v17
	v_cmp_eq_u16_e32 vcc, 0, v14
	v_cndmask_b32_e32 v13, v13, v17, vcc
	v_cndmask_b32_e32 v14, v15, v16, vcc
	v_lshlrev_b32_e32 v15, 8, v2
	v_mov_b32_e32 v16, 0x3b800000
	v_lshlrev_b32_e32 v13, 20, v13
	v_and_b32_e32 v15, 0x80000000, v15
	v_lshl_add_u32 v14, v14, 23, v16
	v_or3_b32 v14, v15, v14, v13
.LBB1_12696:
	s_or_b64 exec, exec, s[6:7]
	s_nop 0
	v_mfma_f32_16x16x4f32 a[0:3], v12, v14, a[0:3]
	s_movk_i32 s4, 0x7f
	v_cmp_gt_i16_sdwa s[6:7], v6, s4 src0_sel:BYTE_3 src1_sel:DWORD
	s_mov_b64 s[4:5], 0
                                        ; implicit-def: $sgpr10
	s_and_saveexec_b64 s[8:9], s[6:7]
	s_xor_b64 s[6:7], exec, s[8:9]
	s_cbranch_execz .LBB1_12697
; %bb.48537:
	s_getpc_b64 s[14:15]
.Lpost_getpc9932:
	s_add_u32 s14, s14, (.LBB1_27033-.Lpost_getpc9932)&4294967295
	s_addc_u32 s15, s15, (.LBB1_27033-.Lpost_getpc9932)>>32
	s_setpc_b64 s[14:15]
.LBB1_12697:
	s_or_saveexec_b64 s[6:7], s[6:7]
	v_mov_b32_e32 v12, s10
	s_xor_b64 exec, exec, s[6:7]
	s_cbranch_execz .LBB1_12698
; %bb.48539:
	s_getpc_b64 s[14:15]
.Lpost_getpc9933:
	s_add_u32 s14, s14, (.LBB1_27036-.Lpost_getpc9933)&4294967295
	s_addc_u32 s15, s15, (.LBB1_27036-.Lpost_getpc9933)>>32
	s_setpc_b64 s[14:15]
.LBB1_12698:
	s_or_b64 exec, exec, s[6:7]
	s_and_saveexec_b64 s[6:7], s[4:5]
	s_cbranch_execz .LBB1_12700
.LBB1_12699:
	v_bfe_u32 v12, v6, 24, 3
	v_ffbh_u32_e32 v16, v12
	v_min_u32_e32 v16, 32, v16
	v_lshrrev_b32_e32 v14, 27, v6
	v_subrev_u32_e32 v17, 28, v16
	v_and_b32_e32 v13, 0x80000000, v6
	v_and_b32_e32 v14, 15, v14
	v_bfe_u32 v15, v6, 27, 4
	v_lshlrev_b32_sdwa v6, v17, v6 dst_sel:DWORD dst_unused:UNUSED_PAD src0_sel:DWORD src1_sel:BYTE_3
	v_sub_u32_e32 v16, 29, v16
	v_and_b32_e32 v6, 7, v6
	v_cmp_eq_u16_e32 vcc, 0, v14
	v_cndmask_b32_e32 v6, v12, v6, vcc
	v_cndmask_b32_e32 v12, v15, v16, vcc
	v_mov_b32_e32 v14, 0x3b800000
	v_lshlrev_b32_e32 v6, 20, v6
	v_lshl_add_u32 v12, v12, 23, v14
	v_or3_b32 v12, v13, v12, v6
.LBB1_12700:
	s_or_b64 exec, exec, s[6:7]
	s_movk_i32 s4, 0x7f
	v_cmp_gt_i16_sdwa s[6:7], v2, s4 src0_sel:BYTE_3 src1_sel:DWORD
	s_mov_b64 s[4:5], 0
                                        ; implicit-def: $sgpr10
	s_and_saveexec_b64 s[8:9], s[6:7]
	s_xor_b64 s[6:7], exec, s[8:9]
	s_cbranch_execz .LBB1_12701
; %bb.48541:
	s_getpc_b64 s[14:15]
.Lpost_getpc9934:
	s_add_u32 s14, s14, (.LBB1_27037-.Lpost_getpc9934)&4294967295
	s_addc_u32 s15, s15, (.LBB1_27037-.Lpost_getpc9934)>>32
	s_setpc_b64 s[14:15]
.LBB1_12701:
	s_or_saveexec_b64 s[6:7], s[6:7]
	v_mov_b32_e32 v6, s10
	s_xor_b64 exec, exec, s[6:7]
	s_cbranch_execz .LBB1_12702
; %bb.48543:
	s_getpc_b64 s[14:15]
.Lpost_getpc9935:
	s_add_u32 s14, s14, (.LBB1_27040-.Lpost_getpc9935)&4294967295
	s_addc_u32 s15, s15, (.LBB1_27040-.Lpost_getpc9935)>>32
	s_setpc_b64 s[14:15]
.LBB1_12702:
	s_or_b64 exec, exec, s[6:7]
	s_and_saveexec_b64 s[6:7], s[4:5]
	s_cbranch_execz .LBB1_12704
.LBB1_12703:
	v_bfe_u32 v6, v2, 24, 3
	v_ffbh_u32_e32 v16, v6
	v_min_u32_e32 v16, 32, v16
	v_lshrrev_b32_e32 v14, 27, v2
	v_subrev_u32_e32 v17, 28, v16
	v_and_b32_e32 v13, 0x80000000, v2
	v_and_b32_e32 v14, 15, v14
	v_bfe_u32 v15, v2, 27, 4
	v_lshlrev_b32_sdwa v2, v17, v2 dst_sel:DWORD dst_unused:UNUSED_PAD src0_sel:DWORD src1_sel:BYTE_3
	v_sub_u32_e32 v16, 29, v16
	v_and_b32_e32 v2, 7, v2
	v_cmp_eq_u16_e32 vcc, 0, v14
	v_cndmask_b32_e32 v2, v6, v2, vcc
	v_cndmask_b32_e32 v6, v15, v16, vcc
	v_mov_b32_e32 v14, 0x3b800000
	v_lshlrev_b32_e32 v2, 20, v2
	v_lshl_add_u32 v6, v6, 23, v14
	v_or3_b32 v6, v13, v6, v2
.LBB1_12704:
	s_or_b64 exec, exec, s[6:7]
	s_nop 0
	v_mfma_f32_16x16x4f32 a[0:3], v12, v6, a[0:3]
	s_movk_i32 s4, 0x7f
	v_cmp_gt_i16_sdwa s[6:7], v7, s4 src0_sel:BYTE_0 src1_sel:DWORD
	s_mov_b64 s[4:5], 0
                                        ; implicit-def: $sgpr10
	s_and_saveexec_b64 s[8:9], s[6:7]
	s_xor_b64 s[6:7], exec, s[8:9]
	s_cbranch_execz .LBB1_12705
; %bb.48545:
	s_getpc_b64 s[14:15]
.Lpost_getpc9936:
	s_add_u32 s14, s14, (.LBB1_27041-.Lpost_getpc9936)&4294967295
	s_addc_u32 s15, s15, (.LBB1_27041-.Lpost_getpc9936)>>32
	s_setpc_b64 s[14:15]
.LBB1_12705:
	s_or_saveexec_b64 s[6:7], s[6:7]
	v_mov_b32_e32 v2, s10
	s_xor_b64 exec, exec, s[6:7]
	s_cbranch_execz .LBB1_12706
; %bb.48547:
	s_getpc_b64 s[14:15]
.Lpost_getpc9937:
	s_add_u32 s14, s14, (.LBB1_27044-.Lpost_getpc9937)&4294967295
	s_addc_u32 s15, s15, (.LBB1_27044-.Lpost_getpc9937)>>32
	s_setpc_b64 s[14:15]
.LBB1_12706:
	s_or_b64 exec, exec, s[6:7]
	s_and_saveexec_b64 s[6:7], s[4:5]
	s_cbranch_execz .LBB1_12708
.LBB1_12707:
	v_and_b32_e32 v2, 7, v7
	v_ffbh_u32_e32 v12, v2
	v_min_u32_e32 v12, 32, v12
	v_lshrrev_b16_e32 v6, 3, v7
	v_subrev_u32_e32 v13, 28, v12
	v_and_b32_e32 v6, 15, v6
	v_lshlrev_b32_e32 v13, v13, v7
	v_sub_u32_e32 v12, 29, v12
	v_and_b32_e32 v13, 7, v13
	v_cmp_eq_u16_e32 vcc, 0, v6
	v_cndmask_b32_e32 v2, v2, v13, vcc
	v_cndmask_b32_e32 v6, v6, v12, vcc
	v_lshlrev_b32_e32 v12, 24, v7
	v_mov_b32_e32 v13, 0x3b800000
	v_lshlrev_b32_e32 v2, 20, v2
	v_and_b32_e32 v12, 0x80000000, v12
	v_lshl_add_u32 v6, v6, 23, v13
	v_or3_b32 v2, v12, v6, v2
.LBB1_12708:
	s_or_b64 exec, exec, s[6:7]
	s_movk_i32 s4, 0x7f
	v_cmp_gt_i16_sdwa s[6:7], v3, s4 src0_sel:BYTE_0 src1_sel:DWORD
	s_mov_b64 s[4:5], 0
                                        ; implicit-def: $sgpr10
	s_and_saveexec_b64 s[8:9], s[6:7]
	s_xor_b64 s[6:7], exec, s[8:9]
	s_cbranch_execz .LBB1_12709
; %bb.48549:
	s_getpc_b64 s[14:15]
.Lpost_getpc9938:
	s_add_u32 s14, s14, (.LBB1_27045-.Lpost_getpc9938)&4294967295
	s_addc_u32 s15, s15, (.LBB1_27045-.Lpost_getpc9938)>>32
	s_setpc_b64 s[14:15]
.LBB1_12709:
	s_or_saveexec_b64 s[6:7], s[6:7]
	v_mov_b32_e32 v6, s10
	s_xor_b64 exec, exec, s[6:7]
	s_cbranch_execz .LBB1_12710
; %bb.48551:
	s_getpc_b64 s[14:15]
.Lpost_getpc9939:
	s_add_u32 s14, s14, (.LBB1_27048-.Lpost_getpc9939)&4294967295
	s_addc_u32 s15, s15, (.LBB1_27048-.Lpost_getpc9939)>>32
	s_setpc_b64 s[14:15]
.LBB1_12710:
	s_or_b64 exec, exec, s[6:7]
	s_and_saveexec_b64 s[6:7], s[4:5]
	s_cbranch_execz .LBB1_12712
.LBB1_12711:
	v_and_b32_e32 v6, 7, v3
	v_ffbh_u32_e32 v13, v6
	v_min_u32_e32 v13, 32, v13
	v_lshrrev_b16_e32 v12, 3, v3
	v_subrev_u32_e32 v14, 28, v13
	v_and_b32_e32 v12, 15, v12
	v_lshlrev_b32_e32 v14, v14, v3
	v_sub_u32_e32 v13, 29, v13
	v_and_b32_e32 v14, 7, v14
	v_cmp_eq_u16_e32 vcc, 0, v12
	v_cndmask_b32_e32 v6, v6, v14, vcc
	v_cndmask_b32_e32 v12, v12, v13, vcc
	v_lshlrev_b32_e32 v13, 24, v3
	v_mov_b32_e32 v14, 0x3b800000
	v_lshlrev_b32_e32 v6, 20, v6
	v_and_b32_e32 v13, 0x80000000, v13
	v_lshl_add_u32 v12, v12, 23, v14
	v_or3_b32 v6, v13, v12, v6
.LBB1_12712:
	s_or_b64 exec, exec, s[6:7]
	s_nop 0
	v_mfma_f32_16x16x4f32 a[0:3], v2, v6, a[0:3]
	v_lshrrev_b32_e32 v6, 8, v7
	s_movk_i32 s4, 0x7f
	v_cmp_gt_i16_sdwa s[6:7], v6, s4 src0_sel:BYTE_0 src1_sel:DWORD
	s_mov_b64 s[4:5], 0
                                        ; implicit-def: $sgpr10
	s_and_saveexec_b64 s[8:9], s[6:7]
	s_xor_b64 s[6:7], exec, s[8:9]
	s_cbranch_execz .LBB1_12713
; %bb.48553:
	s_getpc_b64 s[14:15]
.Lpost_getpc9940:
	s_add_u32 s14, s14, (.LBB1_27049-.Lpost_getpc9940)&4294967295
	s_addc_u32 s15, s15, (.LBB1_27049-.Lpost_getpc9940)>>32
	s_setpc_b64 s[14:15]
.LBB1_12713:
	s_or_saveexec_b64 s[6:7], s[6:7]
	v_mov_b32_e32 v2, s10
	s_xor_b64 exec, exec, s[6:7]
	s_cbranch_execz .LBB1_12714
; %bb.48555:
	s_getpc_b64 s[14:15]
.Lpost_getpc9941:
	s_add_u32 s14, s14, (.LBB1_27052-.Lpost_getpc9941)&4294967295
	s_addc_u32 s15, s15, (.LBB1_27052-.Lpost_getpc9941)>>32
	s_setpc_b64 s[14:15]
.LBB1_12714:
	s_or_b64 exec, exec, s[6:7]
	s_and_saveexec_b64 s[6:7], s[4:5]
	s_cbranch_execz .LBB1_12716
.LBB1_12715:
	v_bfe_u32 v2, v7, 8, 3
	v_ffbh_u32_e32 v13, v2
	v_min_u32_e32 v13, 32, v13
	v_lshrrev_b16_e32 v12, 3, v6
	v_subrev_u32_e32 v14, 28, v13
	v_and_b32_e32 v12, 15, v12
	v_lshlrev_b32_e32 v6, v14, v6
	v_sub_u32_e32 v13, 29, v13
	v_and_b32_e32 v6, 7, v6
	v_cmp_eq_u16_e32 vcc, 0, v12
	v_cndmask_b32_e32 v2, v2, v6, vcc
	v_cndmask_b32_e32 v6, v12, v13, vcc
	v_lshlrev_b32_e32 v12, 16, v7
	v_mov_b32_e32 v13, 0x3b800000
	v_lshlrev_b32_e32 v2, 20, v2
	v_and_b32_e32 v12, 0x80000000, v12
	v_lshl_add_u32 v6, v6, 23, v13
	v_or3_b32 v2, v12, v6, v2
.LBB1_12716:
	s_or_b64 exec, exec, s[6:7]
	v_lshrrev_b32_e32 v6, 8, v3
	s_movk_i32 s4, 0x7f
	v_cmp_gt_i16_sdwa s[6:7], v6, s4 src0_sel:BYTE_0 src1_sel:DWORD
	s_mov_b64 s[4:5], 0
                                        ; implicit-def: $sgpr10
	s_and_saveexec_b64 s[8:9], s[6:7]
	s_xor_b64 s[6:7], exec, s[8:9]
	s_cbranch_execz .LBB1_12717
; %bb.48557:
	s_getpc_b64 s[14:15]
.Lpost_getpc9942:
	s_add_u32 s14, s14, (.LBB1_27053-.Lpost_getpc9942)&4294967295
	s_addc_u32 s15, s15, (.LBB1_27053-.Lpost_getpc9942)>>32
	s_setpc_b64 s[14:15]
.LBB1_12717:
	s_or_saveexec_b64 s[6:7], s[6:7]
	v_mov_b32_e32 v12, s10
	s_xor_b64 exec, exec, s[6:7]
	s_cbranch_execz .LBB1_12718
; %bb.48559:
	s_getpc_b64 s[14:15]
.Lpost_getpc9943:
	s_add_u32 s14, s14, (.LBB1_27056-.Lpost_getpc9943)&4294967295
	s_addc_u32 s15, s15, (.LBB1_27056-.Lpost_getpc9943)>>32
	s_setpc_b64 s[14:15]
.LBB1_12718:
	s_or_b64 exec, exec, s[6:7]
	s_and_saveexec_b64 s[6:7], s[4:5]
	s_cbranch_execz .LBB1_12720
.LBB1_12719:
	v_bfe_u32 v12, v3, 8, 3
	v_ffbh_u32_e32 v14, v12
	v_min_u32_e32 v14, 32, v14
	v_lshrrev_b16_e32 v13, 3, v6
	v_subrev_u32_e32 v15, 28, v14
	v_and_b32_e32 v13, 15, v13
	v_lshlrev_b32_e32 v6, v15, v6
	v_sub_u32_e32 v14, 29, v14
	v_and_b32_e32 v6, 7, v6
	v_cmp_eq_u16_e32 vcc, 0, v13
	v_cndmask_b32_e32 v6, v12, v6, vcc
	v_cndmask_b32_e32 v12, v13, v14, vcc
	v_lshlrev_b32_e32 v13, 16, v3
	v_mov_b32_e32 v14, 0x3b800000
	v_lshlrev_b32_e32 v6, 20, v6
	v_and_b32_e32 v13, 0x80000000, v13
	v_lshl_add_u32 v12, v12, 23, v14
	v_or3_b32 v12, v13, v12, v6
.LBB1_12720:
	s_or_b64 exec, exec, s[6:7]
	s_nop 0
	v_mfma_f32_16x16x4f32 a[0:3], v2, v12, a[0:3]
	s_movk_i32 s4, 0xff
	v_and_b32_sdwa v6, v7, s4 dst_sel:DWORD dst_unused:UNUSED_PAD src0_sel:WORD_1 src1_sel:DWORD
	s_movk_i32 s4, 0x7f
	v_cmp_lt_i16_e32 vcc, s4, v6
	s_mov_b64 s[4:5], 0
                                        ; implicit-def: $sgpr10
	s_and_saveexec_b64 s[6:7], vcc
	s_xor_b64 s[6:7], exec, s[6:7]
	s_cbranch_execz .LBB1_12721
; %bb.48561:
	s_getpc_b64 s[14:15]
.Lpost_getpc9944:
	s_add_u32 s14, s14, (.LBB1_27057-.Lpost_getpc9944)&4294967295
	s_addc_u32 s15, s15, (.LBB1_27057-.Lpost_getpc9944)>>32
	s_setpc_b64 s[14:15]
.LBB1_12721:
	s_or_saveexec_b64 s[6:7], s[6:7]
	v_mov_b32_e32 v2, s10
	s_xor_b64 exec, exec, s[6:7]
	s_cbranch_execz .LBB1_12722
; %bb.48563:
	s_getpc_b64 s[14:15]
.Lpost_getpc9945:
	s_add_u32 s14, s14, (.LBB1_27060-.Lpost_getpc9945)&4294967295
	s_addc_u32 s15, s15, (.LBB1_27060-.Lpost_getpc9945)>>32
	s_setpc_b64 s[14:15]
.LBB1_12722:
	s_or_b64 exec, exec, s[6:7]
	s_and_saveexec_b64 s[6:7], s[4:5]
	s_cbranch_execz .LBB1_12724
.LBB1_12723:
	v_bfe_u32 v2, v7, 16, 3
	v_ffbh_u32_e32 v13, v2
	v_min_u32_e32 v13, 32, v13
	v_lshrrev_b32_e32 v6, 19, v7
	v_subrev_u32_e32 v14, 28, v13
	v_and_b32_e32 v6, 15, v6
	v_lshlrev_b32_sdwa v14, v14, v7 dst_sel:DWORD dst_unused:UNUSED_PAD src0_sel:DWORD src1_sel:WORD_1
	v_bfe_u32 v12, v7, 19, 4
	v_sub_u32_e32 v13, 29, v13
	v_and_b32_e32 v14, 7, v14
	v_cmp_eq_u16_e32 vcc, 0, v6
	v_cndmask_b32_e32 v2, v2, v14, vcc
	v_cndmask_b32_e32 v6, v12, v13, vcc
	v_lshlrev_b32_e32 v12, 8, v7
	v_mov_b32_e32 v13, 0x3b800000
	v_lshlrev_b32_e32 v2, 20, v2
	v_and_b32_e32 v12, 0x80000000, v12
	v_lshl_add_u32 v6, v6, 23, v13
	v_or3_b32 v2, v12, v6, v2
.LBB1_12724:
	s_or_b64 exec, exec, s[6:7]
	s_movk_i32 s4, 0xff
	v_and_b32_sdwa v6, v3, s4 dst_sel:DWORD dst_unused:UNUSED_PAD src0_sel:WORD_1 src1_sel:DWORD
	s_movk_i32 s4, 0x7f
	v_cmp_lt_i16_e32 vcc, s4, v6
	s_mov_b64 s[4:5], 0
                                        ; implicit-def: $sgpr10
	s_and_saveexec_b64 s[6:7], vcc
	s_xor_b64 s[6:7], exec, s[6:7]
	s_cbranch_execz .LBB1_12725
; %bb.48565:
	s_getpc_b64 s[14:15]
.Lpost_getpc9946:
	s_add_u32 s14, s14, (.LBB1_27061-.Lpost_getpc9946)&4294967295
	s_addc_u32 s15, s15, (.LBB1_27061-.Lpost_getpc9946)>>32
	s_setpc_b64 s[14:15]
.LBB1_12725:
	s_or_saveexec_b64 s[6:7], s[6:7]
	v_mov_b32_e32 v12, s10
	s_xor_b64 exec, exec, s[6:7]
	s_cbranch_execz .LBB1_12726
; %bb.48567:
	s_getpc_b64 s[14:15]
.Lpost_getpc9947:
	s_add_u32 s14, s14, (.LBB1_27064-.Lpost_getpc9947)&4294967295
	s_addc_u32 s15, s15, (.LBB1_27064-.Lpost_getpc9947)>>32
	s_setpc_b64 s[14:15]
.LBB1_12726:
	s_or_b64 exec, exec, s[6:7]
	s_and_saveexec_b64 s[6:7], s[4:5]
	s_cbranch_execz .LBB1_12728
.LBB1_12727:
	v_bfe_u32 v6, v3, 16, 3
	v_ffbh_u32_e32 v14, v6
	v_min_u32_e32 v14, 32, v14
	v_lshrrev_b32_e32 v12, 19, v3
	v_subrev_u32_e32 v15, 28, v14
	v_and_b32_e32 v12, 15, v12
	v_lshlrev_b32_sdwa v15, v15, v3 dst_sel:DWORD dst_unused:UNUSED_PAD src0_sel:DWORD src1_sel:WORD_1
	v_bfe_u32 v13, v3, 19, 4
	v_sub_u32_e32 v14, 29, v14
	v_and_b32_e32 v15, 7, v15
	v_cmp_eq_u16_e32 vcc, 0, v12
	v_cndmask_b32_e32 v6, v6, v15, vcc
	v_cndmask_b32_e32 v12, v13, v14, vcc
	v_lshlrev_b32_e32 v13, 8, v3
	v_mov_b32_e32 v14, 0x3b800000
	v_lshlrev_b32_e32 v6, 20, v6
	v_and_b32_e32 v13, 0x80000000, v13
	v_lshl_add_u32 v12, v12, 23, v14
	v_or3_b32 v12, v13, v12, v6
.LBB1_12728:
	s_or_b64 exec, exec, s[6:7]
	s_nop 0
	v_mfma_f32_16x16x4f32 a[0:3], v2, v12, a[0:3]
	s_movk_i32 s4, 0x7f
	v_cmp_gt_i16_sdwa s[6:7], v7, s4 src0_sel:BYTE_3 src1_sel:DWORD
	s_mov_b64 s[4:5], 0
                                        ; implicit-def: $sgpr10
	s_and_saveexec_b64 s[8:9], s[6:7]
	s_xor_b64 s[6:7], exec, s[8:9]
	s_cbranch_execz .LBB1_12729
; %bb.48569:
	s_getpc_b64 s[14:15]
.Lpost_getpc9948:
	s_add_u32 s14, s14, (.LBB1_27065-.Lpost_getpc9948)&4294967295
	s_addc_u32 s15, s15, (.LBB1_27065-.Lpost_getpc9948)>>32
	s_setpc_b64 s[14:15]
.LBB1_12729:
	s_or_saveexec_b64 s[6:7], s[6:7]
	v_mov_b32_e32 v2, s10
	s_xor_b64 exec, exec, s[6:7]
	s_cbranch_execz .LBB1_12730
; %bb.48571:
	s_getpc_b64 s[14:15]
.Lpost_getpc9949:
	s_add_u32 s14, s14, (.LBB1_27068-.Lpost_getpc9949)&4294967295
	s_addc_u32 s15, s15, (.LBB1_27068-.Lpost_getpc9949)>>32
	s_setpc_b64 s[14:15]
.LBB1_12730:
	s_or_b64 exec, exec, s[6:7]
	s_and_saveexec_b64 s[6:7], s[4:5]
	s_cbranch_execz .LBB1_12732
.LBB1_12731:
	v_bfe_u32 v2, v7, 24, 3
	v_ffbh_u32_e32 v14, v2
	v_min_u32_e32 v14, 32, v14
	v_lshrrev_b32_e32 v12, 27, v7
	v_subrev_u32_e32 v15, 28, v14
	v_and_b32_e32 v6, 0x80000000, v7
	v_and_b32_e32 v12, 15, v12
	v_bfe_u32 v13, v7, 27, 4
	v_lshlrev_b32_sdwa v7, v15, v7 dst_sel:DWORD dst_unused:UNUSED_PAD src0_sel:DWORD src1_sel:BYTE_3
	v_sub_u32_e32 v14, 29, v14
	v_and_b32_e32 v7, 7, v7
	v_cmp_eq_u16_e32 vcc, 0, v12
	v_cndmask_b32_e32 v2, v2, v7, vcc
	v_cndmask_b32_e32 v7, v13, v14, vcc
	v_mov_b32_e32 v12, 0x3b800000
	v_lshlrev_b32_e32 v2, 20, v2
	v_lshl_add_u32 v7, v7, 23, v12
	v_or3_b32 v2, v6, v7, v2
.LBB1_12732:
	s_or_b64 exec, exec, s[6:7]
	s_movk_i32 s4, 0x7f
	v_cmp_gt_i16_sdwa s[6:7], v3, s4 src0_sel:BYTE_3 src1_sel:DWORD
	s_mov_b64 s[4:5], 0
                                        ; implicit-def: $sgpr10
	s_and_saveexec_b64 s[8:9], s[6:7]
	s_xor_b64 s[6:7], exec, s[8:9]
	s_cbranch_execz .LBB1_12733
; %bb.48573:
	s_getpc_b64 s[14:15]
.Lpost_getpc9950:
	s_add_u32 s14, s14, (.LBB1_27069-.Lpost_getpc9950)&4294967295
	s_addc_u32 s15, s15, (.LBB1_27069-.Lpost_getpc9950)>>32
	s_setpc_b64 s[14:15]
.LBB1_12733:
	s_or_saveexec_b64 s[6:7], s[6:7]
	v_mov_b32_e32 v6, s10
	s_xor_b64 exec, exec, s[6:7]
	s_cbranch_execz .LBB1_12734
; %bb.48575:
	s_getpc_b64 s[14:15]
.Lpost_getpc9951:
	s_add_u32 s14, s14, (.LBB1_27072-.Lpost_getpc9951)&4294967295
	s_addc_u32 s15, s15, (.LBB1_27072-.Lpost_getpc9951)>>32
	s_setpc_b64 s[14:15]
.LBB1_12734:
	s_or_b64 exec, exec, s[6:7]
	s_and_saveexec_b64 s[6:7], s[4:5]
	s_cbranch_execz .LBB1_12736
.LBB1_12735:
	v_bfe_u32 v6, v3, 24, 3
	v_ffbh_u32_e32 v14, v6
	v_min_u32_e32 v14, 32, v14
	v_lshrrev_b32_e32 v12, 27, v3
	v_subrev_u32_e32 v15, 28, v14
	v_and_b32_e32 v7, 0x80000000, v3
	v_and_b32_e32 v12, 15, v12
	v_bfe_u32 v13, v3, 27, 4
	v_lshlrev_b32_sdwa v3, v15, v3 dst_sel:DWORD dst_unused:UNUSED_PAD src0_sel:DWORD src1_sel:BYTE_3
	v_sub_u32_e32 v14, 29, v14
	v_and_b32_e32 v3, 7, v3
	v_cmp_eq_u16_e32 vcc, 0, v12
	v_cndmask_b32_e32 v3, v6, v3, vcc
	v_cndmask_b32_e32 v6, v13, v14, vcc
	v_mov_b32_e32 v12, 0x3b800000
	v_lshlrev_b32_e32 v3, 20, v3
	v_lshl_add_u32 v6, v6, 23, v12
	v_or3_b32 v6, v7, v6, v3
.LBB1_12736:
	s_or_b64 exec, exec, s[6:7]
	s_nop 0
	v_mfma_f32_16x16x4f32 a[0:3], v2, v6, a[0:3]
	s_movk_i32 s4, 0x7f
	v_cmp_gt_i16_sdwa s[6:7], v8, s4 src0_sel:BYTE_0 src1_sel:DWORD
	s_mov_b64 s[4:5], 0
                                        ; implicit-def: $sgpr10
	s_and_saveexec_b64 s[8:9], s[6:7]
	s_xor_b64 s[6:7], exec, s[8:9]
	s_cbranch_execz .LBB1_12737
; %bb.48577:
	s_getpc_b64 s[14:15]
.Lpost_getpc9952:
	s_add_u32 s14, s14, (.LBB1_27073-.Lpost_getpc9952)&4294967295
	s_addc_u32 s15, s15, (.LBB1_27073-.Lpost_getpc9952)>>32
	s_setpc_b64 s[14:15]
.LBB1_12737:
	s_or_saveexec_b64 s[6:7], s[6:7]
	v_mov_b32_e32 v2, s10
	s_xor_b64 exec, exec, s[6:7]
	s_cbranch_execz .LBB1_12738
; %bb.48579:
	s_getpc_b64 s[14:15]
.Lpost_getpc9953:
	s_add_u32 s14, s14, (.LBB1_27076-.Lpost_getpc9953)&4294967295
	s_addc_u32 s15, s15, (.LBB1_27076-.Lpost_getpc9953)>>32
	s_setpc_b64 s[14:15]
.LBB1_12738:
	s_or_b64 exec, exec, s[6:7]
	s_and_saveexec_b64 s[6:7], s[4:5]
	s_cbranch_execz .LBB1_12740
.LBB1_12739:
	v_and_b32_e32 v2, 7, v8
	v_ffbh_u32_e32 v6, v2
	v_min_u32_e32 v6, 32, v6
	v_lshrrev_b16_e32 v3, 3, v8
	v_subrev_u32_e32 v7, 28, v6
	v_and_b32_e32 v3, 15, v3
	v_lshlrev_b32_e32 v7, v7, v8
	v_sub_u32_e32 v6, 29, v6
	v_and_b32_e32 v7, 7, v7
	v_cmp_eq_u16_e32 vcc, 0, v3
	v_cndmask_b32_e32 v2, v2, v7, vcc
	v_cndmask_b32_e32 v3, v3, v6, vcc
	v_lshlrev_b32_e32 v6, 24, v8
	v_mov_b32_e32 v7, 0x3b800000
	v_lshlrev_b32_e32 v2, 20, v2
	v_and_b32_e32 v6, 0x80000000, v6
	v_lshl_add_u32 v3, v3, 23, v7
	v_or3_b32 v2, v6, v3, v2
.LBB1_12740:
	s_or_b64 exec, exec, s[6:7]
	s_movk_i32 s4, 0x7f
	v_cmp_gt_i16_sdwa s[6:7], v4, s4 src0_sel:BYTE_0 src1_sel:DWORD
	s_mov_b64 s[4:5], 0
                                        ; implicit-def: $sgpr10
	s_and_saveexec_b64 s[8:9], s[6:7]
	s_xor_b64 s[6:7], exec, s[8:9]
	s_cbranch_execz .LBB1_12741
; %bb.48581:
	s_getpc_b64 s[14:15]
.Lpost_getpc9954:
	s_add_u32 s14, s14, (.LBB1_27077-.Lpost_getpc9954)&4294967295
	s_addc_u32 s15, s15, (.LBB1_27077-.Lpost_getpc9954)>>32
	s_setpc_b64 s[14:15]
.LBB1_12741:
	s_or_saveexec_b64 s[6:7], s[6:7]
	v_mov_b32_e32 v3, s10
	s_xor_b64 exec, exec, s[6:7]
	s_cbranch_execz .LBB1_12742
; %bb.48583:
	s_getpc_b64 s[14:15]
.Lpost_getpc9955:
	s_add_u32 s14, s14, (.LBB1_27080-.Lpost_getpc9955)&4294967295
	s_addc_u32 s15, s15, (.LBB1_27080-.Lpost_getpc9955)>>32
	s_setpc_b64 s[14:15]
.LBB1_12742:
	s_or_b64 exec, exec, s[6:7]
	s_and_saveexec_b64 s[6:7], s[4:5]
	s_cbranch_execz .LBB1_12744
.LBB1_12743:
	v_and_b32_e32 v3, 7, v4
	v_ffbh_u32_e32 v7, v3
	v_min_u32_e32 v7, 32, v7
	v_lshrrev_b16_e32 v6, 3, v4
	v_subrev_u32_e32 v12, 28, v7
	v_and_b32_e32 v6, 15, v6
	v_lshlrev_b32_e32 v12, v12, v4
	v_sub_u32_e32 v7, 29, v7
	v_and_b32_e32 v12, 7, v12
	v_cmp_eq_u16_e32 vcc, 0, v6
	v_cndmask_b32_e32 v3, v3, v12, vcc
	v_cndmask_b32_e32 v6, v6, v7, vcc
	v_lshlrev_b32_e32 v7, 24, v4
	v_mov_b32_e32 v12, 0x3b800000
	v_lshlrev_b32_e32 v3, 20, v3
	v_and_b32_e32 v7, 0x80000000, v7
	v_lshl_add_u32 v6, v6, 23, v12
	v_or3_b32 v3, v7, v6, v3
.LBB1_12744:
	s_or_b64 exec, exec, s[6:7]
	s_nop 0
	v_mfma_f32_16x16x4f32 a[0:3], v2, v3, a[0:3]
	v_lshrrev_b32_e32 v3, 8, v8
	s_movk_i32 s4, 0x7f
	v_cmp_gt_i16_sdwa s[6:7], v3, s4 src0_sel:BYTE_0 src1_sel:DWORD
	s_mov_b64 s[4:5], 0
                                        ; implicit-def: $sgpr10
	s_and_saveexec_b64 s[8:9], s[6:7]
	s_xor_b64 s[6:7], exec, s[8:9]
	s_cbranch_execz .LBB1_12745
; %bb.48585:
	s_getpc_b64 s[14:15]
.Lpost_getpc9956:
	s_add_u32 s14, s14, (.LBB1_27081-.Lpost_getpc9956)&4294967295
	s_addc_u32 s15, s15, (.LBB1_27081-.Lpost_getpc9956)>>32
	s_setpc_b64 s[14:15]
.LBB1_12745:
	s_or_saveexec_b64 s[6:7], s[6:7]
	v_mov_b32_e32 v2, s10
	s_xor_b64 exec, exec, s[6:7]
	s_cbranch_execz .LBB1_12746
; %bb.48587:
	s_getpc_b64 s[14:15]
.Lpost_getpc9957:
	s_add_u32 s14, s14, (.LBB1_27084-.Lpost_getpc9957)&4294967295
	s_addc_u32 s15, s15, (.LBB1_27084-.Lpost_getpc9957)>>32
	s_setpc_b64 s[14:15]
.LBB1_12746:
	s_or_b64 exec, exec, s[6:7]
	s_and_saveexec_b64 s[6:7], s[4:5]
	s_cbranch_execz .LBB1_12748
.LBB1_12747:
	v_bfe_u32 v2, v8, 8, 3
	v_ffbh_u32_e32 v7, v2
	v_min_u32_e32 v7, 32, v7
	v_lshrrev_b16_e32 v6, 3, v3
	v_subrev_u32_e32 v12, 28, v7
	v_and_b32_e32 v6, 15, v6
	v_lshlrev_b32_e32 v3, v12, v3
	v_sub_u32_e32 v7, 29, v7
	v_and_b32_e32 v3, 7, v3
	v_cmp_eq_u16_e32 vcc, 0, v6
	v_cndmask_b32_e32 v2, v2, v3, vcc
	v_cndmask_b32_e32 v3, v6, v7, vcc
	v_lshlrev_b32_e32 v6, 16, v8
	v_mov_b32_e32 v7, 0x3b800000
	v_lshlrev_b32_e32 v2, 20, v2
	v_and_b32_e32 v6, 0x80000000, v6
	v_lshl_add_u32 v3, v3, 23, v7
	v_or3_b32 v2, v6, v3, v2
.LBB1_12748:
	s_or_b64 exec, exec, s[6:7]
	v_lshrrev_b32_e32 v3, 8, v4
	s_movk_i32 s4, 0x7f
	v_cmp_gt_i16_sdwa s[6:7], v3, s4 src0_sel:BYTE_0 src1_sel:DWORD
	s_mov_b64 s[4:5], 0
                                        ; implicit-def: $sgpr10
	s_and_saveexec_b64 s[8:9], s[6:7]
	s_xor_b64 s[6:7], exec, s[8:9]
	s_cbranch_execz .LBB1_12749
; %bb.48589:
	s_getpc_b64 s[14:15]
.Lpost_getpc9958:
	s_add_u32 s14, s14, (.LBB1_27085-.Lpost_getpc9958)&4294967295
	s_addc_u32 s15, s15, (.LBB1_27085-.Lpost_getpc9958)>>32
	s_setpc_b64 s[14:15]
.LBB1_12749:
	s_or_saveexec_b64 s[6:7], s[6:7]
	v_mov_b32_e32 v6, s10
	s_xor_b64 exec, exec, s[6:7]
	s_cbranch_execz .LBB1_12750
; %bb.48591:
	s_getpc_b64 s[14:15]
.Lpost_getpc9959:
	s_add_u32 s14, s14, (.LBB1_27088-.Lpost_getpc9959)&4294967295
	s_addc_u32 s15, s15, (.LBB1_27088-.Lpost_getpc9959)>>32
	s_setpc_b64 s[14:15]
.LBB1_12750:
	s_or_b64 exec, exec, s[6:7]
	s_and_saveexec_b64 s[6:7], s[4:5]
	s_cbranch_execz .LBB1_12752
.LBB1_12751:
	v_bfe_u32 v6, v4, 8, 3
	v_ffbh_u32_e32 v12, v6
	v_min_u32_e32 v12, 32, v12
	v_lshrrev_b16_e32 v7, 3, v3
	v_subrev_u32_e32 v13, 28, v12
	v_and_b32_e32 v7, 15, v7
	v_lshlrev_b32_e32 v3, v13, v3
	v_sub_u32_e32 v12, 29, v12
	v_and_b32_e32 v3, 7, v3
	v_cmp_eq_u16_e32 vcc, 0, v7
	v_cndmask_b32_e32 v3, v6, v3, vcc
	v_cndmask_b32_e32 v6, v7, v12, vcc
	v_lshlrev_b32_e32 v7, 16, v4
	v_mov_b32_e32 v12, 0x3b800000
	v_lshlrev_b32_e32 v3, 20, v3
	v_and_b32_e32 v7, 0x80000000, v7
	v_lshl_add_u32 v6, v6, 23, v12
	v_or3_b32 v6, v7, v6, v3
.LBB1_12752:
	s_or_b64 exec, exec, s[6:7]
	s_nop 0
	v_mfma_f32_16x16x4f32 a[0:3], v2, v6, a[0:3]
	s_movk_i32 s4, 0xff
	v_and_b32_sdwa v3, v8, s4 dst_sel:DWORD dst_unused:UNUSED_PAD src0_sel:WORD_1 src1_sel:DWORD
	s_movk_i32 s4, 0x7f
	v_cmp_lt_i16_e32 vcc, s4, v3
	s_mov_b64 s[4:5], 0
                                        ; implicit-def: $sgpr10
	s_and_saveexec_b64 s[6:7], vcc
	s_xor_b64 s[6:7], exec, s[6:7]
	s_cbranch_execz .LBB1_12753
; %bb.48593:
	s_getpc_b64 s[14:15]
.Lpost_getpc9960:
	s_add_u32 s14, s14, (.LBB1_27089-.Lpost_getpc9960)&4294967295
	s_addc_u32 s15, s15, (.LBB1_27089-.Lpost_getpc9960)>>32
	s_setpc_b64 s[14:15]
.LBB1_12753:
	s_or_saveexec_b64 s[6:7], s[6:7]
	v_mov_b32_e32 v2, s10
	s_xor_b64 exec, exec, s[6:7]
	s_cbranch_execz .LBB1_12754
; %bb.48595:
	s_getpc_b64 s[14:15]
.Lpost_getpc9961:
	s_add_u32 s14, s14, (.LBB1_27092-.Lpost_getpc9961)&4294967295
	s_addc_u32 s15, s15, (.LBB1_27092-.Lpost_getpc9961)>>32
	s_setpc_b64 s[14:15]
.LBB1_12754:
	s_or_b64 exec, exec, s[6:7]
	s_and_saveexec_b64 s[6:7], s[4:5]
	s_cbranch_execz .LBB1_12756
.LBB1_12755:
	v_bfe_u32 v2, v8, 16, 3
	v_ffbh_u32_e32 v7, v2
	v_min_u32_e32 v7, 32, v7
	v_lshrrev_b32_e32 v3, 19, v8
	v_subrev_u32_e32 v12, 28, v7
	v_and_b32_e32 v3, 15, v3
	v_lshlrev_b32_sdwa v12, v12, v8 dst_sel:DWORD dst_unused:UNUSED_PAD src0_sel:DWORD src1_sel:WORD_1
	v_bfe_u32 v6, v8, 19, 4
	v_sub_u32_e32 v7, 29, v7
	v_and_b32_e32 v12, 7, v12
	v_cmp_eq_u16_e32 vcc, 0, v3
	v_cndmask_b32_e32 v2, v2, v12, vcc
	v_cndmask_b32_e32 v3, v6, v7, vcc
	v_lshlrev_b32_e32 v6, 8, v8
	v_mov_b32_e32 v7, 0x3b800000
	v_lshlrev_b32_e32 v2, 20, v2
	v_and_b32_e32 v6, 0x80000000, v6
	v_lshl_add_u32 v3, v3, 23, v7
	v_or3_b32 v2, v6, v3, v2
.LBB1_12756:
	s_or_b64 exec, exec, s[6:7]
	s_movk_i32 s4, 0xff
	v_and_b32_sdwa v3, v4, s4 dst_sel:DWORD dst_unused:UNUSED_PAD src0_sel:WORD_1 src1_sel:DWORD
	s_movk_i32 s4, 0x7f
	v_cmp_lt_i16_e32 vcc, s4, v3
	s_mov_b64 s[4:5], 0
                                        ; implicit-def: $sgpr10
	s_and_saveexec_b64 s[6:7], vcc
	s_xor_b64 s[6:7], exec, s[6:7]
	s_cbranch_execz .LBB1_12757
; %bb.48597:
	s_getpc_b64 s[14:15]
.Lpost_getpc9962:
	s_add_u32 s14, s14, (.LBB1_27093-.Lpost_getpc9962)&4294967295
	s_addc_u32 s15, s15, (.LBB1_27093-.Lpost_getpc9962)>>32
	s_setpc_b64 s[14:15]
.LBB1_12757:
	s_or_saveexec_b64 s[6:7], s[6:7]
	v_mov_b32_e32 v6, s10
	s_xor_b64 exec, exec, s[6:7]
	s_cbranch_execz .LBB1_12758
; %bb.48599:
	s_getpc_b64 s[14:15]
.Lpost_getpc9963:
	s_add_u32 s14, s14, (.LBB1_27096-.Lpost_getpc9963)&4294967295
	s_addc_u32 s15, s15, (.LBB1_27096-.Lpost_getpc9963)>>32
	s_setpc_b64 s[14:15]
.LBB1_12758:
	s_or_b64 exec, exec, s[6:7]
	s_and_saveexec_b64 s[6:7], s[4:5]
	s_cbranch_execz .LBB1_12760
.LBB1_12759:
	v_bfe_u32 v3, v4, 16, 3
	v_ffbh_u32_e32 v12, v3
	v_min_u32_e32 v12, 32, v12
	v_lshrrev_b32_e32 v6, 19, v4
	v_subrev_u32_e32 v13, 28, v12
	v_and_b32_e32 v6, 15, v6
	v_lshlrev_b32_sdwa v13, v13, v4 dst_sel:DWORD dst_unused:UNUSED_PAD src0_sel:DWORD src1_sel:WORD_1
	v_bfe_u32 v7, v4, 19, 4
	v_sub_u32_e32 v12, 29, v12
	v_and_b32_e32 v13, 7, v13
	v_cmp_eq_u16_e32 vcc, 0, v6
	v_cndmask_b32_e32 v3, v3, v13, vcc
	v_cndmask_b32_e32 v6, v7, v12, vcc
	v_lshlrev_b32_e32 v7, 8, v4
	v_mov_b32_e32 v12, 0x3b800000
	v_lshlrev_b32_e32 v3, 20, v3
	v_and_b32_e32 v7, 0x80000000, v7
	v_lshl_add_u32 v6, v6, 23, v12
	v_or3_b32 v6, v7, v6, v3
.LBB1_12760:
	s_or_b64 exec, exec, s[6:7]
	s_nop 0
	v_mfma_f32_16x16x4f32 a[0:3], v2, v6, a[0:3]
	s_movk_i32 s4, 0x7f
	v_cmp_gt_i16_sdwa s[6:7], v8, s4 src0_sel:BYTE_3 src1_sel:DWORD
	s_mov_b64 s[4:5], 0
                                        ; implicit-def: $sgpr10
	s_and_saveexec_b64 s[8:9], s[6:7]
	s_xor_b64 s[6:7], exec, s[8:9]
	s_cbranch_execz .LBB1_12761
; %bb.48601:
	s_getpc_b64 s[14:15]
.Lpost_getpc9964:
	s_add_u32 s14, s14, (.LBB1_27097-.Lpost_getpc9964)&4294967295
	s_addc_u32 s15, s15, (.LBB1_27097-.Lpost_getpc9964)>>32
	s_setpc_b64 s[14:15]
.LBB1_12761:
	s_or_saveexec_b64 s[6:7], s[6:7]
	v_mov_b32_e32 v2, s10
	s_xor_b64 exec, exec, s[6:7]
	s_cbranch_execz .LBB1_12762
; %bb.48603:
	s_getpc_b64 s[14:15]
.Lpost_getpc9965:
	s_add_u32 s14, s14, (.LBB1_27100-.Lpost_getpc9965)&4294967295
	s_addc_u32 s15, s15, (.LBB1_27100-.Lpost_getpc9965)>>32
	s_setpc_b64 s[14:15]
.LBB1_12762:
	s_or_b64 exec, exec, s[6:7]
	s_and_saveexec_b64 s[6:7], s[4:5]
	s_cbranch_execz .LBB1_12764
.LBB1_12763:
	v_bfe_u32 v2, v8, 24, 3
	v_ffbh_u32_e32 v12, v2
	v_min_u32_e32 v12, 32, v12
	v_lshrrev_b32_e32 v6, 27, v8
	v_subrev_u32_e32 v13, 28, v12
	v_and_b32_e32 v3, 0x80000000, v8
	v_and_b32_e32 v6, 15, v6
	v_bfe_u32 v7, v8, 27, 4
	v_lshlrev_b32_sdwa v8, v13, v8 dst_sel:DWORD dst_unused:UNUSED_PAD src0_sel:DWORD src1_sel:BYTE_3
	v_sub_u32_e32 v12, 29, v12
	v_and_b32_e32 v8, 7, v8
	v_cmp_eq_u16_e32 vcc, 0, v6
	v_cndmask_b32_e32 v2, v2, v8, vcc
	v_cndmask_b32_e32 v6, v7, v12, vcc
	v_mov_b32_e32 v7, 0x3b800000
	v_lshlrev_b32_e32 v2, 20, v2
	v_lshl_add_u32 v6, v6, 23, v7
	v_or3_b32 v2, v3, v6, v2
.LBB1_12764:
	s_or_b64 exec, exec, s[6:7]
	s_movk_i32 s4, 0x7f
	v_cmp_gt_i16_sdwa s[6:7], v4, s4 src0_sel:BYTE_3 src1_sel:DWORD
	s_mov_b64 s[4:5], 0
                                        ; implicit-def: $sgpr10
	s_and_saveexec_b64 s[8:9], s[6:7]
	s_xor_b64 s[6:7], exec, s[8:9]
	s_cbranch_execz .LBB1_12765
; %bb.48605:
	s_getpc_b64 s[14:15]
.Lpost_getpc9966:
	s_add_u32 s14, s14, (.LBB1_27101-.Lpost_getpc9966)&4294967295
	s_addc_u32 s15, s15, (.LBB1_27101-.Lpost_getpc9966)>>32
	s_setpc_b64 s[14:15]
.LBB1_12765:
	s_or_saveexec_b64 s[6:7], s[6:7]
	v_mov_b32_e32 v3, s10
	s_xor_b64 exec, exec, s[6:7]
	s_cbranch_execz .LBB1_12766
; %bb.48607:
	s_getpc_b64 s[14:15]
.Lpost_getpc9967:
	s_add_u32 s14, s14, (.LBB1_27104-.Lpost_getpc9967)&4294967295
	s_addc_u32 s15, s15, (.LBB1_27104-.Lpost_getpc9967)>>32
	s_setpc_b64 s[14:15]
.LBB1_12766:
	s_or_b64 exec, exec, s[6:7]
	s_and_saveexec_b64 s[6:7], s[4:5]
	s_cbranch_execz .LBB1_12768
.LBB1_12767:
	v_bfe_u32 v3, v4, 24, 3
	v_ffbh_u32_e32 v12, v3
	v_min_u32_e32 v12, 32, v12
	v_lshrrev_b32_e32 v7, 27, v4
	v_subrev_u32_e32 v13, 28, v12
	v_and_b32_e32 v6, 0x80000000, v4
	v_and_b32_e32 v7, 15, v7
	v_bfe_u32 v8, v4, 27, 4
	v_lshlrev_b32_sdwa v4, v13, v4 dst_sel:DWORD dst_unused:UNUSED_PAD src0_sel:DWORD src1_sel:BYTE_3
	v_sub_u32_e32 v12, 29, v12
	v_and_b32_e32 v4, 7, v4
	v_cmp_eq_u16_e32 vcc, 0, v7
	v_cndmask_b32_e32 v3, v3, v4, vcc
	v_cndmask_b32_e32 v4, v8, v12, vcc
	v_mov_b32_e32 v7, 0x3b800000
	v_lshlrev_b32_e32 v3, 20, v3
	v_lshl_add_u32 v4, v4, 23, v7
	v_or3_b32 v3, v6, v4, v3
.LBB1_12768:
	s_or_b64 exec, exec, s[6:7]
	s_nop 0
	v_mfma_f32_16x16x4f32 a[0:3], v2, v3, a[0:3]
	s_movk_i32 s4, 0x7f
	v_cmp_gt_i16_sdwa s[6:7], v9, s4 src0_sel:BYTE_0 src1_sel:DWORD
	s_mov_b64 s[4:5], 0
                                        ; implicit-def: $sgpr10
	s_and_saveexec_b64 s[8:9], s[6:7]
	s_xor_b64 s[6:7], exec, s[8:9]
	s_cbranch_execz .LBB1_12769
; %bb.48609:
	s_getpc_b64 s[14:15]
.Lpost_getpc9968:
	s_add_u32 s14, s14, (.LBB1_27105-.Lpost_getpc9968)&4294967295
	s_addc_u32 s15, s15, (.LBB1_27105-.Lpost_getpc9968)>>32
	s_setpc_b64 s[14:15]
.LBB1_12769:
	s_or_saveexec_b64 s[6:7], s[6:7]
	v_mov_b32_e32 v2, s10
	s_xor_b64 exec, exec, s[6:7]
	s_cbranch_execz .LBB1_12770
; %bb.48611:
	s_getpc_b64 s[14:15]
.Lpost_getpc9969:
	s_add_u32 s14, s14, (.LBB1_27108-.Lpost_getpc9969)&4294967295
	s_addc_u32 s15, s15, (.LBB1_27108-.Lpost_getpc9969)>>32
	s_setpc_b64 s[14:15]
.LBB1_12770:
	s_or_b64 exec, exec, s[6:7]
	s_and_saveexec_b64 s[6:7], s[4:5]
	s_cbranch_execz .LBB1_12772
.LBB1_12771:
	v_mov_b32_e32 v2, 8
	v_and_b32_e32 v3, 7, v9
	v_lshrrev_b32_sdwa v2, v2, v9 dst_sel:BYTE_1 dst_unused:UNUSED_PAD src0_sel:DWORD src1_sel:DWORD
	v_ffbh_u32_e32 v4, v3
	v_or_b32_sdwa v2, v9, v2 dst_sel:DWORD dst_unused:UNUSED_PAD src0_sel:BYTE_0 src1_sel:DWORD
	v_min_u32_e32 v4, 32, v4
	v_lshrrev_b16_e32 v2, 3, v2
	v_subrev_u32_e32 v6, 28, v4
	v_and_b32_e32 v2, 15, v2
	v_lshlrev_b32_e32 v6, v6, v9
	v_sub_u32_e32 v4, 29, v4
	v_and_b32_e32 v6, 7, v6
	v_cmp_eq_u16_e32 vcc, 0, v2
	v_cndmask_b32_e32 v3, v3, v6, vcc
	v_cndmask_b32_e32 v2, v2, v4, vcc
	v_lshlrev_b32_e32 v4, 24, v9
	v_mov_b32_e32 v6, 0x3b800000
	v_lshlrev_b32_e32 v3, 20, v3
	v_and_b32_e32 v4, 0x80000000, v4
	v_lshl_add_u32 v2, v2, 23, v6
	v_or3_b32 v2, v4, v2, v3
.LBB1_12772:
	s_or_b64 exec, exec, s[6:7]
	s_movk_i32 s4, 0x7f
	v_cmp_gt_i16_sdwa s[6:7], v5, s4 src0_sel:BYTE_0 src1_sel:DWORD
	s_mov_b64 s[4:5], 0
                                        ; implicit-def: $sgpr10
	s_and_saveexec_b64 s[8:9], s[6:7]
	s_xor_b64 s[6:7], exec, s[8:9]
	s_cbranch_execz .LBB1_12773
; %bb.48613:
	s_getpc_b64 s[14:15]
.Lpost_getpc9970:
	s_add_u32 s14, s14, (.LBB1_27109-.Lpost_getpc9970)&4294967295
	s_addc_u32 s15, s15, (.LBB1_27109-.Lpost_getpc9970)>>32
	s_setpc_b64 s[14:15]
.LBB1_12773:
	s_or_saveexec_b64 s[6:7], s[6:7]
	v_mov_b32_e32 v3, s10
	s_xor_b64 exec, exec, s[6:7]
	s_cbranch_execz .LBB1_12774
; %bb.48615:
	s_getpc_b64 s[14:15]
.Lpost_getpc9971:
	s_add_u32 s14, s14, (.LBB1_27112-.Lpost_getpc9971)&4294967295
	s_addc_u32 s15, s15, (.LBB1_27112-.Lpost_getpc9971)>>32
	s_setpc_b64 s[14:15]
.LBB1_12774:
	s_or_b64 exec, exec, s[6:7]
	s_and_saveexec_b64 s[6:7], s[4:5]
	s_cbranch_execz .LBB1_12776
.LBB1_12775:
	v_mov_b32_e32 v3, 8
	v_and_b32_e32 v4, 7, v5
	v_lshrrev_b32_sdwa v3, v3, v5 dst_sel:BYTE_1 dst_unused:UNUSED_PAD src0_sel:DWORD src1_sel:DWORD
	v_ffbh_u32_e32 v6, v4
	v_or_b32_sdwa v3, v5, v3 dst_sel:DWORD dst_unused:UNUSED_PAD src0_sel:BYTE_0 src1_sel:DWORD
	v_min_u32_e32 v6, 32, v6
	v_lshrrev_b16_e32 v3, 3, v3
	v_subrev_u32_e32 v7, 28, v6
	v_and_b32_e32 v3, 15, v3
	v_lshlrev_b32_e32 v7, v7, v5
	v_sub_u32_e32 v6, 29, v6
	v_and_b32_e32 v7, 7, v7
	v_cmp_eq_u16_e32 vcc, 0, v3
	v_cndmask_b32_e32 v4, v4, v7, vcc
	v_cndmask_b32_e32 v3, v3, v6, vcc
	v_lshlrev_b32_e32 v6, 24, v5
	v_mov_b32_e32 v7, 0x3b800000
	v_lshlrev_b32_e32 v4, 20, v4
	v_and_b32_e32 v6, 0x80000000, v6
	v_lshl_add_u32 v3, v3, 23, v7
	v_or3_b32 v3, v6, v3, v4
.LBB1_12776:
	s_or_b64 exec, exec, s[6:7]
	s_nop 0
	v_mfma_f32_16x16x4f32 a[0:3], v2, v3, a[0:3]
	v_lshrrev_b32_e32 v3, 8, v9
	s_movk_i32 s4, 0x7f
	v_cmp_gt_i16_sdwa s[6:7], v3, s4 src0_sel:BYTE_0 src1_sel:DWORD
	s_mov_b64 s[4:5], 0
                                        ; implicit-def: $sgpr10
	s_and_saveexec_b64 s[8:9], s[6:7]
	s_xor_b64 s[6:7], exec, s[8:9]
	s_cbranch_execz .LBB1_12777
; %bb.48617:
	s_getpc_b64 s[14:15]
.Lpost_getpc9972:
	s_add_u32 s14, s14, (.LBB1_27113-.Lpost_getpc9972)&4294967295
	s_addc_u32 s15, s15, (.LBB1_27113-.Lpost_getpc9972)>>32
	s_setpc_b64 s[14:15]
.LBB1_12777:
	s_or_saveexec_b64 s[6:7], s[6:7]
	v_mov_b32_e32 v2, s10
	s_xor_b64 exec, exec, s[6:7]
	s_cbranch_execz .LBB1_12778
; %bb.48619:
	s_getpc_b64 s[14:15]
.Lpost_getpc9973:
	s_add_u32 s14, s14, (.LBB1_27116-.Lpost_getpc9973)&4294967295
	s_addc_u32 s15, s15, (.LBB1_27116-.Lpost_getpc9973)>>32
	s_setpc_b64 s[14:15]
.LBB1_12778:
	s_or_b64 exec, exec, s[6:7]
	s_and_saveexec_b64 s[6:7], s[4:5]
	s_cbranch_execz .LBB1_12780
.LBB1_12779:
	v_bfe_u32 v2, v9, 8, 3
	v_ffbh_u32_e32 v6, v2
	v_min_u32_e32 v6, 32, v6
	v_lshrrev_b16_e32 v4, 3, v3
	v_subrev_u32_e32 v7, 28, v6
	v_and_b32_e32 v4, 15, v4
	v_lshlrev_b32_e32 v3, v7, v3
	v_sub_u32_e32 v6, 29, v6
	v_and_b32_e32 v3, 7, v3
	v_cmp_eq_u16_e32 vcc, 0, v4
	v_cndmask_b32_e32 v2, v2, v3, vcc
	v_cndmask_b32_e32 v3, v4, v6, vcc
	v_lshlrev_b32_e32 v4, 16, v9
	v_mov_b32_e32 v6, 0x3b800000
	v_lshlrev_b32_e32 v2, 20, v2
	v_and_b32_e32 v4, 0x80000000, v4
	v_lshl_add_u32 v3, v3, 23, v6
	v_or3_b32 v2, v4, v3, v2
.LBB1_12780:
	s_or_b64 exec, exec, s[6:7]
	v_lshrrev_b32_e32 v3, 8, v5
	s_movk_i32 s4, 0x7f
	v_cmp_gt_i16_sdwa s[6:7], v3, s4 src0_sel:BYTE_0 src1_sel:DWORD
	s_mov_b64 s[4:5], 0
                                        ; implicit-def: $sgpr10
	s_and_saveexec_b64 s[8:9], s[6:7]
	s_xor_b64 s[6:7], exec, s[8:9]
	s_cbranch_execz .LBB1_12781
; %bb.48621:
	s_getpc_b64 s[14:15]
.Lpost_getpc9974:
	s_add_u32 s14, s14, (.LBB1_27117-.Lpost_getpc9974)&4294967295
	s_addc_u32 s15, s15, (.LBB1_27117-.Lpost_getpc9974)>>32
	s_setpc_b64 s[14:15]
.LBB1_12781:
	s_or_saveexec_b64 s[6:7], s[6:7]
	v_mov_b32_e32 v4, s10
	s_xor_b64 exec, exec, s[6:7]
	s_cbranch_execz .LBB1_12782
; %bb.48623:
	s_getpc_b64 s[14:15]
.Lpost_getpc9975:
	s_add_u32 s14, s14, (.LBB1_27120-.Lpost_getpc9975)&4294967295
	s_addc_u32 s15, s15, (.LBB1_27120-.Lpost_getpc9975)>>32
	s_setpc_b64 s[14:15]
.LBB1_12782:
	s_or_b64 exec, exec, s[6:7]
	s_and_saveexec_b64 s[6:7], s[4:5]
	s_cbranch_execz .LBB1_12784
.LBB1_12783:
	v_bfe_u32 v4, v5, 8, 3
	v_ffbh_u32_e32 v7, v4
	v_min_u32_e32 v7, 32, v7
	v_lshrrev_b16_e32 v6, 3, v3
	v_subrev_u32_e32 v8, 28, v7
	v_and_b32_e32 v6, 15, v6
	v_lshlrev_b32_e32 v3, v8, v3
	v_sub_u32_e32 v7, 29, v7
	v_and_b32_e32 v3, 7, v3
	v_cmp_eq_u16_e32 vcc, 0, v6
	v_cndmask_b32_e32 v3, v4, v3, vcc
	v_cndmask_b32_e32 v4, v6, v7, vcc
	v_lshlrev_b32_e32 v6, 16, v5
	v_mov_b32_e32 v7, 0x3b800000
	v_lshlrev_b32_e32 v3, 20, v3
	v_and_b32_e32 v6, 0x80000000, v6
	v_lshl_add_u32 v4, v4, 23, v7
	v_or3_b32 v4, v6, v4, v3
.LBB1_12784:
	s_or_b64 exec, exec, s[6:7]
	s_nop 0
	v_mfma_f32_16x16x4f32 a[0:3], v2, v4, a[0:3]
	s_movk_i32 s4, 0xff
	v_and_b32_sdwa v3, v9, s4 dst_sel:DWORD dst_unused:UNUSED_PAD src0_sel:WORD_1 src1_sel:DWORD
	s_movk_i32 s4, 0x7f
	v_cmp_lt_i16_e32 vcc, s4, v3
	s_mov_b64 s[4:5], 0
                                        ; implicit-def: $sgpr10
	s_and_saveexec_b64 s[6:7], vcc
	s_xor_b64 s[6:7], exec, s[6:7]
	s_cbranch_execz .LBB1_12785
; %bb.48625:
	s_getpc_b64 s[14:15]
.Lpost_getpc9976:
	s_add_u32 s14, s14, (.LBB1_27121-.Lpost_getpc9976)&4294967295
	s_addc_u32 s15, s15, (.LBB1_27121-.Lpost_getpc9976)>>32
	s_setpc_b64 s[14:15]
.LBB1_12785:
	s_or_saveexec_b64 s[6:7], s[6:7]
	v_mov_b32_e32 v2, s10
	s_xor_b64 exec, exec, s[6:7]
	s_cbranch_execz .LBB1_12786
; %bb.48627:
	s_getpc_b64 s[14:15]
.Lpost_getpc9977:
	s_add_u32 s14, s14, (.LBB1_27124-.Lpost_getpc9977)&4294967295
	s_addc_u32 s15, s15, (.LBB1_27124-.Lpost_getpc9977)>>32
	s_setpc_b64 s[14:15]
.LBB1_12786:
	s_or_b64 exec, exec, s[6:7]
	s_and_saveexec_b64 s[6:7], s[4:5]
	s_cbranch_execz .LBB1_12788
.LBB1_12787:
	v_bfe_u32 v2, v9, 16, 3
	v_ffbh_u32_e32 v6, v2
	v_min_u32_e32 v6, 32, v6
	v_lshrrev_b32_e32 v3, 19, v9
	v_subrev_u32_e32 v7, 28, v6
	v_and_b32_e32 v3, 15, v3
	v_lshlrev_b32_sdwa v7, v7, v9 dst_sel:DWORD dst_unused:UNUSED_PAD src0_sel:DWORD src1_sel:WORD_1
	v_bfe_u32 v4, v9, 19, 4
	v_sub_u32_e32 v6, 29, v6
	v_and_b32_e32 v7, 7, v7
	v_cmp_eq_u16_e32 vcc, 0, v3
	v_cndmask_b32_e32 v2, v2, v7, vcc
	v_cndmask_b32_e32 v3, v4, v6, vcc
	v_lshlrev_b32_e32 v4, 8, v9
	v_mov_b32_e32 v6, 0x3b800000
	v_lshlrev_b32_e32 v2, 20, v2
	v_and_b32_e32 v4, 0x80000000, v4
	v_lshl_add_u32 v3, v3, 23, v6
	v_or3_b32 v2, v4, v3, v2
.LBB1_12788:
	s_or_b64 exec, exec, s[6:7]
	s_movk_i32 s4, 0xff
	v_and_b32_sdwa v3, v5, s4 dst_sel:DWORD dst_unused:UNUSED_PAD src0_sel:WORD_1 src1_sel:DWORD
	s_movk_i32 s4, 0x7f
	v_cmp_lt_i16_e32 vcc, s4, v3
	s_mov_b64 s[4:5], 0
                                        ; implicit-def: $sgpr10
	s_and_saveexec_b64 s[6:7], vcc
	s_xor_b64 s[6:7], exec, s[6:7]
	s_cbranch_execz .LBB1_12789
; %bb.48629:
	s_getpc_b64 s[14:15]
.Lpost_getpc9978:
	s_add_u32 s14, s14, (.LBB1_27125-.Lpost_getpc9978)&4294967295
	s_addc_u32 s15, s15, (.LBB1_27125-.Lpost_getpc9978)>>32
	s_setpc_b64 s[14:15]
.LBB1_12789:
	s_or_saveexec_b64 s[6:7], s[6:7]
	v_mov_b32_e32 v4, s10
	s_xor_b64 exec, exec, s[6:7]
	s_cbranch_execz .LBB1_12790
; %bb.48631:
	s_getpc_b64 s[14:15]
.Lpost_getpc9979:
	s_add_u32 s14, s14, (.LBB1_27128-.Lpost_getpc9979)&4294967295
	s_addc_u32 s15, s15, (.LBB1_27128-.Lpost_getpc9979)>>32
	s_setpc_b64 s[14:15]
.LBB1_12790:
	s_or_b64 exec, exec, s[6:7]
	s_and_saveexec_b64 s[6:7], s[4:5]
	s_cbranch_execz .LBB1_12792
.LBB1_12791:
	v_bfe_u32 v3, v5, 16, 3
	v_ffbh_u32_e32 v7, v3
	v_min_u32_e32 v7, 32, v7
	v_lshrrev_b32_e32 v4, 19, v5
	v_subrev_u32_e32 v8, 28, v7
	v_and_b32_e32 v4, 15, v4
	v_lshlrev_b32_sdwa v8, v8, v5 dst_sel:DWORD dst_unused:UNUSED_PAD src0_sel:DWORD src1_sel:WORD_1
	v_bfe_u32 v6, v5, 19, 4
	v_sub_u32_e32 v7, 29, v7
	v_and_b32_e32 v8, 7, v8
	v_cmp_eq_u16_e32 vcc, 0, v4
	v_cndmask_b32_e32 v3, v3, v8, vcc
	v_cndmask_b32_e32 v4, v6, v7, vcc
	v_lshlrev_b32_e32 v6, 8, v5
	v_mov_b32_e32 v7, 0x3b800000
	v_lshlrev_b32_e32 v3, 20, v3
	v_and_b32_e32 v6, 0x80000000, v6
	v_lshl_add_u32 v4, v4, 23, v7
	v_or3_b32 v4, v6, v4, v3
.LBB1_12792:
	s_or_b64 exec, exec, s[6:7]
	s_nop 0
	v_mfma_f32_16x16x4f32 a[0:3], v2, v4, a[0:3]
	s_movk_i32 s4, 0x7f
	v_cmp_gt_i16_sdwa s[6:7], v9, s4 src0_sel:BYTE_3 src1_sel:DWORD
	s_mov_b64 s[4:5], 0
                                        ; implicit-def: $sgpr10
	s_and_saveexec_b64 s[8:9], s[6:7]
	s_xor_b64 s[6:7], exec, s[8:9]
	s_cbranch_execz .LBB1_12793
; %bb.48633:
	s_getpc_b64 s[14:15]
.Lpost_getpc9980:
	s_add_u32 s14, s14, (.LBB1_27129-.Lpost_getpc9980)&4294967295
	s_addc_u32 s15, s15, (.LBB1_27129-.Lpost_getpc9980)>>32
	s_setpc_b64 s[14:15]
.LBB1_12793:
	s_or_saveexec_b64 s[6:7], s[6:7]
	v_mov_b32_e32 v2, s10
	s_xor_b64 exec, exec, s[6:7]
	s_cbranch_execz .LBB1_12794
; %bb.48635:
	s_getpc_b64 s[14:15]
.Lpost_getpc9981:
	s_add_u32 s14, s14, (.LBB1_27132-.Lpost_getpc9981)&4294967295
	s_addc_u32 s15, s15, (.LBB1_27132-.Lpost_getpc9981)>>32
	s_setpc_b64 s[14:15]
.LBB1_12794:
	s_or_b64 exec, exec, s[6:7]
	s_and_saveexec_b64 s[6:7], s[4:5]
	s_cbranch_execz .LBB1_12796
.LBB1_12795:
	v_bfe_u32 v2, v9, 24, 3
	v_ffbh_u32_e32 v7, v2
	v_min_u32_e32 v7, 32, v7
	v_lshrrev_b32_e32 v4, 27, v9
	v_subrev_u32_e32 v8, 28, v7
	v_and_b32_e32 v4, 15, v4
	v_lshlrev_b32_sdwa v8, v8, v9 dst_sel:DWORD dst_unused:UNUSED_PAD src0_sel:DWORD src1_sel:BYTE_3
	v_bfe_u32 v6, v9, 27, 4
	v_sub_u32_e32 v7, 29, v7
	v_and_b32_e32 v8, 7, v8
	v_cmp_eq_u16_e32 vcc, 0, v4
	v_cndmask_b32_e32 v2, v2, v8, vcc
	v_cndmask_b32_e32 v4, v6, v7, vcc
	v_mov_b32_e32 v6, 0x3b800000
	v_and_b32_e32 v3, 0x80000000, v9
	v_lshlrev_b32_e32 v2, 20, v2
	v_lshl_add_u32 v4, v4, 23, v6
	v_or3_b32 v2, v3, v4, v2
.LBB1_12796:
	s_or_b64 exec, exec, s[6:7]
	s_movk_i32 s4, 0x7f
	v_cmp_gt_i16_sdwa s[6:7], v5, s4 src0_sel:BYTE_3 src1_sel:DWORD
	s_mov_b64 s[4:5], 0
                                        ; implicit-def: $sgpr10
	s_and_saveexec_b64 s[8:9], s[6:7]
	s_xor_b64 s[6:7], exec, s[8:9]
	s_cbranch_execz .LBB1_12797
; %bb.48637:
	s_getpc_b64 s[14:15]
.Lpost_getpc9982:
	s_add_u32 s14, s14, (.LBB1_27133-.Lpost_getpc9982)&4294967295
	s_addc_u32 s15, s15, (.LBB1_27133-.Lpost_getpc9982)>>32
	s_setpc_b64 s[14:15]
.LBB1_12797:
	s_or_saveexec_b64 s[6:7], s[6:7]
	v_mov_b32_e32 v3, s10
	s_xor_b64 exec, exec, s[6:7]
	s_cbranch_execz .LBB1_12798
; %bb.48639:
	s_getpc_b64 s[14:15]
.Lpost_getpc9983:
	s_add_u32 s14, s14, (.LBB1_27136-.Lpost_getpc9983)&4294967295
	s_addc_u32 s15, s15, (.LBB1_27136-.Lpost_getpc9983)>>32
	s_setpc_b64 s[14:15]
.LBB1_12798:
	s_or_b64 exec, exec, s[6:7]
	s_and_saveexec_b64 s[6:7], s[4:5]
	s_cbranch_execz .LBB1_12800
.LBB1_12799:
	v_bfe_u32 v3, v5, 24, 3
	v_ffbh_u32_e32 v8, v3
	v_min_u32_e32 v8, 32, v8
	v_lshrrev_b32_e32 v6, 27, v5
	v_subrev_u32_e32 v9, 28, v8
	v_and_b32_e32 v4, 0x80000000, v5
	v_and_b32_e32 v6, 15, v6
	v_bfe_u32 v7, v5, 27, 4
	v_lshlrev_b32_sdwa v5, v9, v5 dst_sel:DWORD dst_unused:UNUSED_PAD src0_sel:DWORD src1_sel:BYTE_3
	v_sub_u32_e32 v8, 29, v8
	v_and_b32_e32 v5, 7, v5
	v_cmp_eq_u16_e32 vcc, 0, v6
	v_cndmask_b32_e32 v3, v3, v5, vcc
	v_cndmask_b32_e32 v5, v7, v8, vcc
	v_mov_b32_e32 v6, 0x3b800000
	v_lshlrev_b32_e32 v3, 20, v3
	v_lshl_add_u32 v5, v5, 23, v6
	v_or3_b32 v3, v4, v5, v3
.LBB1_12800:
	s_or_b64 exec, exec, s[6:7]
	s_nop 0
	v_mfma_f32_16x16x4f32 a[0:3], v2, v3, a[0:3]
	s_movk_i32 s4, 0x7f
                                        ; implicit-def: $sgpr10
	s_nop 7
	s_nop 1
	flat_store_dwordx4 v[10:11], a[0:3] offset:688
	flat_load_dwordx4 v[12:15], v[0:1]
	s_nop 0
	flat_load_dwordx2 v[10:11], v[0:1] offset:16
	s_waitcnt vmcnt(0) lgkmcnt(0)
	flat_load_dwordx4 v[6:9], v[12:13] offset:192
	flat_load_dwordx4 v[2:5], v[14:15] offset:192
	s_waitcnt vmcnt(0) lgkmcnt(0)
	v_cmp_gt_i16_sdwa s[6:7], v6, s4 src0_sel:BYTE_0 src1_sel:DWORD
	s_mov_b64 s[4:5], 0
	s_and_saveexec_b64 s[8:9], s[6:7]
	s_xor_b64 s[6:7], exec, s[8:9]
	s_cbranch_execz .LBB1_12801
; %bb.48641:
	s_getpc_b64 s[14:15]
.Lpost_getpc9984:
	s_add_u32 s14, s14, (.LBB1_27137-.Lpost_getpc9984)&4294967295
	s_addc_u32 s15, s15, (.LBB1_27137-.Lpost_getpc9984)>>32
	s_setpc_b64 s[14:15]
.LBB1_12801:
	s_or_saveexec_b64 s[6:7], s[6:7]
	v_mov_b32_e32 v12, s10
	s_xor_b64 exec, exec, s[6:7]
	s_cbranch_execz .LBB1_12802
; %bb.48643:
	s_getpc_b64 s[14:15]
.Lpost_getpc9985:
	s_add_u32 s14, s14, (.LBB1_27140-.Lpost_getpc9985)&4294967295
	s_addc_u32 s15, s15, (.LBB1_27140-.Lpost_getpc9985)>>32
	s_setpc_b64 s[14:15]
.LBB1_12802:
	s_or_b64 exec, exec, s[6:7]
	s_and_saveexec_b64 s[6:7], s[4:5]
	s_cbranch_execz .LBB1_12804
.LBB1_12803:
	v_and_b32_e32 v12, 7, v6
	v_ffbh_u32_e32 v14, v12
	v_min_u32_e32 v14, 32, v14
	v_lshrrev_b16_e32 v13, 3, v6
	v_subrev_u32_e32 v15, 28, v14
	v_and_b32_e32 v13, 15, v13
	v_lshlrev_b32_e32 v15, v15, v6
	v_sub_u32_e32 v14, 29, v14
	v_and_b32_e32 v15, 7, v15
	v_cmp_eq_u16_e32 vcc, 0, v13
	v_cndmask_b32_e32 v12, v12, v15, vcc
	v_cndmask_b32_e32 v13, v13, v14, vcc
	v_lshlrev_b32_e32 v14, 24, v6
	v_mov_b32_e32 v15, 0x3b800000
	v_lshlrev_b32_e32 v12, 20, v12
	v_and_b32_e32 v14, 0x80000000, v14
	v_lshl_add_u32 v13, v13, 23, v15
	v_or3_b32 v12, v14, v13, v12
.LBB1_12804:
	s_or_b64 exec, exec, s[6:7]
	s_movk_i32 s4, 0x7f
	v_cmp_gt_i16_sdwa s[6:7], v2, s4 src0_sel:BYTE_0 src1_sel:DWORD
	s_mov_b64 s[4:5], 0
                                        ; implicit-def: $sgpr10
	s_and_saveexec_b64 s[8:9], s[6:7]
	s_xor_b64 s[6:7], exec, s[8:9]
	s_cbranch_execz .LBB1_12805
; %bb.48645:
	s_getpc_b64 s[14:15]
.Lpost_getpc9986:
	s_add_u32 s14, s14, (.LBB1_27141-.Lpost_getpc9986)&4294967295
	s_addc_u32 s15, s15, (.LBB1_27141-.Lpost_getpc9986)>>32
	s_setpc_b64 s[14:15]
.LBB1_12805:
	s_or_saveexec_b64 s[6:7], s[6:7]
	v_mov_b32_e32 v13, s10
	s_xor_b64 exec, exec, s[6:7]
	s_cbranch_execz .LBB1_12806
; %bb.48647:
	s_getpc_b64 s[14:15]
.Lpost_getpc9987:
	s_add_u32 s14, s14, (.LBB1_27144-.Lpost_getpc9987)&4294967295
	s_addc_u32 s15, s15, (.LBB1_27144-.Lpost_getpc9987)>>32
	s_setpc_b64 s[14:15]
.LBB1_12806:
	s_or_b64 exec, exec, s[6:7]
	s_and_saveexec_b64 s[6:7], s[4:5]
	s_cbranch_execz .LBB1_12808
.LBB1_12807:
	v_and_b32_e32 v13, 7, v2
	v_ffbh_u32_e32 v15, v13
	v_min_u32_e32 v15, 32, v15
	v_lshrrev_b16_e32 v14, 3, v2
	v_subrev_u32_e32 v16, 28, v15
	v_and_b32_e32 v14, 15, v14
	v_lshlrev_b32_e32 v16, v16, v2
	v_sub_u32_e32 v15, 29, v15
	v_and_b32_e32 v16, 7, v16
	v_cmp_eq_u16_e32 vcc, 0, v14
	v_cndmask_b32_e32 v13, v13, v16, vcc
	v_cndmask_b32_e32 v14, v14, v15, vcc
	v_lshlrev_b32_e32 v15, 24, v2
	v_mov_b32_e32 v16, 0x3b800000
	v_lshlrev_b32_e32 v13, 20, v13
	v_and_b32_e32 v15, 0x80000000, v15
	v_lshl_add_u32 v14, v14, 23, v16
	v_or3_b32 v13, v15, v14, v13
.LBB1_12808:
	s_or_b64 exec, exec, s[6:7]
	flat_load_dwordx4 a[0:3], v[10:11] offset:704
	s_movk_i32 s4, 0x7f
                                        ; implicit-def: $sgpr10
	s_waitcnt vmcnt(0) lgkmcnt(0)
	v_mfma_f32_16x16x4f32 a[0:3], v12, v13, a[0:3]
	v_lshrrev_b32_e32 v13, 8, v6
	v_cmp_gt_i16_sdwa s[6:7], v13, s4 src0_sel:BYTE_0 src1_sel:DWORD
	s_mov_b64 s[4:5], 0
	s_and_saveexec_b64 s[8:9], s[6:7]
	s_xor_b64 s[6:7], exec, s[8:9]
	s_cbranch_execz .LBB1_12809
; %bb.48649:
	s_getpc_b64 s[14:15]
.Lpost_getpc9988:
	s_add_u32 s14, s14, (.LBB1_27145-.Lpost_getpc9988)&4294967295
	s_addc_u32 s15, s15, (.LBB1_27145-.Lpost_getpc9988)>>32
	s_setpc_b64 s[14:15]
.LBB1_12809:
	s_or_saveexec_b64 s[6:7], s[6:7]
	v_mov_b32_e32 v12, s10
	s_xor_b64 exec, exec, s[6:7]
	s_cbranch_execz .LBB1_12810
; %bb.48651:
	s_getpc_b64 s[14:15]
.Lpost_getpc9989:
	s_add_u32 s14, s14, (.LBB1_27148-.Lpost_getpc9989)&4294967295
	s_addc_u32 s15, s15, (.LBB1_27148-.Lpost_getpc9989)>>32
	s_setpc_b64 s[14:15]
.LBB1_12810:
	s_or_b64 exec, exec, s[6:7]
	s_and_saveexec_b64 s[6:7], s[4:5]
	s_cbranch_execz .LBB1_12812
.LBB1_12811:
	v_bfe_u32 v12, v6, 8, 3
	v_ffbh_u32_e32 v15, v12
	v_min_u32_e32 v15, 32, v15
	v_lshrrev_b16_e32 v14, 3, v13
	v_subrev_u32_e32 v16, 28, v15
	v_and_b32_e32 v14, 15, v14
	v_lshlrev_b32_e32 v13, v16, v13
	v_sub_u32_e32 v15, 29, v15
	v_and_b32_e32 v13, 7, v13
	v_cmp_eq_u16_e32 vcc, 0, v14
	v_cndmask_b32_e32 v12, v12, v13, vcc
	v_cndmask_b32_e32 v13, v14, v15, vcc
	v_lshlrev_b32_e32 v14, 16, v6
	v_mov_b32_e32 v15, 0x3b800000
	v_lshlrev_b32_e32 v12, 20, v12
	v_and_b32_e32 v14, 0x80000000, v14
	v_lshl_add_u32 v13, v13, 23, v15
	v_or3_b32 v12, v14, v13, v12
.LBB1_12812:
	s_or_b64 exec, exec, s[6:7]
	v_lshrrev_b32_e32 v13, 8, v2
	s_movk_i32 s4, 0x7f
	v_cmp_gt_i16_sdwa s[6:7], v13, s4 src0_sel:BYTE_0 src1_sel:DWORD
	s_mov_b64 s[4:5], 0
                                        ; implicit-def: $sgpr10
	s_and_saveexec_b64 s[8:9], s[6:7]
	s_xor_b64 s[6:7], exec, s[8:9]
	s_cbranch_execz .LBB1_12813
; %bb.48653:
	s_getpc_b64 s[14:15]
.Lpost_getpc9990:
	s_add_u32 s14, s14, (.LBB1_27149-.Lpost_getpc9990)&4294967295
	s_addc_u32 s15, s15, (.LBB1_27149-.Lpost_getpc9990)>>32
	s_setpc_b64 s[14:15]
.LBB1_12813:
	s_or_saveexec_b64 s[6:7], s[6:7]
	v_mov_b32_e32 v14, s10
	s_xor_b64 exec, exec, s[6:7]
	s_cbranch_execz .LBB1_12814
; %bb.48655:
	s_getpc_b64 s[14:15]
.Lpost_getpc9991:
	s_add_u32 s14, s14, (.LBB1_27152-.Lpost_getpc9991)&4294967295
	s_addc_u32 s15, s15, (.LBB1_27152-.Lpost_getpc9991)>>32
	s_setpc_b64 s[14:15]
.LBB1_12814:
	s_or_b64 exec, exec, s[6:7]
	s_and_saveexec_b64 s[6:7], s[4:5]
	s_cbranch_execz .LBB1_12816
.LBB1_12815:
	v_bfe_u32 v14, v2, 8, 3
	v_ffbh_u32_e32 v16, v14
	v_min_u32_e32 v16, 32, v16
	v_lshrrev_b16_e32 v15, 3, v13
	v_subrev_u32_e32 v17, 28, v16
	v_and_b32_e32 v15, 15, v15
	v_lshlrev_b32_e32 v13, v17, v13
	v_sub_u32_e32 v16, 29, v16
	v_and_b32_e32 v13, 7, v13
	v_cmp_eq_u16_e32 vcc, 0, v15
	v_cndmask_b32_e32 v13, v14, v13, vcc
	v_cndmask_b32_e32 v14, v15, v16, vcc
	v_lshlrev_b32_e32 v15, 16, v2
	v_mov_b32_e32 v16, 0x3b800000
	v_lshlrev_b32_e32 v13, 20, v13
	v_and_b32_e32 v15, 0x80000000, v15
	v_lshl_add_u32 v14, v14, 23, v16
	v_or3_b32 v14, v15, v14, v13
.LBB1_12816:
	s_or_b64 exec, exec, s[6:7]
	s_nop 0
	v_mfma_f32_16x16x4f32 a[0:3], v12, v14, a[0:3]
	s_movk_i32 s4, 0xff
	v_and_b32_sdwa v13, v6, s4 dst_sel:DWORD dst_unused:UNUSED_PAD src0_sel:WORD_1 src1_sel:DWORD
	s_movk_i32 s4, 0x7f
	v_cmp_lt_i16_e32 vcc, s4, v13
	s_mov_b64 s[4:5], 0
                                        ; implicit-def: $sgpr10
	s_and_saveexec_b64 s[6:7], vcc
	s_xor_b64 s[6:7], exec, s[6:7]
	s_cbranch_execz .LBB1_12817
; %bb.48657:
	s_getpc_b64 s[14:15]
.Lpost_getpc9992:
	s_add_u32 s14, s14, (.LBB1_27153-.Lpost_getpc9992)&4294967295
	s_addc_u32 s15, s15, (.LBB1_27153-.Lpost_getpc9992)>>32
	s_setpc_b64 s[14:15]
.LBB1_12817:
	s_or_saveexec_b64 s[6:7], s[6:7]
	v_mov_b32_e32 v12, s10
	s_xor_b64 exec, exec, s[6:7]
	s_cbranch_execz .LBB1_12818
; %bb.48659:
	s_getpc_b64 s[14:15]
.Lpost_getpc9993:
	s_add_u32 s14, s14, (.LBB1_27156-.Lpost_getpc9993)&4294967295
	s_addc_u32 s15, s15, (.LBB1_27156-.Lpost_getpc9993)>>32
	s_setpc_b64 s[14:15]
.LBB1_12818:
	s_or_b64 exec, exec, s[6:7]
	s_and_saveexec_b64 s[6:7], s[4:5]
	s_cbranch_execz .LBB1_12820
.LBB1_12819:
	v_bfe_u32 v12, v6, 16, 3
	v_ffbh_u32_e32 v15, v12
	v_min_u32_e32 v15, 32, v15
	v_lshrrev_b32_e32 v13, 19, v6
	v_subrev_u32_e32 v16, 28, v15
	v_and_b32_e32 v13, 15, v13
	v_lshlrev_b32_sdwa v16, v16, v6 dst_sel:DWORD dst_unused:UNUSED_PAD src0_sel:DWORD src1_sel:WORD_1
	v_bfe_u32 v14, v6, 19, 4
	v_sub_u32_e32 v15, 29, v15
	v_and_b32_e32 v16, 7, v16
	v_cmp_eq_u16_e32 vcc, 0, v13
	v_cndmask_b32_e32 v12, v12, v16, vcc
	v_cndmask_b32_e32 v13, v14, v15, vcc
	v_lshlrev_b32_e32 v14, 8, v6
	v_mov_b32_e32 v15, 0x3b800000
	v_lshlrev_b32_e32 v12, 20, v12
	v_and_b32_e32 v14, 0x80000000, v14
	v_lshl_add_u32 v13, v13, 23, v15
	v_or3_b32 v12, v14, v13, v12
.LBB1_12820:
	s_or_b64 exec, exec, s[6:7]
	s_movk_i32 s4, 0xff
	v_and_b32_sdwa v13, v2, s4 dst_sel:DWORD dst_unused:UNUSED_PAD src0_sel:WORD_1 src1_sel:DWORD
	s_movk_i32 s4, 0x7f
	v_cmp_lt_i16_e32 vcc, s4, v13
	s_mov_b64 s[4:5], 0
                                        ; implicit-def: $sgpr10
	s_and_saveexec_b64 s[6:7], vcc
	s_xor_b64 s[6:7], exec, s[6:7]
	s_cbranch_execz .LBB1_12821
; %bb.48661:
	s_getpc_b64 s[14:15]
.Lpost_getpc9994:
	s_add_u32 s14, s14, (.LBB1_27157-.Lpost_getpc9994)&4294967295
	s_addc_u32 s15, s15, (.LBB1_27157-.Lpost_getpc9994)>>32
	s_setpc_b64 s[14:15]
.LBB1_12821:
	s_or_saveexec_b64 s[6:7], s[6:7]
	v_mov_b32_e32 v14, s10
	s_xor_b64 exec, exec, s[6:7]
	s_cbranch_execz .LBB1_12822
; %bb.48663:
	s_getpc_b64 s[14:15]
.Lpost_getpc9995:
	s_add_u32 s14, s14, (.LBB1_27160-.Lpost_getpc9995)&4294967295
	s_addc_u32 s15, s15, (.LBB1_27160-.Lpost_getpc9995)>>32
	s_setpc_b64 s[14:15]
.LBB1_12822:
	s_or_b64 exec, exec, s[6:7]
	s_and_saveexec_b64 s[6:7], s[4:5]
	s_cbranch_execz .LBB1_12824
.LBB1_12823:
	v_bfe_u32 v13, v2, 16, 3
	v_ffbh_u32_e32 v16, v13
	v_min_u32_e32 v16, 32, v16
	v_lshrrev_b32_e32 v14, 19, v2
	v_subrev_u32_e32 v17, 28, v16
	v_and_b32_e32 v14, 15, v14
	v_lshlrev_b32_sdwa v17, v17, v2 dst_sel:DWORD dst_unused:UNUSED_PAD src0_sel:DWORD src1_sel:WORD_1
	v_bfe_u32 v15, v2, 19, 4
	v_sub_u32_e32 v16, 29, v16
	v_and_b32_e32 v17, 7, v17
	v_cmp_eq_u16_e32 vcc, 0, v14
	v_cndmask_b32_e32 v13, v13, v17, vcc
	v_cndmask_b32_e32 v14, v15, v16, vcc
	v_lshlrev_b32_e32 v15, 8, v2
	v_mov_b32_e32 v16, 0x3b800000
	v_lshlrev_b32_e32 v13, 20, v13
	v_and_b32_e32 v15, 0x80000000, v15
	v_lshl_add_u32 v14, v14, 23, v16
	v_or3_b32 v14, v15, v14, v13
.LBB1_12824:
	s_or_b64 exec, exec, s[6:7]
	s_nop 0
	v_mfma_f32_16x16x4f32 a[0:3], v12, v14, a[0:3]
	s_movk_i32 s4, 0x7f
	v_cmp_gt_i16_sdwa s[6:7], v6, s4 src0_sel:BYTE_3 src1_sel:DWORD
	s_mov_b64 s[4:5], 0
                                        ; implicit-def: $sgpr10
	s_and_saveexec_b64 s[8:9], s[6:7]
	s_xor_b64 s[6:7], exec, s[8:9]
	s_cbranch_execz .LBB1_12825
; %bb.48665:
	s_getpc_b64 s[14:15]
.Lpost_getpc9996:
	s_add_u32 s14, s14, (.LBB1_27161-.Lpost_getpc9996)&4294967295
	s_addc_u32 s15, s15, (.LBB1_27161-.Lpost_getpc9996)>>32
	s_setpc_b64 s[14:15]
.LBB1_12825:
	s_or_saveexec_b64 s[6:7], s[6:7]
	v_mov_b32_e32 v12, s10
	s_xor_b64 exec, exec, s[6:7]
	s_cbranch_execz .LBB1_12826
; %bb.48667:
	s_getpc_b64 s[14:15]
.Lpost_getpc9997:
	s_add_u32 s14, s14, (.LBB1_27164-.Lpost_getpc9997)&4294967295
	s_addc_u32 s15, s15, (.LBB1_27164-.Lpost_getpc9997)>>32
	s_setpc_b64 s[14:15]
.LBB1_12826:
	s_or_b64 exec, exec, s[6:7]
	s_and_saveexec_b64 s[6:7], s[4:5]
	s_cbranch_execz .LBB1_12828
.LBB1_12827:
	v_bfe_u32 v12, v6, 24, 3
	v_ffbh_u32_e32 v16, v12
	v_min_u32_e32 v16, 32, v16
	v_lshrrev_b32_e32 v14, 27, v6
	v_subrev_u32_e32 v17, 28, v16
	v_and_b32_e32 v13, 0x80000000, v6
	v_and_b32_e32 v14, 15, v14
	v_bfe_u32 v15, v6, 27, 4
	v_lshlrev_b32_sdwa v6, v17, v6 dst_sel:DWORD dst_unused:UNUSED_PAD src0_sel:DWORD src1_sel:BYTE_3
	v_sub_u32_e32 v16, 29, v16
	v_and_b32_e32 v6, 7, v6
	v_cmp_eq_u16_e32 vcc, 0, v14
	v_cndmask_b32_e32 v6, v12, v6, vcc
	v_cndmask_b32_e32 v12, v15, v16, vcc
	v_mov_b32_e32 v14, 0x3b800000
	v_lshlrev_b32_e32 v6, 20, v6
	v_lshl_add_u32 v12, v12, 23, v14
	v_or3_b32 v12, v13, v12, v6
.LBB1_12828:
	s_or_b64 exec, exec, s[6:7]
	s_movk_i32 s4, 0x7f
	v_cmp_gt_i16_sdwa s[6:7], v2, s4 src0_sel:BYTE_3 src1_sel:DWORD
	s_mov_b64 s[4:5], 0
                                        ; implicit-def: $sgpr10
	s_and_saveexec_b64 s[8:9], s[6:7]
	s_xor_b64 s[6:7], exec, s[8:9]
	s_cbranch_execz .LBB1_12829
; %bb.48669:
	s_getpc_b64 s[14:15]
.Lpost_getpc9998:
	s_add_u32 s14, s14, (.LBB1_27165-.Lpost_getpc9998)&4294967295
	s_addc_u32 s15, s15, (.LBB1_27165-.Lpost_getpc9998)>>32
	s_setpc_b64 s[14:15]
.LBB1_12829:
	s_or_saveexec_b64 s[6:7], s[6:7]
	v_mov_b32_e32 v6, s10
	s_xor_b64 exec, exec, s[6:7]
	s_cbranch_execz .LBB1_12830
; %bb.48671:
	s_getpc_b64 s[14:15]
.Lpost_getpc9999:
	s_add_u32 s14, s14, (.LBB1_27168-.Lpost_getpc9999)&4294967295
	s_addc_u32 s15, s15, (.LBB1_27168-.Lpost_getpc9999)>>32
	s_setpc_b64 s[14:15]
.LBB1_12830:
	s_or_b64 exec, exec, s[6:7]
	s_and_saveexec_b64 s[6:7], s[4:5]
	s_cbranch_execz .LBB1_12832
.LBB1_12831:
	v_bfe_u32 v6, v2, 24, 3
	v_ffbh_u32_e32 v16, v6
	v_min_u32_e32 v16, 32, v16
	v_lshrrev_b32_e32 v14, 27, v2
	v_subrev_u32_e32 v17, 28, v16
	v_and_b32_e32 v13, 0x80000000, v2
	v_and_b32_e32 v14, 15, v14
	v_bfe_u32 v15, v2, 27, 4
	v_lshlrev_b32_sdwa v2, v17, v2 dst_sel:DWORD dst_unused:UNUSED_PAD src0_sel:DWORD src1_sel:BYTE_3
	v_sub_u32_e32 v16, 29, v16
	v_and_b32_e32 v2, 7, v2
	v_cmp_eq_u16_e32 vcc, 0, v14
	v_cndmask_b32_e32 v2, v6, v2, vcc
	v_cndmask_b32_e32 v6, v15, v16, vcc
	v_mov_b32_e32 v14, 0x3b800000
	v_lshlrev_b32_e32 v2, 20, v2
	v_lshl_add_u32 v6, v6, 23, v14
	v_or3_b32 v6, v13, v6, v2
.LBB1_12832:
	s_or_b64 exec, exec, s[6:7]
	s_nop 0
	v_mfma_f32_16x16x4f32 a[0:3], v12, v6, a[0:3]
	s_movk_i32 s4, 0x7f
	v_cmp_gt_i16_sdwa s[6:7], v7, s4 src0_sel:BYTE_0 src1_sel:DWORD
	s_mov_b64 s[4:5], 0
                                        ; implicit-def: $sgpr10
	s_and_saveexec_b64 s[8:9], s[6:7]
	s_xor_b64 s[6:7], exec, s[8:9]
	s_cbranch_execz .LBB1_12833
; %bb.48673:
	s_getpc_b64 s[14:15]
.Lpost_getpc10000:
	s_add_u32 s14, s14, (.LBB1_27169-.Lpost_getpc10000)&4294967295
	s_addc_u32 s15, s15, (.LBB1_27169-.Lpost_getpc10000)>>32
	s_setpc_b64 s[14:15]
.LBB1_12833:
	s_or_saveexec_b64 s[6:7], s[6:7]
	v_mov_b32_e32 v2, s10
	s_xor_b64 exec, exec, s[6:7]
	s_cbranch_execz .LBB1_12834
; %bb.48675:
	s_getpc_b64 s[14:15]
.Lpost_getpc10001:
	s_add_u32 s14, s14, (.LBB1_27172-.Lpost_getpc10001)&4294967295
	s_addc_u32 s15, s15, (.LBB1_27172-.Lpost_getpc10001)>>32
	s_setpc_b64 s[14:15]
.LBB1_12834:
	s_or_b64 exec, exec, s[6:7]
	s_and_saveexec_b64 s[6:7], s[4:5]
	s_cbranch_execz .LBB1_12836
.LBB1_12835:
	v_and_b32_e32 v2, 7, v7
	v_ffbh_u32_e32 v12, v2
	v_min_u32_e32 v12, 32, v12
	v_lshrrev_b16_e32 v6, 3, v7
	v_subrev_u32_e32 v13, 28, v12
	v_and_b32_e32 v6, 15, v6
	v_lshlrev_b32_e32 v13, v13, v7
	v_sub_u32_e32 v12, 29, v12
	v_and_b32_e32 v13, 7, v13
	v_cmp_eq_u16_e32 vcc, 0, v6
	v_cndmask_b32_e32 v2, v2, v13, vcc
	v_cndmask_b32_e32 v6, v6, v12, vcc
	v_lshlrev_b32_e32 v12, 24, v7
	v_mov_b32_e32 v13, 0x3b800000
	v_lshlrev_b32_e32 v2, 20, v2
	v_and_b32_e32 v12, 0x80000000, v12
	v_lshl_add_u32 v6, v6, 23, v13
	v_or3_b32 v2, v12, v6, v2
.LBB1_12836:
	s_or_b64 exec, exec, s[6:7]
	s_movk_i32 s4, 0x7f
	v_cmp_gt_i16_sdwa s[6:7], v3, s4 src0_sel:BYTE_0 src1_sel:DWORD
	s_mov_b64 s[4:5], 0
                                        ; implicit-def: $sgpr10
	s_and_saveexec_b64 s[8:9], s[6:7]
	s_xor_b64 s[6:7], exec, s[8:9]
	s_cbranch_execz .LBB1_12837
; %bb.48677:
	s_getpc_b64 s[14:15]
.Lpost_getpc10002:
	s_add_u32 s14, s14, (.LBB1_27173-.Lpost_getpc10002)&4294967295
	s_addc_u32 s15, s15, (.LBB1_27173-.Lpost_getpc10002)>>32
	s_setpc_b64 s[14:15]
.LBB1_12837:
	s_or_saveexec_b64 s[6:7], s[6:7]
	v_mov_b32_e32 v6, s10
	s_xor_b64 exec, exec, s[6:7]
	s_cbranch_execz .LBB1_12838
; %bb.48679:
	s_getpc_b64 s[14:15]
.Lpost_getpc10003:
	s_add_u32 s14, s14, (.LBB1_27176-.Lpost_getpc10003)&4294967295
	s_addc_u32 s15, s15, (.LBB1_27176-.Lpost_getpc10003)>>32
	s_setpc_b64 s[14:15]
.LBB1_12838:
	s_or_b64 exec, exec, s[6:7]
	s_and_saveexec_b64 s[6:7], s[4:5]
	s_cbranch_execz .LBB1_12840
.LBB1_12839:
	v_and_b32_e32 v6, 7, v3
	v_ffbh_u32_e32 v13, v6
	v_min_u32_e32 v13, 32, v13
	v_lshrrev_b16_e32 v12, 3, v3
	v_subrev_u32_e32 v14, 28, v13
	v_and_b32_e32 v12, 15, v12
	v_lshlrev_b32_e32 v14, v14, v3
	v_sub_u32_e32 v13, 29, v13
	v_and_b32_e32 v14, 7, v14
	v_cmp_eq_u16_e32 vcc, 0, v12
	v_cndmask_b32_e32 v6, v6, v14, vcc
	v_cndmask_b32_e32 v12, v12, v13, vcc
	v_lshlrev_b32_e32 v13, 24, v3
	v_mov_b32_e32 v14, 0x3b800000
	v_lshlrev_b32_e32 v6, 20, v6
	v_and_b32_e32 v13, 0x80000000, v13
	v_lshl_add_u32 v12, v12, 23, v14
	v_or3_b32 v6, v13, v12, v6
.LBB1_12840:
	s_or_b64 exec, exec, s[6:7]
	s_nop 0
	v_mfma_f32_16x16x4f32 a[0:3], v2, v6, a[0:3]
	v_lshrrev_b32_e32 v6, 8, v7
	s_movk_i32 s4, 0x7f
	v_cmp_gt_i16_sdwa s[6:7], v6, s4 src0_sel:BYTE_0 src1_sel:DWORD
	s_mov_b64 s[4:5], 0
                                        ; implicit-def: $sgpr10
	s_and_saveexec_b64 s[8:9], s[6:7]
	s_xor_b64 s[6:7], exec, s[8:9]
	s_cbranch_execz .LBB1_12841
; %bb.48681:
	s_getpc_b64 s[14:15]
.Lpost_getpc10004:
	s_add_u32 s14, s14, (.LBB1_27177-.Lpost_getpc10004)&4294967295
	s_addc_u32 s15, s15, (.LBB1_27177-.Lpost_getpc10004)>>32
	s_setpc_b64 s[14:15]
.LBB1_12841:
	s_or_saveexec_b64 s[6:7], s[6:7]
	v_mov_b32_e32 v2, s10
	s_xor_b64 exec, exec, s[6:7]
	s_cbranch_execz .LBB1_12842
; %bb.48683:
	s_getpc_b64 s[14:15]
.Lpost_getpc10005:
	s_add_u32 s14, s14, (.LBB1_27180-.Lpost_getpc10005)&4294967295
	s_addc_u32 s15, s15, (.LBB1_27180-.Lpost_getpc10005)>>32
	s_setpc_b64 s[14:15]
.LBB1_12842:
	s_or_b64 exec, exec, s[6:7]
	s_and_saveexec_b64 s[6:7], s[4:5]
	s_cbranch_execz .LBB1_12844
.LBB1_12843:
	v_bfe_u32 v2, v7, 8, 3
	v_ffbh_u32_e32 v13, v2
	v_min_u32_e32 v13, 32, v13
	v_lshrrev_b16_e32 v12, 3, v6
	v_subrev_u32_e32 v14, 28, v13
	v_and_b32_e32 v12, 15, v12
	v_lshlrev_b32_e32 v6, v14, v6
	v_sub_u32_e32 v13, 29, v13
	v_and_b32_e32 v6, 7, v6
	v_cmp_eq_u16_e32 vcc, 0, v12
	v_cndmask_b32_e32 v2, v2, v6, vcc
	v_cndmask_b32_e32 v6, v12, v13, vcc
	v_lshlrev_b32_e32 v12, 16, v7
	v_mov_b32_e32 v13, 0x3b800000
	v_lshlrev_b32_e32 v2, 20, v2
	v_and_b32_e32 v12, 0x80000000, v12
	v_lshl_add_u32 v6, v6, 23, v13
	v_or3_b32 v2, v12, v6, v2
.LBB1_12844:
	s_or_b64 exec, exec, s[6:7]
	v_lshrrev_b32_e32 v6, 8, v3
	s_movk_i32 s4, 0x7f
	v_cmp_gt_i16_sdwa s[6:7], v6, s4 src0_sel:BYTE_0 src1_sel:DWORD
	s_mov_b64 s[4:5], 0
                                        ; implicit-def: $sgpr10
	s_and_saveexec_b64 s[8:9], s[6:7]
	s_xor_b64 s[6:7], exec, s[8:9]
	s_cbranch_execz .LBB1_12845
; %bb.48685:
	s_getpc_b64 s[14:15]
.Lpost_getpc10006:
	s_add_u32 s14, s14, (.LBB1_27181-.Lpost_getpc10006)&4294967295
	s_addc_u32 s15, s15, (.LBB1_27181-.Lpost_getpc10006)>>32
	s_setpc_b64 s[14:15]
.LBB1_12845:
	s_or_saveexec_b64 s[6:7], s[6:7]
	v_mov_b32_e32 v12, s10
	s_xor_b64 exec, exec, s[6:7]
	s_cbranch_execz .LBB1_12846
; %bb.48687:
	s_getpc_b64 s[14:15]
.Lpost_getpc10007:
	s_add_u32 s14, s14, (.LBB1_27184-.Lpost_getpc10007)&4294967295
	s_addc_u32 s15, s15, (.LBB1_27184-.Lpost_getpc10007)>>32
	s_setpc_b64 s[14:15]
.LBB1_12846:
	s_or_b64 exec, exec, s[6:7]
	s_and_saveexec_b64 s[6:7], s[4:5]
	s_cbranch_execz .LBB1_12848
.LBB1_12847:
	v_bfe_u32 v12, v3, 8, 3
	v_ffbh_u32_e32 v14, v12
	v_min_u32_e32 v14, 32, v14
	v_lshrrev_b16_e32 v13, 3, v6
	v_subrev_u32_e32 v15, 28, v14
	v_and_b32_e32 v13, 15, v13
	v_lshlrev_b32_e32 v6, v15, v6
	v_sub_u32_e32 v14, 29, v14
	v_and_b32_e32 v6, 7, v6
	v_cmp_eq_u16_e32 vcc, 0, v13
	v_cndmask_b32_e32 v6, v12, v6, vcc
	v_cndmask_b32_e32 v12, v13, v14, vcc
	v_lshlrev_b32_e32 v13, 16, v3
	v_mov_b32_e32 v14, 0x3b800000
	v_lshlrev_b32_e32 v6, 20, v6
	v_and_b32_e32 v13, 0x80000000, v13
	v_lshl_add_u32 v12, v12, 23, v14
	v_or3_b32 v12, v13, v12, v6
.LBB1_12848:
	s_or_b64 exec, exec, s[6:7]
	s_nop 0
	v_mfma_f32_16x16x4f32 a[0:3], v2, v12, a[0:3]
	s_movk_i32 s4, 0xff
	v_and_b32_sdwa v6, v7, s4 dst_sel:DWORD dst_unused:UNUSED_PAD src0_sel:WORD_1 src1_sel:DWORD
	s_movk_i32 s4, 0x7f
	v_cmp_lt_i16_e32 vcc, s4, v6
	s_mov_b64 s[4:5], 0
                                        ; implicit-def: $sgpr10
	s_and_saveexec_b64 s[6:7], vcc
	s_xor_b64 s[6:7], exec, s[6:7]
	s_cbranch_execz .LBB1_12849
; %bb.48689:
	s_getpc_b64 s[14:15]
.Lpost_getpc10008:
	s_add_u32 s14, s14, (.LBB1_27185-.Lpost_getpc10008)&4294967295
	s_addc_u32 s15, s15, (.LBB1_27185-.Lpost_getpc10008)>>32
	s_setpc_b64 s[14:15]
.LBB1_12849:
	s_or_saveexec_b64 s[6:7], s[6:7]
	v_mov_b32_e32 v2, s10
	s_xor_b64 exec, exec, s[6:7]
	s_cbranch_execz .LBB1_12850
; %bb.48691:
	s_getpc_b64 s[14:15]
.Lpost_getpc10009:
	s_add_u32 s14, s14, (.LBB1_27188-.Lpost_getpc10009)&4294967295
	s_addc_u32 s15, s15, (.LBB1_27188-.Lpost_getpc10009)>>32
	s_setpc_b64 s[14:15]
.LBB1_12850:
	s_or_b64 exec, exec, s[6:7]
	s_and_saveexec_b64 s[6:7], s[4:5]
	s_cbranch_execz .LBB1_12852
.LBB1_12851:
	v_bfe_u32 v2, v7, 16, 3
	v_ffbh_u32_e32 v13, v2
	v_min_u32_e32 v13, 32, v13
	v_lshrrev_b32_e32 v6, 19, v7
	v_subrev_u32_e32 v14, 28, v13
	v_and_b32_e32 v6, 15, v6
	v_lshlrev_b32_sdwa v14, v14, v7 dst_sel:DWORD dst_unused:UNUSED_PAD src0_sel:DWORD src1_sel:WORD_1
	v_bfe_u32 v12, v7, 19, 4
	v_sub_u32_e32 v13, 29, v13
	v_and_b32_e32 v14, 7, v14
	v_cmp_eq_u16_e32 vcc, 0, v6
	v_cndmask_b32_e32 v2, v2, v14, vcc
	v_cndmask_b32_e32 v6, v12, v13, vcc
	v_lshlrev_b32_e32 v12, 8, v7
	v_mov_b32_e32 v13, 0x3b800000
	v_lshlrev_b32_e32 v2, 20, v2
	v_and_b32_e32 v12, 0x80000000, v12
	v_lshl_add_u32 v6, v6, 23, v13
	v_or3_b32 v2, v12, v6, v2
.LBB1_12852:
	s_or_b64 exec, exec, s[6:7]
	s_movk_i32 s4, 0xff
	v_and_b32_sdwa v6, v3, s4 dst_sel:DWORD dst_unused:UNUSED_PAD src0_sel:WORD_1 src1_sel:DWORD
	s_movk_i32 s4, 0x7f
	v_cmp_lt_i16_e32 vcc, s4, v6
	s_mov_b64 s[4:5], 0
                                        ; implicit-def: $sgpr10
	s_and_saveexec_b64 s[6:7], vcc
	s_xor_b64 s[6:7], exec, s[6:7]
	s_cbranch_execz .LBB1_12853
; %bb.48693:
	s_getpc_b64 s[14:15]
.Lpost_getpc10010:
	s_add_u32 s14, s14, (.LBB1_27189-.Lpost_getpc10010)&4294967295
	s_addc_u32 s15, s15, (.LBB1_27189-.Lpost_getpc10010)>>32
	s_setpc_b64 s[14:15]
.LBB1_12853:
	s_or_saveexec_b64 s[6:7], s[6:7]
	v_mov_b32_e32 v12, s10
	s_xor_b64 exec, exec, s[6:7]
	s_cbranch_execz .LBB1_12854
; %bb.48695:
	s_getpc_b64 s[14:15]
.Lpost_getpc10011:
	s_add_u32 s14, s14, (.LBB1_27192-.Lpost_getpc10011)&4294967295
	s_addc_u32 s15, s15, (.LBB1_27192-.Lpost_getpc10011)>>32
	s_setpc_b64 s[14:15]
.LBB1_12854:
	s_or_b64 exec, exec, s[6:7]
	s_and_saveexec_b64 s[6:7], s[4:5]
	s_cbranch_execz .LBB1_12856
.LBB1_12855:
	v_bfe_u32 v6, v3, 16, 3
	v_ffbh_u32_e32 v14, v6
	v_min_u32_e32 v14, 32, v14
	v_lshrrev_b32_e32 v12, 19, v3
	v_subrev_u32_e32 v15, 28, v14
	v_and_b32_e32 v12, 15, v12
	v_lshlrev_b32_sdwa v15, v15, v3 dst_sel:DWORD dst_unused:UNUSED_PAD src0_sel:DWORD src1_sel:WORD_1
	v_bfe_u32 v13, v3, 19, 4
	v_sub_u32_e32 v14, 29, v14
	v_and_b32_e32 v15, 7, v15
	v_cmp_eq_u16_e32 vcc, 0, v12
	v_cndmask_b32_e32 v6, v6, v15, vcc
	v_cndmask_b32_e32 v12, v13, v14, vcc
	v_lshlrev_b32_e32 v13, 8, v3
	v_mov_b32_e32 v14, 0x3b800000
	v_lshlrev_b32_e32 v6, 20, v6
	v_and_b32_e32 v13, 0x80000000, v13
	v_lshl_add_u32 v12, v12, 23, v14
	v_or3_b32 v12, v13, v12, v6
.LBB1_12856:
	s_or_b64 exec, exec, s[6:7]
	s_nop 0
	v_mfma_f32_16x16x4f32 a[0:3], v2, v12, a[0:3]
	s_movk_i32 s4, 0x7f
	v_cmp_gt_i16_sdwa s[6:7], v7, s4 src0_sel:BYTE_3 src1_sel:DWORD
	s_mov_b64 s[4:5], 0
                                        ; implicit-def: $sgpr10
	s_and_saveexec_b64 s[8:9], s[6:7]
	s_xor_b64 s[6:7], exec, s[8:9]
	s_cbranch_execz .LBB1_12857
; %bb.48697:
	s_getpc_b64 s[14:15]
.Lpost_getpc10012:
	s_add_u32 s14, s14, (.LBB1_27193-.Lpost_getpc10012)&4294967295
	s_addc_u32 s15, s15, (.LBB1_27193-.Lpost_getpc10012)>>32
	s_setpc_b64 s[14:15]
.LBB1_12857:
	s_or_saveexec_b64 s[6:7], s[6:7]
	v_mov_b32_e32 v2, s10
	s_xor_b64 exec, exec, s[6:7]
	s_cbranch_execz .LBB1_12858
; %bb.48699:
	s_getpc_b64 s[14:15]
.Lpost_getpc10013:
	s_add_u32 s14, s14, (.LBB1_27196-.Lpost_getpc10013)&4294967295
	s_addc_u32 s15, s15, (.LBB1_27196-.Lpost_getpc10013)>>32
	s_setpc_b64 s[14:15]
.LBB1_12858:
	s_or_b64 exec, exec, s[6:7]
	s_and_saveexec_b64 s[6:7], s[4:5]
	s_cbranch_execz .LBB1_12860
.LBB1_12859:
	v_bfe_u32 v2, v7, 24, 3
	v_ffbh_u32_e32 v14, v2
	v_min_u32_e32 v14, 32, v14
	v_lshrrev_b32_e32 v12, 27, v7
	v_subrev_u32_e32 v15, 28, v14
	v_and_b32_e32 v6, 0x80000000, v7
	v_and_b32_e32 v12, 15, v12
	v_bfe_u32 v13, v7, 27, 4
	v_lshlrev_b32_sdwa v7, v15, v7 dst_sel:DWORD dst_unused:UNUSED_PAD src0_sel:DWORD src1_sel:BYTE_3
	v_sub_u32_e32 v14, 29, v14
	v_and_b32_e32 v7, 7, v7
	v_cmp_eq_u16_e32 vcc, 0, v12
	v_cndmask_b32_e32 v2, v2, v7, vcc
	v_cndmask_b32_e32 v7, v13, v14, vcc
	v_mov_b32_e32 v12, 0x3b800000
	v_lshlrev_b32_e32 v2, 20, v2
	v_lshl_add_u32 v7, v7, 23, v12
	v_or3_b32 v2, v6, v7, v2
.LBB1_12860:
	s_or_b64 exec, exec, s[6:7]
	s_movk_i32 s4, 0x7f
	v_cmp_gt_i16_sdwa s[6:7], v3, s4 src0_sel:BYTE_3 src1_sel:DWORD
	s_mov_b64 s[4:5], 0
                                        ; implicit-def: $sgpr10
	s_and_saveexec_b64 s[8:9], s[6:7]
	s_xor_b64 s[6:7], exec, s[8:9]
	s_cbranch_execz .LBB1_12861
; %bb.48701:
	s_getpc_b64 s[14:15]
.Lpost_getpc10014:
	s_add_u32 s14, s14, (.LBB1_27197-.Lpost_getpc10014)&4294967295
	s_addc_u32 s15, s15, (.LBB1_27197-.Lpost_getpc10014)>>32
	s_setpc_b64 s[14:15]
.LBB1_12861:
	s_or_saveexec_b64 s[6:7], s[6:7]
	v_mov_b32_e32 v6, s10
	s_xor_b64 exec, exec, s[6:7]
	s_cbranch_execz .LBB1_12862
; %bb.48703:
	s_getpc_b64 s[14:15]
.Lpost_getpc10015:
	s_add_u32 s14, s14, (.LBB1_27200-.Lpost_getpc10015)&4294967295
	s_addc_u32 s15, s15, (.LBB1_27200-.Lpost_getpc10015)>>32
	s_setpc_b64 s[14:15]
.LBB1_12862:
	s_or_b64 exec, exec, s[6:7]
	s_and_saveexec_b64 s[6:7], s[4:5]
	s_cbranch_execz .LBB1_12864
.LBB1_12863:
	v_bfe_u32 v6, v3, 24, 3
	v_ffbh_u32_e32 v14, v6
	v_min_u32_e32 v14, 32, v14
	v_lshrrev_b32_e32 v12, 27, v3
	v_subrev_u32_e32 v15, 28, v14
	v_and_b32_e32 v7, 0x80000000, v3
	v_and_b32_e32 v12, 15, v12
	v_bfe_u32 v13, v3, 27, 4
	v_lshlrev_b32_sdwa v3, v15, v3 dst_sel:DWORD dst_unused:UNUSED_PAD src0_sel:DWORD src1_sel:BYTE_3
	v_sub_u32_e32 v14, 29, v14
	v_and_b32_e32 v3, 7, v3
	v_cmp_eq_u16_e32 vcc, 0, v12
	v_cndmask_b32_e32 v3, v6, v3, vcc
	v_cndmask_b32_e32 v6, v13, v14, vcc
	v_mov_b32_e32 v12, 0x3b800000
	v_lshlrev_b32_e32 v3, 20, v3
	v_lshl_add_u32 v6, v6, 23, v12
	v_or3_b32 v6, v7, v6, v3
.LBB1_12864:
	s_or_b64 exec, exec, s[6:7]
	s_nop 0
	v_mfma_f32_16x16x4f32 a[0:3], v2, v6, a[0:3]
	s_movk_i32 s4, 0x7f
	v_cmp_gt_i16_sdwa s[6:7], v8, s4 src0_sel:BYTE_0 src1_sel:DWORD
	s_mov_b64 s[4:5], 0
                                        ; implicit-def: $sgpr10
	s_and_saveexec_b64 s[8:9], s[6:7]
	s_xor_b64 s[6:7], exec, s[8:9]
	s_cbranch_execz .LBB1_12865
; %bb.48705:
	s_getpc_b64 s[14:15]
.Lpost_getpc10016:
	s_add_u32 s14, s14, (.LBB1_27201-.Lpost_getpc10016)&4294967295
	s_addc_u32 s15, s15, (.LBB1_27201-.Lpost_getpc10016)>>32
	s_setpc_b64 s[14:15]
.LBB1_12865:
	s_or_saveexec_b64 s[6:7], s[6:7]
	v_mov_b32_e32 v2, s10
	s_xor_b64 exec, exec, s[6:7]
	s_cbranch_execz .LBB1_12866
; %bb.48707:
	s_getpc_b64 s[14:15]
.Lpost_getpc10017:
	s_add_u32 s14, s14, (.LBB1_27204-.Lpost_getpc10017)&4294967295
	s_addc_u32 s15, s15, (.LBB1_27204-.Lpost_getpc10017)>>32
	s_setpc_b64 s[14:15]
.LBB1_12866:
	s_or_b64 exec, exec, s[6:7]
	s_and_saveexec_b64 s[6:7], s[4:5]
	s_cbranch_execz .LBB1_12868
.LBB1_12867:
	v_and_b32_e32 v2, 7, v8
	v_ffbh_u32_e32 v6, v2
	v_min_u32_e32 v6, 32, v6
	v_lshrrev_b16_e32 v3, 3, v8
	v_subrev_u32_e32 v7, 28, v6
	v_and_b32_e32 v3, 15, v3
	v_lshlrev_b32_e32 v7, v7, v8
	v_sub_u32_e32 v6, 29, v6
	v_and_b32_e32 v7, 7, v7
	v_cmp_eq_u16_e32 vcc, 0, v3
	v_cndmask_b32_e32 v2, v2, v7, vcc
	v_cndmask_b32_e32 v3, v3, v6, vcc
	v_lshlrev_b32_e32 v6, 24, v8
	v_mov_b32_e32 v7, 0x3b800000
	v_lshlrev_b32_e32 v2, 20, v2
	v_and_b32_e32 v6, 0x80000000, v6
	v_lshl_add_u32 v3, v3, 23, v7
	v_or3_b32 v2, v6, v3, v2
.LBB1_12868:
	s_or_b64 exec, exec, s[6:7]
	s_movk_i32 s4, 0x7f
	v_cmp_gt_i16_sdwa s[6:7], v4, s4 src0_sel:BYTE_0 src1_sel:DWORD
	s_mov_b64 s[4:5], 0
                                        ; implicit-def: $sgpr10
	s_and_saveexec_b64 s[8:9], s[6:7]
	s_xor_b64 s[6:7], exec, s[8:9]
	s_cbranch_execz .LBB1_12869
; %bb.48709:
	s_getpc_b64 s[14:15]
.Lpost_getpc10018:
	s_add_u32 s14, s14, (.LBB1_27205-.Lpost_getpc10018)&4294967295
	s_addc_u32 s15, s15, (.LBB1_27205-.Lpost_getpc10018)>>32
	s_setpc_b64 s[14:15]
.LBB1_12869:
	s_or_saveexec_b64 s[6:7], s[6:7]
	v_mov_b32_e32 v3, s10
	s_xor_b64 exec, exec, s[6:7]
	s_cbranch_execz .LBB1_12870
; %bb.48711:
	s_getpc_b64 s[14:15]
.Lpost_getpc10019:
	s_add_u32 s14, s14, (.LBB1_27208-.Lpost_getpc10019)&4294967295
	s_addc_u32 s15, s15, (.LBB1_27208-.Lpost_getpc10019)>>32
	s_setpc_b64 s[14:15]
.LBB1_12870:
	s_or_b64 exec, exec, s[6:7]
	s_and_saveexec_b64 s[6:7], s[4:5]
	s_cbranch_execz .LBB1_12872
.LBB1_12871:
	v_and_b32_e32 v3, 7, v4
	v_ffbh_u32_e32 v7, v3
	v_min_u32_e32 v7, 32, v7
	v_lshrrev_b16_e32 v6, 3, v4
	v_subrev_u32_e32 v12, 28, v7
	v_and_b32_e32 v6, 15, v6
	v_lshlrev_b32_e32 v12, v12, v4
	v_sub_u32_e32 v7, 29, v7
	v_and_b32_e32 v12, 7, v12
	v_cmp_eq_u16_e32 vcc, 0, v6
	v_cndmask_b32_e32 v3, v3, v12, vcc
	v_cndmask_b32_e32 v6, v6, v7, vcc
	v_lshlrev_b32_e32 v7, 24, v4
	v_mov_b32_e32 v12, 0x3b800000
	v_lshlrev_b32_e32 v3, 20, v3
	v_and_b32_e32 v7, 0x80000000, v7
	v_lshl_add_u32 v6, v6, 23, v12
	v_or3_b32 v3, v7, v6, v3
.LBB1_12872:
	s_or_b64 exec, exec, s[6:7]
	s_nop 0
	v_mfma_f32_16x16x4f32 a[0:3], v2, v3, a[0:3]
	v_lshrrev_b32_e32 v3, 8, v8
	s_movk_i32 s4, 0x7f
	v_cmp_gt_i16_sdwa s[6:7], v3, s4 src0_sel:BYTE_0 src1_sel:DWORD
	s_mov_b64 s[4:5], 0
                                        ; implicit-def: $sgpr10
	s_and_saveexec_b64 s[8:9], s[6:7]
	s_xor_b64 s[6:7], exec, s[8:9]
	s_cbranch_execz .LBB1_12873
; %bb.48713:
	s_getpc_b64 s[14:15]
.Lpost_getpc10020:
	s_add_u32 s14, s14, (.LBB1_27209-.Lpost_getpc10020)&4294967295
	s_addc_u32 s15, s15, (.LBB1_27209-.Lpost_getpc10020)>>32
	s_setpc_b64 s[14:15]
.LBB1_12873:
	s_or_saveexec_b64 s[6:7], s[6:7]
	v_mov_b32_e32 v2, s10
	s_xor_b64 exec, exec, s[6:7]
	s_cbranch_execz .LBB1_12874
; %bb.48715:
	s_getpc_b64 s[14:15]
.Lpost_getpc10021:
	s_add_u32 s14, s14, (.LBB1_27212-.Lpost_getpc10021)&4294967295
	s_addc_u32 s15, s15, (.LBB1_27212-.Lpost_getpc10021)>>32
	s_setpc_b64 s[14:15]
.LBB1_12874:
	s_or_b64 exec, exec, s[6:7]
	s_and_saveexec_b64 s[6:7], s[4:5]
	s_cbranch_execz .LBB1_12876
.LBB1_12875:
	v_bfe_u32 v2, v8, 8, 3
	v_ffbh_u32_e32 v7, v2
	v_min_u32_e32 v7, 32, v7
	v_lshrrev_b16_e32 v6, 3, v3
	v_subrev_u32_e32 v12, 28, v7
	v_and_b32_e32 v6, 15, v6
	v_lshlrev_b32_e32 v3, v12, v3
	v_sub_u32_e32 v7, 29, v7
	v_and_b32_e32 v3, 7, v3
	v_cmp_eq_u16_e32 vcc, 0, v6
	v_cndmask_b32_e32 v2, v2, v3, vcc
	v_cndmask_b32_e32 v3, v6, v7, vcc
	v_lshlrev_b32_e32 v6, 16, v8
	v_mov_b32_e32 v7, 0x3b800000
	v_lshlrev_b32_e32 v2, 20, v2
	v_and_b32_e32 v6, 0x80000000, v6
	v_lshl_add_u32 v3, v3, 23, v7
	v_or3_b32 v2, v6, v3, v2
.LBB1_12876:
	s_or_b64 exec, exec, s[6:7]
	v_lshrrev_b32_e32 v3, 8, v4
	s_movk_i32 s4, 0x7f
	v_cmp_gt_i16_sdwa s[6:7], v3, s4 src0_sel:BYTE_0 src1_sel:DWORD
	s_mov_b64 s[4:5], 0
                                        ; implicit-def: $sgpr10
	s_and_saveexec_b64 s[8:9], s[6:7]
	s_xor_b64 s[6:7], exec, s[8:9]
	s_cbranch_execz .LBB1_12877
; %bb.48717:
	s_getpc_b64 s[14:15]
.Lpost_getpc10022:
	s_add_u32 s14, s14, (.LBB1_27213-.Lpost_getpc10022)&4294967295
	s_addc_u32 s15, s15, (.LBB1_27213-.Lpost_getpc10022)>>32
	s_setpc_b64 s[14:15]
.LBB1_12877:
	s_or_saveexec_b64 s[6:7], s[6:7]
	v_mov_b32_e32 v6, s10
	s_xor_b64 exec, exec, s[6:7]
	s_cbranch_execz .LBB1_12878
; %bb.48719:
	s_getpc_b64 s[14:15]
.Lpost_getpc10023:
	s_add_u32 s14, s14, (.LBB1_27216-.Lpost_getpc10023)&4294967295
	s_addc_u32 s15, s15, (.LBB1_27216-.Lpost_getpc10023)>>32
	s_setpc_b64 s[14:15]
.LBB1_12878:
	s_or_b64 exec, exec, s[6:7]
	s_and_saveexec_b64 s[6:7], s[4:5]
	s_cbranch_execz .LBB1_12880
.LBB1_12879:
	v_bfe_u32 v6, v4, 8, 3
	v_ffbh_u32_e32 v12, v6
	v_min_u32_e32 v12, 32, v12
	v_lshrrev_b16_e32 v7, 3, v3
	v_subrev_u32_e32 v13, 28, v12
	v_and_b32_e32 v7, 15, v7
	v_lshlrev_b32_e32 v3, v13, v3
	v_sub_u32_e32 v12, 29, v12
	v_and_b32_e32 v3, 7, v3
	v_cmp_eq_u16_e32 vcc, 0, v7
	v_cndmask_b32_e32 v3, v6, v3, vcc
	v_cndmask_b32_e32 v6, v7, v12, vcc
	v_lshlrev_b32_e32 v7, 16, v4
	v_mov_b32_e32 v12, 0x3b800000
	v_lshlrev_b32_e32 v3, 20, v3
	v_and_b32_e32 v7, 0x80000000, v7
	v_lshl_add_u32 v6, v6, 23, v12
	v_or3_b32 v6, v7, v6, v3
.LBB1_12880:
	s_or_b64 exec, exec, s[6:7]
	s_nop 0
	v_mfma_f32_16x16x4f32 a[0:3], v2, v6, a[0:3]
	s_movk_i32 s4, 0xff
	v_and_b32_sdwa v3, v8, s4 dst_sel:DWORD dst_unused:UNUSED_PAD src0_sel:WORD_1 src1_sel:DWORD
	s_movk_i32 s4, 0x7f
	v_cmp_lt_i16_e32 vcc, s4, v3
	s_mov_b64 s[4:5], 0
                                        ; implicit-def: $sgpr10
	s_and_saveexec_b64 s[6:7], vcc
	s_xor_b64 s[6:7], exec, s[6:7]
	s_cbranch_execz .LBB1_12881
; %bb.48721:
	s_getpc_b64 s[14:15]
.Lpost_getpc10024:
	s_add_u32 s14, s14, (.LBB1_27217-.Lpost_getpc10024)&4294967295
	s_addc_u32 s15, s15, (.LBB1_27217-.Lpost_getpc10024)>>32
	s_setpc_b64 s[14:15]
.LBB1_12881:
	s_or_saveexec_b64 s[6:7], s[6:7]
	v_mov_b32_e32 v2, s10
	s_xor_b64 exec, exec, s[6:7]
	s_cbranch_execz .LBB1_12882
; %bb.48723:
	s_getpc_b64 s[14:15]
.Lpost_getpc10025:
	s_add_u32 s14, s14, (.LBB1_27220-.Lpost_getpc10025)&4294967295
	s_addc_u32 s15, s15, (.LBB1_27220-.Lpost_getpc10025)>>32
	s_setpc_b64 s[14:15]
.LBB1_12882:
	s_or_b64 exec, exec, s[6:7]
	s_and_saveexec_b64 s[6:7], s[4:5]
	s_cbranch_execz .LBB1_12884
.LBB1_12883:
	v_bfe_u32 v2, v8, 16, 3
	v_ffbh_u32_e32 v7, v2
	v_min_u32_e32 v7, 32, v7
	v_lshrrev_b32_e32 v3, 19, v8
	v_subrev_u32_e32 v12, 28, v7
	v_and_b32_e32 v3, 15, v3
	v_lshlrev_b32_sdwa v12, v12, v8 dst_sel:DWORD dst_unused:UNUSED_PAD src0_sel:DWORD src1_sel:WORD_1
	v_bfe_u32 v6, v8, 19, 4
	v_sub_u32_e32 v7, 29, v7
	v_and_b32_e32 v12, 7, v12
	v_cmp_eq_u16_e32 vcc, 0, v3
	v_cndmask_b32_e32 v2, v2, v12, vcc
	v_cndmask_b32_e32 v3, v6, v7, vcc
	v_lshlrev_b32_e32 v6, 8, v8
	v_mov_b32_e32 v7, 0x3b800000
	v_lshlrev_b32_e32 v2, 20, v2
	v_and_b32_e32 v6, 0x80000000, v6
	v_lshl_add_u32 v3, v3, 23, v7
	v_or3_b32 v2, v6, v3, v2
.LBB1_12884:
	s_or_b64 exec, exec, s[6:7]
	s_movk_i32 s4, 0xff
	v_and_b32_sdwa v3, v4, s4 dst_sel:DWORD dst_unused:UNUSED_PAD src0_sel:WORD_1 src1_sel:DWORD
	s_movk_i32 s4, 0x7f
	v_cmp_lt_i16_e32 vcc, s4, v3
	s_mov_b64 s[4:5], 0
                                        ; implicit-def: $sgpr10
	s_and_saveexec_b64 s[6:7], vcc
	s_xor_b64 s[6:7], exec, s[6:7]
	s_cbranch_execz .LBB1_12885
; %bb.48725:
	s_getpc_b64 s[14:15]
.Lpost_getpc10026:
	s_add_u32 s14, s14, (.LBB1_27221-.Lpost_getpc10026)&4294967295
	s_addc_u32 s15, s15, (.LBB1_27221-.Lpost_getpc10026)>>32
	s_setpc_b64 s[14:15]
.LBB1_12885:
	s_or_saveexec_b64 s[6:7], s[6:7]
	v_mov_b32_e32 v6, s10
	s_xor_b64 exec, exec, s[6:7]
	s_cbranch_execz .LBB1_12886
; %bb.48727:
	s_getpc_b64 s[14:15]
.Lpost_getpc10027:
	s_add_u32 s14, s14, (.LBB1_27224-.Lpost_getpc10027)&4294967295
	s_addc_u32 s15, s15, (.LBB1_27224-.Lpost_getpc10027)>>32
	s_setpc_b64 s[14:15]
.LBB1_12886:
	s_or_b64 exec, exec, s[6:7]
	s_and_saveexec_b64 s[6:7], s[4:5]
	s_cbranch_execz .LBB1_12888
.LBB1_12887:
	v_bfe_u32 v3, v4, 16, 3
	v_ffbh_u32_e32 v12, v3
	v_min_u32_e32 v12, 32, v12
	v_lshrrev_b32_e32 v6, 19, v4
	v_subrev_u32_e32 v13, 28, v12
	v_and_b32_e32 v6, 15, v6
	v_lshlrev_b32_sdwa v13, v13, v4 dst_sel:DWORD dst_unused:UNUSED_PAD src0_sel:DWORD src1_sel:WORD_1
	v_bfe_u32 v7, v4, 19, 4
	v_sub_u32_e32 v12, 29, v12
	v_and_b32_e32 v13, 7, v13
	v_cmp_eq_u16_e32 vcc, 0, v6
	v_cndmask_b32_e32 v3, v3, v13, vcc
	v_cndmask_b32_e32 v6, v7, v12, vcc
	v_lshlrev_b32_e32 v7, 8, v4
	v_mov_b32_e32 v12, 0x3b800000
	v_lshlrev_b32_e32 v3, 20, v3
	v_and_b32_e32 v7, 0x80000000, v7
	v_lshl_add_u32 v6, v6, 23, v12
	v_or3_b32 v6, v7, v6, v3
.LBB1_12888:
	s_or_b64 exec, exec, s[6:7]
	s_nop 0
	v_mfma_f32_16x16x4f32 a[0:3], v2, v6, a[0:3]
	s_movk_i32 s4, 0x7f
	v_cmp_gt_i16_sdwa s[6:7], v8, s4 src0_sel:BYTE_3 src1_sel:DWORD
	s_mov_b64 s[4:5], 0
                                        ; implicit-def: $sgpr10
	s_and_saveexec_b64 s[8:9], s[6:7]
	s_xor_b64 s[6:7], exec, s[8:9]
	s_cbranch_execz .LBB1_12889
; %bb.48729:
	s_getpc_b64 s[14:15]
.Lpost_getpc10028:
	s_add_u32 s14, s14, (.LBB1_27225-.Lpost_getpc10028)&4294967295
	s_addc_u32 s15, s15, (.LBB1_27225-.Lpost_getpc10028)>>32
	s_setpc_b64 s[14:15]
.LBB1_12889:
	s_or_saveexec_b64 s[6:7], s[6:7]
	v_mov_b32_e32 v2, s10
	s_xor_b64 exec, exec, s[6:7]
	s_cbranch_execz .LBB1_12890
; %bb.48731:
	s_getpc_b64 s[14:15]
.Lpost_getpc10029:
	s_add_u32 s14, s14, (.LBB1_27228-.Lpost_getpc10029)&4294967295
	s_addc_u32 s15, s15, (.LBB1_27228-.Lpost_getpc10029)>>32
	s_setpc_b64 s[14:15]
.LBB1_12890:
	s_or_b64 exec, exec, s[6:7]
	s_and_saveexec_b64 s[6:7], s[4:5]
	s_cbranch_execz .LBB1_12892
.LBB1_12891:
	v_bfe_u32 v2, v8, 24, 3
	v_ffbh_u32_e32 v12, v2
	v_min_u32_e32 v12, 32, v12
	v_lshrrev_b32_e32 v6, 27, v8
	v_subrev_u32_e32 v13, 28, v12
	v_and_b32_e32 v3, 0x80000000, v8
	v_and_b32_e32 v6, 15, v6
	v_bfe_u32 v7, v8, 27, 4
	v_lshlrev_b32_sdwa v8, v13, v8 dst_sel:DWORD dst_unused:UNUSED_PAD src0_sel:DWORD src1_sel:BYTE_3
	v_sub_u32_e32 v12, 29, v12
	v_and_b32_e32 v8, 7, v8
	v_cmp_eq_u16_e32 vcc, 0, v6
	v_cndmask_b32_e32 v2, v2, v8, vcc
	v_cndmask_b32_e32 v6, v7, v12, vcc
	v_mov_b32_e32 v7, 0x3b800000
	v_lshlrev_b32_e32 v2, 20, v2
	v_lshl_add_u32 v6, v6, 23, v7
	v_or3_b32 v2, v3, v6, v2
.LBB1_12892:
	s_or_b64 exec, exec, s[6:7]
	s_movk_i32 s4, 0x7f
	v_cmp_gt_i16_sdwa s[6:7], v4, s4 src0_sel:BYTE_3 src1_sel:DWORD
	s_mov_b64 s[4:5], 0
                                        ; implicit-def: $sgpr10
	s_and_saveexec_b64 s[8:9], s[6:7]
	s_xor_b64 s[6:7], exec, s[8:9]
	s_cbranch_execz .LBB1_12893
; %bb.48733:
	s_getpc_b64 s[14:15]
.Lpost_getpc10030:
	s_add_u32 s14, s14, (.LBB1_27229-.Lpost_getpc10030)&4294967295
	s_addc_u32 s15, s15, (.LBB1_27229-.Lpost_getpc10030)>>32
	s_setpc_b64 s[14:15]
.LBB1_12893:
	s_or_saveexec_b64 s[6:7], s[6:7]
	v_mov_b32_e32 v3, s10
	s_xor_b64 exec, exec, s[6:7]
	s_cbranch_execz .LBB1_12894
; %bb.48735:
	s_getpc_b64 s[14:15]
.Lpost_getpc10031:
	s_add_u32 s14, s14, (.LBB1_27232-.Lpost_getpc10031)&4294967295
	s_addc_u32 s15, s15, (.LBB1_27232-.Lpost_getpc10031)>>32
	s_setpc_b64 s[14:15]
.LBB1_12894:
	s_or_b64 exec, exec, s[6:7]
	s_and_saveexec_b64 s[6:7], s[4:5]
	s_cbranch_execz .LBB1_12896
.LBB1_12895:
	v_bfe_u32 v3, v4, 24, 3
	v_ffbh_u32_e32 v12, v3
	v_min_u32_e32 v12, 32, v12
	v_lshrrev_b32_e32 v7, 27, v4
	v_subrev_u32_e32 v13, 28, v12
	v_and_b32_e32 v6, 0x80000000, v4
	v_and_b32_e32 v7, 15, v7
	v_bfe_u32 v8, v4, 27, 4
	v_lshlrev_b32_sdwa v4, v13, v4 dst_sel:DWORD dst_unused:UNUSED_PAD src0_sel:DWORD src1_sel:BYTE_3
	v_sub_u32_e32 v12, 29, v12
	v_and_b32_e32 v4, 7, v4
	v_cmp_eq_u16_e32 vcc, 0, v7
	v_cndmask_b32_e32 v3, v3, v4, vcc
	v_cndmask_b32_e32 v4, v8, v12, vcc
	v_mov_b32_e32 v7, 0x3b800000
	v_lshlrev_b32_e32 v3, 20, v3
	v_lshl_add_u32 v4, v4, 23, v7
	v_or3_b32 v3, v6, v4, v3
.LBB1_12896:
	s_or_b64 exec, exec, s[6:7]
	s_nop 0
	v_mfma_f32_16x16x4f32 a[0:3], v2, v3, a[0:3]
	s_movk_i32 s4, 0x7f
	v_cmp_gt_i16_sdwa s[6:7], v9, s4 src0_sel:BYTE_0 src1_sel:DWORD
	s_mov_b64 s[4:5], 0
                                        ; implicit-def: $sgpr10
	s_and_saveexec_b64 s[8:9], s[6:7]
	s_xor_b64 s[6:7], exec, s[8:9]
	s_cbranch_execz .LBB1_12897
; %bb.48737:
	s_getpc_b64 s[14:15]
.Lpost_getpc10032:
	s_add_u32 s14, s14, (.LBB1_27233-.Lpost_getpc10032)&4294967295
	s_addc_u32 s15, s15, (.LBB1_27233-.Lpost_getpc10032)>>32
	s_setpc_b64 s[14:15]
.LBB1_12897:
	s_or_saveexec_b64 s[6:7], s[6:7]
	v_mov_b32_e32 v2, s10
	s_xor_b64 exec, exec, s[6:7]
	s_cbranch_execz .LBB1_12898
; %bb.48739:
	s_getpc_b64 s[14:15]
.Lpost_getpc10033:
	s_add_u32 s14, s14, (.LBB1_27236-.Lpost_getpc10033)&4294967295
	s_addc_u32 s15, s15, (.LBB1_27236-.Lpost_getpc10033)>>32
	s_setpc_b64 s[14:15]
.LBB1_12898:
	s_or_b64 exec, exec, s[6:7]
	s_and_saveexec_b64 s[6:7], s[4:5]
	s_cbranch_execz .LBB1_12900
.LBB1_12899:
	v_mov_b32_e32 v2, 8
	v_and_b32_e32 v3, 7, v9
	v_lshrrev_b32_sdwa v2, v2, v9 dst_sel:BYTE_1 dst_unused:UNUSED_PAD src0_sel:DWORD src1_sel:DWORD
	v_ffbh_u32_e32 v4, v3
	v_or_b32_sdwa v2, v9, v2 dst_sel:DWORD dst_unused:UNUSED_PAD src0_sel:BYTE_0 src1_sel:DWORD
	v_min_u32_e32 v4, 32, v4
	v_lshrrev_b16_e32 v2, 3, v2
	v_subrev_u32_e32 v6, 28, v4
	v_and_b32_e32 v2, 15, v2
	v_lshlrev_b32_e32 v6, v6, v9
	v_sub_u32_e32 v4, 29, v4
	v_and_b32_e32 v6, 7, v6
	v_cmp_eq_u16_e32 vcc, 0, v2
	v_cndmask_b32_e32 v3, v3, v6, vcc
	v_cndmask_b32_e32 v2, v2, v4, vcc
	v_lshlrev_b32_e32 v4, 24, v9
	v_mov_b32_e32 v6, 0x3b800000
	v_lshlrev_b32_e32 v3, 20, v3
	v_and_b32_e32 v4, 0x80000000, v4
	v_lshl_add_u32 v2, v2, 23, v6
	v_or3_b32 v2, v4, v2, v3
.LBB1_12900:
	s_or_b64 exec, exec, s[6:7]
	s_movk_i32 s4, 0x7f
	v_cmp_gt_i16_sdwa s[6:7], v5, s4 src0_sel:BYTE_0 src1_sel:DWORD
	s_mov_b64 s[4:5], 0
                                        ; implicit-def: $sgpr10
	s_and_saveexec_b64 s[8:9], s[6:7]
	s_xor_b64 s[6:7], exec, s[8:9]
	s_cbranch_execz .LBB1_12901
; %bb.48741:
	s_getpc_b64 s[14:15]
.Lpost_getpc10034:
	s_add_u32 s14, s14, (.LBB1_27237-.Lpost_getpc10034)&4294967295
	s_addc_u32 s15, s15, (.LBB1_27237-.Lpost_getpc10034)>>32
	s_setpc_b64 s[14:15]
.LBB1_12901:
	s_or_saveexec_b64 s[6:7], s[6:7]
	v_mov_b32_e32 v3, s10
	s_xor_b64 exec, exec, s[6:7]
	s_cbranch_execz .LBB1_12902
; %bb.48743:
	s_getpc_b64 s[14:15]
.Lpost_getpc10035:
	s_add_u32 s14, s14, (.LBB1_27240-.Lpost_getpc10035)&4294967295
	s_addc_u32 s15, s15, (.LBB1_27240-.Lpost_getpc10035)>>32
	s_setpc_b64 s[14:15]
.LBB1_12902:
	s_or_b64 exec, exec, s[6:7]
	s_and_saveexec_b64 s[6:7], s[4:5]
	s_cbranch_execz .LBB1_12904
.LBB1_12903:
	v_mov_b32_e32 v3, 8
	v_and_b32_e32 v4, 7, v5
	v_lshrrev_b32_sdwa v3, v3, v5 dst_sel:BYTE_1 dst_unused:UNUSED_PAD src0_sel:DWORD src1_sel:DWORD
	v_ffbh_u32_e32 v6, v4
	v_or_b32_sdwa v3, v5, v3 dst_sel:DWORD dst_unused:UNUSED_PAD src0_sel:BYTE_0 src1_sel:DWORD
	v_min_u32_e32 v6, 32, v6
	v_lshrrev_b16_e32 v3, 3, v3
	v_subrev_u32_e32 v7, 28, v6
	v_and_b32_e32 v3, 15, v3
	v_lshlrev_b32_e32 v7, v7, v5
	v_sub_u32_e32 v6, 29, v6
	v_and_b32_e32 v7, 7, v7
	v_cmp_eq_u16_e32 vcc, 0, v3
	v_cndmask_b32_e32 v4, v4, v7, vcc
	v_cndmask_b32_e32 v3, v3, v6, vcc
	v_lshlrev_b32_e32 v6, 24, v5
	v_mov_b32_e32 v7, 0x3b800000
	v_lshlrev_b32_e32 v4, 20, v4
	v_and_b32_e32 v6, 0x80000000, v6
	v_lshl_add_u32 v3, v3, 23, v7
	v_or3_b32 v3, v6, v3, v4
.LBB1_12904:
	s_or_b64 exec, exec, s[6:7]
	s_nop 0
	v_mfma_f32_16x16x4f32 a[0:3], v2, v3, a[0:3]
	v_lshrrev_b32_e32 v3, 8, v9
	s_movk_i32 s4, 0x7f
	v_cmp_gt_i16_sdwa s[6:7], v3, s4 src0_sel:BYTE_0 src1_sel:DWORD
	s_mov_b64 s[4:5], 0
                                        ; implicit-def: $sgpr10
	s_and_saveexec_b64 s[8:9], s[6:7]
	s_xor_b64 s[6:7], exec, s[8:9]
	s_cbranch_execz .LBB1_12905
; %bb.48745:
	s_getpc_b64 s[14:15]
.Lpost_getpc10036:
	s_add_u32 s14, s14, (.LBB1_27241-.Lpost_getpc10036)&4294967295
	s_addc_u32 s15, s15, (.LBB1_27241-.Lpost_getpc10036)>>32
	s_setpc_b64 s[14:15]
.LBB1_12905:
	s_or_saveexec_b64 s[6:7], s[6:7]
	v_mov_b32_e32 v2, s10
	s_xor_b64 exec, exec, s[6:7]
	s_cbranch_execz .LBB1_12906
; %bb.48747:
	s_getpc_b64 s[14:15]
.Lpost_getpc10037:
	s_add_u32 s14, s14, (.LBB1_27244-.Lpost_getpc10037)&4294967295
	s_addc_u32 s15, s15, (.LBB1_27244-.Lpost_getpc10037)>>32
	s_setpc_b64 s[14:15]
.LBB1_12906:
	s_or_b64 exec, exec, s[6:7]
	s_and_saveexec_b64 s[6:7], s[4:5]
	s_cbranch_execz .LBB1_12908
.LBB1_12907:
	v_bfe_u32 v2, v9, 8, 3
	v_ffbh_u32_e32 v6, v2
	v_min_u32_e32 v6, 32, v6
	v_lshrrev_b16_e32 v4, 3, v3
	v_subrev_u32_e32 v7, 28, v6
	v_and_b32_e32 v4, 15, v4
	v_lshlrev_b32_e32 v3, v7, v3
	v_sub_u32_e32 v6, 29, v6
	v_and_b32_e32 v3, 7, v3
	v_cmp_eq_u16_e32 vcc, 0, v4
	v_cndmask_b32_e32 v2, v2, v3, vcc
	v_cndmask_b32_e32 v3, v4, v6, vcc
	v_lshlrev_b32_e32 v4, 16, v9
	v_mov_b32_e32 v6, 0x3b800000
	v_lshlrev_b32_e32 v2, 20, v2
	v_and_b32_e32 v4, 0x80000000, v4
	v_lshl_add_u32 v3, v3, 23, v6
	v_or3_b32 v2, v4, v3, v2
.LBB1_12908:
	s_or_b64 exec, exec, s[6:7]
	v_lshrrev_b32_e32 v3, 8, v5
	s_movk_i32 s4, 0x7f
	v_cmp_gt_i16_sdwa s[6:7], v3, s4 src0_sel:BYTE_0 src1_sel:DWORD
	s_mov_b64 s[4:5], 0
                                        ; implicit-def: $sgpr10
	s_and_saveexec_b64 s[8:9], s[6:7]
	s_xor_b64 s[6:7], exec, s[8:9]
	s_cbranch_execz .LBB1_12909
; %bb.48749:
	s_getpc_b64 s[14:15]
.Lpost_getpc10038:
	s_add_u32 s14, s14, (.LBB1_27245-.Lpost_getpc10038)&4294967295
	s_addc_u32 s15, s15, (.LBB1_27245-.Lpost_getpc10038)>>32
	s_setpc_b64 s[14:15]
.LBB1_12909:
	s_or_saveexec_b64 s[6:7], s[6:7]
	v_mov_b32_e32 v4, s10
	s_xor_b64 exec, exec, s[6:7]
	s_cbranch_execz .LBB1_12910
; %bb.48751:
	s_getpc_b64 s[14:15]
.Lpost_getpc10039:
	s_add_u32 s14, s14, (.LBB1_27248-.Lpost_getpc10039)&4294967295
	s_addc_u32 s15, s15, (.LBB1_27248-.Lpost_getpc10039)>>32
	s_setpc_b64 s[14:15]
.LBB1_12910:
	s_or_b64 exec, exec, s[6:7]
	s_and_saveexec_b64 s[6:7], s[4:5]
	s_cbranch_execz .LBB1_12912
.LBB1_12911:
	v_bfe_u32 v4, v5, 8, 3
	v_ffbh_u32_e32 v7, v4
	v_min_u32_e32 v7, 32, v7
	v_lshrrev_b16_e32 v6, 3, v3
	v_subrev_u32_e32 v8, 28, v7
	v_and_b32_e32 v6, 15, v6
	v_lshlrev_b32_e32 v3, v8, v3
	v_sub_u32_e32 v7, 29, v7
	v_and_b32_e32 v3, 7, v3
	v_cmp_eq_u16_e32 vcc, 0, v6
	v_cndmask_b32_e32 v3, v4, v3, vcc
	v_cndmask_b32_e32 v4, v6, v7, vcc
	v_lshlrev_b32_e32 v6, 16, v5
	v_mov_b32_e32 v7, 0x3b800000
	v_lshlrev_b32_e32 v3, 20, v3
	v_and_b32_e32 v6, 0x80000000, v6
	v_lshl_add_u32 v4, v4, 23, v7
	v_or3_b32 v4, v6, v4, v3
.LBB1_12912:
	s_or_b64 exec, exec, s[6:7]
	s_nop 0
	v_mfma_f32_16x16x4f32 a[0:3], v2, v4, a[0:3]
	s_movk_i32 s4, 0xff
	v_and_b32_sdwa v3, v9, s4 dst_sel:DWORD dst_unused:UNUSED_PAD src0_sel:WORD_1 src1_sel:DWORD
	s_movk_i32 s4, 0x7f
	v_cmp_lt_i16_e32 vcc, s4, v3
	s_mov_b64 s[4:5], 0
                                        ; implicit-def: $sgpr10
	s_and_saveexec_b64 s[6:7], vcc
	s_xor_b64 s[6:7], exec, s[6:7]
	s_cbranch_execz .LBB1_12913
; %bb.48753:
	s_getpc_b64 s[14:15]
.Lpost_getpc10040:
	s_add_u32 s14, s14, (.LBB1_27249-.Lpost_getpc10040)&4294967295
	s_addc_u32 s15, s15, (.LBB1_27249-.Lpost_getpc10040)>>32
	s_setpc_b64 s[14:15]
.LBB1_12913:
	s_or_saveexec_b64 s[6:7], s[6:7]
	v_mov_b32_e32 v2, s10
	s_xor_b64 exec, exec, s[6:7]
	s_cbranch_execz .LBB1_12914
; %bb.48755:
	s_getpc_b64 s[14:15]
.Lpost_getpc10041:
	s_add_u32 s14, s14, (.LBB1_27252-.Lpost_getpc10041)&4294967295
	s_addc_u32 s15, s15, (.LBB1_27252-.Lpost_getpc10041)>>32
	s_setpc_b64 s[14:15]
.LBB1_12914:
	s_or_b64 exec, exec, s[6:7]
	s_and_saveexec_b64 s[6:7], s[4:5]
	s_cbranch_execz .LBB1_12916
.LBB1_12915:
	v_bfe_u32 v2, v9, 16, 3
	v_ffbh_u32_e32 v6, v2
	v_min_u32_e32 v6, 32, v6
	v_lshrrev_b32_e32 v3, 19, v9
	v_subrev_u32_e32 v7, 28, v6
	v_and_b32_e32 v3, 15, v3
	v_lshlrev_b32_sdwa v7, v7, v9 dst_sel:DWORD dst_unused:UNUSED_PAD src0_sel:DWORD src1_sel:WORD_1
	v_bfe_u32 v4, v9, 19, 4
	v_sub_u32_e32 v6, 29, v6
	v_and_b32_e32 v7, 7, v7
	v_cmp_eq_u16_e32 vcc, 0, v3
	v_cndmask_b32_e32 v2, v2, v7, vcc
	v_cndmask_b32_e32 v3, v4, v6, vcc
	v_lshlrev_b32_e32 v4, 8, v9
	v_mov_b32_e32 v6, 0x3b800000
	v_lshlrev_b32_e32 v2, 20, v2
	v_and_b32_e32 v4, 0x80000000, v4
	v_lshl_add_u32 v3, v3, 23, v6
	v_or3_b32 v2, v4, v3, v2
.LBB1_12916:
	s_or_b64 exec, exec, s[6:7]
	s_movk_i32 s4, 0xff
	v_and_b32_sdwa v3, v5, s4 dst_sel:DWORD dst_unused:UNUSED_PAD src0_sel:WORD_1 src1_sel:DWORD
	s_movk_i32 s4, 0x7f
	v_cmp_lt_i16_e32 vcc, s4, v3
	s_mov_b64 s[4:5], 0
                                        ; implicit-def: $sgpr10
	s_and_saveexec_b64 s[6:7], vcc
	s_xor_b64 s[6:7], exec, s[6:7]
	s_cbranch_execz .LBB1_12917
; %bb.48757:
	s_getpc_b64 s[14:15]
.Lpost_getpc10042:
	s_add_u32 s14, s14, (.LBB1_27253-.Lpost_getpc10042)&4294967295
	s_addc_u32 s15, s15, (.LBB1_27253-.Lpost_getpc10042)>>32
	s_setpc_b64 s[14:15]
.LBB1_12917:
	s_or_saveexec_b64 s[6:7], s[6:7]
	v_mov_b32_e32 v4, s10
	s_xor_b64 exec, exec, s[6:7]
	s_cbranch_execz .LBB1_12918
; %bb.48759:
	s_getpc_b64 s[14:15]
.Lpost_getpc10043:
	s_add_u32 s14, s14, (.LBB1_27256-.Lpost_getpc10043)&4294967295
	s_addc_u32 s15, s15, (.LBB1_27256-.Lpost_getpc10043)>>32
	s_setpc_b64 s[14:15]
.LBB1_12918:
	s_or_b64 exec, exec, s[6:7]
	s_and_saveexec_b64 s[6:7], s[4:5]
	s_cbranch_execz .LBB1_12920
.LBB1_12919:
	v_bfe_u32 v3, v5, 16, 3
	v_ffbh_u32_e32 v7, v3
	v_min_u32_e32 v7, 32, v7
	v_lshrrev_b32_e32 v4, 19, v5
	v_subrev_u32_e32 v8, 28, v7
	v_and_b32_e32 v4, 15, v4
	v_lshlrev_b32_sdwa v8, v8, v5 dst_sel:DWORD dst_unused:UNUSED_PAD src0_sel:DWORD src1_sel:WORD_1
	v_bfe_u32 v6, v5, 19, 4
	v_sub_u32_e32 v7, 29, v7
	v_and_b32_e32 v8, 7, v8
	v_cmp_eq_u16_e32 vcc, 0, v4
	v_cndmask_b32_e32 v3, v3, v8, vcc
	v_cndmask_b32_e32 v4, v6, v7, vcc
	v_lshlrev_b32_e32 v6, 8, v5
	v_mov_b32_e32 v7, 0x3b800000
	v_lshlrev_b32_e32 v3, 20, v3
	v_and_b32_e32 v6, 0x80000000, v6
	v_lshl_add_u32 v4, v4, 23, v7
	v_or3_b32 v4, v6, v4, v3
.LBB1_12920:
	s_or_b64 exec, exec, s[6:7]
	s_nop 0
	v_mfma_f32_16x16x4f32 a[0:3], v2, v4, a[0:3]
	s_movk_i32 s4, 0x7f
	v_cmp_gt_i16_sdwa s[6:7], v9, s4 src0_sel:BYTE_3 src1_sel:DWORD
	s_mov_b64 s[4:5], 0
                                        ; implicit-def: $sgpr10
	s_and_saveexec_b64 s[8:9], s[6:7]
	s_xor_b64 s[6:7], exec, s[8:9]
	s_cbranch_execz .LBB1_12921
; %bb.48761:
	s_getpc_b64 s[14:15]
.Lpost_getpc10044:
	s_add_u32 s14, s14, (.LBB1_27257-.Lpost_getpc10044)&4294967295
	s_addc_u32 s15, s15, (.LBB1_27257-.Lpost_getpc10044)>>32
	s_setpc_b64 s[14:15]
.LBB1_12921:
	s_or_saveexec_b64 s[6:7], s[6:7]
	v_mov_b32_e32 v2, s10
	s_xor_b64 exec, exec, s[6:7]
	s_cbranch_execz .LBB1_12922
; %bb.48763:
	s_getpc_b64 s[14:15]
.Lpost_getpc10045:
	s_add_u32 s14, s14, (.LBB1_27260-.Lpost_getpc10045)&4294967295
	s_addc_u32 s15, s15, (.LBB1_27260-.Lpost_getpc10045)>>32
	s_setpc_b64 s[14:15]
.LBB1_12922:
	s_or_b64 exec, exec, s[6:7]
	s_and_saveexec_b64 s[6:7], s[4:5]
	s_cbranch_execz .LBB1_12924
.LBB1_12923:
	v_bfe_u32 v2, v9, 24, 3
	v_ffbh_u32_e32 v7, v2
	v_min_u32_e32 v7, 32, v7
	v_lshrrev_b32_e32 v4, 27, v9
	v_subrev_u32_e32 v8, 28, v7
	v_and_b32_e32 v4, 15, v4
	v_lshlrev_b32_sdwa v8, v8, v9 dst_sel:DWORD dst_unused:UNUSED_PAD src0_sel:DWORD src1_sel:BYTE_3
	v_bfe_u32 v6, v9, 27, 4
	v_sub_u32_e32 v7, 29, v7
	v_and_b32_e32 v8, 7, v8
	v_cmp_eq_u16_e32 vcc, 0, v4
	v_cndmask_b32_e32 v2, v2, v8, vcc
	v_cndmask_b32_e32 v4, v6, v7, vcc
	v_mov_b32_e32 v6, 0x3b800000
	v_and_b32_e32 v3, 0x80000000, v9
	v_lshlrev_b32_e32 v2, 20, v2
	v_lshl_add_u32 v4, v4, 23, v6
	v_or3_b32 v2, v3, v4, v2
.LBB1_12924:
	s_or_b64 exec, exec, s[6:7]
	s_movk_i32 s4, 0x7f
	v_cmp_gt_i16_sdwa s[6:7], v5, s4 src0_sel:BYTE_3 src1_sel:DWORD
	s_mov_b64 s[4:5], 0
                                        ; implicit-def: $sgpr10
	s_and_saveexec_b64 s[8:9], s[6:7]
	s_xor_b64 s[6:7], exec, s[8:9]
	s_cbranch_execz .LBB1_12925
; %bb.48765:
	s_getpc_b64 s[14:15]
.Lpost_getpc10046:
	s_add_u32 s14, s14, (.LBB1_27261-.Lpost_getpc10046)&4294967295
	s_addc_u32 s15, s15, (.LBB1_27261-.Lpost_getpc10046)>>32
	s_setpc_b64 s[14:15]
.LBB1_12925:
	s_or_saveexec_b64 s[6:7], s[6:7]
	v_mov_b32_e32 v3, s10
	s_xor_b64 exec, exec, s[6:7]
	s_cbranch_execz .LBB1_12926
; %bb.48767:
	s_getpc_b64 s[14:15]
.Lpost_getpc10047:
	s_add_u32 s14, s14, (.LBB1_27264-.Lpost_getpc10047)&4294967295
	s_addc_u32 s15, s15, (.LBB1_27264-.Lpost_getpc10047)>>32
	s_setpc_b64 s[14:15]
.LBB1_12926:
	s_or_b64 exec, exec, s[6:7]
	s_and_saveexec_b64 s[6:7], s[4:5]
	s_cbranch_execz .LBB1_12928
.LBB1_12927:
	v_bfe_u32 v3, v5, 24, 3
	v_ffbh_u32_e32 v8, v3
	v_min_u32_e32 v8, 32, v8
	v_lshrrev_b32_e32 v6, 27, v5
	v_subrev_u32_e32 v9, 28, v8
	v_and_b32_e32 v4, 0x80000000, v5
	v_and_b32_e32 v6, 15, v6
	v_bfe_u32 v7, v5, 27, 4
	v_lshlrev_b32_sdwa v5, v9, v5 dst_sel:DWORD dst_unused:UNUSED_PAD src0_sel:DWORD src1_sel:BYTE_3
	v_sub_u32_e32 v8, 29, v8
	v_and_b32_e32 v5, 7, v5
	v_cmp_eq_u16_e32 vcc, 0, v6
	v_cndmask_b32_e32 v3, v3, v5, vcc
	v_cndmask_b32_e32 v5, v7, v8, vcc
	v_mov_b32_e32 v6, 0x3b800000
	v_lshlrev_b32_e32 v3, 20, v3
	v_lshl_add_u32 v5, v5, 23, v6
	v_or3_b32 v3, v4, v5, v3
.LBB1_12928:
	s_or_b64 exec, exec, s[6:7]
	s_nop 0
	v_mfma_f32_16x16x4f32 a[0:3], v2, v3, a[0:3]
	s_movk_i32 s4, 0x7f
                                        ; implicit-def: $sgpr10
	s_nop 7
	s_nop 1
	flat_store_dwordx4 v[10:11], a[0:3] offset:704
	flat_load_dwordx4 v[12:15], v[0:1]
	s_nop 0
	flat_load_dwordx2 v[10:11], v[0:1] offset:16
	s_waitcnt vmcnt(0) lgkmcnt(0)
	flat_load_dwordx4 v[6:9], v[12:13] offset:192
	flat_load_dwordx4 v[2:5], v[14:15] offset:208
	s_waitcnt vmcnt(0) lgkmcnt(0)
	v_cmp_gt_i16_sdwa s[6:7], v6, s4 src0_sel:BYTE_0 src1_sel:DWORD
	s_mov_b64 s[4:5], 0
	s_and_saveexec_b64 s[8:9], s[6:7]
	s_xor_b64 s[6:7], exec, s[8:9]
	s_cbranch_execz .LBB1_12929
; %bb.48769:
	s_getpc_b64 s[14:15]
.Lpost_getpc10048:
	s_add_u32 s14, s14, (.LBB1_27265-.Lpost_getpc10048)&4294967295
	s_addc_u32 s15, s15, (.LBB1_27265-.Lpost_getpc10048)>>32
	s_setpc_b64 s[14:15]
.LBB1_12929:
	s_or_saveexec_b64 s[6:7], s[6:7]
	v_mov_b32_e32 v12, s10
	s_xor_b64 exec, exec, s[6:7]
	s_cbranch_execz .LBB1_12930
; %bb.48771:
	s_getpc_b64 s[14:15]
.Lpost_getpc10049:
	s_add_u32 s14, s14, (.LBB1_27268-.Lpost_getpc10049)&4294967295
	s_addc_u32 s15, s15, (.LBB1_27268-.Lpost_getpc10049)>>32
	s_setpc_b64 s[14:15]
.LBB1_12930:
	s_or_b64 exec, exec, s[6:7]
	s_and_saveexec_b64 s[6:7], s[4:5]
	s_cbranch_execz .LBB1_12932
.LBB1_12931:
	v_and_b32_e32 v12, 7, v6
	v_ffbh_u32_e32 v14, v12
	v_min_u32_e32 v14, 32, v14
	v_lshrrev_b16_e32 v13, 3, v6
	v_subrev_u32_e32 v15, 28, v14
	v_and_b32_e32 v13, 15, v13
	v_lshlrev_b32_e32 v15, v15, v6
	v_sub_u32_e32 v14, 29, v14
	v_and_b32_e32 v15, 7, v15
	v_cmp_eq_u16_e32 vcc, 0, v13
	v_cndmask_b32_e32 v12, v12, v15, vcc
	v_cndmask_b32_e32 v13, v13, v14, vcc
	v_lshlrev_b32_e32 v14, 24, v6
	v_mov_b32_e32 v15, 0x3b800000
	v_lshlrev_b32_e32 v12, 20, v12
	v_and_b32_e32 v14, 0x80000000, v14
	v_lshl_add_u32 v13, v13, 23, v15
	v_or3_b32 v12, v14, v13, v12
.LBB1_12932:
	s_or_b64 exec, exec, s[6:7]
	s_movk_i32 s4, 0x7f
	v_cmp_gt_i16_sdwa s[6:7], v2, s4 src0_sel:BYTE_0 src1_sel:DWORD
	s_mov_b64 s[4:5], 0
                                        ; implicit-def: $sgpr10
	s_and_saveexec_b64 s[8:9], s[6:7]
	s_xor_b64 s[6:7], exec, s[8:9]
	s_cbranch_execz .LBB1_12933
; %bb.48773:
	s_getpc_b64 s[14:15]
.Lpost_getpc10050:
	s_add_u32 s14, s14, (.LBB1_27269-.Lpost_getpc10050)&4294967295
	s_addc_u32 s15, s15, (.LBB1_27269-.Lpost_getpc10050)>>32
	s_setpc_b64 s[14:15]
.LBB1_12933:
	s_or_saveexec_b64 s[6:7], s[6:7]
	v_mov_b32_e32 v13, s10
	s_xor_b64 exec, exec, s[6:7]
	s_cbranch_execz .LBB1_12934
; %bb.48775:
	s_getpc_b64 s[14:15]
.Lpost_getpc10051:
	s_add_u32 s14, s14, (.LBB1_27272-.Lpost_getpc10051)&4294967295
	s_addc_u32 s15, s15, (.LBB1_27272-.Lpost_getpc10051)>>32
	s_setpc_b64 s[14:15]
.LBB1_12934:
	s_or_b64 exec, exec, s[6:7]
	s_and_saveexec_b64 s[6:7], s[4:5]
	s_cbranch_execz .LBB1_12936
.LBB1_12935:
	v_and_b32_e32 v13, 7, v2
	v_ffbh_u32_e32 v15, v13
	v_min_u32_e32 v15, 32, v15
	v_lshrrev_b16_e32 v14, 3, v2
	v_subrev_u32_e32 v16, 28, v15
	v_and_b32_e32 v14, 15, v14
	v_lshlrev_b32_e32 v16, v16, v2
	v_sub_u32_e32 v15, 29, v15
	v_and_b32_e32 v16, 7, v16
	v_cmp_eq_u16_e32 vcc, 0, v14
	v_cndmask_b32_e32 v13, v13, v16, vcc
	v_cndmask_b32_e32 v14, v14, v15, vcc
	v_lshlrev_b32_e32 v15, 24, v2
	v_mov_b32_e32 v16, 0x3b800000
	v_lshlrev_b32_e32 v13, 20, v13
	v_and_b32_e32 v15, 0x80000000, v15
	v_lshl_add_u32 v14, v14, 23, v16
	v_or3_b32 v13, v15, v14, v13
.LBB1_12936:
	s_or_b64 exec, exec, s[6:7]
	flat_load_dwordx4 a[0:3], v[10:11] offset:720
	s_movk_i32 s4, 0x7f
                                        ; implicit-def: $sgpr10
	s_waitcnt vmcnt(0) lgkmcnt(0)
	v_mfma_f32_16x16x4f32 a[0:3], v12, v13, a[0:3]
	v_lshrrev_b32_e32 v13, 8, v6
	v_cmp_gt_i16_sdwa s[6:7], v13, s4 src0_sel:BYTE_0 src1_sel:DWORD
	s_mov_b64 s[4:5], 0
	s_and_saveexec_b64 s[8:9], s[6:7]
	s_xor_b64 s[6:7], exec, s[8:9]
	s_cbranch_execz .LBB1_12937
; %bb.48777:
	s_getpc_b64 s[14:15]
.Lpost_getpc10052:
	s_add_u32 s14, s14, (.LBB1_27273-.Lpost_getpc10052)&4294967295
	s_addc_u32 s15, s15, (.LBB1_27273-.Lpost_getpc10052)>>32
	s_setpc_b64 s[14:15]
.LBB1_12937:
	s_or_saveexec_b64 s[6:7], s[6:7]
	v_mov_b32_e32 v12, s10
	s_xor_b64 exec, exec, s[6:7]
	s_cbranch_execz .LBB1_12938
; %bb.48779:
	s_getpc_b64 s[14:15]
.Lpost_getpc10053:
	s_add_u32 s14, s14, (.LBB1_27276-.Lpost_getpc10053)&4294967295
	s_addc_u32 s15, s15, (.LBB1_27276-.Lpost_getpc10053)>>32
	s_setpc_b64 s[14:15]
.LBB1_12938:
	s_or_b64 exec, exec, s[6:7]
	s_and_saveexec_b64 s[6:7], s[4:5]
	s_cbranch_execz .LBB1_12940
.LBB1_12939:
	v_bfe_u32 v12, v6, 8, 3
	v_ffbh_u32_e32 v15, v12
	v_min_u32_e32 v15, 32, v15
	v_lshrrev_b16_e32 v14, 3, v13
	v_subrev_u32_e32 v16, 28, v15
	v_and_b32_e32 v14, 15, v14
	v_lshlrev_b32_e32 v13, v16, v13
	v_sub_u32_e32 v15, 29, v15
	v_and_b32_e32 v13, 7, v13
	v_cmp_eq_u16_e32 vcc, 0, v14
	v_cndmask_b32_e32 v12, v12, v13, vcc
	v_cndmask_b32_e32 v13, v14, v15, vcc
	v_lshlrev_b32_e32 v14, 16, v6
	v_mov_b32_e32 v15, 0x3b800000
	v_lshlrev_b32_e32 v12, 20, v12
	v_and_b32_e32 v14, 0x80000000, v14
	v_lshl_add_u32 v13, v13, 23, v15
	v_or3_b32 v12, v14, v13, v12
.LBB1_12940:
	s_or_b64 exec, exec, s[6:7]
	v_lshrrev_b32_e32 v13, 8, v2
	s_movk_i32 s4, 0x7f
	v_cmp_gt_i16_sdwa s[6:7], v13, s4 src0_sel:BYTE_0 src1_sel:DWORD
	s_mov_b64 s[4:5], 0
                                        ; implicit-def: $sgpr10
	s_and_saveexec_b64 s[8:9], s[6:7]
	s_xor_b64 s[6:7], exec, s[8:9]
	s_cbranch_execz .LBB1_12941
; %bb.48781:
	s_getpc_b64 s[14:15]
.Lpost_getpc10054:
	s_add_u32 s14, s14, (.LBB1_27277-.Lpost_getpc10054)&4294967295
	s_addc_u32 s15, s15, (.LBB1_27277-.Lpost_getpc10054)>>32
	s_setpc_b64 s[14:15]
.LBB1_12941:
	s_or_saveexec_b64 s[6:7], s[6:7]
	v_mov_b32_e32 v14, s10
	s_xor_b64 exec, exec, s[6:7]
	s_cbranch_execz .LBB1_12942
; %bb.48783:
	s_getpc_b64 s[14:15]
.Lpost_getpc10055:
	s_add_u32 s14, s14, (.LBB1_27280-.Lpost_getpc10055)&4294967295
	s_addc_u32 s15, s15, (.LBB1_27280-.Lpost_getpc10055)>>32
	s_setpc_b64 s[14:15]
.LBB1_12942:
	s_or_b64 exec, exec, s[6:7]
	s_and_saveexec_b64 s[6:7], s[4:5]
	s_cbranch_execz .LBB1_12944
.LBB1_12943:
	v_bfe_u32 v14, v2, 8, 3
	v_ffbh_u32_e32 v16, v14
	v_min_u32_e32 v16, 32, v16
	v_lshrrev_b16_e32 v15, 3, v13
	v_subrev_u32_e32 v17, 28, v16
	v_and_b32_e32 v15, 15, v15
	v_lshlrev_b32_e32 v13, v17, v13
	v_sub_u32_e32 v16, 29, v16
	v_and_b32_e32 v13, 7, v13
	v_cmp_eq_u16_e32 vcc, 0, v15
	v_cndmask_b32_e32 v13, v14, v13, vcc
	v_cndmask_b32_e32 v14, v15, v16, vcc
	v_lshlrev_b32_e32 v15, 16, v2
	v_mov_b32_e32 v16, 0x3b800000
	v_lshlrev_b32_e32 v13, 20, v13
	v_and_b32_e32 v15, 0x80000000, v15
	v_lshl_add_u32 v14, v14, 23, v16
	v_or3_b32 v14, v15, v14, v13
.LBB1_12944:
	s_or_b64 exec, exec, s[6:7]
	s_nop 0
	v_mfma_f32_16x16x4f32 a[0:3], v12, v14, a[0:3]
	s_movk_i32 s4, 0xff
	v_and_b32_sdwa v13, v6, s4 dst_sel:DWORD dst_unused:UNUSED_PAD src0_sel:WORD_1 src1_sel:DWORD
	s_movk_i32 s4, 0x7f
	v_cmp_lt_i16_e32 vcc, s4, v13
	s_mov_b64 s[4:5], 0
                                        ; implicit-def: $sgpr10
	s_and_saveexec_b64 s[6:7], vcc
	s_xor_b64 s[6:7], exec, s[6:7]
	s_cbranch_execz .LBB1_12945
; %bb.48785:
	s_getpc_b64 s[14:15]
.Lpost_getpc10056:
	s_add_u32 s14, s14, (.LBB1_27281-.Lpost_getpc10056)&4294967295
	s_addc_u32 s15, s15, (.LBB1_27281-.Lpost_getpc10056)>>32
	s_setpc_b64 s[14:15]
.LBB1_12945:
	s_or_saveexec_b64 s[6:7], s[6:7]
	v_mov_b32_e32 v12, s10
	s_xor_b64 exec, exec, s[6:7]
	s_cbranch_execz .LBB1_12946
; %bb.48787:
	s_getpc_b64 s[14:15]
.Lpost_getpc10057:
	s_add_u32 s14, s14, (.LBB1_27284-.Lpost_getpc10057)&4294967295
	s_addc_u32 s15, s15, (.LBB1_27284-.Lpost_getpc10057)>>32
	s_setpc_b64 s[14:15]
.LBB1_12946:
	s_or_b64 exec, exec, s[6:7]
	s_and_saveexec_b64 s[6:7], s[4:5]
	s_cbranch_execz .LBB1_12948
.LBB1_12947:
	v_bfe_u32 v12, v6, 16, 3
	v_ffbh_u32_e32 v15, v12
	v_min_u32_e32 v15, 32, v15
	v_lshrrev_b32_e32 v13, 19, v6
	v_subrev_u32_e32 v16, 28, v15
	v_and_b32_e32 v13, 15, v13
	v_lshlrev_b32_sdwa v16, v16, v6 dst_sel:DWORD dst_unused:UNUSED_PAD src0_sel:DWORD src1_sel:WORD_1
	v_bfe_u32 v14, v6, 19, 4
	v_sub_u32_e32 v15, 29, v15
	v_and_b32_e32 v16, 7, v16
	v_cmp_eq_u16_e32 vcc, 0, v13
	v_cndmask_b32_e32 v12, v12, v16, vcc
	v_cndmask_b32_e32 v13, v14, v15, vcc
	v_lshlrev_b32_e32 v14, 8, v6
	v_mov_b32_e32 v15, 0x3b800000
	v_lshlrev_b32_e32 v12, 20, v12
	v_and_b32_e32 v14, 0x80000000, v14
	v_lshl_add_u32 v13, v13, 23, v15
	v_or3_b32 v12, v14, v13, v12
.LBB1_12948:
	s_or_b64 exec, exec, s[6:7]
	s_movk_i32 s4, 0xff
	v_and_b32_sdwa v13, v2, s4 dst_sel:DWORD dst_unused:UNUSED_PAD src0_sel:WORD_1 src1_sel:DWORD
	s_movk_i32 s4, 0x7f
	v_cmp_lt_i16_e32 vcc, s4, v13
	s_mov_b64 s[4:5], 0
                                        ; implicit-def: $sgpr10
	s_and_saveexec_b64 s[6:7], vcc
	s_xor_b64 s[6:7], exec, s[6:7]
	s_cbranch_execz .LBB1_12949
; %bb.48789:
	s_getpc_b64 s[14:15]
.Lpost_getpc10058:
	s_add_u32 s14, s14, (.LBB1_27285-.Lpost_getpc10058)&4294967295
	s_addc_u32 s15, s15, (.LBB1_27285-.Lpost_getpc10058)>>32
	s_setpc_b64 s[14:15]
.LBB1_12949:
	s_or_saveexec_b64 s[6:7], s[6:7]
	v_mov_b32_e32 v14, s10
	s_xor_b64 exec, exec, s[6:7]
	s_cbranch_execz .LBB1_12950
; %bb.48791:
	s_getpc_b64 s[14:15]
.Lpost_getpc10059:
	s_add_u32 s14, s14, (.LBB1_27288-.Lpost_getpc10059)&4294967295
	s_addc_u32 s15, s15, (.LBB1_27288-.Lpost_getpc10059)>>32
	s_setpc_b64 s[14:15]
.LBB1_12950:
	s_or_b64 exec, exec, s[6:7]
	s_and_saveexec_b64 s[6:7], s[4:5]
	s_cbranch_execz .LBB1_12952
.LBB1_12951:
	v_bfe_u32 v13, v2, 16, 3
	v_ffbh_u32_e32 v16, v13
	v_min_u32_e32 v16, 32, v16
	v_lshrrev_b32_e32 v14, 19, v2
	v_subrev_u32_e32 v17, 28, v16
	v_and_b32_e32 v14, 15, v14
	v_lshlrev_b32_sdwa v17, v17, v2 dst_sel:DWORD dst_unused:UNUSED_PAD src0_sel:DWORD src1_sel:WORD_1
	v_bfe_u32 v15, v2, 19, 4
	v_sub_u32_e32 v16, 29, v16
	v_and_b32_e32 v17, 7, v17
	v_cmp_eq_u16_e32 vcc, 0, v14
	v_cndmask_b32_e32 v13, v13, v17, vcc
	v_cndmask_b32_e32 v14, v15, v16, vcc
	v_lshlrev_b32_e32 v15, 8, v2
	v_mov_b32_e32 v16, 0x3b800000
	v_lshlrev_b32_e32 v13, 20, v13
	v_and_b32_e32 v15, 0x80000000, v15
	v_lshl_add_u32 v14, v14, 23, v16
	v_or3_b32 v14, v15, v14, v13
.LBB1_12952:
	s_or_b64 exec, exec, s[6:7]
	s_nop 0
	v_mfma_f32_16x16x4f32 a[0:3], v12, v14, a[0:3]
	s_movk_i32 s4, 0x7f
	v_cmp_gt_i16_sdwa s[6:7], v6, s4 src0_sel:BYTE_3 src1_sel:DWORD
	s_mov_b64 s[4:5], 0
                                        ; implicit-def: $sgpr10
	s_and_saveexec_b64 s[8:9], s[6:7]
	s_xor_b64 s[6:7], exec, s[8:9]
	s_cbranch_execz .LBB1_12953
; %bb.48793:
	s_getpc_b64 s[14:15]
.Lpost_getpc10060:
	s_add_u32 s14, s14, (.LBB1_27289-.Lpost_getpc10060)&4294967295
	s_addc_u32 s15, s15, (.LBB1_27289-.Lpost_getpc10060)>>32
	s_setpc_b64 s[14:15]
.LBB1_12953:
	s_or_saveexec_b64 s[6:7], s[6:7]
	v_mov_b32_e32 v12, s10
	s_xor_b64 exec, exec, s[6:7]
	s_cbranch_execz .LBB1_12954
; %bb.48795:
	s_getpc_b64 s[14:15]
.Lpost_getpc10061:
	s_add_u32 s14, s14, (.LBB1_27292-.Lpost_getpc10061)&4294967295
	s_addc_u32 s15, s15, (.LBB1_27292-.Lpost_getpc10061)>>32
	s_setpc_b64 s[14:15]
.LBB1_12954:
	s_or_b64 exec, exec, s[6:7]
	s_and_saveexec_b64 s[6:7], s[4:5]
	s_cbranch_execz .LBB1_12956
.LBB1_12955:
	v_bfe_u32 v12, v6, 24, 3
	v_ffbh_u32_e32 v16, v12
	v_min_u32_e32 v16, 32, v16
	v_lshrrev_b32_e32 v14, 27, v6
	v_subrev_u32_e32 v17, 28, v16
	v_and_b32_e32 v13, 0x80000000, v6
	v_and_b32_e32 v14, 15, v14
	v_bfe_u32 v15, v6, 27, 4
	v_lshlrev_b32_sdwa v6, v17, v6 dst_sel:DWORD dst_unused:UNUSED_PAD src0_sel:DWORD src1_sel:BYTE_3
	v_sub_u32_e32 v16, 29, v16
	v_and_b32_e32 v6, 7, v6
	v_cmp_eq_u16_e32 vcc, 0, v14
	v_cndmask_b32_e32 v6, v12, v6, vcc
	v_cndmask_b32_e32 v12, v15, v16, vcc
	v_mov_b32_e32 v14, 0x3b800000
	v_lshlrev_b32_e32 v6, 20, v6
	v_lshl_add_u32 v12, v12, 23, v14
	v_or3_b32 v12, v13, v12, v6
.LBB1_12956:
	s_or_b64 exec, exec, s[6:7]
	s_movk_i32 s4, 0x7f
	v_cmp_gt_i16_sdwa s[6:7], v2, s4 src0_sel:BYTE_3 src1_sel:DWORD
	s_mov_b64 s[4:5], 0
                                        ; implicit-def: $sgpr10
	s_and_saveexec_b64 s[8:9], s[6:7]
	s_xor_b64 s[6:7], exec, s[8:9]
	s_cbranch_execz .LBB1_12957
; %bb.48797:
	s_getpc_b64 s[14:15]
.Lpost_getpc10062:
	s_add_u32 s14, s14, (.LBB1_27293-.Lpost_getpc10062)&4294967295
	s_addc_u32 s15, s15, (.LBB1_27293-.Lpost_getpc10062)>>32
	s_setpc_b64 s[14:15]
.LBB1_12957:
	s_or_saveexec_b64 s[6:7], s[6:7]
	v_mov_b32_e32 v6, s10
	s_xor_b64 exec, exec, s[6:7]
	s_cbranch_execz .LBB1_12958
; %bb.48799:
	s_getpc_b64 s[14:15]
.Lpost_getpc10063:
	s_add_u32 s14, s14, (.LBB1_27296-.Lpost_getpc10063)&4294967295
	s_addc_u32 s15, s15, (.LBB1_27296-.Lpost_getpc10063)>>32
	s_setpc_b64 s[14:15]
.LBB1_12958:
	s_or_b64 exec, exec, s[6:7]
	s_and_saveexec_b64 s[6:7], s[4:5]
	s_cbranch_execz .LBB1_12960
.LBB1_12959:
	v_bfe_u32 v6, v2, 24, 3
	v_ffbh_u32_e32 v16, v6
	v_min_u32_e32 v16, 32, v16
	v_lshrrev_b32_e32 v14, 27, v2
	v_subrev_u32_e32 v17, 28, v16
	v_and_b32_e32 v13, 0x80000000, v2
	v_and_b32_e32 v14, 15, v14
	v_bfe_u32 v15, v2, 27, 4
	v_lshlrev_b32_sdwa v2, v17, v2 dst_sel:DWORD dst_unused:UNUSED_PAD src0_sel:DWORD src1_sel:BYTE_3
	v_sub_u32_e32 v16, 29, v16
	v_and_b32_e32 v2, 7, v2
	v_cmp_eq_u16_e32 vcc, 0, v14
	v_cndmask_b32_e32 v2, v6, v2, vcc
	v_cndmask_b32_e32 v6, v15, v16, vcc
	v_mov_b32_e32 v14, 0x3b800000
	v_lshlrev_b32_e32 v2, 20, v2
	v_lshl_add_u32 v6, v6, 23, v14
	v_or3_b32 v6, v13, v6, v2
.LBB1_12960:
	s_or_b64 exec, exec, s[6:7]
	s_nop 0
	v_mfma_f32_16x16x4f32 a[0:3], v12, v6, a[0:3]
	s_movk_i32 s4, 0x7f
	v_cmp_gt_i16_sdwa s[6:7], v7, s4 src0_sel:BYTE_0 src1_sel:DWORD
	s_mov_b64 s[4:5], 0
                                        ; implicit-def: $sgpr10
	s_and_saveexec_b64 s[8:9], s[6:7]
	s_xor_b64 s[6:7], exec, s[8:9]
	s_cbranch_execz .LBB1_12961
; %bb.48801:
	s_getpc_b64 s[14:15]
.Lpost_getpc10064:
	s_add_u32 s14, s14, (.LBB1_27297-.Lpost_getpc10064)&4294967295
	s_addc_u32 s15, s15, (.LBB1_27297-.Lpost_getpc10064)>>32
	s_setpc_b64 s[14:15]
.LBB1_12961:
	s_or_saveexec_b64 s[6:7], s[6:7]
	v_mov_b32_e32 v2, s10
	s_xor_b64 exec, exec, s[6:7]
	s_cbranch_execz .LBB1_12962
; %bb.48803:
	s_getpc_b64 s[14:15]
.Lpost_getpc10065:
	s_add_u32 s14, s14, (.LBB1_27300-.Lpost_getpc10065)&4294967295
	s_addc_u32 s15, s15, (.LBB1_27300-.Lpost_getpc10065)>>32
	s_setpc_b64 s[14:15]
.LBB1_12962:
	s_or_b64 exec, exec, s[6:7]
	s_and_saveexec_b64 s[6:7], s[4:5]
	s_cbranch_execz .LBB1_12964
.LBB1_12963:
	v_and_b32_e32 v2, 7, v7
	v_ffbh_u32_e32 v12, v2
	v_min_u32_e32 v12, 32, v12
	v_lshrrev_b16_e32 v6, 3, v7
	v_subrev_u32_e32 v13, 28, v12
	v_and_b32_e32 v6, 15, v6
	v_lshlrev_b32_e32 v13, v13, v7
	v_sub_u32_e32 v12, 29, v12
	v_and_b32_e32 v13, 7, v13
	v_cmp_eq_u16_e32 vcc, 0, v6
	v_cndmask_b32_e32 v2, v2, v13, vcc
	v_cndmask_b32_e32 v6, v6, v12, vcc
	v_lshlrev_b32_e32 v12, 24, v7
	v_mov_b32_e32 v13, 0x3b800000
	v_lshlrev_b32_e32 v2, 20, v2
	v_and_b32_e32 v12, 0x80000000, v12
	v_lshl_add_u32 v6, v6, 23, v13
	v_or3_b32 v2, v12, v6, v2
.LBB1_12964:
	s_or_b64 exec, exec, s[6:7]
	s_movk_i32 s4, 0x7f
	v_cmp_gt_i16_sdwa s[6:7], v3, s4 src0_sel:BYTE_0 src1_sel:DWORD
	s_mov_b64 s[4:5], 0
                                        ; implicit-def: $sgpr10
	s_and_saveexec_b64 s[8:9], s[6:7]
	s_xor_b64 s[6:7], exec, s[8:9]
	s_cbranch_execz .LBB1_12965
; %bb.48805:
	s_getpc_b64 s[14:15]
.Lpost_getpc10066:
	s_add_u32 s14, s14, (.LBB1_27301-.Lpost_getpc10066)&4294967295
	s_addc_u32 s15, s15, (.LBB1_27301-.Lpost_getpc10066)>>32
	s_setpc_b64 s[14:15]
.LBB1_12965:
	s_or_saveexec_b64 s[6:7], s[6:7]
	v_mov_b32_e32 v6, s10
	s_xor_b64 exec, exec, s[6:7]
	s_cbranch_execz .LBB1_12966
; %bb.48807:
	s_getpc_b64 s[14:15]
.Lpost_getpc10067:
	s_add_u32 s14, s14, (.LBB1_27304-.Lpost_getpc10067)&4294967295
	s_addc_u32 s15, s15, (.LBB1_27304-.Lpost_getpc10067)>>32
	s_setpc_b64 s[14:15]
.LBB1_12966:
	s_or_b64 exec, exec, s[6:7]
	s_and_saveexec_b64 s[6:7], s[4:5]
	s_cbranch_execz .LBB1_12968
.LBB1_12967:
	v_and_b32_e32 v6, 7, v3
	v_ffbh_u32_e32 v13, v6
	v_min_u32_e32 v13, 32, v13
	v_lshrrev_b16_e32 v12, 3, v3
	v_subrev_u32_e32 v14, 28, v13
	v_and_b32_e32 v12, 15, v12
	v_lshlrev_b32_e32 v14, v14, v3
	v_sub_u32_e32 v13, 29, v13
	v_and_b32_e32 v14, 7, v14
	v_cmp_eq_u16_e32 vcc, 0, v12
	v_cndmask_b32_e32 v6, v6, v14, vcc
	v_cndmask_b32_e32 v12, v12, v13, vcc
	v_lshlrev_b32_e32 v13, 24, v3
	v_mov_b32_e32 v14, 0x3b800000
	v_lshlrev_b32_e32 v6, 20, v6
	v_and_b32_e32 v13, 0x80000000, v13
	v_lshl_add_u32 v12, v12, 23, v14
	v_or3_b32 v6, v13, v12, v6
.LBB1_12968:
	s_or_b64 exec, exec, s[6:7]
	s_nop 0
	v_mfma_f32_16x16x4f32 a[0:3], v2, v6, a[0:3]
	v_lshrrev_b32_e32 v6, 8, v7
	s_movk_i32 s4, 0x7f
	v_cmp_gt_i16_sdwa s[6:7], v6, s4 src0_sel:BYTE_0 src1_sel:DWORD
	s_mov_b64 s[4:5], 0
                                        ; implicit-def: $sgpr10
	s_and_saveexec_b64 s[8:9], s[6:7]
	s_xor_b64 s[6:7], exec, s[8:9]
	s_cbranch_execz .LBB1_12969
; %bb.48809:
	s_getpc_b64 s[14:15]
.Lpost_getpc10068:
	s_add_u32 s14, s14, (.LBB1_27305-.Lpost_getpc10068)&4294967295
	s_addc_u32 s15, s15, (.LBB1_27305-.Lpost_getpc10068)>>32
	s_setpc_b64 s[14:15]
.LBB1_12969:
	s_or_saveexec_b64 s[6:7], s[6:7]
	v_mov_b32_e32 v2, s10
	s_xor_b64 exec, exec, s[6:7]
	s_cbranch_execz .LBB1_12970
; %bb.48811:
	s_getpc_b64 s[14:15]
.Lpost_getpc10069:
	s_add_u32 s14, s14, (.LBB1_27308-.Lpost_getpc10069)&4294967295
	s_addc_u32 s15, s15, (.LBB1_27308-.Lpost_getpc10069)>>32
	s_setpc_b64 s[14:15]
.LBB1_12970:
	s_or_b64 exec, exec, s[6:7]
	s_and_saveexec_b64 s[6:7], s[4:5]
	s_cbranch_execz .LBB1_12972
.LBB1_12971:
	v_bfe_u32 v2, v7, 8, 3
	v_ffbh_u32_e32 v13, v2
	v_min_u32_e32 v13, 32, v13
	v_lshrrev_b16_e32 v12, 3, v6
	v_subrev_u32_e32 v14, 28, v13
	v_and_b32_e32 v12, 15, v12
	v_lshlrev_b32_e32 v6, v14, v6
	v_sub_u32_e32 v13, 29, v13
	v_and_b32_e32 v6, 7, v6
	v_cmp_eq_u16_e32 vcc, 0, v12
	v_cndmask_b32_e32 v2, v2, v6, vcc
	v_cndmask_b32_e32 v6, v12, v13, vcc
	v_lshlrev_b32_e32 v12, 16, v7
	v_mov_b32_e32 v13, 0x3b800000
	v_lshlrev_b32_e32 v2, 20, v2
	v_and_b32_e32 v12, 0x80000000, v12
	v_lshl_add_u32 v6, v6, 23, v13
	v_or3_b32 v2, v12, v6, v2
.LBB1_12972:
	s_or_b64 exec, exec, s[6:7]
	v_lshrrev_b32_e32 v6, 8, v3
	s_movk_i32 s4, 0x7f
	v_cmp_gt_i16_sdwa s[6:7], v6, s4 src0_sel:BYTE_0 src1_sel:DWORD
	s_mov_b64 s[4:5], 0
                                        ; implicit-def: $sgpr10
	s_and_saveexec_b64 s[8:9], s[6:7]
	s_xor_b64 s[6:7], exec, s[8:9]
	s_cbranch_execz .LBB1_12973
; %bb.48813:
	s_getpc_b64 s[14:15]
.Lpost_getpc10070:
	s_add_u32 s14, s14, (.LBB1_27309-.Lpost_getpc10070)&4294967295
	s_addc_u32 s15, s15, (.LBB1_27309-.Lpost_getpc10070)>>32
	s_setpc_b64 s[14:15]
.LBB1_12973:
	s_or_saveexec_b64 s[6:7], s[6:7]
	v_mov_b32_e32 v12, s10
	s_xor_b64 exec, exec, s[6:7]
	s_cbranch_execz .LBB1_12974
; %bb.48815:
	s_getpc_b64 s[14:15]
.Lpost_getpc10071:
	s_add_u32 s14, s14, (.LBB1_27312-.Lpost_getpc10071)&4294967295
	s_addc_u32 s15, s15, (.LBB1_27312-.Lpost_getpc10071)>>32
	s_setpc_b64 s[14:15]
.LBB1_12974:
	s_or_b64 exec, exec, s[6:7]
	s_and_saveexec_b64 s[6:7], s[4:5]
	s_cbranch_execz .LBB1_12976
.LBB1_12975:
	v_bfe_u32 v12, v3, 8, 3
	v_ffbh_u32_e32 v14, v12
	v_min_u32_e32 v14, 32, v14
	v_lshrrev_b16_e32 v13, 3, v6
	v_subrev_u32_e32 v15, 28, v14
	v_and_b32_e32 v13, 15, v13
	v_lshlrev_b32_e32 v6, v15, v6
	v_sub_u32_e32 v14, 29, v14
	v_and_b32_e32 v6, 7, v6
	v_cmp_eq_u16_e32 vcc, 0, v13
	v_cndmask_b32_e32 v6, v12, v6, vcc
	v_cndmask_b32_e32 v12, v13, v14, vcc
	v_lshlrev_b32_e32 v13, 16, v3
	v_mov_b32_e32 v14, 0x3b800000
	v_lshlrev_b32_e32 v6, 20, v6
	v_and_b32_e32 v13, 0x80000000, v13
	v_lshl_add_u32 v12, v12, 23, v14
	v_or3_b32 v12, v13, v12, v6
.LBB1_12976:
	s_or_b64 exec, exec, s[6:7]
	s_nop 0
	v_mfma_f32_16x16x4f32 a[0:3], v2, v12, a[0:3]
	s_movk_i32 s4, 0xff
	v_and_b32_sdwa v6, v7, s4 dst_sel:DWORD dst_unused:UNUSED_PAD src0_sel:WORD_1 src1_sel:DWORD
	s_movk_i32 s4, 0x7f
	v_cmp_lt_i16_e32 vcc, s4, v6
	s_mov_b64 s[4:5], 0
                                        ; implicit-def: $sgpr10
	s_and_saveexec_b64 s[6:7], vcc
	s_xor_b64 s[6:7], exec, s[6:7]
	s_cbranch_execz .LBB1_12977
; %bb.48817:
	s_getpc_b64 s[14:15]
.Lpost_getpc10072:
	s_add_u32 s14, s14, (.LBB1_27313-.Lpost_getpc10072)&4294967295
	s_addc_u32 s15, s15, (.LBB1_27313-.Lpost_getpc10072)>>32
	s_setpc_b64 s[14:15]
.LBB1_12977:
	s_or_saveexec_b64 s[6:7], s[6:7]
	v_mov_b32_e32 v2, s10
	s_xor_b64 exec, exec, s[6:7]
	s_cbranch_execz .LBB1_12978
; %bb.48819:
	s_getpc_b64 s[14:15]
.Lpost_getpc10073:
	s_add_u32 s14, s14, (.LBB1_27316-.Lpost_getpc10073)&4294967295
	s_addc_u32 s15, s15, (.LBB1_27316-.Lpost_getpc10073)>>32
	s_setpc_b64 s[14:15]
.LBB1_12978:
	s_or_b64 exec, exec, s[6:7]
	s_and_saveexec_b64 s[6:7], s[4:5]
	s_cbranch_execz .LBB1_12980
.LBB1_12979:
	v_bfe_u32 v2, v7, 16, 3
	v_ffbh_u32_e32 v13, v2
	v_min_u32_e32 v13, 32, v13
	v_lshrrev_b32_e32 v6, 19, v7
	v_subrev_u32_e32 v14, 28, v13
	v_and_b32_e32 v6, 15, v6
	v_lshlrev_b32_sdwa v14, v14, v7 dst_sel:DWORD dst_unused:UNUSED_PAD src0_sel:DWORD src1_sel:WORD_1
	v_bfe_u32 v12, v7, 19, 4
	v_sub_u32_e32 v13, 29, v13
	v_and_b32_e32 v14, 7, v14
	v_cmp_eq_u16_e32 vcc, 0, v6
	v_cndmask_b32_e32 v2, v2, v14, vcc
	v_cndmask_b32_e32 v6, v12, v13, vcc
	v_lshlrev_b32_e32 v12, 8, v7
	v_mov_b32_e32 v13, 0x3b800000
	v_lshlrev_b32_e32 v2, 20, v2
	v_and_b32_e32 v12, 0x80000000, v12
	v_lshl_add_u32 v6, v6, 23, v13
	v_or3_b32 v2, v12, v6, v2
.LBB1_12980:
	s_or_b64 exec, exec, s[6:7]
	s_movk_i32 s4, 0xff
	v_and_b32_sdwa v6, v3, s4 dst_sel:DWORD dst_unused:UNUSED_PAD src0_sel:WORD_1 src1_sel:DWORD
	s_movk_i32 s4, 0x7f
	v_cmp_lt_i16_e32 vcc, s4, v6
	s_mov_b64 s[4:5], 0
                                        ; implicit-def: $sgpr10
	s_and_saveexec_b64 s[6:7], vcc
	s_xor_b64 s[6:7], exec, s[6:7]
	s_cbranch_execz .LBB1_12981
; %bb.48821:
	s_getpc_b64 s[14:15]
.Lpost_getpc10074:
	s_add_u32 s14, s14, (.LBB1_27317-.Lpost_getpc10074)&4294967295
	s_addc_u32 s15, s15, (.LBB1_27317-.Lpost_getpc10074)>>32
	s_setpc_b64 s[14:15]
.LBB1_12981:
	s_or_saveexec_b64 s[6:7], s[6:7]
	v_mov_b32_e32 v12, s10
	s_xor_b64 exec, exec, s[6:7]
	s_cbranch_execz .LBB1_12982
; %bb.48823:
	s_getpc_b64 s[14:15]
.Lpost_getpc10075:
	s_add_u32 s14, s14, (.LBB1_27320-.Lpost_getpc10075)&4294967295
	s_addc_u32 s15, s15, (.LBB1_27320-.Lpost_getpc10075)>>32
	s_setpc_b64 s[14:15]
.LBB1_12982:
	s_or_b64 exec, exec, s[6:7]
	s_and_saveexec_b64 s[6:7], s[4:5]
	s_cbranch_execz .LBB1_12984
.LBB1_12983:
	v_bfe_u32 v6, v3, 16, 3
	v_ffbh_u32_e32 v14, v6
	v_min_u32_e32 v14, 32, v14
	v_lshrrev_b32_e32 v12, 19, v3
	v_subrev_u32_e32 v15, 28, v14
	v_and_b32_e32 v12, 15, v12
	v_lshlrev_b32_sdwa v15, v15, v3 dst_sel:DWORD dst_unused:UNUSED_PAD src0_sel:DWORD src1_sel:WORD_1
	v_bfe_u32 v13, v3, 19, 4
	v_sub_u32_e32 v14, 29, v14
	v_and_b32_e32 v15, 7, v15
	v_cmp_eq_u16_e32 vcc, 0, v12
	v_cndmask_b32_e32 v6, v6, v15, vcc
	v_cndmask_b32_e32 v12, v13, v14, vcc
	v_lshlrev_b32_e32 v13, 8, v3
	v_mov_b32_e32 v14, 0x3b800000
	v_lshlrev_b32_e32 v6, 20, v6
	v_and_b32_e32 v13, 0x80000000, v13
	v_lshl_add_u32 v12, v12, 23, v14
	v_or3_b32 v12, v13, v12, v6
.LBB1_12984:
	s_or_b64 exec, exec, s[6:7]
	s_nop 0
	v_mfma_f32_16x16x4f32 a[0:3], v2, v12, a[0:3]
	s_movk_i32 s4, 0x7f
	v_cmp_gt_i16_sdwa s[6:7], v7, s4 src0_sel:BYTE_3 src1_sel:DWORD
	s_mov_b64 s[4:5], 0
                                        ; implicit-def: $sgpr10
	s_and_saveexec_b64 s[8:9], s[6:7]
	s_xor_b64 s[6:7], exec, s[8:9]
	s_cbranch_execz .LBB1_12985
; %bb.48825:
	s_getpc_b64 s[14:15]
.Lpost_getpc10076:
	s_add_u32 s14, s14, (.LBB1_27321-.Lpost_getpc10076)&4294967295
	s_addc_u32 s15, s15, (.LBB1_27321-.Lpost_getpc10076)>>32
	s_setpc_b64 s[14:15]
.LBB1_12985:
	s_or_saveexec_b64 s[6:7], s[6:7]
	v_mov_b32_e32 v2, s10
	s_xor_b64 exec, exec, s[6:7]
	s_cbranch_execz .LBB1_12986
; %bb.48827:
	s_getpc_b64 s[14:15]
.Lpost_getpc10077:
	s_add_u32 s14, s14, (.LBB1_27324-.Lpost_getpc10077)&4294967295
	s_addc_u32 s15, s15, (.LBB1_27324-.Lpost_getpc10077)>>32
	s_setpc_b64 s[14:15]
.LBB1_12986:
	s_or_b64 exec, exec, s[6:7]
	s_and_saveexec_b64 s[6:7], s[4:5]
	s_cbranch_execz .LBB1_12988
.LBB1_12987:
	v_bfe_u32 v2, v7, 24, 3
	v_ffbh_u32_e32 v14, v2
	v_min_u32_e32 v14, 32, v14
	v_lshrrev_b32_e32 v12, 27, v7
	v_subrev_u32_e32 v15, 28, v14
	v_and_b32_e32 v6, 0x80000000, v7
	v_and_b32_e32 v12, 15, v12
	v_bfe_u32 v13, v7, 27, 4
	v_lshlrev_b32_sdwa v7, v15, v7 dst_sel:DWORD dst_unused:UNUSED_PAD src0_sel:DWORD src1_sel:BYTE_3
	v_sub_u32_e32 v14, 29, v14
	v_and_b32_e32 v7, 7, v7
	v_cmp_eq_u16_e32 vcc, 0, v12
	v_cndmask_b32_e32 v2, v2, v7, vcc
	v_cndmask_b32_e32 v7, v13, v14, vcc
	v_mov_b32_e32 v12, 0x3b800000
	v_lshlrev_b32_e32 v2, 20, v2
	v_lshl_add_u32 v7, v7, 23, v12
	v_or3_b32 v2, v6, v7, v2
.LBB1_12988:
	s_or_b64 exec, exec, s[6:7]
	s_movk_i32 s4, 0x7f
	v_cmp_gt_i16_sdwa s[6:7], v3, s4 src0_sel:BYTE_3 src1_sel:DWORD
	s_mov_b64 s[4:5], 0
                                        ; implicit-def: $sgpr10
	s_and_saveexec_b64 s[8:9], s[6:7]
	s_xor_b64 s[6:7], exec, s[8:9]
	s_cbranch_execz .LBB1_12989
; %bb.48829:
	s_getpc_b64 s[14:15]
.Lpost_getpc10078:
	s_add_u32 s14, s14, (.LBB1_27325-.Lpost_getpc10078)&4294967295
	s_addc_u32 s15, s15, (.LBB1_27325-.Lpost_getpc10078)>>32
	s_setpc_b64 s[14:15]
.LBB1_12989:
	s_or_saveexec_b64 s[6:7], s[6:7]
	v_mov_b32_e32 v6, s10
	s_xor_b64 exec, exec, s[6:7]
	s_cbranch_execz .LBB1_12990
; %bb.48831:
	s_getpc_b64 s[14:15]
.Lpost_getpc10079:
	s_add_u32 s14, s14, (.LBB1_27328-.Lpost_getpc10079)&4294967295
	s_addc_u32 s15, s15, (.LBB1_27328-.Lpost_getpc10079)>>32
	s_setpc_b64 s[14:15]
.LBB1_12990:
	s_or_b64 exec, exec, s[6:7]
	s_and_saveexec_b64 s[6:7], s[4:5]
	s_cbranch_execz .LBB1_12992
.LBB1_12991:
	v_bfe_u32 v6, v3, 24, 3
	v_ffbh_u32_e32 v14, v6
	v_min_u32_e32 v14, 32, v14
	v_lshrrev_b32_e32 v12, 27, v3
	v_subrev_u32_e32 v15, 28, v14
	v_and_b32_e32 v7, 0x80000000, v3
	v_and_b32_e32 v12, 15, v12
	v_bfe_u32 v13, v3, 27, 4
	v_lshlrev_b32_sdwa v3, v15, v3 dst_sel:DWORD dst_unused:UNUSED_PAD src0_sel:DWORD src1_sel:BYTE_3
	v_sub_u32_e32 v14, 29, v14
	v_and_b32_e32 v3, 7, v3
	v_cmp_eq_u16_e32 vcc, 0, v12
	v_cndmask_b32_e32 v3, v6, v3, vcc
	v_cndmask_b32_e32 v6, v13, v14, vcc
	v_mov_b32_e32 v12, 0x3b800000
	v_lshlrev_b32_e32 v3, 20, v3
	v_lshl_add_u32 v6, v6, 23, v12
	v_or3_b32 v6, v7, v6, v3
.LBB1_12992:
	s_or_b64 exec, exec, s[6:7]
	s_nop 0
	v_mfma_f32_16x16x4f32 a[0:3], v2, v6, a[0:3]
	s_movk_i32 s4, 0x7f
	v_cmp_gt_i16_sdwa s[6:7], v8, s4 src0_sel:BYTE_0 src1_sel:DWORD
	s_mov_b64 s[4:5], 0
                                        ; implicit-def: $sgpr10
	s_and_saveexec_b64 s[8:9], s[6:7]
	s_xor_b64 s[6:7], exec, s[8:9]
	s_cbranch_execz .LBB1_12993
; %bb.48833:
	s_getpc_b64 s[14:15]
.Lpost_getpc10080:
	s_add_u32 s14, s14, (.LBB1_27329-.Lpost_getpc10080)&4294967295
	s_addc_u32 s15, s15, (.LBB1_27329-.Lpost_getpc10080)>>32
	s_setpc_b64 s[14:15]
.LBB1_12993:
	s_or_saveexec_b64 s[6:7], s[6:7]
	v_mov_b32_e32 v2, s10
	s_xor_b64 exec, exec, s[6:7]
	s_cbranch_execz .LBB1_12994
; %bb.48835:
	s_getpc_b64 s[14:15]
.Lpost_getpc10081:
	s_add_u32 s14, s14, (.LBB1_27332-.Lpost_getpc10081)&4294967295
	s_addc_u32 s15, s15, (.LBB1_27332-.Lpost_getpc10081)>>32
	s_setpc_b64 s[14:15]
.LBB1_12994:
	s_or_b64 exec, exec, s[6:7]
	s_and_saveexec_b64 s[6:7], s[4:5]
	s_cbranch_execz .LBB1_12996
.LBB1_12995:
	v_and_b32_e32 v2, 7, v8
	v_ffbh_u32_e32 v6, v2
	v_min_u32_e32 v6, 32, v6
	v_lshrrev_b16_e32 v3, 3, v8
	v_subrev_u32_e32 v7, 28, v6
	v_and_b32_e32 v3, 15, v3
	v_lshlrev_b32_e32 v7, v7, v8
	v_sub_u32_e32 v6, 29, v6
	v_and_b32_e32 v7, 7, v7
	v_cmp_eq_u16_e32 vcc, 0, v3
	v_cndmask_b32_e32 v2, v2, v7, vcc
	v_cndmask_b32_e32 v3, v3, v6, vcc
	v_lshlrev_b32_e32 v6, 24, v8
	v_mov_b32_e32 v7, 0x3b800000
	v_lshlrev_b32_e32 v2, 20, v2
	v_and_b32_e32 v6, 0x80000000, v6
	v_lshl_add_u32 v3, v3, 23, v7
	v_or3_b32 v2, v6, v3, v2
.LBB1_12996:
	s_or_b64 exec, exec, s[6:7]
	s_movk_i32 s4, 0x7f
	v_cmp_gt_i16_sdwa s[6:7], v4, s4 src0_sel:BYTE_0 src1_sel:DWORD
	s_mov_b64 s[4:5], 0
                                        ; implicit-def: $sgpr10
	s_and_saveexec_b64 s[8:9], s[6:7]
	s_xor_b64 s[6:7], exec, s[8:9]
	s_cbranch_execz .LBB1_12997
; %bb.48837:
	s_getpc_b64 s[14:15]
.Lpost_getpc10082:
	s_add_u32 s14, s14, (.LBB1_27333-.Lpost_getpc10082)&4294967295
	s_addc_u32 s15, s15, (.LBB1_27333-.Lpost_getpc10082)>>32
	s_setpc_b64 s[14:15]
.LBB1_12997:
	s_or_saveexec_b64 s[6:7], s[6:7]
	v_mov_b32_e32 v3, s10
	s_xor_b64 exec, exec, s[6:7]
	s_cbranch_execz .LBB1_12998
; %bb.48839:
	s_getpc_b64 s[14:15]
.Lpost_getpc10083:
	s_add_u32 s14, s14, (.LBB1_27336-.Lpost_getpc10083)&4294967295
	s_addc_u32 s15, s15, (.LBB1_27336-.Lpost_getpc10083)>>32
	s_setpc_b64 s[14:15]
.LBB1_12998:
	s_or_b64 exec, exec, s[6:7]
	s_and_saveexec_b64 s[6:7], s[4:5]
	s_cbranch_execz .LBB1_13000
.LBB1_12999:
	v_and_b32_e32 v3, 7, v4
	v_ffbh_u32_e32 v7, v3
	v_min_u32_e32 v7, 32, v7
	v_lshrrev_b16_e32 v6, 3, v4
	v_subrev_u32_e32 v12, 28, v7
	v_and_b32_e32 v6, 15, v6
	v_lshlrev_b32_e32 v12, v12, v4
	v_sub_u32_e32 v7, 29, v7
	v_and_b32_e32 v12, 7, v12
	v_cmp_eq_u16_e32 vcc, 0, v6
	v_cndmask_b32_e32 v3, v3, v12, vcc
	v_cndmask_b32_e32 v6, v6, v7, vcc
	v_lshlrev_b32_e32 v7, 24, v4
	v_mov_b32_e32 v12, 0x3b800000
	v_lshlrev_b32_e32 v3, 20, v3
	v_and_b32_e32 v7, 0x80000000, v7
	v_lshl_add_u32 v6, v6, 23, v12
	v_or3_b32 v3, v7, v6, v3
.LBB1_13000:
	s_or_b64 exec, exec, s[6:7]
	s_nop 0
	v_mfma_f32_16x16x4f32 a[0:3], v2, v3, a[0:3]
	v_lshrrev_b32_e32 v3, 8, v8
	s_movk_i32 s4, 0x7f
	v_cmp_gt_i16_sdwa s[6:7], v3, s4 src0_sel:BYTE_0 src1_sel:DWORD
	s_mov_b64 s[4:5], 0
                                        ; implicit-def: $sgpr10
	s_and_saveexec_b64 s[8:9], s[6:7]
	s_xor_b64 s[6:7], exec, s[8:9]
	s_cbranch_execz .LBB1_13001
; %bb.48841:
	s_getpc_b64 s[14:15]
.Lpost_getpc10084:
	s_add_u32 s14, s14, (.LBB1_27337-.Lpost_getpc10084)&4294967295
	s_addc_u32 s15, s15, (.LBB1_27337-.Lpost_getpc10084)>>32
	s_setpc_b64 s[14:15]
.LBB1_13001:
	s_or_saveexec_b64 s[6:7], s[6:7]
	v_mov_b32_e32 v2, s10
	s_xor_b64 exec, exec, s[6:7]
	s_cbranch_execz .LBB1_13002
; %bb.48843:
	s_getpc_b64 s[14:15]
.Lpost_getpc10085:
	s_add_u32 s14, s14, (.LBB1_27340-.Lpost_getpc10085)&4294967295
	s_addc_u32 s15, s15, (.LBB1_27340-.Lpost_getpc10085)>>32
	s_setpc_b64 s[14:15]
.LBB1_13002:
	s_or_b64 exec, exec, s[6:7]
	s_and_saveexec_b64 s[6:7], s[4:5]
	s_cbranch_execz .LBB1_13004
.LBB1_13003:
	v_bfe_u32 v2, v8, 8, 3
	v_ffbh_u32_e32 v7, v2
	v_min_u32_e32 v7, 32, v7
	v_lshrrev_b16_e32 v6, 3, v3
	v_subrev_u32_e32 v12, 28, v7
	v_and_b32_e32 v6, 15, v6
	v_lshlrev_b32_e32 v3, v12, v3
	v_sub_u32_e32 v7, 29, v7
	v_and_b32_e32 v3, 7, v3
	v_cmp_eq_u16_e32 vcc, 0, v6
	v_cndmask_b32_e32 v2, v2, v3, vcc
	v_cndmask_b32_e32 v3, v6, v7, vcc
	v_lshlrev_b32_e32 v6, 16, v8
	v_mov_b32_e32 v7, 0x3b800000
	v_lshlrev_b32_e32 v2, 20, v2
	v_and_b32_e32 v6, 0x80000000, v6
	v_lshl_add_u32 v3, v3, 23, v7
	v_or3_b32 v2, v6, v3, v2
.LBB1_13004:
	s_or_b64 exec, exec, s[6:7]
	v_lshrrev_b32_e32 v3, 8, v4
	s_movk_i32 s4, 0x7f
	v_cmp_gt_i16_sdwa s[6:7], v3, s4 src0_sel:BYTE_0 src1_sel:DWORD
	s_mov_b64 s[4:5], 0
                                        ; implicit-def: $sgpr10
	s_and_saveexec_b64 s[8:9], s[6:7]
	s_xor_b64 s[6:7], exec, s[8:9]
	s_cbranch_execz .LBB1_13005
; %bb.48845:
	s_getpc_b64 s[14:15]
.Lpost_getpc10086:
	s_add_u32 s14, s14, (.LBB1_27341-.Lpost_getpc10086)&4294967295
	s_addc_u32 s15, s15, (.LBB1_27341-.Lpost_getpc10086)>>32
	s_setpc_b64 s[14:15]
.LBB1_13005:
	s_or_saveexec_b64 s[6:7], s[6:7]
	v_mov_b32_e32 v6, s10
	s_xor_b64 exec, exec, s[6:7]
	s_cbranch_execz .LBB1_13006
; %bb.48847:
	s_getpc_b64 s[14:15]
.Lpost_getpc10087:
	s_add_u32 s14, s14, (.LBB1_27344-.Lpost_getpc10087)&4294967295
	s_addc_u32 s15, s15, (.LBB1_27344-.Lpost_getpc10087)>>32
	s_setpc_b64 s[14:15]
.LBB1_13006:
	s_or_b64 exec, exec, s[6:7]
	s_and_saveexec_b64 s[6:7], s[4:5]
	s_cbranch_execz .LBB1_13008
.LBB1_13007:
	v_bfe_u32 v6, v4, 8, 3
	v_ffbh_u32_e32 v12, v6
	v_min_u32_e32 v12, 32, v12
	v_lshrrev_b16_e32 v7, 3, v3
	v_subrev_u32_e32 v13, 28, v12
	v_and_b32_e32 v7, 15, v7
	v_lshlrev_b32_e32 v3, v13, v3
	v_sub_u32_e32 v12, 29, v12
	v_and_b32_e32 v3, 7, v3
	v_cmp_eq_u16_e32 vcc, 0, v7
	v_cndmask_b32_e32 v3, v6, v3, vcc
	v_cndmask_b32_e32 v6, v7, v12, vcc
	v_lshlrev_b32_e32 v7, 16, v4
	v_mov_b32_e32 v12, 0x3b800000
	v_lshlrev_b32_e32 v3, 20, v3
	v_and_b32_e32 v7, 0x80000000, v7
	v_lshl_add_u32 v6, v6, 23, v12
	v_or3_b32 v6, v7, v6, v3
.LBB1_13008:
	s_or_b64 exec, exec, s[6:7]
	s_nop 0
	v_mfma_f32_16x16x4f32 a[0:3], v2, v6, a[0:3]
	s_movk_i32 s4, 0xff
	v_and_b32_sdwa v3, v8, s4 dst_sel:DWORD dst_unused:UNUSED_PAD src0_sel:WORD_1 src1_sel:DWORD
	s_movk_i32 s4, 0x7f
	v_cmp_lt_i16_e32 vcc, s4, v3
	s_mov_b64 s[4:5], 0
                                        ; implicit-def: $sgpr10
	s_and_saveexec_b64 s[6:7], vcc
	s_xor_b64 s[6:7], exec, s[6:7]
	s_cbranch_execz .LBB1_13009
; %bb.48849:
	s_getpc_b64 s[14:15]
.Lpost_getpc10088:
	s_add_u32 s14, s14, (.LBB1_27345-.Lpost_getpc10088)&4294967295
	s_addc_u32 s15, s15, (.LBB1_27345-.Lpost_getpc10088)>>32
	s_setpc_b64 s[14:15]
.LBB1_13009:
	s_or_saveexec_b64 s[6:7], s[6:7]
	v_mov_b32_e32 v2, s10
	s_xor_b64 exec, exec, s[6:7]
	s_cbranch_execz .LBB1_13010
; %bb.48851:
	s_getpc_b64 s[14:15]
.Lpost_getpc10089:
	s_add_u32 s14, s14, (.LBB1_27348-.Lpost_getpc10089)&4294967295
	s_addc_u32 s15, s15, (.LBB1_27348-.Lpost_getpc10089)>>32
	s_setpc_b64 s[14:15]
.LBB1_13010:
	s_or_b64 exec, exec, s[6:7]
	s_and_saveexec_b64 s[6:7], s[4:5]
	s_cbranch_execz .LBB1_13012
.LBB1_13011:
	v_bfe_u32 v2, v8, 16, 3
	v_ffbh_u32_e32 v7, v2
	v_min_u32_e32 v7, 32, v7
	v_lshrrev_b32_e32 v3, 19, v8
	v_subrev_u32_e32 v12, 28, v7
	v_and_b32_e32 v3, 15, v3
	v_lshlrev_b32_sdwa v12, v12, v8 dst_sel:DWORD dst_unused:UNUSED_PAD src0_sel:DWORD src1_sel:WORD_1
	v_bfe_u32 v6, v8, 19, 4
	v_sub_u32_e32 v7, 29, v7
	v_and_b32_e32 v12, 7, v12
	v_cmp_eq_u16_e32 vcc, 0, v3
	v_cndmask_b32_e32 v2, v2, v12, vcc
	v_cndmask_b32_e32 v3, v6, v7, vcc
	v_lshlrev_b32_e32 v6, 8, v8
	v_mov_b32_e32 v7, 0x3b800000
	v_lshlrev_b32_e32 v2, 20, v2
	v_and_b32_e32 v6, 0x80000000, v6
	v_lshl_add_u32 v3, v3, 23, v7
	v_or3_b32 v2, v6, v3, v2
.LBB1_13012:
	s_or_b64 exec, exec, s[6:7]
	s_movk_i32 s4, 0xff
	v_and_b32_sdwa v3, v4, s4 dst_sel:DWORD dst_unused:UNUSED_PAD src0_sel:WORD_1 src1_sel:DWORD
	s_movk_i32 s4, 0x7f
	v_cmp_lt_i16_e32 vcc, s4, v3
	s_mov_b64 s[4:5], 0
                                        ; implicit-def: $sgpr10
	s_and_saveexec_b64 s[6:7], vcc
	s_xor_b64 s[6:7], exec, s[6:7]
	s_cbranch_execz .LBB1_13013
; %bb.48853:
	s_getpc_b64 s[14:15]
.Lpost_getpc10090:
	s_add_u32 s14, s14, (.LBB1_27349-.Lpost_getpc10090)&4294967295
	s_addc_u32 s15, s15, (.LBB1_27349-.Lpost_getpc10090)>>32
	s_setpc_b64 s[14:15]
.LBB1_13013:
	s_or_saveexec_b64 s[6:7], s[6:7]
	v_mov_b32_e32 v6, s10
	s_xor_b64 exec, exec, s[6:7]
	s_cbranch_execz .LBB1_13014
; %bb.48855:
	s_getpc_b64 s[14:15]
.Lpost_getpc10091:
	s_add_u32 s14, s14, (.LBB1_27352-.Lpost_getpc10091)&4294967295
	s_addc_u32 s15, s15, (.LBB1_27352-.Lpost_getpc10091)>>32
	s_setpc_b64 s[14:15]
.LBB1_13014:
	s_or_b64 exec, exec, s[6:7]
	s_and_saveexec_b64 s[6:7], s[4:5]
	s_cbranch_execz .LBB1_13016
.LBB1_13015:
	v_bfe_u32 v3, v4, 16, 3
	v_ffbh_u32_e32 v12, v3
	v_min_u32_e32 v12, 32, v12
	v_lshrrev_b32_e32 v6, 19, v4
	v_subrev_u32_e32 v13, 28, v12
	v_and_b32_e32 v6, 15, v6
	v_lshlrev_b32_sdwa v13, v13, v4 dst_sel:DWORD dst_unused:UNUSED_PAD src0_sel:DWORD src1_sel:WORD_1
	v_bfe_u32 v7, v4, 19, 4
	v_sub_u32_e32 v12, 29, v12
	v_and_b32_e32 v13, 7, v13
	v_cmp_eq_u16_e32 vcc, 0, v6
	v_cndmask_b32_e32 v3, v3, v13, vcc
	v_cndmask_b32_e32 v6, v7, v12, vcc
	v_lshlrev_b32_e32 v7, 8, v4
	v_mov_b32_e32 v12, 0x3b800000
	v_lshlrev_b32_e32 v3, 20, v3
	v_and_b32_e32 v7, 0x80000000, v7
	v_lshl_add_u32 v6, v6, 23, v12
	v_or3_b32 v6, v7, v6, v3
.LBB1_13016:
	s_or_b64 exec, exec, s[6:7]
	s_nop 0
	v_mfma_f32_16x16x4f32 a[0:3], v2, v6, a[0:3]
	s_movk_i32 s4, 0x7f
	v_cmp_gt_i16_sdwa s[6:7], v8, s4 src0_sel:BYTE_3 src1_sel:DWORD
	s_mov_b64 s[4:5], 0
                                        ; implicit-def: $sgpr10
	s_and_saveexec_b64 s[8:9], s[6:7]
	s_xor_b64 s[6:7], exec, s[8:9]
	s_cbranch_execz .LBB1_13017
; %bb.48857:
	s_getpc_b64 s[14:15]
.Lpost_getpc10092:
	s_add_u32 s14, s14, (.LBB1_27353-.Lpost_getpc10092)&4294967295
	s_addc_u32 s15, s15, (.LBB1_27353-.Lpost_getpc10092)>>32
	s_setpc_b64 s[14:15]
.LBB1_13017:
	s_or_saveexec_b64 s[6:7], s[6:7]
	v_mov_b32_e32 v2, s10
	s_xor_b64 exec, exec, s[6:7]
	s_cbranch_execz .LBB1_13018
; %bb.48859:
	s_getpc_b64 s[14:15]
.Lpost_getpc10093:
	s_add_u32 s14, s14, (.LBB1_27356-.Lpost_getpc10093)&4294967295
	s_addc_u32 s15, s15, (.LBB1_27356-.Lpost_getpc10093)>>32
	s_setpc_b64 s[14:15]
.LBB1_13018:
	s_or_b64 exec, exec, s[6:7]
	s_and_saveexec_b64 s[6:7], s[4:5]
	s_cbranch_execz .LBB1_13020
.LBB1_13019:
	v_bfe_u32 v2, v8, 24, 3
	v_ffbh_u32_e32 v12, v2
	v_min_u32_e32 v12, 32, v12
	v_lshrrev_b32_e32 v6, 27, v8
	v_subrev_u32_e32 v13, 28, v12
	v_and_b32_e32 v3, 0x80000000, v8
	v_and_b32_e32 v6, 15, v6
	v_bfe_u32 v7, v8, 27, 4
	v_lshlrev_b32_sdwa v8, v13, v8 dst_sel:DWORD dst_unused:UNUSED_PAD src0_sel:DWORD src1_sel:BYTE_3
	v_sub_u32_e32 v12, 29, v12
	v_and_b32_e32 v8, 7, v8
	v_cmp_eq_u16_e32 vcc, 0, v6
	v_cndmask_b32_e32 v2, v2, v8, vcc
	v_cndmask_b32_e32 v6, v7, v12, vcc
	v_mov_b32_e32 v7, 0x3b800000
	v_lshlrev_b32_e32 v2, 20, v2
	v_lshl_add_u32 v6, v6, 23, v7
	v_or3_b32 v2, v3, v6, v2
.LBB1_13020:
	s_or_b64 exec, exec, s[6:7]
	s_movk_i32 s4, 0x7f
	v_cmp_gt_i16_sdwa s[6:7], v4, s4 src0_sel:BYTE_3 src1_sel:DWORD
	s_mov_b64 s[4:5], 0
                                        ; implicit-def: $sgpr10
	s_and_saveexec_b64 s[8:9], s[6:7]
	s_xor_b64 s[6:7], exec, s[8:9]
	s_cbranch_execz .LBB1_13021
; %bb.48861:
	s_getpc_b64 s[14:15]
.Lpost_getpc10094:
	s_add_u32 s14, s14, (.LBB1_27357-.Lpost_getpc10094)&4294967295
	s_addc_u32 s15, s15, (.LBB1_27357-.Lpost_getpc10094)>>32
	s_setpc_b64 s[14:15]
.LBB1_13021:
	s_or_saveexec_b64 s[6:7], s[6:7]
	v_mov_b32_e32 v3, s10
	s_xor_b64 exec, exec, s[6:7]
	s_cbranch_execz .LBB1_13022
; %bb.48863:
	s_getpc_b64 s[14:15]
.Lpost_getpc10095:
	s_add_u32 s14, s14, (.LBB1_27360-.Lpost_getpc10095)&4294967295
	s_addc_u32 s15, s15, (.LBB1_27360-.Lpost_getpc10095)>>32
	s_setpc_b64 s[14:15]
.LBB1_13022:
	s_or_b64 exec, exec, s[6:7]
	s_and_saveexec_b64 s[6:7], s[4:5]
	s_cbranch_execz .LBB1_13024
.LBB1_13023:
	v_bfe_u32 v3, v4, 24, 3
	v_ffbh_u32_e32 v12, v3
	v_min_u32_e32 v12, 32, v12
	v_lshrrev_b32_e32 v7, 27, v4
	v_subrev_u32_e32 v13, 28, v12
	v_and_b32_e32 v6, 0x80000000, v4
	v_and_b32_e32 v7, 15, v7
	v_bfe_u32 v8, v4, 27, 4
	v_lshlrev_b32_sdwa v4, v13, v4 dst_sel:DWORD dst_unused:UNUSED_PAD src0_sel:DWORD src1_sel:BYTE_3
	v_sub_u32_e32 v12, 29, v12
	v_and_b32_e32 v4, 7, v4
	v_cmp_eq_u16_e32 vcc, 0, v7
	v_cndmask_b32_e32 v3, v3, v4, vcc
	v_cndmask_b32_e32 v4, v8, v12, vcc
	v_mov_b32_e32 v7, 0x3b800000
	v_lshlrev_b32_e32 v3, 20, v3
	v_lshl_add_u32 v4, v4, 23, v7
	v_or3_b32 v3, v6, v4, v3
.LBB1_13024:
	s_or_b64 exec, exec, s[6:7]
	s_nop 0
	v_mfma_f32_16x16x4f32 a[0:3], v2, v3, a[0:3]
	s_movk_i32 s4, 0x7f
	v_cmp_gt_i16_sdwa s[6:7], v9, s4 src0_sel:BYTE_0 src1_sel:DWORD
	s_mov_b64 s[4:5], 0
                                        ; implicit-def: $sgpr10
	s_and_saveexec_b64 s[8:9], s[6:7]
	s_xor_b64 s[6:7], exec, s[8:9]
	s_cbranch_execz .LBB1_13025
; %bb.48865:
	s_getpc_b64 s[14:15]
.Lpost_getpc10096:
	s_add_u32 s14, s14, (.LBB1_27361-.Lpost_getpc10096)&4294967295
	s_addc_u32 s15, s15, (.LBB1_27361-.Lpost_getpc10096)>>32
	s_setpc_b64 s[14:15]
.LBB1_13025:
	s_or_saveexec_b64 s[6:7], s[6:7]
	v_mov_b32_e32 v2, s10
	s_xor_b64 exec, exec, s[6:7]
	s_cbranch_execz .LBB1_13026
; %bb.48867:
	s_getpc_b64 s[14:15]
.Lpost_getpc10097:
	s_add_u32 s14, s14, (.LBB1_27364-.Lpost_getpc10097)&4294967295
	s_addc_u32 s15, s15, (.LBB1_27364-.Lpost_getpc10097)>>32
	s_setpc_b64 s[14:15]
.LBB1_13026:
	s_or_b64 exec, exec, s[6:7]
	s_and_saveexec_b64 s[6:7], s[4:5]
	s_cbranch_execz .LBB1_13028
.LBB1_13027:
	v_mov_b32_e32 v2, 8
	v_and_b32_e32 v3, 7, v9
	v_lshrrev_b32_sdwa v2, v2, v9 dst_sel:BYTE_1 dst_unused:UNUSED_PAD src0_sel:DWORD src1_sel:DWORD
	v_ffbh_u32_e32 v4, v3
	v_or_b32_sdwa v2, v9, v2 dst_sel:DWORD dst_unused:UNUSED_PAD src0_sel:BYTE_0 src1_sel:DWORD
	v_min_u32_e32 v4, 32, v4
	v_lshrrev_b16_e32 v2, 3, v2
	v_subrev_u32_e32 v6, 28, v4
	v_and_b32_e32 v2, 15, v2
	v_lshlrev_b32_e32 v6, v6, v9
	v_sub_u32_e32 v4, 29, v4
	v_and_b32_e32 v6, 7, v6
	v_cmp_eq_u16_e32 vcc, 0, v2
	v_cndmask_b32_e32 v3, v3, v6, vcc
	v_cndmask_b32_e32 v2, v2, v4, vcc
	v_lshlrev_b32_e32 v4, 24, v9
	v_mov_b32_e32 v6, 0x3b800000
	v_lshlrev_b32_e32 v3, 20, v3
	v_and_b32_e32 v4, 0x80000000, v4
	v_lshl_add_u32 v2, v2, 23, v6
	v_or3_b32 v2, v4, v2, v3
.LBB1_13028:
	s_or_b64 exec, exec, s[6:7]
	s_movk_i32 s4, 0x7f
	v_cmp_gt_i16_sdwa s[6:7], v5, s4 src0_sel:BYTE_0 src1_sel:DWORD
	s_mov_b64 s[4:5], 0
                                        ; implicit-def: $sgpr10
	s_and_saveexec_b64 s[8:9], s[6:7]
	s_xor_b64 s[6:7], exec, s[8:9]
	s_cbranch_execz .LBB1_13029
; %bb.48869:
	s_getpc_b64 s[14:15]
.Lpost_getpc10098:
	s_add_u32 s14, s14, (.LBB1_27365-.Lpost_getpc10098)&4294967295
	s_addc_u32 s15, s15, (.LBB1_27365-.Lpost_getpc10098)>>32
	s_setpc_b64 s[14:15]
.LBB1_13029:
	s_or_saveexec_b64 s[6:7], s[6:7]
	v_mov_b32_e32 v3, s10
	s_xor_b64 exec, exec, s[6:7]
	s_cbranch_execz .LBB1_13030
; %bb.48871:
	s_getpc_b64 s[14:15]
.Lpost_getpc10099:
	s_add_u32 s14, s14, (.LBB1_27368-.Lpost_getpc10099)&4294967295
	s_addc_u32 s15, s15, (.LBB1_27368-.Lpost_getpc10099)>>32
	s_setpc_b64 s[14:15]
.LBB1_13030:
	s_or_b64 exec, exec, s[6:7]
	s_and_saveexec_b64 s[6:7], s[4:5]
	s_cbranch_execz .LBB1_13032
.LBB1_13031:
	v_mov_b32_e32 v3, 8
	v_and_b32_e32 v4, 7, v5
	v_lshrrev_b32_sdwa v3, v3, v5 dst_sel:BYTE_1 dst_unused:UNUSED_PAD src0_sel:DWORD src1_sel:DWORD
	v_ffbh_u32_e32 v6, v4
	v_or_b32_sdwa v3, v5, v3 dst_sel:DWORD dst_unused:UNUSED_PAD src0_sel:BYTE_0 src1_sel:DWORD
	v_min_u32_e32 v6, 32, v6
	v_lshrrev_b16_e32 v3, 3, v3
	v_subrev_u32_e32 v7, 28, v6
	v_and_b32_e32 v3, 15, v3
	v_lshlrev_b32_e32 v7, v7, v5
	v_sub_u32_e32 v6, 29, v6
	v_and_b32_e32 v7, 7, v7
	v_cmp_eq_u16_e32 vcc, 0, v3
	v_cndmask_b32_e32 v4, v4, v7, vcc
	v_cndmask_b32_e32 v3, v3, v6, vcc
	v_lshlrev_b32_e32 v6, 24, v5
	v_mov_b32_e32 v7, 0x3b800000
	v_lshlrev_b32_e32 v4, 20, v4
	v_and_b32_e32 v6, 0x80000000, v6
	v_lshl_add_u32 v3, v3, 23, v7
	v_or3_b32 v3, v6, v3, v4
.LBB1_13032:
	s_or_b64 exec, exec, s[6:7]
	s_nop 0
	v_mfma_f32_16x16x4f32 a[0:3], v2, v3, a[0:3]
	v_lshrrev_b32_e32 v3, 8, v9
	s_movk_i32 s4, 0x7f
	v_cmp_gt_i16_sdwa s[6:7], v3, s4 src0_sel:BYTE_0 src1_sel:DWORD
	s_mov_b64 s[4:5], 0
                                        ; implicit-def: $sgpr10
	s_and_saveexec_b64 s[8:9], s[6:7]
	s_xor_b64 s[6:7], exec, s[8:9]
	s_cbranch_execz .LBB1_13033
; %bb.48873:
	s_getpc_b64 s[14:15]
.Lpost_getpc10100:
	s_add_u32 s14, s14, (.LBB1_27369-.Lpost_getpc10100)&4294967295
	s_addc_u32 s15, s15, (.LBB1_27369-.Lpost_getpc10100)>>32
	s_setpc_b64 s[14:15]
.LBB1_13033:
	s_or_saveexec_b64 s[6:7], s[6:7]
	v_mov_b32_e32 v2, s10
	s_xor_b64 exec, exec, s[6:7]
	s_cbranch_execz .LBB1_13034
; %bb.48875:
	s_getpc_b64 s[14:15]
.Lpost_getpc10101:
	s_add_u32 s14, s14, (.LBB1_27372-.Lpost_getpc10101)&4294967295
	s_addc_u32 s15, s15, (.LBB1_27372-.Lpost_getpc10101)>>32
	s_setpc_b64 s[14:15]
.LBB1_13034:
	s_or_b64 exec, exec, s[6:7]
	s_and_saveexec_b64 s[6:7], s[4:5]
	s_cbranch_execz .LBB1_13036
.LBB1_13035:
	v_bfe_u32 v2, v9, 8, 3
	v_ffbh_u32_e32 v6, v2
	v_min_u32_e32 v6, 32, v6
	v_lshrrev_b16_e32 v4, 3, v3
	v_subrev_u32_e32 v7, 28, v6
	v_and_b32_e32 v4, 15, v4
	v_lshlrev_b32_e32 v3, v7, v3
	v_sub_u32_e32 v6, 29, v6
	v_and_b32_e32 v3, 7, v3
	v_cmp_eq_u16_e32 vcc, 0, v4
	v_cndmask_b32_e32 v2, v2, v3, vcc
	v_cndmask_b32_e32 v3, v4, v6, vcc
	v_lshlrev_b32_e32 v4, 16, v9
	v_mov_b32_e32 v6, 0x3b800000
	v_lshlrev_b32_e32 v2, 20, v2
	v_and_b32_e32 v4, 0x80000000, v4
	v_lshl_add_u32 v3, v3, 23, v6
	v_or3_b32 v2, v4, v3, v2
.LBB1_13036:
	s_or_b64 exec, exec, s[6:7]
	v_lshrrev_b32_e32 v3, 8, v5
	s_movk_i32 s4, 0x7f
	v_cmp_gt_i16_sdwa s[6:7], v3, s4 src0_sel:BYTE_0 src1_sel:DWORD
	s_mov_b64 s[4:5], 0
                                        ; implicit-def: $sgpr10
	s_and_saveexec_b64 s[8:9], s[6:7]
	s_xor_b64 s[6:7], exec, s[8:9]
	s_cbranch_execz .LBB1_13037
; %bb.48877:
	s_getpc_b64 s[14:15]
.Lpost_getpc10102:
	s_add_u32 s14, s14, (.LBB1_27373-.Lpost_getpc10102)&4294967295
	s_addc_u32 s15, s15, (.LBB1_27373-.Lpost_getpc10102)>>32
	s_setpc_b64 s[14:15]
.LBB1_13037:
	s_or_saveexec_b64 s[6:7], s[6:7]
	v_mov_b32_e32 v4, s10
	s_xor_b64 exec, exec, s[6:7]
	s_cbranch_execz .LBB1_13038
; %bb.48879:
	s_getpc_b64 s[14:15]
.Lpost_getpc10103:
	s_add_u32 s14, s14, (.LBB1_27376-.Lpost_getpc10103)&4294967295
	s_addc_u32 s15, s15, (.LBB1_27376-.Lpost_getpc10103)>>32
	s_setpc_b64 s[14:15]
.LBB1_13038:
	s_or_b64 exec, exec, s[6:7]
	s_and_saveexec_b64 s[6:7], s[4:5]
	s_cbranch_execz .LBB1_13040
.LBB1_13039:
	v_bfe_u32 v4, v5, 8, 3
	v_ffbh_u32_e32 v7, v4
	v_min_u32_e32 v7, 32, v7
	v_lshrrev_b16_e32 v6, 3, v3
	v_subrev_u32_e32 v8, 28, v7
	v_and_b32_e32 v6, 15, v6
	v_lshlrev_b32_e32 v3, v8, v3
	v_sub_u32_e32 v7, 29, v7
	v_and_b32_e32 v3, 7, v3
	v_cmp_eq_u16_e32 vcc, 0, v6
	v_cndmask_b32_e32 v3, v4, v3, vcc
	v_cndmask_b32_e32 v4, v6, v7, vcc
	v_lshlrev_b32_e32 v6, 16, v5
	v_mov_b32_e32 v7, 0x3b800000
	v_lshlrev_b32_e32 v3, 20, v3
	v_and_b32_e32 v6, 0x80000000, v6
	v_lshl_add_u32 v4, v4, 23, v7
	v_or3_b32 v4, v6, v4, v3
.LBB1_13040:
	s_or_b64 exec, exec, s[6:7]
	s_nop 0
	v_mfma_f32_16x16x4f32 a[0:3], v2, v4, a[0:3]
	s_movk_i32 s4, 0xff
	v_and_b32_sdwa v3, v9, s4 dst_sel:DWORD dst_unused:UNUSED_PAD src0_sel:WORD_1 src1_sel:DWORD
	s_movk_i32 s4, 0x7f
	v_cmp_lt_i16_e32 vcc, s4, v3
	s_mov_b64 s[4:5], 0
                                        ; implicit-def: $sgpr10
	s_and_saveexec_b64 s[6:7], vcc
	s_xor_b64 s[6:7], exec, s[6:7]
	s_cbranch_execz .LBB1_13041
; %bb.48881:
	s_getpc_b64 s[14:15]
.Lpost_getpc10104:
	s_add_u32 s14, s14, (.LBB1_27377-.Lpost_getpc10104)&4294967295
	s_addc_u32 s15, s15, (.LBB1_27377-.Lpost_getpc10104)>>32
	s_setpc_b64 s[14:15]
.LBB1_13041:
	s_or_saveexec_b64 s[6:7], s[6:7]
	v_mov_b32_e32 v2, s10
	s_xor_b64 exec, exec, s[6:7]
	s_cbranch_execz .LBB1_13042
; %bb.48883:
	s_getpc_b64 s[14:15]
.Lpost_getpc10105:
	s_add_u32 s14, s14, (.LBB1_27380-.Lpost_getpc10105)&4294967295
	s_addc_u32 s15, s15, (.LBB1_27380-.Lpost_getpc10105)>>32
	s_setpc_b64 s[14:15]
.LBB1_13042:
	s_or_b64 exec, exec, s[6:7]
	s_and_saveexec_b64 s[6:7], s[4:5]
	s_cbranch_execz .LBB1_13044
.LBB1_13043:
	v_bfe_u32 v2, v9, 16, 3
	v_ffbh_u32_e32 v6, v2
	v_min_u32_e32 v6, 32, v6
	v_lshrrev_b32_e32 v3, 19, v9
	v_subrev_u32_e32 v7, 28, v6
	v_and_b32_e32 v3, 15, v3
	v_lshlrev_b32_sdwa v7, v7, v9 dst_sel:DWORD dst_unused:UNUSED_PAD src0_sel:DWORD src1_sel:WORD_1
	v_bfe_u32 v4, v9, 19, 4
	v_sub_u32_e32 v6, 29, v6
	v_and_b32_e32 v7, 7, v7
	v_cmp_eq_u16_e32 vcc, 0, v3
	v_cndmask_b32_e32 v2, v2, v7, vcc
	v_cndmask_b32_e32 v3, v4, v6, vcc
	v_lshlrev_b32_e32 v4, 8, v9
	v_mov_b32_e32 v6, 0x3b800000
	v_lshlrev_b32_e32 v2, 20, v2
	v_and_b32_e32 v4, 0x80000000, v4
	v_lshl_add_u32 v3, v3, 23, v6
	v_or3_b32 v2, v4, v3, v2
.LBB1_13044:
	s_or_b64 exec, exec, s[6:7]
	s_movk_i32 s4, 0xff
	v_and_b32_sdwa v3, v5, s4 dst_sel:DWORD dst_unused:UNUSED_PAD src0_sel:WORD_1 src1_sel:DWORD
	s_movk_i32 s4, 0x7f
	v_cmp_lt_i16_e32 vcc, s4, v3
	s_mov_b64 s[4:5], 0
                                        ; implicit-def: $sgpr10
	s_and_saveexec_b64 s[6:7], vcc
	s_xor_b64 s[6:7], exec, s[6:7]
	s_cbranch_execz .LBB1_13045
; %bb.48885:
	s_getpc_b64 s[14:15]
.Lpost_getpc10106:
	s_add_u32 s14, s14, (.LBB1_27381-.Lpost_getpc10106)&4294967295
	s_addc_u32 s15, s15, (.LBB1_27381-.Lpost_getpc10106)>>32
	s_setpc_b64 s[14:15]
.LBB1_13045:
	s_or_saveexec_b64 s[6:7], s[6:7]
	v_mov_b32_e32 v4, s10
	s_xor_b64 exec, exec, s[6:7]
	s_cbranch_execz .LBB1_13046
; %bb.48887:
	s_getpc_b64 s[14:15]
.Lpost_getpc10107:
	s_add_u32 s14, s14, (.LBB1_27384-.Lpost_getpc10107)&4294967295
	s_addc_u32 s15, s15, (.LBB1_27384-.Lpost_getpc10107)>>32
	s_setpc_b64 s[14:15]
.LBB1_13046:
	s_or_b64 exec, exec, s[6:7]
	s_and_saveexec_b64 s[6:7], s[4:5]
	s_cbranch_execz .LBB1_13048
.LBB1_13047:
	v_bfe_u32 v3, v5, 16, 3
	v_ffbh_u32_e32 v7, v3
	v_min_u32_e32 v7, 32, v7
	v_lshrrev_b32_e32 v4, 19, v5
	v_subrev_u32_e32 v8, 28, v7
	v_and_b32_e32 v4, 15, v4
	v_lshlrev_b32_sdwa v8, v8, v5 dst_sel:DWORD dst_unused:UNUSED_PAD src0_sel:DWORD src1_sel:WORD_1
	v_bfe_u32 v6, v5, 19, 4
	v_sub_u32_e32 v7, 29, v7
	v_and_b32_e32 v8, 7, v8
	v_cmp_eq_u16_e32 vcc, 0, v4
	v_cndmask_b32_e32 v3, v3, v8, vcc
	v_cndmask_b32_e32 v4, v6, v7, vcc
	v_lshlrev_b32_e32 v6, 8, v5
	v_mov_b32_e32 v7, 0x3b800000
	v_lshlrev_b32_e32 v3, 20, v3
	v_and_b32_e32 v6, 0x80000000, v6
	v_lshl_add_u32 v4, v4, 23, v7
	v_or3_b32 v4, v6, v4, v3
.LBB1_13048:
	s_or_b64 exec, exec, s[6:7]
	s_nop 0
	v_mfma_f32_16x16x4f32 a[0:3], v2, v4, a[0:3]
	s_movk_i32 s4, 0x7f
	v_cmp_gt_i16_sdwa s[6:7], v9, s4 src0_sel:BYTE_3 src1_sel:DWORD
	s_mov_b64 s[4:5], 0
                                        ; implicit-def: $sgpr10
	s_and_saveexec_b64 s[8:9], s[6:7]
	s_xor_b64 s[6:7], exec, s[8:9]
	s_cbranch_execz .LBB1_13049
; %bb.48889:
	s_getpc_b64 s[14:15]
.Lpost_getpc10108:
	s_add_u32 s14, s14, (.LBB1_27385-.Lpost_getpc10108)&4294967295
	s_addc_u32 s15, s15, (.LBB1_27385-.Lpost_getpc10108)>>32
	s_setpc_b64 s[14:15]
.LBB1_13049:
	s_or_saveexec_b64 s[6:7], s[6:7]
	v_mov_b32_e32 v2, s10
	s_xor_b64 exec, exec, s[6:7]
	s_cbranch_execz .LBB1_13050
; %bb.48891:
	s_getpc_b64 s[14:15]
.Lpost_getpc10109:
	s_add_u32 s14, s14, (.LBB1_27388-.Lpost_getpc10109)&4294967295
	s_addc_u32 s15, s15, (.LBB1_27388-.Lpost_getpc10109)>>32
	s_setpc_b64 s[14:15]
.LBB1_13050:
	s_or_b64 exec, exec, s[6:7]
	s_and_saveexec_b64 s[6:7], s[4:5]
	s_cbranch_execz .LBB1_13052
.LBB1_13051:
	v_bfe_u32 v2, v9, 24, 3
	v_ffbh_u32_e32 v7, v2
	v_min_u32_e32 v7, 32, v7
	v_lshrrev_b32_e32 v4, 27, v9
	v_subrev_u32_e32 v8, 28, v7
	v_and_b32_e32 v4, 15, v4
	v_lshlrev_b32_sdwa v8, v8, v9 dst_sel:DWORD dst_unused:UNUSED_PAD src0_sel:DWORD src1_sel:BYTE_3
	v_bfe_u32 v6, v9, 27, 4
	v_sub_u32_e32 v7, 29, v7
	v_and_b32_e32 v8, 7, v8
	v_cmp_eq_u16_e32 vcc, 0, v4
	v_cndmask_b32_e32 v2, v2, v8, vcc
	v_cndmask_b32_e32 v4, v6, v7, vcc
	v_mov_b32_e32 v6, 0x3b800000
	v_and_b32_e32 v3, 0x80000000, v9
	v_lshlrev_b32_e32 v2, 20, v2
	v_lshl_add_u32 v4, v4, 23, v6
	v_or3_b32 v2, v3, v4, v2
.LBB1_13052:
	s_or_b64 exec, exec, s[6:7]
	s_movk_i32 s4, 0x7f
	v_cmp_gt_i16_sdwa s[6:7], v5, s4 src0_sel:BYTE_3 src1_sel:DWORD
	s_mov_b64 s[4:5], 0
                                        ; implicit-def: $sgpr10
	s_and_saveexec_b64 s[8:9], s[6:7]
	s_xor_b64 s[6:7], exec, s[8:9]
	s_cbranch_execz .LBB1_13053
; %bb.48893:
	s_getpc_b64 s[14:15]
.Lpost_getpc10110:
	s_add_u32 s14, s14, (.LBB1_27389-.Lpost_getpc10110)&4294967295
	s_addc_u32 s15, s15, (.LBB1_27389-.Lpost_getpc10110)>>32
	s_setpc_b64 s[14:15]
.LBB1_13053:
	s_or_saveexec_b64 s[6:7], s[6:7]
	v_mov_b32_e32 v3, s10
	s_xor_b64 exec, exec, s[6:7]
	s_cbranch_execz .LBB1_13054
; %bb.48895:
	s_getpc_b64 s[14:15]
.Lpost_getpc10111:
	s_add_u32 s14, s14, (.LBB1_27392-.Lpost_getpc10111)&4294967295
	s_addc_u32 s15, s15, (.LBB1_27392-.Lpost_getpc10111)>>32
	s_setpc_b64 s[14:15]
.LBB1_13054:
	s_or_b64 exec, exec, s[6:7]
	s_and_saveexec_b64 s[6:7], s[4:5]
	s_cbranch_execz .LBB1_13056
.LBB1_13055:
	v_bfe_u32 v3, v5, 24, 3
	v_ffbh_u32_e32 v8, v3
	v_min_u32_e32 v8, 32, v8
	v_lshrrev_b32_e32 v6, 27, v5
	v_subrev_u32_e32 v9, 28, v8
	v_and_b32_e32 v4, 0x80000000, v5
	v_and_b32_e32 v6, 15, v6
	v_bfe_u32 v7, v5, 27, 4
	v_lshlrev_b32_sdwa v5, v9, v5 dst_sel:DWORD dst_unused:UNUSED_PAD src0_sel:DWORD src1_sel:BYTE_3
	v_sub_u32_e32 v8, 29, v8
	v_and_b32_e32 v5, 7, v5
	v_cmp_eq_u16_e32 vcc, 0, v6
	v_cndmask_b32_e32 v3, v3, v5, vcc
	v_cndmask_b32_e32 v5, v7, v8, vcc
	v_mov_b32_e32 v6, 0x3b800000
	v_lshlrev_b32_e32 v3, 20, v3
	v_lshl_add_u32 v5, v5, 23, v6
	v_or3_b32 v3, v4, v5, v3
.LBB1_13056:
	s_or_b64 exec, exec, s[6:7]
	s_nop 0
	v_mfma_f32_16x16x4f32 a[0:3], v2, v3, a[0:3]
	s_movk_i32 s4, 0x7f
                                        ; implicit-def: $sgpr10
	s_nop 7
	s_nop 1
	flat_store_dwordx4 v[10:11], a[0:3] offset:720
	flat_load_dwordx4 v[12:15], v[0:1]
	s_nop 0
	flat_load_dwordx2 v[10:11], v[0:1] offset:16
	s_waitcnt vmcnt(0) lgkmcnt(0)
	flat_load_dwordx4 v[6:9], v[12:13] offset:192
	flat_load_dwordx4 v[2:5], v[14:15] offset:224
	s_waitcnt vmcnt(0) lgkmcnt(0)
	v_cmp_gt_i16_sdwa s[6:7], v6, s4 src0_sel:BYTE_0 src1_sel:DWORD
	s_mov_b64 s[4:5], 0
	s_and_saveexec_b64 s[8:9], s[6:7]
	s_xor_b64 s[6:7], exec, s[8:9]
	s_cbranch_execz .LBB1_13057
; %bb.48897:
	s_getpc_b64 s[14:15]
.Lpost_getpc10112:
	s_add_u32 s14, s14, (.LBB1_27393-.Lpost_getpc10112)&4294967295
	s_addc_u32 s15, s15, (.LBB1_27393-.Lpost_getpc10112)>>32
	s_setpc_b64 s[14:15]
.LBB1_13057:
	s_or_saveexec_b64 s[6:7], s[6:7]
	v_mov_b32_e32 v12, s10
	s_xor_b64 exec, exec, s[6:7]
	s_cbranch_execz .LBB1_13058
; %bb.48899:
	s_getpc_b64 s[14:15]
.Lpost_getpc10113:
	s_add_u32 s14, s14, (.LBB1_27396-.Lpost_getpc10113)&4294967295
	s_addc_u32 s15, s15, (.LBB1_27396-.Lpost_getpc10113)>>32
	s_setpc_b64 s[14:15]
.LBB1_13058:
	s_or_b64 exec, exec, s[6:7]
	s_and_saveexec_b64 s[6:7], s[4:5]
	s_cbranch_execz .LBB1_13060
.LBB1_13059:
	v_and_b32_e32 v12, 7, v6
	v_ffbh_u32_e32 v14, v12
	v_min_u32_e32 v14, 32, v14
	v_lshrrev_b16_e32 v13, 3, v6
	v_subrev_u32_e32 v15, 28, v14
	v_and_b32_e32 v13, 15, v13
	v_lshlrev_b32_e32 v15, v15, v6
	v_sub_u32_e32 v14, 29, v14
	v_and_b32_e32 v15, 7, v15
	v_cmp_eq_u16_e32 vcc, 0, v13
	v_cndmask_b32_e32 v12, v12, v15, vcc
	v_cndmask_b32_e32 v13, v13, v14, vcc
	v_lshlrev_b32_e32 v14, 24, v6
	v_mov_b32_e32 v15, 0x3b800000
	v_lshlrev_b32_e32 v12, 20, v12
	v_and_b32_e32 v14, 0x80000000, v14
	v_lshl_add_u32 v13, v13, 23, v15
	v_or3_b32 v12, v14, v13, v12
.LBB1_13060:
	s_or_b64 exec, exec, s[6:7]
	s_movk_i32 s4, 0x7f
	v_cmp_gt_i16_sdwa s[6:7], v2, s4 src0_sel:BYTE_0 src1_sel:DWORD
	s_mov_b64 s[4:5], 0
                                        ; implicit-def: $sgpr10
	s_and_saveexec_b64 s[8:9], s[6:7]
	s_xor_b64 s[6:7], exec, s[8:9]
	s_cbranch_execz .LBB1_13061
; %bb.48901:
	s_getpc_b64 s[14:15]
.Lpost_getpc10114:
	s_add_u32 s14, s14, (.LBB1_27397-.Lpost_getpc10114)&4294967295
	s_addc_u32 s15, s15, (.LBB1_27397-.Lpost_getpc10114)>>32
	s_setpc_b64 s[14:15]
.LBB1_13061:
	s_or_saveexec_b64 s[6:7], s[6:7]
	v_mov_b32_e32 v13, s10
	s_xor_b64 exec, exec, s[6:7]
	s_cbranch_execz .LBB1_13062
; %bb.48903:
	s_getpc_b64 s[14:15]
.Lpost_getpc10115:
	s_add_u32 s14, s14, (.LBB1_27400-.Lpost_getpc10115)&4294967295
	s_addc_u32 s15, s15, (.LBB1_27400-.Lpost_getpc10115)>>32
	s_setpc_b64 s[14:15]
.LBB1_13062:
	s_or_b64 exec, exec, s[6:7]
	s_and_saveexec_b64 s[6:7], s[4:5]
	s_cbranch_execz .LBB1_13064
.LBB1_13063:
	v_and_b32_e32 v13, 7, v2
	v_ffbh_u32_e32 v15, v13
	v_min_u32_e32 v15, 32, v15
	v_lshrrev_b16_e32 v14, 3, v2
	v_subrev_u32_e32 v16, 28, v15
	v_and_b32_e32 v14, 15, v14
	v_lshlrev_b32_e32 v16, v16, v2
	v_sub_u32_e32 v15, 29, v15
	v_and_b32_e32 v16, 7, v16
	v_cmp_eq_u16_e32 vcc, 0, v14
	v_cndmask_b32_e32 v13, v13, v16, vcc
	v_cndmask_b32_e32 v14, v14, v15, vcc
	v_lshlrev_b32_e32 v15, 24, v2
	v_mov_b32_e32 v16, 0x3b800000
	v_lshlrev_b32_e32 v13, 20, v13
	v_and_b32_e32 v15, 0x80000000, v15
	v_lshl_add_u32 v14, v14, 23, v16
	v_or3_b32 v13, v15, v14, v13
.LBB1_13064:
	s_or_b64 exec, exec, s[6:7]
	flat_load_dwordx4 a[0:3], v[10:11] offset:736
	s_movk_i32 s4, 0x7f
                                        ; implicit-def: $sgpr10
	s_waitcnt vmcnt(0) lgkmcnt(0)
	v_mfma_f32_16x16x4f32 a[0:3], v12, v13, a[0:3]
	v_lshrrev_b32_e32 v13, 8, v6
	v_cmp_gt_i16_sdwa s[6:7], v13, s4 src0_sel:BYTE_0 src1_sel:DWORD
	s_mov_b64 s[4:5], 0
	s_and_saveexec_b64 s[8:9], s[6:7]
	s_xor_b64 s[6:7], exec, s[8:9]
	s_cbranch_execz .LBB1_13065
; %bb.48905:
	s_getpc_b64 s[14:15]
.Lpost_getpc10116:
	s_add_u32 s14, s14, (.LBB1_27401-.Lpost_getpc10116)&4294967295
	s_addc_u32 s15, s15, (.LBB1_27401-.Lpost_getpc10116)>>32
	s_setpc_b64 s[14:15]
.LBB1_13065:
	s_or_saveexec_b64 s[6:7], s[6:7]
	v_mov_b32_e32 v12, s10
	s_xor_b64 exec, exec, s[6:7]
	s_cbranch_execz .LBB1_13066
; %bb.48907:
	s_getpc_b64 s[14:15]
.Lpost_getpc10117:
	s_add_u32 s14, s14, (.LBB1_27404-.Lpost_getpc10117)&4294967295
	s_addc_u32 s15, s15, (.LBB1_27404-.Lpost_getpc10117)>>32
	s_setpc_b64 s[14:15]
.LBB1_13066:
	s_or_b64 exec, exec, s[6:7]
	s_and_saveexec_b64 s[6:7], s[4:5]
	s_cbranch_execz .LBB1_13068
.LBB1_13067:
	v_bfe_u32 v12, v6, 8, 3
	v_ffbh_u32_e32 v15, v12
	v_min_u32_e32 v15, 32, v15
	v_lshrrev_b16_e32 v14, 3, v13
	v_subrev_u32_e32 v16, 28, v15
	v_and_b32_e32 v14, 15, v14
	v_lshlrev_b32_e32 v13, v16, v13
	v_sub_u32_e32 v15, 29, v15
	v_and_b32_e32 v13, 7, v13
	v_cmp_eq_u16_e32 vcc, 0, v14
	v_cndmask_b32_e32 v12, v12, v13, vcc
	v_cndmask_b32_e32 v13, v14, v15, vcc
	v_lshlrev_b32_e32 v14, 16, v6
	v_mov_b32_e32 v15, 0x3b800000
	v_lshlrev_b32_e32 v12, 20, v12
	v_and_b32_e32 v14, 0x80000000, v14
	v_lshl_add_u32 v13, v13, 23, v15
	v_or3_b32 v12, v14, v13, v12
.LBB1_13068:
	s_or_b64 exec, exec, s[6:7]
	v_lshrrev_b32_e32 v13, 8, v2
	s_movk_i32 s4, 0x7f
	v_cmp_gt_i16_sdwa s[6:7], v13, s4 src0_sel:BYTE_0 src1_sel:DWORD
	s_mov_b64 s[4:5], 0
                                        ; implicit-def: $sgpr10
	s_and_saveexec_b64 s[8:9], s[6:7]
	s_xor_b64 s[6:7], exec, s[8:9]
	s_cbranch_execz .LBB1_13069
; %bb.48909:
	s_getpc_b64 s[14:15]
.Lpost_getpc10118:
	s_add_u32 s14, s14, (.LBB1_27405-.Lpost_getpc10118)&4294967295
	s_addc_u32 s15, s15, (.LBB1_27405-.Lpost_getpc10118)>>32
	s_setpc_b64 s[14:15]
.LBB1_13069:
	s_or_saveexec_b64 s[6:7], s[6:7]
	v_mov_b32_e32 v14, s10
	s_xor_b64 exec, exec, s[6:7]
	s_cbranch_execz .LBB1_13070
; %bb.48911:
	s_getpc_b64 s[14:15]
.Lpost_getpc10119:
	s_add_u32 s14, s14, (.LBB1_27408-.Lpost_getpc10119)&4294967295
	s_addc_u32 s15, s15, (.LBB1_27408-.Lpost_getpc10119)>>32
	s_setpc_b64 s[14:15]
.LBB1_13070:
	s_or_b64 exec, exec, s[6:7]
	s_and_saveexec_b64 s[6:7], s[4:5]
	s_cbranch_execz .LBB1_13072
.LBB1_13071:
	v_bfe_u32 v14, v2, 8, 3
	v_ffbh_u32_e32 v16, v14
	v_min_u32_e32 v16, 32, v16
	v_lshrrev_b16_e32 v15, 3, v13
	v_subrev_u32_e32 v17, 28, v16
	v_and_b32_e32 v15, 15, v15
	v_lshlrev_b32_e32 v13, v17, v13
	v_sub_u32_e32 v16, 29, v16
	v_and_b32_e32 v13, 7, v13
	v_cmp_eq_u16_e32 vcc, 0, v15
	v_cndmask_b32_e32 v13, v14, v13, vcc
	v_cndmask_b32_e32 v14, v15, v16, vcc
	v_lshlrev_b32_e32 v15, 16, v2
	v_mov_b32_e32 v16, 0x3b800000
	v_lshlrev_b32_e32 v13, 20, v13
	v_and_b32_e32 v15, 0x80000000, v15
	v_lshl_add_u32 v14, v14, 23, v16
	v_or3_b32 v14, v15, v14, v13
.LBB1_13072:
	s_or_b64 exec, exec, s[6:7]
	s_nop 0
	v_mfma_f32_16x16x4f32 a[0:3], v12, v14, a[0:3]
	s_movk_i32 s4, 0xff
	v_and_b32_sdwa v13, v6, s4 dst_sel:DWORD dst_unused:UNUSED_PAD src0_sel:WORD_1 src1_sel:DWORD
	s_movk_i32 s4, 0x7f
	v_cmp_lt_i16_e32 vcc, s4, v13
	s_mov_b64 s[4:5], 0
                                        ; implicit-def: $sgpr10
	s_and_saveexec_b64 s[6:7], vcc
	s_xor_b64 s[6:7], exec, s[6:7]
	s_cbranch_execz .LBB1_13073
; %bb.48913:
	s_getpc_b64 s[14:15]
.Lpost_getpc10120:
	s_add_u32 s14, s14, (.LBB1_27409-.Lpost_getpc10120)&4294967295
	s_addc_u32 s15, s15, (.LBB1_27409-.Lpost_getpc10120)>>32
	s_setpc_b64 s[14:15]
.LBB1_13073:
	s_or_saveexec_b64 s[6:7], s[6:7]
	v_mov_b32_e32 v12, s10
	s_xor_b64 exec, exec, s[6:7]
	s_cbranch_execz .LBB1_13074
; %bb.48915:
	s_getpc_b64 s[14:15]
.Lpost_getpc10121:
	s_add_u32 s14, s14, (.LBB1_27412-.Lpost_getpc10121)&4294967295
	s_addc_u32 s15, s15, (.LBB1_27412-.Lpost_getpc10121)>>32
	s_setpc_b64 s[14:15]
.LBB1_13074:
	s_or_b64 exec, exec, s[6:7]
	s_and_saveexec_b64 s[6:7], s[4:5]
	s_cbranch_execz .LBB1_13076
.LBB1_13075:
	v_bfe_u32 v12, v6, 16, 3
	v_ffbh_u32_e32 v15, v12
	v_min_u32_e32 v15, 32, v15
	v_lshrrev_b32_e32 v13, 19, v6
	v_subrev_u32_e32 v16, 28, v15
	v_and_b32_e32 v13, 15, v13
	v_lshlrev_b32_sdwa v16, v16, v6 dst_sel:DWORD dst_unused:UNUSED_PAD src0_sel:DWORD src1_sel:WORD_1
	v_bfe_u32 v14, v6, 19, 4
	v_sub_u32_e32 v15, 29, v15
	v_and_b32_e32 v16, 7, v16
	v_cmp_eq_u16_e32 vcc, 0, v13
	v_cndmask_b32_e32 v12, v12, v16, vcc
	v_cndmask_b32_e32 v13, v14, v15, vcc
	v_lshlrev_b32_e32 v14, 8, v6
	v_mov_b32_e32 v15, 0x3b800000
	v_lshlrev_b32_e32 v12, 20, v12
	v_and_b32_e32 v14, 0x80000000, v14
	v_lshl_add_u32 v13, v13, 23, v15
	v_or3_b32 v12, v14, v13, v12
.LBB1_13076:
	s_or_b64 exec, exec, s[6:7]
	s_movk_i32 s4, 0xff
	v_and_b32_sdwa v13, v2, s4 dst_sel:DWORD dst_unused:UNUSED_PAD src0_sel:WORD_1 src1_sel:DWORD
	s_movk_i32 s4, 0x7f
	v_cmp_lt_i16_e32 vcc, s4, v13
	s_mov_b64 s[4:5], 0
                                        ; implicit-def: $sgpr10
	s_and_saveexec_b64 s[6:7], vcc
	s_xor_b64 s[6:7], exec, s[6:7]
	s_cbranch_execz .LBB1_13077
; %bb.48917:
	s_getpc_b64 s[14:15]
.Lpost_getpc10122:
	s_add_u32 s14, s14, (.LBB1_27413-.Lpost_getpc10122)&4294967295
	s_addc_u32 s15, s15, (.LBB1_27413-.Lpost_getpc10122)>>32
	s_setpc_b64 s[14:15]
.LBB1_13077:
	s_or_saveexec_b64 s[6:7], s[6:7]
	v_mov_b32_e32 v14, s10
	s_xor_b64 exec, exec, s[6:7]
	s_cbranch_execz .LBB1_13078
; %bb.48919:
	s_getpc_b64 s[14:15]
.Lpost_getpc10123:
	s_add_u32 s14, s14, (.LBB1_27416-.Lpost_getpc10123)&4294967295
	s_addc_u32 s15, s15, (.LBB1_27416-.Lpost_getpc10123)>>32
	s_setpc_b64 s[14:15]
.LBB1_13078:
	s_or_b64 exec, exec, s[6:7]
	s_and_saveexec_b64 s[6:7], s[4:5]
	s_cbranch_execz .LBB1_13080
.LBB1_13079:
	v_bfe_u32 v13, v2, 16, 3
	v_ffbh_u32_e32 v16, v13
	v_min_u32_e32 v16, 32, v16
	v_lshrrev_b32_e32 v14, 19, v2
	v_subrev_u32_e32 v17, 28, v16
	v_and_b32_e32 v14, 15, v14
	v_lshlrev_b32_sdwa v17, v17, v2 dst_sel:DWORD dst_unused:UNUSED_PAD src0_sel:DWORD src1_sel:WORD_1
	v_bfe_u32 v15, v2, 19, 4
	v_sub_u32_e32 v16, 29, v16
	v_and_b32_e32 v17, 7, v17
	v_cmp_eq_u16_e32 vcc, 0, v14
	v_cndmask_b32_e32 v13, v13, v17, vcc
	v_cndmask_b32_e32 v14, v15, v16, vcc
	v_lshlrev_b32_e32 v15, 8, v2
	v_mov_b32_e32 v16, 0x3b800000
	v_lshlrev_b32_e32 v13, 20, v13
	v_and_b32_e32 v15, 0x80000000, v15
	v_lshl_add_u32 v14, v14, 23, v16
	v_or3_b32 v14, v15, v14, v13
.LBB1_13080:
	s_or_b64 exec, exec, s[6:7]
	s_nop 0
	v_mfma_f32_16x16x4f32 a[0:3], v12, v14, a[0:3]
	s_movk_i32 s4, 0x7f
	v_cmp_gt_i16_sdwa s[6:7], v6, s4 src0_sel:BYTE_3 src1_sel:DWORD
	s_mov_b64 s[4:5], 0
                                        ; implicit-def: $sgpr10
	s_and_saveexec_b64 s[8:9], s[6:7]
	s_xor_b64 s[6:7], exec, s[8:9]
	s_cbranch_execz .LBB1_13081
; %bb.48921:
	s_getpc_b64 s[14:15]
.Lpost_getpc10124:
	s_add_u32 s14, s14, (.LBB1_27417-.Lpost_getpc10124)&4294967295
	s_addc_u32 s15, s15, (.LBB1_27417-.Lpost_getpc10124)>>32
	s_setpc_b64 s[14:15]
.LBB1_13081:
	s_or_saveexec_b64 s[6:7], s[6:7]
	v_mov_b32_e32 v12, s10
	s_xor_b64 exec, exec, s[6:7]
	s_cbranch_execz .LBB1_13082
; %bb.48923:
	s_getpc_b64 s[14:15]
.Lpost_getpc10125:
	s_add_u32 s14, s14, (.LBB1_27420-.Lpost_getpc10125)&4294967295
	s_addc_u32 s15, s15, (.LBB1_27420-.Lpost_getpc10125)>>32
	s_setpc_b64 s[14:15]
.LBB1_13082:
	s_or_b64 exec, exec, s[6:7]
	s_and_saveexec_b64 s[6:7], s[4:5]
	s_cbranch_execz .LBB1_13084
.LBB1_13083:
	v_bfe_u32 v12, v6, 24, 3
	v_ffbh_u32_e32 v16, v12
	v_min_u32_e32 v16, 32, v16
	v_lshrrev_b32_e32 v14, 27, v6
	v_subrev_u32_e32 v17, 28, v16
	v_and_b32_e32 v13, 0x80000000, v6
	v_and_b32_e32 v14, 15, v14
	v_bfe_u32 v15, v6, 27, 4
	v_lshlrev_b32_sdwa v6, v17, v6 dst_sel:DWORD dst_unused:UNUSED_PAD src0_sel:DWORD src1_sel:BYTE_3
	v_sub_u32_e32 v16, 29, v16
	v_and_b32_e32 v6, 7, v6
	v_cmp_eq_u16_e32 vcc, 0, v14
	v_cndmask_b32_e32 v6, v12, v6, vcc
	v_cndmask_b32_e32 v12, v15, v16, vcc
	v_mov_b32_e32 v14, 0x3b800000
	v_lshlrev_b32_e32 v6, 20, v6
	v_lshl_add_u32 v12, v12, 23, v14
	v_or3_b32 v12, v13, v12, v6
.LBB1_13084:
	s_or_b64 exec, exec, s[6:7]
	s_movk_i32 s4, 0x7f
	v_cmp_gt_i16_sdwa s[6:7], v2, s4 src0_sel:BYTE_3 src1_sel:DWORD
	s_mov_b64 s[4:5], 0
                                        ; implicit-def: $sgpr10
	s_and_saveexec_b64 s[8:9], s[6:7]
	s_xor_b64 s[6:7], exec, s[8:9]
	s_cbranch_execz .LBB1_13085
; %bb.48925:
	s_getpc_b64 s[14:15]
.Lpost_getpc10126:
	s_add_u32 s14, s14, (.LBB1_27421-.Lpost_getpc10126)&4294967295
	s_addc_u32 s15, s15, (.LBB1_27421-.Lpost_getpc10126)>>32
	s_setpc_b64 s[14:15]
.LBB1_13085:
	s_or_saveexec_b64 s[6:7], s[6:7]
	v_mov_b32_e32 v6, s10
	s_xor_b64 exec, exec, s[6:7]
	s_cbranch_execz .LBB1_13086
; %bb.48927:
	s_getpc_b64 s[14:15]
.Lpost_getpc10127:
	s_add_u32 s14, s14, (.LBB1_27424-.Lpost_getpc10127)&4294967295
	s_addc_u32 s15, s15, (.LBB1_27424-.Lpost_getpc10127)>>32
	s_setpc_b64 s[14:15]
.LBB1_13086:
	s_or_b64 exec, exec, s[6:7]
	s_and_saveexec_b64 s[6:7], s[4:5]
	s_cbranch_execz .LBB1_13088
.LBB1_13087:
	v_bfe_u32 v6, v2, 24, 3
	v_ffbh_u32_e32 v16, v6
	v_min_u32_e32 v16, 32, v16
	v_lshrrev_b32_e32 v14, 27, v2
	v_subrev_u32_e32 v17, 28, v16
	v_and_b32_e32 v13, 0x80000000, v2
	v_and_b32_e32 v14, 15, v14
	v_bfe_u32 v15, v2, 27, 4
	v_lshlrev_b32_sdwa v2, v17, v2 dst_sel:DWORD dst_unused:UNUSED_PAD src0_sel:DWORD src1_sel:BYTE_3
	v_sub_u32_e32 v16, 29, v16
	v_and_b32_e32 v2, 7, v2
	v_cmp_eq_u16_e32 vcc, 0, v14
	v_cndmask_b32_e32 v2, v6, v2, vcc
	v_cndmask_b32_e32 v6, v15, v16, vcc
	v_mov_b32_e32 v14, 0x3b800000
	v_lshlrev_b32_e32 v2, 20, v2
	v_lshl_add_u32 v6, v6, 23, v14
	v_or3_b32 v6, v13, v6, v2
.LBB1_13088:
	s_or_b64 exec, exec, s[6:7]
	s_nop 0
	v_mfma_f32_16x16x4f32 a[0:3], v12, v6, a[0:3]
	s_movk_i32 s4, 0x7f
	v_cmp_gt_i16_sdwa s[6:7], v7, s4 src0_sel:BYTE_0 src1_sel:DWORD
	s_mov_b64 s[4:5], 0
                                        ; implicit-def: $sgpr10
	s_and_saveexec_b64 s[8:9], s[6:7]
	s_xor_b64 s[6:7], exec, s[8:9]
	s_cbranch_execz .LBB1_13089
; %bb.48929:
	s_getpc_b64 s[14:15]
.Lpost_getpc10128:
	s_add_u32 s14, s14, (.LBB1_27425-.Lpost_getpc10128)&4294967295
	s_addc_u32 s15, s15, (.LBB1_27425-.Lpost_getpc10128)>>32
	s_setpc_b64 s[14:15]
.LBB1_13089:
	s_or_saveexec_b64 s[6:7], s[6:7]
	v_mov_b32_e32 v2, s10
	s_xor_b64 exec, exec, s[6:7]
	s_cbranch_execz .LBB1_13090
; %bb.48931:
	s_getpc_b64 s[14:15]
.Lpost_getpc10129:
	s_add_u32 s14, s14, (.LBB1_27428-.Lpost_getpc10129)&4294967295
	s_addc_u32 s15, s15, (.LBB1_27428-.Lpost_getpc10129)>>32
	s_setpc_b64 s[14:15]
.LBB1_13090:
	s_or_b64 exec, exec, s[6:7]
	s_and_saveexec_b64 s[6:7], s[4:5]
	s_cbranch_execz .LBB1_13092
.LBB1_13091:
	v_and_b32_e32 v2, 7, v7
	v_ffbh_u32_e32 v12, v2
	v_min_u32_e32 v12, 32, v12
	v_lshrrev_b16_e32 v6, 3, v7
	v_subrev_u32_e32 v13, 28, v12
	v_and_b32_e32 v6, 15, v6
	v_lshlrev_b32_e32 v13, v13, v7
	v_sub_u32_e32 v12, 29, v12
	v_and_b32_e32 v13, 7, v13
	v_cmp_eq_u16_e32 vcc, 0, v6
	v_cndmask_b32_e32 v2, v2, v13, vcc
	v_cndmask_b32_e32 v6, v6, v12, vcc
	v_lshlrev_b32_e32 v12, 24, v7
	v_mov_b32_e32 v13, 0x3b800000
	v_lshlrev_b32_e32 v2, 20, v2
	v_and_b32_e32 v12, 0x80000000, v12
	v_lshl_add_u32 v6, v6, 23, v13
	v_or3_b32 v2, v12, v6, v2
.LBB1_13092:
	s_or_b64 exec, exec, s[6:7]
	s_movk_i32 s4, 0x7f
	v_cmp_gt_i16_sdwa s[6:7], v3, s4 src0_sel:BYTE_0 src1_sel:DWORD
	s_mov_b64 s[4:5], 0
                                        ; implicit-def: $sgpr10
	s_and_saveexec_b64 s[8:9], s[6:7]
	s_xor_b64 s[6:7], exec, s[8:9]
	s_cbranch_execz .LBB1_13093
; %bb.48933:
	s_getpc_b64 s[14:15]
.Lpost_getpc10130:
	s_add_u32 s14, s14, (.LBB1_27429-.Lpost_getpc10130)&4294967295
	s_addc_u32 s15, s15, (.LBB1_27429-.Lpost_getpc10130)>>32
	s_setpc_b64 s[14:15]
.LBB1_13093:
	s_or_saveexec_b64 s[6:7], s[6:7]
	v_mov_b32_e32 v6, s10
	s_xor_b64 exec, exec, s[6:7]
	s_cbranch_execz .LBB1_13094
; %bb.48935:
	s_getpc_b64 s[14:15]
.Lpost_getpc10131:
	s_add_u32 s14, s14, (.LBB1_27432-.Lpost_getpc10131)&4294967295
	s_addc_u32 s15, s15, (.LBB1_27432-.Lpost_getpc10131)>>32
	s_setpc_b64 s[14:15]
.LBB1_13094:
	s_or_b64 exec, exec, s[6:7]
	s_and_saveexec_b64 s[6:7], s[4:5]
	s_cbranch_execz .LBB1_13096
.LBB1_13095:
	v_and_b32_e32 v6, 7, v3
	v_ffbh_u32_e32 v13, v6
	v_min_u32_e32 v13, 32, v13
	v_lshrrev_b16_e32 v12, 3, v3
	v_subrev_u32_e32 v14, 28, v13
	v_and_b32_e32 v12, 15, v12
	v_lshlrev_b32_e32 v14, v14, v3
	v_sub_u32_e32 v13, 29, v13
	v_and_b32_e32 v14, 7, v14
	v_cmp_eq_u16_e32 vcc, 0, v12
	v_cndmask_b32_e32 v6, v6, v14, vcc
	v_cndmask_b32_e32 v12, v12, v13, vcc
	v_lshlrev_b32_e32 v13, 24, v3
	v_mov_b32_e32 v14, 0x3b800000
	v_lshlrev_b32_e32 v6, 20, v6
	v_and_b32_e32 v13, 0x80000000, v13
	v_lshl_add_u32 v12, v12, 23, v14
	v_or3_b32 v6, v13, v12, v6
.LBB1_13096:
	s_or_b64 exec, exec, s[6:7]
	s_nop 0
	v_mfma_f32_16x16x4f32 a[0:3], v2, v6, a[0:3]
	v_lshrrev_b32_e32 v6, 8, v7
	s_movk_i32 s4, 0x7f
	v_cmp_gt_i16_sdwa s[6:7], v6, s4 src0_sel:BYTE_0 src1_sel:DWORD
	s_mov_b64 s[4:5], 0
                                        ; implicit-def: $sgpr10
	s_and_saveexec_b64 s[8:9], s[6:7]
	s_xor_b64 s[6:7], exec, s[8:9]
	s_cbranch_execz .LBB1_13097
; %bb.48937:
	s_getpc_b64 s[14:15]
.Lpost_getpc10132:
	s_add_u32 s14, s14, (.LBB1_27433-.Lpost_getpc10132)&4294967295
	s_addc_u32 s15, s15, (.LBB1_27433-.Lpost_getpc10132)>>32
	s_setpc_b64 s[14:15]
.LBB1_13097:
	s_or_saveexec_b64 s[6:7], s[6:7]
	v_mov_b32_e32 v2, s10
	s_xor_b64 exec, exec, s[6:7]
	s_cbranch_execz .LBB1_13098
; %bb.48939:
	s_getpc_b64 s[14:15]
.Lpost_getpc10133:
	s_add_u32 s14, s14, (.LBB1_27436-.Lpost_getpc10133)&4294967295
	s_addc_u32 s15, s15, (.LBB1_27436-.Lpost_getpc10133)>>32
	s_setpc_b64 s[14:15]
.LBB1_13098:
	s_or_b64 exec, exec, s[6:7]
	s_and_saveexec_b64 s[6:7], s[4:5]
	s_cbranch_execz .LBB1_13100
.LBB1_13099:
	v_bfe_u32 v2, v7, 8, 3
	v_ffbh_u32_e32 v13, v2
	v_min_u32_e32 v13, 32, v13
	v_lshrrev_b16_e32 v12, 3, v6
	v_subrev_u32_e32 v14, 28, v13
	v_and_b32_e32 v12, 15, v12
	v_lshlrev_b32_e32 v6, v14, v6
	v_sub_u32_e32 v13, 29, v13
	v_and_b32_e32 v6, 7, v6
	v_cmp_eq_u16_e32 vcc, 0, v12
	v_cndmask_b32_e32 v2, v2, v6, vcc
	v_cndmask_b32_e32 v6, v12, v13, vcc
	v_lshlrev_b32_e32 v12, 16, v7
	v_mov_b32_e32 v13, 0x3b800000
	v_lshlrev_b32_e32 v2, 20, v2
	v_and_b32_e32 v12, 0x80000000, v12
	v_lshl_add_u32 v6, v6, 23, v13
	v_or3_b32 v2, v12, v6, v2
.LBB1_13100:
	s_or_b64 exec, exec, s[6:7]
	v_lshrrev_b32_e32 v6, 8, v3
	s_movk_i32 s4, 0x7f
	v_cmp_gt_i16_sdwa s[6:7], v6, s4 src0_sel:BYTE_0 src1_sel:DWORD
	s_mov_b64 s[4:5], 0
                                        ; implicit-def: $sgpr10
	s_and_saveexec_b64 s[8:9], s[6:7]
	s_xor_b64 s[6:7], exec, s[8:9]
	s_cbranch_execz .LBB1_13101
; %bb.48941:
	s_getpc_b64 s[14:15]
.Lpost_getpc10134:
	s_add_u32 s14, s14, (.LBB1_27437-.Lpost_getpc10134)&4294967295
	s_addc_u32 s15, s15, (.LBB1_27437-.Lpost_getpc10134)>>32
	s_setpc_b64 s[14:15]
.LBB1_13101:
	s_or_saveexec_b64 s[6:7], s[6:7]
	v_mov_b32_e32 v12, s10
	s_xor_b64 exec, exec, s[6:7]
	s_cbranch_execz .LBB1_13102
; %bb.48943:
	s_getpc_b64 s[14:15]
.Lpost_getpc10135:
	s_add_u32 s14, s14, (.LBB1_27440-.Lpost_getpc10135)&4294967295
	s_addc_u32 s15, s15, (.LBB1_27440-.Lpost_getpc10135)>>32
	s_setpc_b64 s[14:15]
.LBB1_13102:
	s_or_b64 exec, exec, s[6:7]
	s_and_saveexec_b64 s[6:7], s[4:5]
	s_cbranch_execz .LBB1_13104
.LBB1_13103:
	v_bfe_u32 v12, v3, 8, 3
	v_ffbh_u32_e32 v14, v12
	v_min_u32_e32 v14, 32, v14
	v_lshrrev_b16_e32 v13, 3, v6
	v_subrev_u32_e32 v15, 28, v14
	v_and_b32_e32 v13, 15, v13
	v_lshlrev_b32_e32 v6, v15, v6
	v_sub_u32_e32 v14, 29, v14
	v_and_b32_e32 v6, 7, v6
	v_cmp_eq_u16_e32 vcc, 0, v13
	v_cndmask_b32_e32 v6, v12, v6, vcc
	v_cndmask_b32_e32 v12, v13, v14, vcc
	v_lshlrev_b32_e32 v13, 16, v3
	v_mov_b32_e32 v14, 0x3b800000
	v_lshlrev_b32_e32 v6, 20, v6
	v_and_b32_e32 v13, 0x80000000, v13
	v_lshl_add_u32 v12, v12, 23, v14
	v_or3_b32 v12, v13, v12, v6
.LBB1_13104:
	s_or_b64 exec, exec, s[6:7]
	s_nop 0
	v_mfma_f32_16x16x4f32 a[0:3], v2, v12, a[0:3]
	s_movk_i32 s4, 0xff
	v_and_b32_sdwa v6, v7, s4 dst_sel:DWORD dst_unused:UNUSED_PAD src0_sel:WORD_1 src1_sel:DWORD
	s_movk_i32 s4, 0x7f
	v_cmp_lt_i16_e32 vcc, s4, v6
	s_mov_b64 s[4:5], 0
                                        ; implicit-def: $sgpr10
	s_and_saveexec_b64 s[6:7], vcc
	s_xor_b64 s[6:7], exec, s[6:7]
	s_cbranch_execz .LBB1_13105
; %bb.48945:
	s_getpc_b64 s[14:15]
.Lpost_getpc10136:
	s_add_u32 s14, s14, (.LBB1_27441-.Lpost_getpc10136)&4294967295
	s_addc_u32 s15, s15, (.LBB1_27441-.Lpost_getpc10136)>>32
	s_setpc_b64 s[14:15]
.LBB1_13105:
	s_or_saveexec_b64 s[6:7], s[6:7]
	v_mov_b32_e32 v2, s10
	s_xor_b64 exec, exec, s[6:7]
	s_cbranch_execz .LBB1_13106
; %bb.48947:
	s_getpc_b64 s[14:15]
.Lpost_getpc10137:
	s_add_u32 s14, s14, (.LBB1_27444-.Lpost_getpc10137)&4294967295
	s_addc_u32 s15, s15, (.LBB1_27444-.Lpost_getpc10137)>>32
	s_setpc_b64 s[14:15]
.LBB1_13106:
	s_or_b64 exec, exec, s[6:7]
	s_and_saveexec_b64 s[6:7], s[4:5]
	s_cbranch_execz .LBB1_13108
.LBB1_13107:
	v_bfe_u32 v2, v7, 16, 3
	v_ffbh_u32_e32 v13, v2
	v_min_u32_e32 v13, 32, v13
	v_lshrrev_b32_e32 v6, 19, v7
	v_subrev_u32_e32 v14, 28, v13
	v_and_b32_e32 v6, 15, v6
	v_lshlrev_b32_sdwa v14, v14, v7 dst_sel:DWORD dst_unused:UNUSED_PAD src0_sel:DWORD src1_sel:WORD_1
	v_bfe_u32 v12, v7, 19, 4
	v_sub_u32_e32 v13, 29, v13
	v_and_b32_e32 v14, 7, v14
	v_cmp_eq_u16_e32 vcc, 0, v6
	v_cndmask_b32_e32 v2, v2, v14, vcc
	v_cndmask_b32_e32 v6, v12, v13, vcc
	v_lshlrev_b32_e32 v12, 8, v7
	v_mov_b32_e32 v13, 0x3b800000
	v_lshlrev_b32_e32 v2, 20, v2
	v_and_b32_e32 v12, 0x80000000, v12
	v_lshl_add_u32 v6, v6, 23, v13
	v_or3_b32 v2, v12, v6, v2
.LBB1_13108:
	s_or_b64 exec, exec, s[6:7]
	s_movk_i32 s4, 0xff
	v_and_b32_sdwa v6, v3, s4 dst_sel:DWORD dst_unused:UNUSED_PAD src0_sel:WORD_1 src1_sel:DWORD
	s_movk_i32 s4, 0x7f
	v_cmp_lt_i16_e32 vcc, s4, v6
	s_mov_b64 s[4:5], 0
                                        ; implicit-def: $sgpr10
	s_and_saveexec_b64 s[6:7], vcc
	s_xor_b64 s[6:7], exec, s[6:7]
	s_cbranch_execz .LBB1_13109
; %bb.48949:
	s_getpc_b64 s[14:15]
.Lpost_getpc10138:
	s_add_u32 s14, s14, (.LBB1_27445-.Lpost_getpc10138)&4294967295
	s_addc_u32 s15, s15, (.LBB1_27445-.Lpost_getpc10138)>>32
	s_setpc_b64 s[14:15]
.LBB1_13109:
	s_or_saveexec_b64 s[6:7], s[6:7]
	v_mov_b32_e32 v12, s10
	s_xor_b64 exec, exec, s[6:7]
	s_cbranch_execz .LBB1_13110
; %bb.48951:
	s_getpc_b64 s[14:15]
.Lpost_getpc10139:
	s_add_u32 s14, s14, (.LBB1_27448-.Lpost_getpc10139)&4294967295
	s_addc_u32 s15, s15, (.LBB1_27448-.Lpost_getpc10139)>>32
	s_setpc_b64 s[14:15]
.LBB1_13110:
	s_or_b64 exec, exec, s[6:7]
	s_and_saveexec_b64 s[6:7], s[4:5]
	s_cbranch_execz .LBB1_13112
.LBB1_13111:
	v_bfe_u32 v6, v3, 16, 3
	v_ffbh_u32_e32 v14, v6
	v_min_u32_e32 v14, 32, v14
	v_lshrrev_b32_e32 v12, 19, v3
	v_subrev_u32_e32 v15, 28, v14
	v_and_b32_e32 v12, 15, v12
	v_lshlrev_b32_sdwa v15, v15, v3 dst_sel:DWORD dst_unused:UNUSED_PAD src0_sel:DWORD src1_sel:WORD_1
	v_bfe_u32 v13, v3, 19, 4
	v_sub_u32_e32 v14, 29, v14
	v_and_b32_e32 v15, 7, v15
	v_cmp_eq_u16_e32 vcc, 0, v12
	v_cndmask_b32_e32 v6, v6, v15, vcc
	v_cndmask_b32_e32 v12, v13, v14, vcc
	v_lshlrev_b32_e32 v13, 8, v3
	v_mov_b32_e32 v14, 0x3b800000
	v_lshlrev_b32_e32 v6, 20, v6
	v_and_b32_e32 v13, 0x80000000, v13
	v_lshl_add_u32 v12, v12, 23, v14
	v_or3_b32 v12, v13, v12, v6
.LBB1_13112:
	s_or_b64 exec, exec, s[6:7]
	s_nop 0
	v_mfma_f32_16x16x4f32 a[0:3], v2, v12, a[0:3]
	s_movk_i32 s4, 0x7f
	v_cmp_gt_i16_sdwa s[6:7], v7, s4 src0_sel:BYTE_3 src1_sel:DWORD
	s_mov_b64 s[4:5], 0
                                        ; implicit-def: $sgpr10
	s_and_saveexec_b64 s[8:9], s[6:7]
	s_xor_b64 s[6:7], exec, s[8:9]
	s_cbranch_execz .LBB1_13113
; %bb.48953:
	s_getpc_b64 s[14:15]
.Lpost_getpc10140:
	s_add_u32 s14, s14, (.LBB1_27449-.Lpost_getpc10140)&4294967295
	s_addc_u32 s15, s15, (.LBB1_27449-.Lpost_getpc10140)>>32
	s_setpc_b64 s[14:15]
.LBB1_13113:
	s_or_saveexec_b64 s[6:7], s[6:7]
	v_mov_b32_e32 v2, s10
	s_xor_b64 exec, exec, s[6:7]
	s_cbranch_execz .LBB1_13114
; %bb.48955:
	s_getpc_b64 s[14:15]
.Lpost_getpc10141:
	s_add_u32 s14, s14, (.LBB1_27452-.Lpost_getpc10141)&4294967295
	s_addc_u32 s15, s15, (.LBB1_27452-.Lpost_getpc10141)>>32
	s_setpc_b64 s[14:15]
.LBB1_13114:
	s_or_b64 exec, exec, s[6:7]
	s_and_saveexec_b64 s[6:7], s[4:5]
	s_cbranch_execz .LBB1_13116
.LBB1_13115:
	v_bfe_u32 v2, v7, 24, 3
	v_ffbh_u32_e32 v14, v2
	v_min_u32_e32 v14, 32, v14
	v_lshrrev_b32_e32 v12, 27, v7
	v_subrev_u32_e32 v15, 28, v14
	v_and_b32_e32 v6, 0x80000000, v7
	v_and_b32_e32 v12, 15, v12
	v_bfe_u32 v13, v7, 27, 4
	v_lshlrev_b32_sdwa v7, v15, v7 dst_sel:DWORD dst_unused:UNUSED_PAD src0_sel:DWORD src1_sel:BYTE_3
	v_sub_u32_e32 v14, 29, v14
	v_and_b32_e32 v7, 7, v7
	v_cmp_eq_u16_e32 vcc, 0, v12
	v_cndmask_b32_e32 v2, v2, v7, vcc
	v_cndmask_b32_e32 v7, v13, v14, vcc
	v_mov_b32_e32 v12, 0x3b800000
	v_lshlrev_b32_e32 v2, 20, v2
	v_lshl_add_u32 v7, v7, 23, v12
	v_or3_b32 v2, v6, v7, v2
.LBB1_13116:
	s_or_b64 exec, exec, s[6:7]
	s_movk_i32 s4, 0x7f
	v_cmp_gt_i16_sdwa s[6:7], v3, s4 src0_sel:BYTE_3 src1_sel:DWORD
	s_mov_b64 s[4:5], 0
                                        ; implicit-def: $sgpr10
	s_and_saveexec_b64 s[8:9], s[6:7]
	s_xor_b64 s[6:7], exec, s[8:9]
	s_cbranch_execz .LBB1_13117
; %bb.48957:
	s_getpc_b64 s[14:15]
.Lpost_getpc10142:
	s_add_u32 s14, s14, (.LBB1_27453-.Lpost_getpc10142)&4294967295
	s_addc_u32 s15, s15, (.LBB1_27453-.Lpost_getpc10142)>>32
	s_setpc_b64 s[14:15]
.LBB1_13117:
	s_or_saveexec_b64 s[6:7], s[6:7]
	v_mov_b32_e32 v6, s10
	s_xor_b64 exec, exec, s[6:7]
	s_cbranch_execz .LBB1_13118
; %bb.48959:
	s_getpc_b64 s[14:15]
.Lpost_getpc10143:
	s_add_u32 s14, s14, (.LBB1_27456-.Lpost_getpc10143)&4294967295
	s_addc_u32 s15, s15, (.LBB1_27456-.Lpost_getpc10143)>>32
	s_setpc_b64 s[14:15]
.LBB1_13118:
	s_or_b64 exec, exec, s[6:7]
	s_and_saveexec_b64 s[6:7], s[4:5]
	s_cbranch_execz .LBB1_13120
.LBB1_13119:
	v_bfe_u32 v6, v3, 24, 3
	v_ffbh_u32_e32 v14, v6
	v_min_u32_e32 v14, 32, v14
	v_lshrrev_b32_e32 v12, 27, v3
	v_subrev_u32_e32 v15, 28, v14
	v_and_b32_e32 v7, 0x80000000, v3
	v_and_b32_e32 v12, 15, v12
	v_bfe_u32 v13, v3, 27, 4
	v_lshlrev_b32_sdwa v3, v15, v3 dst_sel:DWORD dst_unused:UNUSED_PAD src0_sel:DWORD src1_sel:BYTE_3
	v_sub_u32_e32 v14, 29, v14
	v_and_b32_e32 v3, 7, v3
	v_cmp_eq_u16_e32 vcc, 0, v12
	v_cndmask_b32_e32 v3, v6, v3, vcc
	v_cndmask_b32_e32 v6, v13, v14, vcc
	v_mov_b32_e32 v12, 0x3b800000
	v_lshlrev_b32_e32 v3, 20, v3
	v_lshl_add_u32 v6, v6, 23, v12
	v_or3_b32 v6, v7, v6, v3
.LBB1_13120:
	s_or_b64 exec, exec, s[6:7]
	s_nop 0
	v_mfma_f32_16x16x4f32 a[0:3], v2, v6, a[0:3]
	s_movk_i32 s4, 0x7f
	v_cmp_gt_i16_sdwa s[6:7], v8, s4 src0_sel:BYTE_0 src1_sel:DWORD
	s_mov_b64 s[4:5], 0
                                        ; implicit-def: $sgpr10
	s_and_saveexec_b64 s[8:9], s[6:7]
	s_xor_b64 s[6:7], exec, s[8:9]
	s_cbranch_execz .LBB1_13121
; %bb.48961:
	s_getpc_b64 s[14:15]
.Lpost_getpc10144:
	s_add_u32 s14, s14, (.LBB1_27457-.Lpost_getpc10144)&4294967295
	s_addc_u32 s15, s15, (.LBB1_27457-.Lpost_getpc10144)>>32
	s_setpc_b64 s[14:15]
.LBB1_13121:
	s_or_saveexec_b64 s[6:7], s[6:7]
	v_mov_b32_e32 v2, s10
	s_xor_b64 exec, exec, s[6:7]
	s_cbranch_execz .LBB1_13122
; %bb.48963:
	s_getpc_b64 s[14:15]
.Lpost_getpc10145:
	s_add_u32 s14, s14, (.LBB1_27460-.Lpost_getpc10145)&4294967295
	s_addc_u32 s15, s15, (.LBB1_27460-.Lpost_getpc10145)>>32
	s_setpc_b64 s[14:15]
.LBB1_13122:
	s_or_b64 exec, exec, s[6:7]
	s_and_saveexec_b64 s[6:7], s[4:5]
	s_cbranch_execz .LBB1_13124
.LBB1_13123:
	v_and_b32_e32 v2, 7, v8
	v_ffbh_u32_e32 v6, v2
	v_min_u32_e32 v6, 32, v6
	v_lshrrev_b16_e32 v3, 3, v8
	v_subrev_u32_e32 v7, 28, v6
	v_and_b32_e32 v3, 15, v3
	v_lshlrev_b32_e32 v7, v7, v8
	v_sub_u32_e32 v6, 29, v6
	v_and_b32_e32 v7, 7, v7
	v_cmp_eq_u16_e32 vcc, 0, v3
	v_cndmask_b32_e32 v2, v2, v7, vcc
	v_cndmask_b32_e32 v3, v3, v6, vcc
	v_lshlrev_b32_e32 v6, 24, v8
	v_mov_b32_e32 v7, 0x3b800000
	v_lshlrev_b32_e32 v2, 20, v2
	v_and_b32_e32 v6, 0x80000000, v6
	v_lshl_add_u32 v3, v3, 23, v7
	v_or3_b32 v2, v6, v3, v2
.LBB1_13124:
	s_or_b64 exec, exec, s[6:7]
	s_movk_i32 s4, 0x7f
	v_cmp_gt_i16_sdwa s[6:7], v4, s4 src0_sel:BYTE_0 src1_sel:DWORD
	s_mov_b64 s[4:5], 0
                                        ; implicit-def: $sgpr10
	s_and_saveexec_b64 s[8:9], s[6:7]
	s_xor_b64 s[6:7], exec, s[8:9]
	s_cbranch_execz .LBB1_13125
; %bb.48965:
	s_getpc_b64 s[14:15]
.Lpost_getpc10146:
	s_add_u32 s14, s14, (.LBB1_27461-.Lpost_getpc10146)&4294967295
	s_addc_u32 s15, s15, (.LBB1_27461-.Lpost_getpc10146)>>32
	s_setpc_b64 s[14:15]
.LBB1_13125:
	s_or_saveexec_b64 s[6:7], s[6:7]
	v_mov_b32_e32 v3, s10
	s_xor_b64 exec, exec, s[6:7]
	s_cbranch_execz .LBB1_13126
; %bb.48967:
	s_getpc_b64 s[14:15]
.Lpost_getpc10147:
	s_add_u32 s14, s14, (.LBB1_27464-.Lpost_getpc10147)&4294967295
	s_addc_u32 s15, s15, (.LBB1_27464-.Lpost_getpc10147)>>32
	s_setpc_b64 s[14:15]
.LBB1_13126:
	s_or_b64 exec, exec, s[6:7]
	s_and_saveexec_b64 s[6:7], s[4:5]
	s_cbranch_execz .LBB1_13128
.LBB1_13127:
	v_and_b32_e32 v3, 7, v4
	v_ffbh_u32_e32 v7, v3
	v_min_u32_e32 v7, 32, v7
	v_lshrrev_b16_e32 v6, 3, v4
	v_subrev_u32_e32 v12, 28, v7
	v_and_b32_e32 v6, 15, v6
	v_lshlrev_b32_e32 v12, v12, v4
	v_sub_u32_e32 v7, 29, v7
	v_and_b32_e32 v12, 7, v12
	v_cmp_eq_u16_e32 vcc, 0, v6
	v_cndmask_b32_e32 v3, v3, v12, vcc
	v_cndmask_b32_e32 v6, v6, v7, vcc
	v_lshlrev_b32_e32 v7, 24, v4
	v_mov_b32_e32 v12, 0x3b800000
	v_lshlrev_b32_e32 v3, 20, v3
	v_and_b32_e32 v7, 0x80000000, v7
	v_lshl_add_u32 v6, v6, 23, v12
	v_or3_b32 v3, v7, v6, v3
.LBB1_13128:
	s_or_b64 exec, exec, s[6:7]
	s_nop 0
	v_mfma_f32_16x16x4f32 a[0:3], v2, v3, a[0:3]
	v_lshrrev_b32_e32 v3, 8, v8
	s_movk_i32 s4, 0x7f
	v_cmp_gt_i16_sdwa s[6:7], v3, s4 src0_sel:BYTE_0 src1_sel:DWORD
	s_mov_b64 s[4:5], 0
                                        ; implicit-def: $sgpr10
	s_and_saveexec_b64 s[8:9], s[6:7]
	s_xor_b64 s[6:7], exec, s[8:9]
	s_cbranch_execz .LBB1_13129
; %bb.48969:
	s_getpc_b64 s[14:15]
.Lpost_getpc10148:
	s_add_u32 s14, s14, (.LBB1_27465-.Lpost_getpc10148)&4294967295
	s_addc_u32 s15, s15, (.LBB1_27465-.Lpost_getpc10148)>>32
	s_setpc_b64 s[14:15]
.LBB1_13129:
	s_or_saveexec_b64 s[6:7], s[6:7]
	v_mov_b32_e32 v2, s10
	s_xor_b64 exec, exec, s[6:7]
	s_cbranch_execz .LBB1_13130
; %bb.48971:
	s_getpc_b64 s[14:15]
.Lpost_getpc10149:
	s_add_u32 s14, s14, (.LBB1_27468-.Lpost_getpc10149)&4294967295
	s_addc_u32 s15, s15, (.LBB1_27468-.Lpost_getpc10149)>>32
	s_setpc_b64 s[14:15]
.LBB1_13130:
	s_or_b64 exec, exec, s[6:7]
	s_and_saveexec_b64 s[6:7], s[4:5]
	s_cbranch_execz .LBB1_13132
.LBB1_13131:
	v_bfe_u32 v2, v8, 8, 3
	v_ffbh_u32_e32 v7, v2
	v_min_u32_e32 v7, 32, v7
	v_lshrrev_b16_e32 v6, 3, v3
	v_subrev_u32_e32 v12, 28, v7
	v_and_b32_e32 v6, 15, v6
	v_lshlrev_b32_e32 v3, v12, v3
	v_sub_u32_e32 v7, 29, v7
	v_and_b32_e32 v3, 7, v3
	v_cmp_eq_u16_e32 vcc, 0, v6
	v_cndmask_b32_e32 v2, v2, v3, vcc
	v_cndmask_b32_e32 v3, v6, v7, vcc
	v_lshlrev_b32_e32 v6, 16, v8
	v_mov_b32_e32 v7, 0x3b800000
	v_lshlrev_b32_e32 v2, 20, v2
	v_and_b32_e32 v6, 0x80000000, v6
	v_lshl_add_u32 v3, v3, 23, v7
	v_or3_b32 v2, v6, v3, v2
.LBB1_13132:
	s_or_b64 exec, exec, s[6:7]
	v_lshrrev_b32_e32 v3, 8, v4
	s_movk_i32 s4, 0x7f
	v_cmp_gt_i16_sdwa s[6:7], v3, s4 src0_sel:BYTE_0 src1_sel:DWORD
	s_mov_b64 s[4:5], 0
                                        ; implicit-def: $sgpr10
	s_and_saveexec_b64 s[8:9], s[6:7]
	s_xor_b64 s[6:7], exec, s[8:9]
	s_cbranch_execz .LBB1_13133
; %bb.48973:
	s_getpc_b64 s[14:15]
.Lpost_getpc10150:
	s_add_u32 s14, s14, (.LBB1_27469-.Lpost_getpc10150)&4294967295
	s_addc_u32 s15, s15, (.LBB1_27469-.Lpost_getpc10150)>>32
	s_setpc_b64 s[14:15]
.LBB1_13133:
	s_or_saveexec_b64 s[6:7], s[6:7]
	v_mov_b32_e32 v6, s10
	s_xor_b64 exec, exec, s[6:7]
	s_cbranch_execz .LBB1_13134
; %bb.48975:
	s_getpc_b64 s[14:15]
.Lpost_getpc10151:
	s_add_u32 s14, s14, (.LBB1_27472-.Lpost_getpc10151)&4294967295
	s_addc_u32 s15, s15, (.LBB1_27472-.Lpost_getpc10151)>>32
	s_setpc_b64 s[14:15]
.LBB1_13134:
	s_or_b64 exec, exec, s[6:7]
	s_and_saveexec_b64 s[6:7], s[4:5]
	s_cbranch_execz .LBB1_13136
.LBB1_13135:
	v_bfe_u32 v6, v4, 8, 3
	v_ffbh_u32_e32 v12, v6
	v_min_u32_e32 v12, 32, v12
	v_lshrrev_b16_e32 v7, 3, v3
	v_subrev_u32_e32 v13, 28, v12
	v_and_b32_e32 v7, 15, v7
	v_lshlrev_b32_e32 v3, v13, v3
	v_sub_u32_e32 v12, 29, v12
	v_and_b32_e32 v3, 7, v3
	v_cmp_eq_u16_e32 vcc, 0, v7
	v_cndmask_b32_e32 v3, v6, v3, vcc
	v_cndmask_b32_e32 v6, v7, v12, vcc
	v_lshlrev_b32_e32 v7, 16, v4
	v_mov_b32_e32 v12, 0x3b800000
	v_lshlrev_b32_e32 v3, 20, v3
	v_and_b32_e32 v7, 0x80000000, v7
	v_lshl_add_u32 v6, v6, 23, v12
	v_or3_b32 v6, v7, v6, v3
.LBB1_13136:
	s_or_b64 exec, exec, s[6:7]
	s_nop 0
	v_mfma_f32_16x16x4f32 a[0:3], v2, v6, a[0:3]
	s_movk_i32 s4, 0xff
	v_and_b32_sdwa v3, v8, s4 dst_sel:DWORD dst_unused:UNUSED_PAD src0_sel:WORD_1 src1_sel:DWORD
	s_movk_i32 s4, 0x7f
	v_cmp_lt_i16_e32 vcc, s4, v3
	s_mov_b64 s[4:5], 0
                                        ; implicit-def: $sgpr10
	s_and_saveexec_b64 s[6:7], vcc
	s_xor_b64 s[6:7], exec, s[6:7]
	s_cbranch_execz .LBB1_13137
; %bb.48977:
	s_getpc_b64 s[14:15]
.Lpost_getpc10152:
	s_add_u32 s14, s14, (.LBB1_27473-.Lpost_getpc10152)&4294967295
	s_addc_u32 s15, s15, (.LBB1_27473-.Lpost_getpc10152)>>32
	s_setpc_b64 s[14:15]
.LBB1_13137:
	s_or_saveexec_b64 s[6:7], s[6:7]
	v_mov_b32_e32 v2, s10
	s_xor_b64 exec, exec, s[6:7]
	s_cbranch_execz .LBB1_13138
; %bb.48979:
	s_getpc_b64 s[14:15]
.Lpost_getpc10153:
	s_add_u32 s14, s14, (.LBB1_27476-.Lpost_getpc10153)&4294967295
	s_addc_u32 s15, s15, (.LBB1_27476-.Lpost_getpc10153)>>32
	s_setpc_b64 s[14:15]
.LBB1_13138:
	s_or_b64 exec, exec, s[6:7]
	s_and_saveexec_b64 s[6:7], s[4:5]
	s_cbranch_execz .LBB1_13140
.LBB1_13139:
	v_bfe_u32 v2, v8, 16, 3
	v_ffbh_u32_e32 v7, v2
	v_min_u32_e32 v7, 32, v7
	v_lshrrev_b32_e32 v3, 19, v8
	v_subrev_u32_e32 v12, 28, v7
	v_and_b32_e32 v3, 15, v3
	v_lshlrev_b32_sdwa v12, v12, v8 dst_sel:DWORD dst_unused:UNUSED_PAD src0_sel:DWORD src1_sel:WORD_1
	v_bfe_u32 v6, v8, 19, 4
	v_sub_u32_e32 v7, 29, v7
	v_and_b32_e32 v12, 7, v12
	v_cmp_eq_u16_e32 vcc, 0, v3
	v_cndmask_b32_e32 v2, v2, v12, vcc
	v_cndmask_b32_e32 v3, v6, v7, vcc
	v_lshlrev_b32_e32 v6, 8, v8
	v_mov_b32_e32 v7, 0x3b800000
	v_lshlrev_b32_e32 v2, 20, v2
	v_and_b32_e32 v6, 0x80000000, v6
	v_lshl_add_u32 v3, v3, 23, v7
	v_or3_b32 v2, v6, v3, v2
.LBB1_13140:
	s_or_b64 exec, exec, s[6:7]
	s_movk_i32 s4, 0xff
	v_and_b32_sdwa v3, v4, s4 dst_sel:DWORD dst_unused:UNUSED_PAD src0_sel:WORD_1 src1_sel:DWORD
	s_movk_i32 s4, 0x7f
	v_cmp_lt_i16_e32 vcc, s4, v3
	s_mov_b64 s[4:5], 0
                                        ; implicit-def: $sgpr10
	s_and_saveexec_b64 s[6:7], vcc
	s_xor_b64 s[6:7], exec, s[6:7]
	s_cbranch_execz .LBB1_13141
; %bb.48981:
	s_getpc_b64 s[14:15]
.Lpost_getpc10154:
	s_add_u32 s14, s14, (.LBB1_27477-.Lpost_getpc10154)&4294967295
	s_addc_u32 s15, s15, (.LBB1_27477-.Lpost_getpc10154)>>32
	s_setpc_b64 s[14:15]
.LBB1_13141:
	s_or_saveexec_b64 s[6:7], s[6:7]
	v_mov_b32_e32 v6, s10
	s_xor_b64 exec, exec, s[6:7]
	s_cbranch_execz .LBB1_13142
; %bb.48983:
	s_getpc_b64 s[14:15]
.Lpost_getpc10155:
	s_add_u32 s14, s14, (.LBB1_27480-.Lpost_getpc10155)&4294967295
	s_addc_u32 s15, s15, (.LBB1_27480-.Lpost_getpc10155)>>32
	s_setpc_b64 s[14:15]
.LBB1_13142:
	s_or_b64 exec, exec, s[6:7]
	s_and_saveexec_b64 s[6:7], s[4:5]
	s_cbranch_execz .LBB1_13144
.LBB1_13143:
	v_bfe_u32 v3, v4, 16, 3
	v_ffbh_u32_e32 v12, v3
	v_min_u32_e32 v12, 32, v12
	v_lshrrev_b32_e32 v6, 19, v4
	v_subrev_u32_e32 v13, 28, v12
	v_and_b32_e32 v6, 15, v6
	v_lshlrev_b32_sdwa v13, v13, v4 dst_sel:DWORD dst_unused:UNUSED_PAD src0_sel:DWORD src1_sel:WORD_1
	v_bfe_u32 v7, v4, 19, 4
	v_sub_u32_e32 v12, 29, v12
	v_and_b32_e32 v13, 7, v13
	v_cmp_eq_u16_e32 vcc, 0, v6
	v_cndmask_b32_e32 v3, v3, v13, vcc
	v_cndmask_b32_e32 v6, v7, v12, vcc
	v_lshlrev_b32_e32 v7, 8, v4
	v_mov_b32_e32 v12, 0x3b800000
	v_lshlrev_b32_e32 v3, 20, v3
	v_and_b32_e32 v7, 0x80000000, v7
	v_lshl_add_u32 v6, v6, 23, v12
	v_or3_b32 v6, v7, v6, v3
.LBB1_13144:
	s_or_b64 exec, exec, s[6:7]
	s_nop 0
	v_mfma_f32_16x16x4f32 a[0:3], v2, v6, a[0:3]
	s_movk_i32 s4, 0x7f
	v_cmp_gt_i16_sdwa s[6:7], v8, s4 src0_sel:BYTE_3 src1_sel:DWORD
	s_mov_b64 s[4:5], 0
                                        ; implicit-def: $sgpr10
	s_and_saveexec_b64 s[8:9], s[6:7]
	s_xor_b64 s[6:7], exec, s[8:9]
	s_cbranch_execz .LBB1_13145
; %bb.48985:
	s_getpc_b64 s[14:15]
.Lpost_getpc10156:
	s_add_u32 s14, s14, (.LBB1_27481-.Lpost_getpc10156)&4294967295
	s_addc_u32 s15, s15, (.LBB1_27481-.Lpost_getpc10156)>>32
	s_setpc_b64 s[14:15]
.LBB1_13145:
	s_or_saveexec_b64 s[6:7], s[6:7]
	v_mov_b32_e32 v2, s10
	s_xor_b64 exec, exec, s[6:7]
	s_cbranch_execz .LBB1_13146
; %bb.48987:
	s_getpc_b64 s[14:15]
.Lpost_getpc10157:
	s_add_u32 s14, s14, (.LBB1_27484-.Lpost_getpc10157)&4294967295
	s_addc_u32 s15, s15, (.LBB1_27484-.Lpost_getpc10157)>>32
	s_setpc_b64 s[14:15]
.LBB1_13146:
	s_or_b64 exec, exec, s[6:7]
	s_and_saveexec_b64 s[6:7], s[4:5]
	s_cbranch_execz .LBB1_13148
.LBB1_13147:
	v_bfe_u32 v2, v8, 24, 3
	v_ffbh_u32_e32 v12, v2
	v_min_u32_e32 v12, 32, v12
	v_lshrrev_b32_e32 v6, 27, v8
	v_subrev_u32_e32 v13, 28, v12
	v_and_b32_e32 v3, 0x80000000, v8
	v_and_b32_e32 v6, 15, v6
	v_bfe_u32 v7, v8, 27, 4
	v_lshlrev_b32_sdwa v8, v13, v8 dst_sel:DWORD dst_unused:UNUSED_PAD src0_sel:DWORD src1_sel:BYTE_3
	v_sub_u32_e32 v12, 29, v12
	v_and_b32_e32 v8, 7, v8
	v_cmp_eq_u16_e32 vcc, 0, v6
	v_cndmask_b32_e32 v2, v2, v8, vcc
	v_cndmask_b32_e32 v6, v7, v12, vcc
	v_mov_b32_e32 v7, 0x3b800000
	v_lshlrev_b32_e32 v2, 20, v2
	v_lshl_add_u32 v6, v6, 23, v7
	v_or3_b32 v2, v3, v6, v2
.LBB1_13148:
	s_or_b64 exec, exec, s[6:7]
	s_movk_i32 s4, 0x7f
	v_cmp_gt_i16_sdwa s[6:7], v4, s4 src0_sel:BYTE_3 src1_sel:DWORD
	s_mov_b64 s[4:5], 0
                                        ; implicit-def: $sgpr10
	s_and_saveexec_b64 s[8:9], s[6:7]
	s_xor_b64 s[6:7], exec, s[8:9]
	s_cbranch_execz .LBB1_13149
; %bb.48989:
	s_getpc_b64 s[14:15]
.Lpost_getpc10158:
	s_add_u32 s14, s14, (.LBB1_27485-.Lpost_getpc10158)&4294967295
	s_addc_u32 s15, s15, (.LBB1_27485-.Lpost_getpc10158)>>32
	s_setpc_b64 s[14:15]
.LBB1_13149:
	s_or_saveexec_b64 s[6:7], s[6:7]
	v_mov_b32_e32 v3, s10
	s_xor_b64 exec, exec, s[6:7]
	s_cbranch_execz .LBB1_13150
; %bb.48991:
	s_getpc_b64 s[14:15]
.Lpost_getpc10159:
	s_add_u32 s14, s14, (.LBB1_27488-.Lpost_getpc10159)&4294967295
	s_addc_u32 s15, s15, (.LBB1_27488-.Lpost_getpc10159)>>32
	s_setpc_b64 s[14:15]
.LBB1_13150:
	s_or_b64 exec, exec, s[6:7]
	s_and_saveexec_b64 s[6:7], s[4:5]
	s_cbranch_execz .LBB1_13152
.LBB1_13151:
	v_bfe_u32 v3, v4, 24, 3
	v_ffbh_u32_e32 v12, v3
	v_min_u32_e32 v12, 32, v12
	v_lshrrev_b32_e32 v7, 27, v4
	v_subrev_u32_e32 v13, 28, v12
	v_and_b32_e32 v6, 0x80000000, v4
	v_and_b32_e32 v7, 15, v7
	v_bfe_u32 v8, v4, 27, 4
	v_lshlrev_b32_sdwa v4, v13, v4 dst_sel:DWORD dst_unused:UNUSED_PAD src0_sel:DWORD src1_sel:BYTE_3
	v_sub_u32_e32 v12, 29, v12
	v_and_b32_e32 v4, 7, v4
	v_cmp_eq_u16_e32 vcc, 0, v7
	v_cndmask_b32_e32 v3, v3, v4, vcc
	v_cndmask_b32_e32 v4, v8, v12, vcc
	v_mov_b32_e32 v7, 0x3b800000
	v_lshlrev_b32_e32 v3, 20, v3
	v_lshl_add_u32 v4, v4, 23, v7
	v_or3_b32 v3, v6, v4, v3
.LBB1_13152:
	s_or_b64 exec, exec, s[6:7]
	s_nop 0
	v_mfma_f32_16x16x4f32 a[0:3], v2, v3, a[0:3]
	s_movk_i32 s4, 0x7f
	v_cmp_gt_i16_sdwa s[6:7], v9, s4 src0_sel:BYTE_0 src1_sel:DWORD
	s_mov_b64 s[4:5], 0
                                        ; implicit-def: $sgpr10
	s_and_saveexec_b64 s[8:9], s[6:7]
	s_xor_b64 s[6:7], exec, s[8:9]
	s_cbranch_execz .LBB1_13153
; %bb.48993:
	s_getpc_b64 s[14:15]
.Lpost_getpc10160:
	s_add_u32 s14, s14, (.LBB1_27489-.Lpost_getpc10160)&4294967295
	s_addc_u32 s15, s15, (.LBB1_27489-.Lpost_getpc10160)>>32
	s_setpc_b64 s[14:15]
.LBB1_13153:
	s_or_saveexec_b64 s[6:7], s[6:7]
	v_mov_b32_e32 v2, s10
	s_xor_b64 exec, exec, s[6:7]
	s_cbranch_execz .LBB1_13154
; %bb.48995:
	s_getpc_b64 s[14:15]
.Lpost_getpc10161:
	s_add_u32 s14, s14, (.LBB1_27492-.Lpost_getpc10161)&4294967295
	s_addc_u32 s15, s15, (.LBB1_27492-.Lpost_getpc10161)>>32
	s_setpc_b64 s[14:15]
.LBB1_13154:
	s_or_b64 exec, exec, s[6:7]
	s_and_saveexec_b64 s[6:7], s[4:5]
	s_cbranch_execz .LBB1_13156
.LBB1_13155:
	v_mov_b32_e32 v2, 8
	v_and_b32_e32 v3, 7, v9
	v_lshrrev_b32_sdwa v2, v2, v9 dst_sel:BYTE_1 dst_unused:UNUSED_PAD src0_sel:DWORD src1_sel:DWORD
	v_ffbh_u32_e32 v4, v3
	v_or_b32_sdwa v2, v9, v2 dst_sel:DWORD dst_unused:UNUSED_PAD src0_sel:BYTE_0 src1_sel:DWORD
	v_min_u32_e32 v4, 32, v4
	v_lshrrev_b16_e32 v2, 3, v2
	v_subrev_u32_e32 v6, 28, v4
	v_and_b32_e32 v2, 15, v2
	v_lshlrev_b32_e32 v6, v6, v9
	v_sub_u32_e32 v4, 29, v4
	v_and_b32_e32 v6, 7, v6
	v_cmp_eq_u16_e32 vcc, 0, v2
	v_cndmask_b32_e32 v3, v3, v6, vcc
	v_cndmask_b32_e32 v2, v2, v4, vcc
	v_lshlrev_b32_e32 v4, 24, v9
	v_mov_b32_e32 v6, 0x3b800000
	v_lshlrev_b32_e32 v3, 20, v3
	v_and_b32_e32 v4, 0x80000000, v4
	v_lshl_add_u32 v2, v2, 23, v6
	v_or3_b32 v2, v4, v2, v3
.LBB1_13156:
	s_or_b64 exec, exec, s[6:7]
	s_movk_i32 s4, 0x7f
	v_cmp_gt_i16_sdwa s[6:7], v5, s4 src0_sel:BYTE_0 src1_sel:DWORD
	s_mov_b64 s[4:5], 0
                                        ; implicit-def: $sgpr10
	s_and_saveexec_b64 s[8:9], s[6:7]
	s_xor_b64 s[6:7], exec, s[8:9]
	s_cbranch_execz .LBB1_13157
; %bb.48997:
	s_getpc_b64 s[14:15]
.Lpost_getpc10162:
	s_add_u32 s14, s14, (.LBB1_27493-.Lpost_getpc10162)&4294967295
	s_addc_u32 s15, s15, (.LBB1_27493-.Lpost_getpc10162)>>32
	s_setpc_b64 s[14:15]
.LBB1_13157:
	s_or_saveexec_b64 s[6:7], s[6:7]
	v_mov_b32_e32 v3, s10
	s_xor_b64 exec, exec, s[6:7]
	s_cbranch_execz .LBB1_13158
; %bb.48999:
	s_getpc_b64 s[14:15]
.Lpost_getpc10163:
	s_add_u32 s14, s14, (.LBB1_27496-.Lpost_getpc10163)&4294967295
	s_addc_u32 s15, s15, (.LBB1_27496-.Lpost_getpc10163)>>32
	s_setpc_b64 s[14:15]
.LBB1_13158:
	s_or_b64 exec, exec, s[6:7]
	s_and_saveexec_b64 s[6:7], s[4:5]
	s_cbranch_execz .LBB1_13160
.LBB1_13159:
	v_mov_b32_e32 v3, 8
	v_and_b32_e32 v4, 7, v5
	v_lshrrev_b32_sdwa v3, v3, v5 dst_sel:BYTE_1 dst_unused:UNUSED_PAD src0_sel:DWORD src1_sel:DWORD
	v_ffbh_u32_e32 v6, v4
	v_or_b32_sdwa v3, v5, v3 dst_sel:DWORD dst_unused:UNUSED_PAD src0_sel:BYTE_0 src1_sel:DWORD
	v_min_u32_e32 v6, 32, v6
	v_lshrrev_b16_e32 v3, 3, v3
	v_subrev_u32_e32 v7, 28, v6
	v_and_b32_e32 v3, 15, v3
	v_lshlrev_b32_e32 v7, v7, v5
	v_sub_u32_e32 v6, 29, v6
	v_and_b32_e32 v7, 7, v7
	v_cmp_eq_u16_e32 vcc, 0, v3
	v_cndmask_b32_e32 v4, v4, v7, vcc
	v_cndmask_b32_e32 v3, v3, v6, vcc
	v_lshlrev_b32_e32 v6, 24, v5
	v_mov_b32_e32 v7, 0x3b800000
	v_lshlrev_b32_e32 v4, 20, v4
	v_and_b32_e32 v6, 0x80000000, v6
	v_lshl_add_u32 v3, v3, 23, v7
	v_or3_b32 v3, v6, v3, v4
.LBB1_13160:
	s_or_b64 exec, exec, s[6:7]
	s_nop 0
	v_mfma_f32_16x16x4f32 a[0:3], v2, v3, a[0:3]
	v_lshrrev_b32_e32 v3, 8, v9
	s_movk_i32 s4, 0x7f
	v_cmp_gt_i16_sdwa s[6:7], v3, s4 src0_sel:BYTE_0 src1_sel:DWORD
	s_mov_b64 s[4:5], 0
                                        ; implicit-def: $sgpr10
	s_and_saveexec_b64 s[8:9], s[6:7]
	s_xor_b64 s[6:7], exec, s[8:9]
	s_cbranch_execz .LBB1_13161
; %bb.49001:
	s_getpc_b64 s[14:15]
.Lpost_getpc10164:
	s_add_u32 s14, s14, (.LBB1_27497-.Lpost_getpc10164)&4294967295
	s_addc_u32 s15, s15, (.LBB1_27497-.Lpost_getpc10164)>>32
	s_setpc_b64 s[14:15]
.LBB1_13161:
	s_or_saveexec_b64 s[6:7], s[6:7]
	v_mov_b32_e32 v2, s10
	s_xor_b64 exec, exec, s[6:7]
	s_cbranch_execz .LBB1_13162
; %bb.49003:
	s_getpc_b64 s[14:15]
.Lpost_getpc10165:
	s_add_u32 s14, s14, (.LBB1_27500-.Lpost_getpc10165)&4294967295
	s_addc_u32 s15, s15, (.LBB1_27500-.Lpost_getpc10165)>>32
	s_setpc_b64 s[14:15]
.LBB1_13162:
	s_or_b64 exec, exec, s[6:7]
	s_and_saveexec_b64 s[6:7], s[4:5]
	s_cbranch_execz .LBB1_13164
.LBB1_13163:
	v_bfe_u32 v2, v9, 8, 3
	v_ffbh_u32_e32 v6, v2
	v_min_u32_e32 v6, 32, v6
	v_lshrrev_b16_e32 v4, 3, v3
	v_subrev_u32_e32 v7, 28, v6
	v_and_b32_e32 v4, 15, v4
	v_lshlrev_b32_e32 v3, v7, v3
	v_sub_u32_e32 v6, 29, v6
	v_and_b32_e32 v3, 7, v3
	v_cmp_eq_u16_e32 vcc, 0, v4
	v_cndmask_b32_e32 v2, v2, v3, vcc
	v_cndmask_b32_e32 v3, v4, v6, vcc
	v_lshlrev_b32_e32 v4, 16, v9
	v_mov_b32_e32 v6, 0x3b800000
	v_lshlrev_b32_e32 v2, 20, v2
	v_and_b32_e32 v4, 0x80000000, v4
	v_lshl_add_u32 v3, v3, 23, v6
	v_or3_b32 v2, v4, v3, v2
.LBB1_13164:
	s_or_b64 exec, exec, s[6:7]
	v_lshrrev_b32_e32 v3, 8, v5
	s_movk_i32 s4, 0x7f
	v_cmp_gt_i16_sdwa s[6:7], v3, s4 src0_sel:BYTE_0 src1_sel:DWORD
	s_mov_b64 s[4:5], 0
                                        ; implicit-def: $sgpr10
	s_and_saveexec_b64 s[8:9], s[6:7]
	s_xor_b64 s[6:7], exec, s[8:9]
	s_cbranch_execz .LBB1_13165
; %bb.49005:
	s_getpc_b64 s[14:15]
.Lpost_getpc10166:
	s_add_u32 s14, s14, (.LBB1_27501-.Lpost_getpc10166)&4294967295
	s_addc_u32 s15, s15, (.LBB1_27501-.Lpost_getpc10166)>>32
	s_setpc_b64 s[14:15]
.LBB1_13165:
	s_or_saveexec_b64 s[6:7], s[6:7]
	v_mov_b32_e32 v4, s10
	s_xor_b64 exec, exec, s[6:7]
	s_cbranch_execz .LBB1_13166
; %bb.49007:
	s_getpc_b64 s[14:15]
.Lpost_getpc10167:
	s_add_u32 s14, s14, (.LBB1_27504-.Lpost_getpc10167)&4294967295
	s_addc_u32 s15, s15, (.LBB1_27504-.Lpost_getpc10167)>>32
	s_setpc_b64 s[14:15]
.LBB1_13166:
	s_or_b64 exec, exec, s[6:7]
	s_and_saveexec_b64 s[6:7], s[4:5]
	s_cbranch_execz .LBB1_13168
.LBB1_13167:
	v_bfe_u32 v4, v5, 8, 3
	v_ffbh_u32_e32 v7, v4
	v_min_u32_e32 v7, 32, v7
	v_lshrrev_b16_e32 v6, 3, v3
	v_subrev_u32_e32 v8, 28, v7
	v_and_b32_e32 v6, 15, v6
	v_lshlrev_b32_e32 v3, v8, v3
	v_sub_u32_e32 v7, 29, v7
	v_and_b32_e32 v3, 7, v3
	v_cmp_eq_u16_e32 vcc, 0, v6
	v_cndmask_b32_e32 v3, v4, v3, vcc
	v_cndmask_b32_e32 v4, v6, v7, vcc
	v_lshlrev_b32_e32 v6, 16, v5
	v_mov_b32_e32 v7, 0x3b800000
	v_lshlrev_b32_e32 v3, 20, v3
	v_and_b32_e32 v6, 0x80000000, v6
	v_lshl_add_u32 v4, v4, 23, v7
	v_or3_b32 v4, v6, v4, v3
.LBB1_13168:
	s_or_b64 exec, exec, s[6:7]
	s_nop 0
	v_mfma_f32_16x16x4f32 a[0:3], v2, v4, a[0:3]
	s_movk_i32 s4, 0xff
	v_and_b32_sdwa v3, v9, s4 dst_sel:DWORD dst_unused:UNUSED_PAD src0_sel:WORD_1 src1_sel:DWORD
	s_movk_i32 s4, 0x7f
	v_cmp_lt_i16_e32 vcc, s4, v3
	s_mov_b64 s[4:5], 0
                                        ; implicit-def: $sgpr10
	s_and_saveexec_b64 s[6:7], vcc
	s_xor_b64 s[6:7], exec, s[6:7]
	s_cbranch_execz .LBB1_13169
; %bb.49009:
	s_getpc_b64 s[14:15]
.Lpost_getpc10168:
	s_add_u32 s14, s14, (.LBB1_27505-.Lpost_getpc10168)&4294967295
	s_addc_u32 s15, s15, (.LBB1_27505-.Lpost_getpc10168)>>32
	s_setpc_b64 s[14:15]
.LBB1_13169:
	s_or_saveexec_b64 s[6:7], s[6:7]
	v_mov_b32_e32 v2, s10
	s_xor_b64 exec, exec, s[6:7]
	s_cbranch_execz .LBB1_13170
; %bb.49011:
	s_getpc_b64 s[14:15]
.Lpost_getpc10169:
	s_add_u32 s14, s14, (.LBB1_27508-.Lpost_getpc10169)&4294967295
	s_addc_u32 s15, s15, (.LBB1_27508-.Lpost_getpc10169)>>32
	s_setpc_b64 s[14:15]
.LBB1_13170:
	s_or_b64 exec, exec, s[6:7]
	s_and_saveexec_b64 s[6:7], s[4:5]
	s_cbranch_execz .LBB1_13172
.LBB1_13171:
	v_bfe_u32 v2, v9, 16, 3
	v_ffbh_u32_e32 v6, v2
	v_min_u32_e32 v6, 32, v6
	v_lshrrev_b32_e32 v3, 19, v9
	v_subrev_u32_e32 v7, 28, v6
	v_and_b32_e32 v3, 15, v3
	v_lshlrev_b32_sdwa v7, v7, v9 dst_sel:DWORD dst_unused:UNUSED_PAD src0_sel:DWORD src1_sel:WORD_1
	v_bfe_u32 v4, v9, 19, 4
	v_sub_u32_e32 v6, 29, v6
	v_and_b32_e32 v7, 7, v7
	v_cmp_eq_u16_e32 vcc, 0, v3
	v_cndmask_b32_e32 v2, v2, v7, vcc
	v_cndmask_b32_e32 v3, v4, v6, vcc
	v_lshlrev_b32_e32 v4, 8, v9
	v_mov_b32_e32 v6, 0x3b800000
	v_lshlrev_b32_e32 v2, 20, v2
	v_and_b32_e32 v4, 0x80000000, v4
	v_lshl_add_u32 v3, v3, 23, v6
	v_or3_b32 v2, v4, v3, v2
.LBB1_13172:
	s_or_b64 exec, exec, s[6:7]
	s_movk_i32 s4, 0xff
	v_and_b32_sdwa v3, v5, s4 dst_sel:DWORD dst_unused:UNUSED_PAD src0_sel:WORD_1 src1_sel:DWORD
	s_movk_i32 s4, 0x7f
	v_cmp_lt_i16_e32 vcc, s4, v3
	s_mov_b64 s[4:5], 0
                                        ; implicit-def: $sgpr10
	s_and_saveexec_b64 s[6:7], vcc
	s_xor_b64 s[6:7], exec, s[6:7]
	s_cbranch_execz .LBB1_13173
; %bb.49013:
	s_getpc_b64 s[14:15]
.Lpost_getpc10170:
	s_add_u32 s14, s14, (.LBB1_27509-.Lpost_getpc10170)&4294967295
	s_addc_u32 s15, s15, (.LBB1_27509-.Lpost_getpc10170)>>32
	s_setpc_b64 s[14:15]
.LBB1_13173:
	s_or_saveexec_b64 s[6:7], s[6:7]
	v_mov_b32_e32 v4, s10
	s_xor_b64 exec, exec, s[6:7]
	s_cbranch_execz .LBB1_13174
; %bb.49015:
	s_getpc_b64 s[14:15]
.Lpost_getpc10171:
	s_add_u32 s14, s14, (.LBB1_27512-.Lpost_getpc10171)&4294967295
	s_addc_u32 s15, s15, (.LBB1_27512-.Lpost_getpc10171)>>32
	s_setpc_b64 s[14:15]
.LBB1_13174:
	s_or_b64 exec, exec, s[6:7]
	s_and_saveexec_b64 s[6:7], s[4:5]
	s_cbranch_execz .LBB1_13176
.LBB1_13175:
	v_bfe_u32 v3, v5, 16, 3
	v_ffbh_u32_e32 v7, v3
	v_min_u32_e32 v7, 32, v7
	v_lshrrev_b32_e32 v4, 19, v5
	v_subrev_u32_e32 v8, 28, v7
	v_and_b32_e32 v4, 15, v4
	v_lshlrev_b32_sdwa v8, v8, v5 dst_sel:DWORD dst_unused:UNUSED_PAD src0_sel:DWORD src1_sel:WORD_1
	v_bfe_u32 v6, v5, 19, 4
	v_sub_u32_e32 v7, 29, v7
	v_and_b32_e32 v8, 7, v8
	v_cmp_eq_u16_e32 vcc, 0, v4
	v_cndmask_b32_e32 v3, v3, v8, vcc
	v_cndmask_b32_e32 v4, v6, v7, vcc
	v_lshlrev_b32_e32 v6, 8, v5
	v_mov_b32_e32 v7, 0x3b800000
	v_lshlrev_b32_e32 v3, 20, v3
	v_and_b32_e32 v6, 0x80000000, v6
	v_lshl_add_u32 v4, v4, 23, v7
	v_or3_b32 v4, v6, v4, v3
.LBB1_13176:
	s_or_b64 exec, exec, s[6:7]
	s_nop 0
	v_mfma_f32_16x16x4f32 a[0:3], v2, v4, a[0:3]
	s_movk_i32 s4, 0x7f
	v_cmp_gt_i16_sdwa s[6:7], v9, s4 src0_sel:BYTE_3 src1_sel:DWORD
	s_mov_b64 s[4:5], 0
                                        ; implicit-def: $sgpr10
	s_and_saveexec_b64 s[8:9], s[6:7]
	s_xor_b64 s[6:7], exec, s[8:9]
	s_cbranch_execz .LBB1_13177
; %bb.49017:
	s_getpc_b64 s[14:15]
.Lpost_getpc10172:
	s_add_u32 s14, s14, (.LBB1_27513-.Lpost_getpc10172)&4294967295
	s_addc_u32 s15, s15, (.LBB1_27513-.Lpost_getpc10172)>>32
	s_setpc_b64 s[14:15]
.LBB1_13177:
	s_or_saveexec_b64 s[6:7], s[6:7]
	v_mov_b32_e32 v2, s10
	s_xor_b64 exec, exec, s[6:7]
	s_cbranch_execz .LBB1_13178
; %bb.49019:
	s_getpc_b64 s[14:15]
.Lpost_getpc10173:
	s_add_u32 s14, s14, (.LBB1_27516-.Lpost_getpc10173)&4294967295
	s_addc_u32 s15, s15, (.LBB1_27516-.Lpost_getpc10173)>>32
	s_setpc_b64 s[14:15]
.LBB1_13178:
	s_or_b64 exec, exec, s[6:7]
	s_and_saveexec_b64 s[6:7], s[4:5]
	s_cbranch_execz .LBB1_13180
.LBB1_13179:
	v_bfe_u32 v2, v9, 24, 3
	v_ffbh_u32_e32 v7, v2
	v_min_u32_e32 v7, 32, v7
	v_lshrrev_b32_e32 v4, 27, v9
	v_subrev_u32_e32 v8, 28, v7
	v_and_b32_e32 v4, 15, v4
	v_lshlrev_b32_sdwa v8, v8, v9 dst_sel:DWORD dst_unused:UNUSED_PAD src0_sel:DWORD src1_sel:BYTE_3
	v_bfe_u32 v6, v9, 27, 4
	v_sub_u32_e32 v7, 29, v7
	v_and_b32_e32 v8, 7, v8
	v_cmp_eq_u16_e32 vcc, 0, v4
	v_cndmask_b32_e32 v2, v2, v8, vcc
	v_cndmask_b32_e32 v4, v6, v7, vcc
	v_mov_b32_e32 v6, 0x3b800000
	v_and_b32_e32 v3, 0x80000000, v9
	v_lshlrev_b32_e32 v2, 20, v2
	v_lshl_add_u32 v4, v4, 23, v6
	v_or3_b32 v2, v3, v4, v2
.LBB1_13180:
	s_or_b64 exec, exec, s[6:7]
	s_movk_i32 s4, 0x7f
	v_cmp_gt_i16_sdwa s[6:7], v5, s4 src0_sel:BYTE_3 src1_sel:DWORD
	s_mov_b64 s[4:5], 0
                                        ; implicit-def: $sgpr10
	s_and_saveexec_b64 s[8:9], s[6:7]
	s_xor_b64 s[6:7], exec, s[8:9]
	s_cbranch_execz .LBB1_13181
; %bb.49021:
	s_getpc_b64 s[14:15]
.Lpost_getpc10174:
	s_add_u32 s14, s14, (.LBB1_27517-.Lpost_getpc10174)&4294967295
	s_addc_u32 s15, s15, (.LBB1_27517-.Lpost_getpc10174)>>32
	s_setpc_b64 s[14:15]
.LBB1_13181:
	s_or_saveexec_b64 s[6:7], s[6:7]
	v_mov_b32_e32 v3, s10
	s_xor_b64 exec, exec, s[6:7]
	s_cbranch_execz .LBB1_13182
; %bb.49023:
	s_getpc_b64 s[14:15]
.Lpost_getpc10175:
	s_add_u32 s14, s14, (.LBB1_27520-.Lpost_getpc10175)&4294967295
	s_addc_u32 s15, s15, (.LBB1_27520-.Lpost_getpc10175)>>32
	s_setpc_b64 s[14:15]
.LBB1_13182:
	s_or_b64 exec, exec, s[6:7]
	s_and_saveexec_b64 s[6:7], s[4:5]
	s_cbranch_execz .LBB1_13184
.LBB1_13183:
	v_bfe_u32 v3, v5, 24, 3
	v_ffbh_u32_e32 v8, v3
	v_min_u32_e32 v8, 32, v8
	v_lshrrev_b32_e32 v6, 27, v5
	v_subrev_u32_e32 v9, 28, v8
	v_and_b32_e32 v4, 0x80000000, v5
	v_and_b32_e32 v6, 15, v6
	v_bfe_u32 v7, v5, 27, 4
	v_lshlrev_b32_sdwa v5, v9, v5 dst_sel:DWORD dst_unused:UNUSED_PAD src0_sel:DWORD src1_sel:BYTE_3
	v_sub_u32_e32 v8, 29, v8
	v_and_b32_e32 v5, 7, v5
	v_cmp_eq_u16_e32 vcc, 0, v6
	v_cndmask_b32_e32 v3, v3, v5, vcc
	v_cndmask_b32_e32 v5, v7, v8, vcc
	v_mov_b32_e32 v6, 0x3b800000
	v_lshlrev_b32_e32 v3, 20, v3
	v_lshl_add_u32 v5, v5, 23, v6
	v_or3_b32 v3, v4, v5, v3
.LBB1_13184:
	s_or_b64 exec, exec, s[6:7]
	s_nop 0
	v_mfma_f32_16x16x4f32 a[0:3], v2, v3, a[0:3]
	s_movk_i32 s4, 0x7f
                                        ; implicit-def: $sgpr10
	s_nop 7
	s_nop 1
	flat_store_dwordx4 v[10:11], a[0:3] offset:736
	flat_load_dwordx4 v[12:15], v[0:1]
	s_nop 0
	flat_load_dwordx2 v[10:11], v[0:1] offset:16
	s_waitcnt vmcnt(0) lgkmcnt(0)
	flat_load_dwordx4 v[6:9], v[12:13] offset:192
	flat_load_dwordx4 v[2:5], v[14:15] offset:240
	s_waitcnt vmcnt(0) lgkmcnt(0)
	v_cmp_gt_i16_sdwa s[6:7], v6, s4 src0_sel:BYTE_0 src1_sel:DWORD
	s_mov_b64 s[4:5], 0
	s_and_saveexec_b64 s[8:9], s[6:7]
	s_xor_b64 s[6:7], exec, s[8:9]
	s_cbranch_execz .LBB1_13185
; %bb.49025:
	s_getpc_b64 s[14:15]
.Lpost_getpc10176:
	s_add_u32 s14, s14, (.LBB1_27521-.Lpost_getpc10176)&4294967295
	s_addc_u32 s15, s15, (.LBB1_27521-.Lpost_getpc10176)>>32
	s_setpc_b64 s[14:15]
.LBB1_13185:
	s_or_saveexec_b64 s[6:7], s[6:7]
	v_mov_b32_e32 v12, s10
	s_xor_b64 exec, exec, s[6:7]
	s_cbranch_execz .LBB1_13186
; %bb.49027:
	s_getpc_b64 s[14:15]
.Lpost_getpc10177:
	s_add_u32 s14, s14, (.LBB1_27524-.Lpost_getpc10177)&4294967295
	s_addc_u32 s15, s15, (.LBB1_27524-.Lpost_getpc10177)>>32
	s_setpc_b64 s[14:15]
.LBB1_13186:
	s_or_b64 exec, exec, s[6:7]
	s_and_saveexec_b64 s[6:7], s[4:5]
	s_cbranch_execz .LBB1_13188
.LBB1_13187:
	v_and_b32_e32 v12, 7, v6
	v_ffbh_u32_e32 v14, v12
	v_min_u32_e32 v14, 32, v14
	v_lshrrev_b16_e32 v13, 3, v6
	v_subrev_u32_e32 v15, 28, v14
	v_and_b32_e32 v13, 15, v13
	v_lshlrev_b32_e32 v15, v15, v6
	v_sub_u32_e32 v14, 29, v14
	v_and_b32_e32 v15, 7, v15
	v_cmp_eq_u16_e32 vcc, 0, v13
	v_cndmask_b32_e32 v12, v12, v15, vcc
	v_cndmask_b32_e32 v13, v13, v14, vcc
	v_lshlrev_b32_e32 v14, 24, v6
	v_mov_b32_e32 v15, 0x3b800000
	v_lshlrev_b32_e32 v12, 20, v12
	v_and_b32_e32 v14, 0x80000000, v14
	v_lshl_add_u32 v13, v13, 23, v15
	v_or3_b32 v12, v14, v13, v12
.LBB1_13188:
	s_or_b64 exec, exec, s[6:7]
	s_movk_i32 s4, 0x7f
	v_cmp_gt_i16_sdwa s[6:7], v2, s4 src0_sel:BYTE_0 src1_sel:DWORD
	s_mov_b64 s[4:5], 0
                                        ; implicit-def: $sgpr10
	s_and_saveexec_b64 s[8:9], s[6:7]
	s_xor_b64 s[6:7], exec, s[8:9]
	s_cbranch_execz .LBB1_13189
; %bb.49029:
	s_getpc_b64 s[14:15]
.Lpost_getpc10178:
	s_add_u32 s14, s14, (.LBB1_27525-.Lpost_getpc10178)&4294967295
	s_addc_u32 s15, s15, (.LBB1_27525-.Lpost_getpc10178)>>32
	s_setpc_b64 s[14:15]
.LBB1_13189:
	s_or_saveexec_b64 s[6:7], s[6:7]
	v_mov_b32_e32 v13, s10
	s_xor_b64 exec, exec, s[6:7]
	s_cbranch_execz .LBB1_13190
; %bb.49031:
	s_getpc_b64 s[14:15]
.Lpost_getpc10179:
	s_add_u32 s14, s14, (.LBB1_27528-.Lpost_getpc10179)&4294967295
	s_addc_u32 s15, s15, (.LBB1_27528-.Lpost_getpc10179)>>32
	s_setpc_b64 s[14:15]
.LBB1_13190:
	s_or_b64 exec, exec, s[6:7]
	s_and_saveexec_b64 s[6:7], s[4:5]
	s_cbranch_execz .LBB1_13192
.LBB1_13191:
	v_and_b32_e32 v13, 7, v2
	v_ffbh_u32_e32 v15, v13
	v_min_u32_e32 v15, 32, v15
	v_lshrrev_b16_e32 v14, 3, v2
	v_subrev_u32_e32 v16, 28, v15
	v_and_b32_e32 v14, 15, v14
	v_lshlrev_b32_e32 v16, v16, v2
	v_sub_u32_e32 v15, 29, v15
	v_and_b32_e32 v16, 7, v16
	v_cmp_eq_u16_e32 vcc, 0, v14
	v_cndmask_b32_e32 v13, v13, v16, vcc
	v_cndmask_b32_e32 v14, v14, v15, vcc
	v_lshlrev_b32_e32 v15, 24, v2
	v_mov_b32_e32 v16, 0x3b800000
	v_lshlrev_b32_e32 v13, 20, v13
	v_and_b32_e32 v15, 0x80000000, v15
	v_lshl_add_u32 v14, v14, 23, v16
	v_or3_b32 v13, v15, v14, v13
.LBB1_13192:
	s_or_b64 exec, exec, s[6:7]
	flat_load_dwordx4 a[0:3], v[10:11] offset:752
	s_movk_i32 s4, 0x7f
                                        ; implicit-def: $sgpr10
	s_waitcnt vmcnt(0) lgkmcnt(0)
	v_mfma_f32_16x16x4f32 a[0:3], v12, v13, a[0:3]
	v_lshrrev_b32_e32 v13, 8, v6
	v_cmp_gt_i16_sdwa s[6:7], v13, s4 src0_sel:BYTE_0 src1_sel:DWORD
	s_mov_b64 s[4:5], 0
	s_and_saveexec_b64 s[8:9], s[6:7]
	s_xor_b64 s[6:7], exec, s[8:9]
	s_cbranch_execz .LBB1_13193
; %bb.49033:
	s_getpc_b64 s[14:15]
.Lpost_getpc10180:
	s_add_u32 s14, s14, (.LBB1_27529-.Lpost_getpc10180)&4294967295
	s_addc_u32 s15, s15, (.LBB1_27529-.Lpost_getpc10180)>>32
	s_setpc_b64 s[14:15]
.LBB1_13193:
	s_or_saveexec_b64 s[6:7], s[6:7]
	v_mov_b32_e32 v12, s10
	s_xor_b64 exec, exec, s[6:7]
	s_cbranch_execz .LBB1_13194
; %bb.49035:
	s_getpc_b64 s[14:15]
.Lpost_getpc10181:
	s_add_u32 s14, s14, (.LBB1_27532-.Lpost_getpc10181)&4294967295
	s_addc_u32 s15, s15, (.LBB1_27532-.Lpost_getpc10181)>>32
	s_setpc_b64 s[14:15]
.LBB1_13194:
	s_or_b64 exec, exec, s[6:7]
	s_and_saveexec_b64 s[6:7], s[4:5]
	s_cbranch_execz .LBB1_13196
.LBB1_13195:
	v_bfe_u32 v12, v6, 8, 3
	v_ffbh_u32_e32 v15, v12
	v_min_u32_e32 v15, 32, v15
	v_lshrrev_b16_e32 v14, 3, v13
	v_subrev_u32_e32 v16, 28, v15
	v_and_b32_e32 v14, 15, v14
	v_lshlrev_b32_e32 v13, v16, v13
	v_sub_u32_e32 v15, 29, v15
	v_and_b32_e32 v13, 7, v13
	v_cmp_eq_u16_e32 vcc, 0, v14
	v_cndmask_b32_e32 v12, v12, v13, vcc
	v_cndmask_b32_e32 v13, v14, v15, vcc
	v_lshlrev_b32_e32 v14, 16, v6
	v_mov_b32_e32 v15, 0x3b800000
	v_lshlrev_b32_e32 v12, 20, v12
	v_and_b32_e32 v14, 0x80000000, v14
	v_lshl_add_u32 v13, v13, 23, v15
	v_or3_b32 v12, v14, v13, v12
.LBB1_13196:
	s_or_b64 exec, exec, s[6:7]
	v_lshrrev_b32_e32 v13, 8, v2
	s_movk_i32 s4, 0x7f
	v_cmp_gt_i16_sdwa s[6:7], v13, s4 src0_sel:BYTE_0 src1_sel:DWORD
	s_mov_b64 s[4:5], 0
                                        ; implicit-def: $sgpr10
	s_and_saveexec_b64 s[8:9], s[6:7]
	s_xor_b64 s[6:7], exec, s[8:9]
	s_cbranch_execz .LBB1_13197
; %bb.49037:
	s_getpc_b64 s[14:15]
.Lpost_getpc10182:
	s_add_u32 s14, s14, (.LBB1_27533-.Lpost_getpc10182)&4294967295
	s_addc_u32 s15, s15, (.LBB1_27533-.Lpost_getpc10182)>>32
	s_setpc_b64 s[14:15]
.LBB1_13197:
	s_or_saveexec_b64 s[6:7], s[6:7]
	v_mov_b32_e32 v14, s10
	s_xor_b64 exec, exec, s[6:7]
	s_cbranch_execz .LBB1_13198
; %bb.49039:
	s_getpc_b64 s[14:15]
.Lpost_getpc10183:
	s_add_u32 s14, s14, (.LBB1_27536-.Lpost_getpc10183)&4294967295
	s_addc_u32 s15, s15, (.LBB1_27536-.Lpost_getpc10183)>>32
	s_setpc_b64 s[14:15]
.LBB1_13198:
	s_or_b64 exec, exec, s[6:7]
	s_and_saveexec_b64 s[6:7], s[4:5]
	s_cbranch_execz .LBB1_13200
.LBB1_13199:
	v_bfe_u32 v14, v2, 8, 3
	v_ffbh_u32_e32 v16, v14
	v_min_u32_e32 v16, 32, v16
	v_lshrrev_b16_e32 v15, 3, v13
	v_subrev_u32_e32 v17, 28, v16
	v_and_b32_e32 v15, 15, v15
	v_lshlrev_b32_e32 v13, v17, v13
	v_sub_u32_e32 v16, 29, v16
	v_and_b32_e32 v13, 7, v13
	v_cmp_eq_u16_e32 vcc, 0, v15
	v_cndmask_b32_e32 v13, v14, v13, vcc
	v_cndmask_b32_e32 v14, v15, v16, vcc
	v_lshlrev_b32_e32 v15, 16, v2
	v_mov_b32_e32 v16, 0x3b800000
	v_lshlrev_b32_e32 v13, 20, v13
	v_and_b32_e32 v15, 0x80000000, v15
	v_lshl_add_u32 v14, v14, 23, v16
	v_or3_b32 v14, v15, v14, v13
.LBB1_13200:
	s_or_b64 exec, exec, s[6:7]
	s_nop 0
	v_mfma_f32_16x16x4f32 a[0:3], v12, v14, a[0:3]
	s_movk_i32 s4, 0xff
	v_and_b32_sdwa v13, v6, s4 dst_sel:DWORD dst_unused:UNUSED_PAD src0_sel:WORD_1 src1_sel:DWORD
	s_movk_i32 s4, 0x7f
	v_cmp_lt_i16_e32 vcc, s4, v13
	s_mov_b64 s[4:5], 0
                                        ; implicit-def: $sgpr10
	s_and_saveexec_b64 s[6:7], vcc
	s_xor_b64 s[6:7], exec, s[6:7]
	s_cbranch_execz .LBB1_13201
; %bb.49041:
	s_getpc_b64 s[14:15]
.Lpost_getpc10184:
	s_add_u32 s14, s14, (.LBB1_27537-.Lpost_getpc10184)&4294967295
	s_addc_u32 s15, s15, (.LBB1_27537-.Lpost_getpc10184)>>32
	s_setpc_b64 s[14:15]
.LBB1_13201:
	s_or_saveexec_b64 s[6:7], s[6:7]
	v_mov_b32_e32 v12, s10
	s_xor_b64 exec, exec, s[6:7]
	s_cbranch_execz .LBB1_13202
; %bb.49043:
	s_getpc_b64 s[14:15]
.Lpost_getpc10185:
	s_add_u32 s14, s14, (.LBB1_27540-.Lpost_getpc10185)&4294967295
	s_addc_u32 s15, s15, (.LBB1_27540-.Lpost_getpc10185)>>32
	s_setpc_b64 s[14:15]
.LBB1_13202:
	s_or_b64 exec, exec, s[6:7]
	s_and_saveexec_b64 s[6:7], s[4:5]
	s_cbranch_execz .LBB1_13204
.LBB1_13203:
	v_bfe_u32 v12, v6, 16, 3
	v_ffbh_u32_e32 v15, v12
	v_min_u32_e32 v15, 32, v15
	v_lshrrev_b32_e32 v13, 19, v6
	v_subrev_u32_e32 v16, 28, v15
	v_and_b32_e32 v13, 15, v13
	v_lshlrev_b32_sdwa v16, v16, v6 dst_sel:DWORD dst_unused:UNUSED_PAD src0_sel:DWORD src1_sel:WORD_1
	v_bfe_u32 v14, v6, 19, 4
	v_sub_u32_e32 v15, 29, v15
	v_and_b32_e32 v16, 7, v16
	v_cmp_eq_u16_e32 vcc, 0, v13
	v_cndmask_b32_e32 v12, v12, v16, vcc
	v_cndmask_b32_e32 v13, v14, v15, vcc
	v_lshlrev_b32_e32 v14, 8, v6
	v_mov_b32_e32 v15, 0x3b800000
	v_lshlrev_b32_e32 v12, 20, v12
	v_and_b32_e32 v14, 0x80000000, v14
	v_lshl_add_u32 v13, v13, 23, v15
	v_or3_b32 v12, v14, v13, v12
.LBB1_13204:
	s_or_b64 exec, exec, s[6:7]
	s_movk_i32 s4, 0xff
	v_and_b32_sdwa v13, v2, s4 dst_sel:DWORD dst_unused:UNUSED_PAD src0_sel:WORD_1 src1_sel:DWORD
	s_movk_i32 s4, 0x7f
	v_cmp_lt_i16_e32 vcc, s4, v13
	s_mov_b64 s[4:5], 0
                                        ; implicit-def: $sgpr10
	s_and_saveexec_b64 s[6:7], vcc
	s_xor_b64 s[6:7], exec, s[6:7]
	s_cbranch_execz .LBB1_13205
; %bb.49045:
	s_getpc_b64 s[14:15]
.Lpost_getpc10186:
	s_add_u32 s14, s14, (.LBB1_27541-.Lpost_getpc10186)&4294967295
	s_addc_u32 s15, s15, (.LBB1_27541-.Lpost_getpc10186)>>32
	s_setpc_b64 s[14:15]
.LBB1_13205:
	s_or_saveexec_b64 s[6:7], s[6:7]
	v_mov_b32_e32 v14, s10
	s_xor_b64 exec, exec, s[6:7]
	s_cbranch_execz .LBB1_13206
; %bb.49047:
	s_getpc_b64 s[14:15]
.Lpost_getpc10187:
	s_add_u32 s14, s14, (.LBB1_27544-.Lpost_getpc10187)&4294967295
	s_addc_u32 s15, s15, (.LBB1_27544-.Lpost_getpc10187)>>32
	s_setpc_b64 s[14:15]
.LBB1_13206:
	s_or_b64 exec, exec, s[6:7]
	s_and_saveexec_b64 s[6:7], s[4:5]
	s_cbranch_execz .LBB1_13208
.LBB1_13207:
	v_bfe_u32 v13, v2, 16, 3
	v_ffbh_u32_e32 v16, v13
	v_min_u32_e32 v16, 32, v16
	v_lshrrev_b32_e32 v14, 19, v2
	v_subrev_u32_e32 v17, 28, v16
	v_and_b32_e32 v14, 15, v14
	v_lshlrev_b32_sdwa v17, v17, v2 dst_sel:DWORD dst_unused:UNUSED_PAD src0_sel:DWORD src1_sel:WORD_1
	v_bfe_u32 v15, v2, 19, 4
	v_sub_u32_e32 v16, 29, v16
	v_and_b32_e32 v17, 7, v17
	v_cmp_eq_u16_e32 vcc, 0, v14
	v_cndmask_b32_e32 v13, v13, v17, vcc
	v_cndmask_b32_e32 v14, v15, v16, vcc
	v_lshlrev_b32_e32 v15, 8, v2
	v_mov_b32_e32 v16, 0x3b800000
	v_lshlrev_b32_e32 v13, 20, v13
	v_and_b32_e32 v15, 0x80000000, v15
	v_lshl_add_u32 v14, v14, 23, v16
	v_or3_b32 v14, v15, v14, v13
.LBB1_13208:
	s_or_b64 exec, exec, s[6:7]
	s_nop 0
	v_mfma_f32_16x16x4f32 a[0:3], v12, v14, a[0:3]
	s_movk_i32 s4, 0x7f
	v_cmp_gt_i16_sdwa s[6:7], v6, s4 src0_sel:BYTE_3 src1_sel:DWORD
	s_mov_b64 s[4:5], 0
                                        ; implicit-def: $sgpr10
	s_and_saveexec_b64 s[8:9], s[6:7]
	s_xor_b64 s[6:7], exec, s[8:9]
	s_cbranch_execz .LBB1_13209
; %bb.49049:
	s_getpc_b64 s[14:15]
.Lpost_getpc10188:
	s_add_u32 s14, s14, (.LBB1_27545-.Lpost_getpc10188)&4294967295
	s_addc_u32 s15, s15, (.LBB1_27545-.Lpost_getpc10188)>>32
	s_setpc_b64 s[14:15]
.LBB1_13209:
	s_or_saveexec_b64 s[6:7], s[6:7]
	v_mov_b32_e32 v12, s10
	s_xor_b64 exec, exec, s[6:7]
	s_cbranch_execz .LBB1_13210
; %bb.49051:
	s_getpc_b64 s[14:15]
.Lpost_getpc10189:
	s_add_u32 s14, s14, (.LBB1_27548-.Lpost_getpc10189)&4294967295
	s_addc_u32 s15, s15, (.LBB1_27548-.Lpost_getpc10189)>>32
	s_setpc_b64 s[14:15]
.LBB1_13210:
	s_or_b64 exec, exec, s[6:7]
	s_and_saveexec_b64 s[6:7], s[4:5]
	s_cbranch_execz .LBB1_13212
.LBB1_13211:
	v_bfe_u32 v12, v6, 24, 3
	v_ffbh_u32_e32 v16, v12
	v_min_u32_e32 v16, 32, v16
	v_lshrrev_b32_e32 v14, 27, v6
	v_subrev_u32_e32 v17, 28, v16
	v_and_b32_e32 v13, 0x80000000, v6
	v_and_b32_e32 v14, 15, v14
	v_bfe_u32 v15, v6, 27, 4
	v_lshlrev_b32_sdwa v6, v17, v6 dst_sel:DWORD dst_unused:UNUSED_PAD src0_sel:DWORD src1_sel:BYTE_3
	v_sub_u32_e32 v16, 29, v16
	v_and_b32_e32 v6, 7, v6
	v_cmp_eq_u16_e32 vcc, 0, v14
	v_cndmask_b32_e32 v6, v12, v6, vcc
	v_cndmask_b32_e32 v12, v15, v16, vcc
	v_mov_b32_e32 v14, 0x3b800000
	v_lshlrev_b32_e32 v6, 20, v6
	v_lshl_add_u32 v12, v12, 23, v14
	v_or3_b32 v12, v13, v12, v6
.LBB1_13212:
	s_or_b64 exec, exec, s[6:7]
	s_movk_i32 s4, 0x7f
	v_cmp_gt_i16_sdwa s[6:7], v2, s4 src0_sel:BYTE_3 src1_sel:DWORD
	s_mov_b64 s[4:5], 0
                                        ; implicit-def: $sgpr10
	s_and_saveexec_b64 s[8:9], s[6:7]
	s_xor_b64 s[6:7], exec, s[8:9]
	s_cbranch_execz .LBB1_13213
; %bb.49053:
	s_getpc_b64 s[14:15]
.Lpost_getpc10190:
	s_add_u32 s14, s14, (.LBB1_27549-.Lpost_getpc10190)&4294967295
	s_addc_u32 s15, s15, (.LBB1_27549-.Lpost_getpc10190)>>32
	s_setpc_b64 s[14:15]
.LBB1_13213:
	s_or_saveexec_b64 s[6:7], s[6:7]
	v_mov_b32_e32 v6, s10
	s_xor_b64 exec, exec, s[6:7]
	s_cbranch_execz .LBB1_13214
; %bb.49055:
	s_getpc_b64 s[14:15]
.Lpost_getpc10191:
	s_add_u32 s14, s14, (.LBB1_27552-.Lpost_getpc10191)&4294967295
	s_addc_u32 s15, s15, (.LBB1_27552-.Lpost_getpc10191)>>32
	s_setpc_b64 s[14:15]
.LBB1_13214:
	s_or_b64 exec, exec, s[6:7]
	s_and_saveexec_b64 s[6:7], s[4:5]
	s_cbranch_execz .LBB1_13216
.LBB1_13215:
	v_bfe_u32 v6, v2, 24, 3
	v_ffbh_u32_e32 v16, v6
	v_min_u32_e32 v16, 32, v16
	v_lshrrev_b32_e32 v14, 27, v2
	v_subrev_u32_e32 v17, 28, v16
	v_and_b32_e32 v13, 0x80000000, v2
	v_and_b32_e32 v14, 15, v14
	v_bfe_u32 v15, v2, 27, 4
	v_lshlrev_b32_sdwa v2, v17, v2 dst_sel:DWORD dst_unused:UNUSED_PAD src0_sel:DWORD src1_sel:BYTE_3
	v_sub_u32_e32 v16, 29, v16
	v_and_b32_e32 v2, 7, v2
	v_cmp_eq_u16_e32 vcc, 0, v14
	v_cndmask_b32_e32 v2, v6, v2, vcc
	v_cndmask_b32_e32 v6, v15, v16, vcc
	v_mov_b32_e32 v14, 0x3b800000
	v_lshlrev_b32_e32 v2, 20, v2
	v_lshl_add_u32 v6, v6, 23, v14
	v_or3_b32 v6, v13, v6, v2
.LBB1_13216:
	s_or_b64 exec, exec, s[6:7]
	s_nop 0
	v_mfma_f32_16x16x4f32 a[0:3], v12, v6, a[0:3]
	s_movk_i32 s4, 0x7f
	v_cmp_gt_i16_sdwa s[6:7], v7, s4 src0_sel:BYTE_0 src1_sel:DWORD
	s_mov_b64 s[4:5], 0
                                        ; implicit-def: $sgpr10
	s_and_saveexec_b64 s[8:9], s[6:7]
	s_xor_b64 s[6:7], exec, s[8:9]
	s_cbranch_execz .LBB1_13217
; %bb.49057:
	s_getpc_b64 s[14:15]
.Lpost_getpc10192:
	s_add_u32 s14, s14, (.LBB1_27553-.Lpost_getpc10192)&4294967295
	s_addc_u32 s15, s15, (.LBB1_27553-.Lpost_getpc10192)>>32
	s_setpc_b64 s[14:15]
.LBB1_13217:
	s_or_saveexec_b64 s[6:7], s[6:7]
	v_mov_b32_e32 v2, s10
	s_xor_b64 exec, exec, s[6:7]
	s_cbranch_execz .LBB1_13218
; %bb.49059:
	s_getpc_b64 s[14:15]
.Lpost_getpc10193:
	s_add_u32 s14, s14, (.LBB1_27556-.Lpost_getpc10193)&4294967295
	s_addc_u32 s15, s15, (.LBB1_27556-.Lpost_getpc10193)>>32
	s_setpc_b64 s[14:15]
.LBB1_13218:
	s_or_b64 exec, exec, s[6:7]
	s_and_saveexec_b64 s[6:7], s[4:5]
	s_cbranch_execz .LBB1_13220
.LBB1_13219:
	v_and_b32_e32 v2, 7, v7
	v_ffbh_u32_e32 v12, v2
	v_min_u32_e32 v12, 32, v12
	v_lshrrev_b16_e32 v6, 3, v7
	v_subrev_u32_e32 v13, 28, v12
	v_and_b32_e32 v6, 15, v6
	v_lshlrev_b32_e32 v13, v13, v7
	v_sub_u32_e32 v12, 29, v12
	v_and_b32_e32 v13, 7, v13
	v_cmp_eq_u16_e32 vcc, 0, v6
	v_cndmask_b32_e32 v2, v2, v13, vcc
	v_cndmask_b32_e32 v6, v6, v12, vcc
	v_lshlrev_b32_e32 v12, 24, v7
	v_mov_b32_e32 v13, 0x3b800000
	v_lshlrev_b32_e32 v2, 20, v2
	v_and_b32_e32 v12, 0x80000000, v12
	v_lshl_add_u32 v6, v6, 23, v13
	v_or3_b32 v2, v12, v6, v2
.LBB1_13220:
	s_or_b64 exec, exec, s[6:7]
	s_movk_i32 s4, 0x7f
	v_cmp_gt_i16_sdwa s[6:7], v3, s4 src0_sel:BYTE_0 src1_sel:DWORD
	s_mov_b64 s[4:5], 0
                                        ; implicit-def: $sgpr10
	s_and_saveexec_b64 s[8:9], s[6:7]
	s_xor_b64 s[6:7], exec, s[8:9]
	s_cbranch_execz .LBB1_13221
; %bb.49061:
	s_getpc_b64 s[14:15]
.Lpost_getpc10194:
	s_add_u32 s14, s14, (.LBB1_27557-.Lpost_getpc10194)&4294967295
	s_addc_u32 s15, s15, (.LBB1_27557-.Lpost_getpc10194)>>32
	s_setpc_b64 s[14:15]
.LBB1_13221:
	s_or_saveexec_b64 s[6:7], s[6:7]
	v_mov_b32_e32 v6, s10
	s_xor_b64 exec, exec, s[6:7]
	s_cbranch_execz .LBB1_13222
; %bb.49063:
	s_getpc_b64 s[14:15]
.Lpost_getpc10195:
	s_add_u32 s14, s14, (.LBB1_27560-.Lpost_getpc10195)&4294967295
	s_addc_u32 s15, s15, (.LBB1_27560-.Lpost_getpc10195)>>32
	s_setpc_b64 s[14:15]
.LBB1_13222:
	s_or_b64 exec, exec, s[6:7]
	s_and_saveexec_b64 s[6:7], s[4:5]
	s_cbranch_execz .LBB1_13224
.LBB1_13223:
	v_and_b32_e32 v6, 7, v3
	v_ffbh_u32_e32 v13, v6
	v_min_u32_e32 v13, 32, v13
	v_lshrrev_b16_e32 v12, 3, v3
	v_subrev_u32_e32 v14, 28, v13
	v_and_b32_e32 v12, 15, v12
	v_lshlrev_b32_e32 v14, v14, v3
	v_sub_u32_e32 v13, 29, v13
	v_and_b32_e32 v14, 7, v14
	v_cmp_eq_u16_e32 vcc, 0, v12
	v_cndmask_b32_e32 v6, v6, v14, vcc
	v_cndmask_b32_e32 v12, v12, v13, vcc
	v_lshlrev_b32_e32 v13, 24, v3
	v_mov_b32_e32 v14, 0x3b800000
	v_lshlrev_b32_e32 v6, 20, v6
	v_and_b32_e32 v13, 0x80000000, v13
	v_lshl_add_u32 v12, v12, 23, v14
	v_or3_b32 v6, v13, v12, v6
.LBB1_13224:
	s_or_b64 exec, exec, s[6:7]
	s_nop 0
	v_mfma_f32_16x16x4f32 a[0:3], v2, v6, a[0:3]
	v_lshrrev_b32_e32 v6, 8, v7
	s_movk_i32 s4, 0x7f
	v_cmp_gt_i16_sdwa s[6:7], v6, s4 src0_sel:BYTE_0 src1_sel:DWORD
	s_mov_b64 s[4:5], 0
                                        ; implicit-def: $sgpr10
	s_and_saveexec_b64 s[8:9], s[6:7]
	s_xor_b64 s[6:7], exec, s[8:9]
	s_cbranch_execz .LBB1_13225
; %bb.49065:
	s_getpc_b64 s[14:15]
.Lpost_getpc10196:
	s_add_u32 s14, s14, (.LBB1_27561-.Lpost_getpc10196)&4294967295
	s_addc_u32 s15, s15, (.LBB1_27561-.Lpost_getpc10196)>>32
	s_setpc_b64 s[14:15]
.LBB1_13225:
	s_or_saveexec_b64 s[6:7], s[6:7]
	v_mov_b32_e32 v2, s10
	s_xor_b64 exec, exec, s[6:7]
	s_cbranch_execz .LBB1_13226
; %bb.49067:
	s_getpc_b64 s[14:15]
.Lpost_getpc10197:
	s_add_u32 s14, s14, (.LBB1_27564-.Lpost_getpc10197)&4294967295
	s_addc_u32 s15, s15, (.LBB1_27564-.Lpost_getpc10197)>>32
	s_setpc_b64 s[14:15]
.LBB1_13226:
	s_or_b64 exec, exec, s[6:7]
	s_and_saveexec_b64 s[6:7], s[4:5]
	s_cbranch_execz .LBB1_13228
.LBB1_13227:
	v_bfe_u32 v2, v7, 8, 3
	v_ffbh_u32_e32 v13, v2
	v_min_u32_e32 v13, 32, v13
	v_lshrrev_b16_e32 v12, 3, v6
	v_subrev_u32_e32 v14, 28, v13
	v_and_b32_e32 v12, 15, v12
	v_lshlrev_b32_e32 v6, v14, v6
	v_sub_u32_e32 v13, 29, v13
	v_and_b32_e32 v6, 7, v6
	v_cmp_eq_u16_e32 vcc, 0, v12
	v_cndmask_b32_e32 v2, v2, v6, vcc
	v_cndmask_b32_e32 v6, v12, v13, vcc
	v_lshlrev_b32_e32 v12, 16, v7
	v_mov_b32_e32 v13, 0x3b800000
	v_lshlrev_b32_e32 v2, 20, v2
	v_and_b32_e32 v12, 0x80000000, v12
	v_lshl_add_u32 v6, v6, 23, v13
	v_or3_b32 v2, v12, v6, v2
.LBB1_13228:
	s_or_b64 exec, exec, s[6:7]
	v_lshrrev_b32_e32 v6, 8, v3
	s_movk_i32 s4, 0x7f
	v_cmp_gt_i16_sdwa s[6:7], v6, s4 src0_sel:BYTE_0 src1_sel:DWORD
	s_mov_b64 s[4:5], 0
                                        ; implicit-def: $sgpr10
	s_and_saveexec_b64 s[8:9], s[6:7]
	s_xor_b64 s[6:7], exec, s[8:9]
	s_cbranch_execz .LBB1_13229
; %bb.49069:
	s_getpc_b64 s[14:15]
.Lpost_getpc10198:
	s_add_u32 s14, s14, (.LBB1_27565-.Lpost_getpc10198)&4294967295
	s_addc_u32 s15, s15, (.LBB1_27565-.Lpost_getpc10198)>>32
	s_setpc_b64 s[14:15]
.LBB1_13229:
	s_or_saveexec_b64 s[6:7], s[6:7]
	v_mov_b32_e32 v12, s10
	s_xor_b64 exec, exec, s[6:7]
	s_cbranch_execz .LBB1_13230
; %bb.49071:
	s_getpc_b64 s[14:15]
.Lpost_getpc10199:
	s_add_u32 s14, s14, (.LBB1_27568-.Lpost_getpc10199)&4294967295
	s_addc_u32 s15, s15, (.LBB1_27568-.Lpost_getpc10199)>>32
	s_setpc_b64 s[14:15]
.LBB1_13230:
	s_or_b64 exec, exec, s[6:7]
	s_and_saveexec_b64 s[6:7], s[4:5]
	s_cbranch_execz .LBB1_13232
.LBB1_13231:
	v_bfe_u32 v12, v3, 8, 3
	v_ffbh_u32_e32 v14, v12
	v_min_u32_e32 v14, 32, v14
	v_lshrrev_b16_e32 v13, 3, v6
	v_subrev_u32_e32 v15, 28, v14
	v_and_b32_e32 v13, 15, v13
	v_lshlrev_b32_e32 v6, v15, v6
	v_sub_u32_e32 v14, 29, v14
	v_and_b32_e32 v6, 7, v6
	v_cmp_eq_u16_e32 vcc, 0, v13
	v_cndmask_b32_e32 v6, v12, v6, vcc
	v_cndmask_b32_e32 v12, v13, v14, vcc
	v_lshlrev_b32_e32 v13, 16, v3
	v_mov_b32_e32 v14, 0x3b800000
	v_lshlrev_b32_e32 v6, 20, v6
	v_and_b32_e32 v13, 0x80000000, v13
	v_lshl_add_u32 v12, v12, 23, v14
	v_or3_b32 v12, v13, v12, v6
.LBB1_13232:
	s_or_b64 exec, exec, s[6:7]
	s_nop 0
	v_mfma_f32_16x16x4f32 a[0:3], v2, v12, a[0:3]
	s_movk_i32 s4, 0xff
	v_and_b32_sdwa v6, v7, s4 dst_sel:DWORD dst_unused:UNUSED_PAD src0_sel:WORD_1 src1_sel:DWORD
	s_movk_i32 s4, 0x7f
	v_cmp_lt_i16_e32 vcc, s4, v6
	s_mov_b64 s[4:5], 0
                                        ; implicit-def: $sgpr10
	s_and_saveexec_b64 s[6:7], vcc
	s_xor_b64 s[6:7], exec, s[6:7]
	s_cbranch_execz .LBB1_13233
; %bb.49073:
	s_getpc_b64 s[14:15]
.Lpost_getpc10200:
	s_add_u32 s14, s14, (.LBB1_27569-.Lpost_getpc10200)&4294967295
	s_addc_u32 s15, s15, (.LBB1_27569-.Lpost_getpc10200)>>32
	s_setpc_b64 s[14:15]
.LBB1_13233:
	s_or_saveexec_b64 s[6:7], s[6:7]
	v_mov_b32_e32 v2, s10
	s_xor_b64 exec, exec, s[6:7]
	s_cbranch_execz .LBB1_13234
; %bb.49075:
	s_getpc_b64 s[14:15]
.Lpost_getpc10201:
	s_add_u32 s14, s14, (.LBB1_27572-.Lpost_getpc10201)&4294967295
	s_addc_u32 s15, s15, (.LBB1_27572-.Lpost_getpc10201)>>32
	s_setpc_b64 s[14:15]
.LBB1_13234:
	s_or_b64 exec, exec, s[6:7]
	s_and_saveexec_b64 s[6:7], s[4:5]
	s_cbranch_execz .LBB1_13236
.LBB1_13235:
	v_bfe_u32 v2, v7, 16, 3
	v_ffbh_u32_e32 v13, v2
	v_min_u32_e32 v13, 32, v13
	v_lshrrev_b32_e32 v6, 19, v7
	v_subrev_u32_e32 v14, 28, v13
	v_and_b32_e32 v6, 15, v6
	v_lshlrev_b32_sdwa v14, v14, v7 dst_sel:DWORD dst_unused:UNUSED_PAD src0_sel:DWORD src1_sel:WORD_1
	v_bfe_u32 v12, v7, 19, 4
	v_sub_u32_e32 v13, 29, v13
	v_and_b32_e32 v14, 7, v14
	v_cmp_eq_u16_e32 vcc, 0, v6
	v_cndmask_b32_e32 v2, v2, v14, vcc
	v_cndmask_b32_e32 v6, v12, v13, vcc
	v_lshlrev_b32_e32 v12, 8, v7
	v_mov_b32_e32 v13, 0x3b800000
	v_lshlrev_b32_e32 v2, 20, v2
	v_and_b32_e32 v12, 0x80000000, v12
	v_lshl_add_u32 v6, v6, 23, v13
	v_or3_b32 v2, v12, v6, v2
.LBB1_13236:
	s_or_b64 exec, exec, s[6:7]
	s_movk_i32 s4, 0xff
	v_and_b32_sdwa v6, v3, s4 dst_sel:DWORD dst_unused:UNUSED_PAD src0_sel:WORD_1 src1_sel:DWORD
	s_movk_i32 s4, 0x7f
	v_cmp_lt_i16_e32 vcc, s4, v6
	s_mov_b64 s[4:5], 0
                                        ; implicit-def: $sgpr10
	s_and_saveexec_b64 s[6:7], vcc
	s_xor_b64 s[6:7], exec, s[6:7]
	s_cbranch_execz .LBB1_13237
; %bb.49077:
	s_getpc_b64 s[14:15]
.Lpost_getpc10202:
	s_add_u32 s14, s14, (.LBB1_27573-.Lpost_getpc10202)&4294967295
	s_addc_u32 s15, s15, (.LBB1_27573-.Lpost_getpc10202)>>32
	s_setpc_b64 s[14:15]
.LBB1_13237:
	s_or_saveexec_b64 s[6:7], s[6:7]
	v_mov_b32_e32 v12, s10
	s_xor_b64 exec, exec, s[6:7]
	s_cbranch_execz .LBB1_13238
; %bb.49079:
	s_getpc_b64 s[14:15]
.Lpost_getpc10203:
	s_add_u32 s14, s14, (.LBB1_27576-.Lpost_getpc10203)&4294967295
	s_addc_u32 s15, s15, (.LBB1_27576-.Lpost_getpc10203)>>32
	s_setpc_b64 s[14:15]
.LBB1_13238:
	s_or_b64 exec, exec, s[6:7]
	s_and_saveexec_b64 s[6:7], s[4:5]
	s_cbranch_execz .LBB1_13240
.LBB1_13239:
	v_bfe_u32 v6, v3, 16, 3
	v_ffbh_u32_e32 v14, v6
	v_min_u32_e32 v14, 32, v14
	v_lshrrev_b32_e32 v12, 19, v3
	v_subrev_u32_e32 v15, 28, v14
	v_and_b32_e32 v12, 15, v12
	v_lshlrev_b32_sdwa v15, v15, v3 dst_sel:DWORD dst_unused:UNUSED_PAD src0_sel:DWORD src1_sel:WORD_1
	v_bfe_u32 v13, v3, 19, 4
	v_sub_u32_e32 v14, 29, v14
	v_and_b32_e32 v15, 7, v15
	v_cmp_eq_u16_e32 vcc, 0, v12
	v_cndmask_b32_e32 v6, v6, v15, vcc
	v_cndmask_b32_e32 v12, v13, v14, vcc
	v_lshlrev_b32_e32 v13, 8, v3
	v_mov_b32_e32 v14, 0x3b800000
	v_lshlrev_b32_e32 v6, 20, v6
	v_and_b32_e32 v13, 0x80000000, v13
	v_lshl_add_u32 v12, v12, 23, v14
	v_or3_b32 v12, v13, v12, v6
.LBB1_13240:
	s_or_b64 exec, exec, s[6:7]
	s_nop 0
	v_mfma_f32_16x16x4f32 a[0:3], v2, v12, a[0:3]
	s_movk_i32 s4, 0x7f
	v_cmp_gt_i16_sdwa s[6:7], v7, s4 src0_sel:BYTE_3 src1_sel:DWORD
	s_mov_b64 s[4:5], 0
                                        ; implicit-def: $sgpr10
	s_and_saveexec_b64 s[8:9], s[6:7]
	s_xor_b64 s[6:7], exec, s[8:9]
	s_cbranch_execz .LBB1_13241
; %bb.49081:
	s_getpc_b64 s[14:15]
.Lpost_getpc10204:
	s_add_u32 s14, s14, (.LBB1_27577-.Lpost_getpc10204)&4294967295
	s_addc_u32 s15, s15, (.LBB1_27577-.Lpost_getpc10204)>>32
	s_setpc_b64 s[14:15]
.LBB1_13241:
	s_or_saveexec_b64 s[6:7], s[6:7]
	v_mov_b32_e32 v2, s10
	s_xor_b64 exec, exec, s[6:7]
	s_cbranch_execz .LBB1_13242
; %bb.49083:
	s_getpc_b64 s[14:15]
.Lpost_getpc10205:
	s_add_u32 s14, s14, (.LBB1_27580-.Lpost_getpc10205)&4294967295
	s_addc_u32 s15, s15, (.LBB1_27580-.Lpost_getpc10205)>>32
	s_setpc_b64 s[14:15]
.LBB1_13242:
	s_or_b64 exec, exec, s[6:7]
	s_and_saveexec_b64 s[6:7], s[4:5]
	s_cbranch_execz .LBB1_13244
.LBB1_13243:
	v_bfe_u32 v2, v7, 24, 3
	v_ffbh_u32_e32 v14, v2
	v_min_u32_e32 v14, 32, v14
	v_lshrrev_b32_e32 v12, 27, v7
	v_subrev_u32_e32 v15, 28, v14
	v_and_b32_e32 v6, 0x80000000, v7
	v_and_b32_e32 v12, 15, v12
	v_bfe_u32 v13, v7, 27, 4
	v_lshlrev_b32_sdwa v7, v15, v7 dst_sel:DWORD dst_unused:UNUSED_PAD src0_sel:DWORD src1_sel:BYTE_3
	v_sub_u32_e32 v14, 29, v14
	v_and_b32_e32 v7, 7, v7
	v_cmp_eq_u16_e32 vcc, 0, v12
	v_cndmask_b32_e32 v2, v2, v7, vcc
	v_cndmask_b32_e32 v7, v13, v14, vcc
	v_mov_b32_e32 v12, 0x3b800000
	v_lshlrev_b32_e32 v2, 20, v2
	v_lshl_add_u32 v7, v7, 23, v12
	v_or3_b32 v2, v6, v7, v2
.LBB1_13244:
	s_or_b64 exec, exec, s[6:7]
	s_movk_i32 s4, 0x7f
	v_cmp_gt_i16_sdwa s[6:7], v3, s4 src0_sel:BYTE_3 src1_sel:DWORD
	s_mov_b64 s[4:5], 0
                                        ; implicit-def: $sgpr10
	s_and_saveexec_b64 s[8:9], s[6:7]
	s_xor_b64 s[6:7], exec, s[8:9]
	s_cbranch_execz .LBB1_13245
; %bb.49085:
	s_getpc_b64 s[14:15]
.Lpost_getpc10206:
	s_add_u32 s14, s14, (.LBB1_27581-.Lpost_getpc10206)&4294967295
	s_addc_u32 s15, s15, (.LBB1_27581-.Lpost_getpc10206)>>32
	s_setpc_b64 s[14:15]
.LBB1_13245:
	s_or_saveexec_b64 s[6:7], s[6:7]
	v_mov_b32_e32 v6, s10
	s_xor_b64 exec, exec, s[6:7]
	s_cbranch_execz .LBB1_13246
; %bb.49087:
	s_getpc_b64 s[14:15]
.Lpost_getpc10207:
	s_add_u32 s14, s14, (.LBB1_27584-.Lpost_getpc10207)&4294967295
	s_addc_u32 s15, s15, (.LBB1_27584-.Lpost_getpc10207)>>32
	s_setpc_b64 s[14:15]
.LBB1_13246:
	s_or_b64 exec, exec, s[6:7]
	s_and_saveexec_b64 s[6:7], s[4:5]
	s_cbranch_execz .LBB1_13248
.LBB1_13247:
	v_bfe_u32 v6, v3, 24, 3
	v_ffbh_u32_e32 v14, v6
	v_min_u32_e32 v14, 32, v14
	v_lshrrev_b32_e32 v12, 27, v3
	v_subrev_u32_e32 v15, 28, v14
	v_and_b32_e32 v7, 0x80000000, v3
	v_and_b32_e32 v12, 15, v12
	v_bfe_u32 v13, v3, 27, 4
	v_lshlrev_b32_sdwa v3, v15, v3 dst_sel:DWORD dst_unused:UNUSED_PAD src0_sel:DWORD src1_sel:BYTE_3
	v_sub_u32_e32 v14, 29, v14
	v_and_b32_e32 v3, 7, v3
	v_cmp_eq_u16_e32 vcc, 0, v12
	v_cndmask_b32_e32 v3, v6, v3, vcc
	v_cndmask_b32_e32 v6, v13, v14, vcc
	v_mov_b32_e32 v12, 0x3b800000
	v_lshlrev_b32_e32 v3, 20, v3
	v_lshl_add_u32 v6, v6, 23, v12
	v_or3_b32 v6, v7, v6, v3
.LBB1_13248:
	s_or_b64 exec, exec, s[6:7]
	s_nop 0
	v_mfma_f32_16x16x4f32 a[0:3], v2, v6, a[0:3]
	s_movk_i32 s4, 0x7f
	v_cmp_gt_i16_sdwa s[6:7], v8, s4 src0_sel:BYTE_0 src1_sel:DWORD
	s_mov_b64 s[4:5], 0
                                        ; implicit-def: $sgpr10
	s_and_saveexec_b64 s[8:9], s[6:7]
	s_xor_b64 s[6:7], exec, s[8:9]
	s_cbranch_execz .LBB1_13249
; %bb.49089:
	s_getpc_b64 s[14:15]
.Lpost_getpc10208:
	s_add_u32 s14, s14, (.LBB1_27585-.Lpost_getpc10208)&4294967295
	s_addc_u32 s15, s15, (.LBB1_27585-.Lpost_getpc10208)>>32
	s_setpc_b64 s[14:15]
.LBB1_13249:
	s_or_saveexec_b64 s[6:7], s[6:7]
	v_mov_b32_e32 v2, s10
	s_xor_b64 exec, exec, s[6:7]
	s_cbranch_execz .LBB1_13250
; %bb.49091:
	s_getpc_b64 s[14:15]
.Lpost_getpc10209:
	s_add_u32 s14, s14, (.LBB1_27588-.Lpost_getpc10209)&4294967295
	s_addc_u32 s15, s15, (.LBB1_27588-.Lpost_getpc10209)>>32
	s_setpc_b64 s[14:15]
.LBB1_13250:
	s_or_b64 exec, exec, s[6:7]
	s_and_saveexec_b64 s[6:7], s[4:5]
	s_cbranch_execz .LBB1_13252
.LBB1_13251:
	v_and_b32_e32 v2, 7, v8
	v_ffbh_u32_e32 v6, v2
	v_min_u32_e32 v6, 32, v6
	v_lshrrev_b16_e32 v3, 3, v8
	v_subrev_u32_e32 v7, 28, v6
	v_and_b32_e32 v3, 15, v3
	v_lshlrev_b32_e32 v7, v7, v8
	v_sub_u32_e32 v6, 29, v6
	v_and_b32_e32 v7, 7, v7
	v_cmp_eq_u16_e32 vcc, 0, v3
	v_cndmask_b32_e32 v2, v2, v7, vcc
	v_cndmask_b32_e32 v3, v3, v6, vcc
	v_lshlrev_b32_e32 v6, 24, v8
	v_mov_b32_e32 v7, 0x3b800000
	v_lshlrev_b32_e32 v2, 20, v2
	v_and_b32_e32 v6, 0x80000000, v6
	v_lshl_add_u32 v3, v3, 23, v7
	v_or3_b32 v2, v6, v3, v2
.LBB1_13252:
	s_or_b64 exec, exec, s[6:7]
	s_movk_i32 s4, 0x7f
	v_cmp_gt_i16_sdwa s[6:7], v4, s4 src0_sel:BYTE_0 src1_sel:DWORD
	s_mov_b64 s[4:5], 0
                                        ; implicit-def: $sgpr10
	s_and_saveexec_b64 s[8:9], s[6:7]
	s_xor_b64 s[6:7], exec, s[8:9]
	s_cbranch_execz .LBB1_13253
; %bb.49093:
	s_getpc_b64 s[14:15]
.Lpost_getpc10210:
	s_add_u32 s14, s14, (.LBB1_27589-.Lpost_getpc10210)&4294967295
	s_addc_u32 s15, s15, (.LBB1_27589-.Lpost_getpc10210)>>32
	s_setpc_b64 s[14:15]
.LBB1_13253:
	s_or_saveexec_b64 s[6:7], s[6:7]
	v_mov_b32_e32 v3, s10
	s_xor_b64 exec, exec, s[6:7]
	s_cbranch_execz .LBB1_13254
; %bb.49095:
	s_getpc_b64 s[14:15]
.Lpost_getpc10211:
	s_add_u32 s14, s14, (.LBB1_27592-.Lpost_getpc10211)&4294967295
	s_addc_u32 s15, s15, (.LBB1_27592-.Lpost_getpc10211)>>32
	s_setpc_b64 s[14:15]
.LBB1_13254:
	s_or_b64 exec, exec, s[6:7]
	s_and_saveexec_b64 s[6:7], s[4:5]
	s_cbranch_execz .LBB1_13256
.LBB1_13255:
	v_and_b32_e32 v3, 7, v4
	v_ffbh_u32_e32 v7, v3
	v_min_u32_e32 v7, 32, v7
	v_lshrrev_b16_e32 v6, 3, v4
	v_subrev_u32_e32 v12, 28, v7
	v_and_b32_e32 v6, 15, v6
	v_lshlrev_b32_e32 v12, v12, v4
	v_sub_u32_e32 v7, 29, v7
	v_and_b32_e32 v12, 7, v12
	v_cmp_eq_u16_e32 vcc, 0, v6
	v_cndmask_b32_e32 v3, v3, v12, vcc
	v_cndmask_b32_e32 v6, v6, v7, vcc
	v_lshlrev_b32_e32 v7, 24, v4
	v_mov_b32_e32 v12, 0x3b800000
	v_lshlrev_b32_e32 v3, 20, v3
	v_and_b32_e32 v7, 0x80000000, v7
	v_lshl_add_u32 v6, v6, 23, v12
	v_or3_b32 v3, v7, v6, v3
.LBB1_13256:
	s_or_b64 exec, exec, s[6:7]
	s_nop 0
	v_mfma_f32_16x16x4f32 a[0:3], v2, v3, a[0:3]
	v_lshrrev_b32_e32 v3, 8, v8
	s_movk_i32 s4, 0x7f
	v_cmp_gt_i16_sdwa s[6:7], v3, s4 src0_sel:BYTE_0 src1_sel:DWORD
	s_mov_b64 s[4:5], 0
                                        ; implicit-def: $sgpr10
	s_and_saveexec_b64 s[8:9], s[6:7]
	s_xor_b64 s[6:7], exec, s[8:9]
	s_cbranch_execz .LBB1_13257
; %bb.49097:
	s_getpc_b64 s[14:15]
.Lpost_getpc10212:
	s_add_u32 s14, s14, (.LBB1_27593-.Lpost_getpc10212)&4294967295
	s_addc_u32 s15, s15, (.LBB1_27593-.Lpost_getpc10212)>>32
	s_setpc_b64 s[14:15]
.LBB1_13257:
	s_or_saveexec_b64 s[6:7], s[6:7]
	v_mov_b32_e32 v2, s10
	s_xor_b64 exec, exec, s[6:7]
	s_cbranch_execz .LBB1_13258
; %bb.49099:
	s_getpc_b64 s[14:15]
.Lpost_getpc10213:
	s_add_u32 s14, s14, (.LBB1_27596-.Lpost_getpc10213)&4294967295
	s_addc_u32 s15, s15, (.LBB1_27596-.Lpost_getpc10213)>>32
	s_setpc_b64 s[14:15]
.LBB1_13258:
	s_or_b64 exec, exec, s[6:7]
	s_and_saveexec_b64 s[6:7], s[4:5]
	s_cbranch_execz .LBB1_13260
.LBB1_13259:
	v_bfe_u32 v2, v8, 8, 3
	v_ffbh_u32_e32 v7, v2
	v_min_u32_e32 v7, 32, v7
	v_lshrrev_b16_e32 v6, 3, v3
	v_subrev_u32_e32 v12, 28, v7
	v_and_b32_e32 v6, 15, v6
	v_lshlrev_b32_e32 v3, v12, v3
	v_sub_u32_e32 v7, 29, v7
	v_and_b32_e32 v3, 7, v3
	v_cmp_eq_u16_e32 vcc, 0, v6
	v_cndmask_b32_e32 v2, v2, v3, vcc
	v_cndmask_b32_e32 v3, v6, v7, vcc
	v_lshlrev_b32_e32 v6, 16, v8
	v_mov_b32_e32 v7, 0x3b800000
	v_lshlrev_b32_e32 v2, 20, v2
	v_and_b32_e32 v6, 0x80000000, v6
	v_lshl_add_u32 v3, v3, 23, v7
	v_or3_b32 v2, v6, v3, v2
.LBB1_13260:
	s_or_b64 exec, exec, s[6:7]
	v_lshrrev_b32_e32 v3, 8, v4
	s_movk_i32 s4, 0x7f
	v_cmp_gt_i16_sdwa s[6:7], v3, s4 src0_sel:BYTE_0 src1_sel:DWORD
	s_mov_b64 s[4:5], 0
                                        ; implicit-def: $sgpr10
	s_and_saveexec_b64 s[8:9], s[6:7]
	s_xor_b64 s[6:7], exec, s[8:9]
	s_cbranch_execz .LBB1_13261
; %bb.49101:
	s_getpc_b64 s[14:15]
.Lpost_getpc10214:
	s_add_u32 s14, s14, (.LBB1_27597-.Lpost_getpc10214)&4294967295
	s_addc_u32 s15, s15, (.LBB1_27597-.Lpost_getpc10214)>>32
	s_setpc_b64 s[14:15]
.LBB1_13261:
	s_or_saveexec_b64 s[6:7], s[6:7]
	v_mov_b32_e32 v6, s10
	s_xor_b64 exec, exec, s[6:7]
	s_cbranch_execz .LBB1_13262
; %bb.49103:
	s_getpc_b64 s[14:15]
.Lpost_getpc10215:
	s_add_u32 s14, s14, (.LBB1_27600-.Lpost_getpc10215)&4294967295
	s_addc_u32 s15, s15, (.LBB1_27600-.Lpost_getpc10215)>>32
	s_setpc_b64 s[14:15]
.LBB1_13262:
	s_or_b64 exec, exec, s[6:7]
	s_and_saveexec_b64 s[6:7], s[4:5]
	s_cbranch_execz .LBB1_13264
.LBB1_13263:
	v_bfe_u32 v6, v4, 8, 3
	v_ffbh_u32_e32 v12, v6
	v_min_u32_e32 v12, 32, v12
	v_lshrrev_b16_e32 v7, 3, v3
	v_subrev_u32_e32 v13, 28, v12
	v_and_b32_e32 v7, 15, v7
	v_lshlrev_b32_e32 v3, v13, v3
	v_sub_u32_e32 v12, 29, v12
	v_and_b32_e32 v3, 7, v3
	v_cmp_eq_u16_e32 vcc, 0, v7
	v_cndmask_b32_e32 v3, v6, v3, vcc
	v_cndmask_b32_e32 v6, v7, v12, vcc
	v_lshlrev_b32_e32 v7, 16, v4
	v_mov_b32_e32 v12, 0x3b800000
	v_lshlrev_b32_e32 v3, 20, v3
	v_and_b32_e32 v7, 0x80000000, v7
	v_lshl_add_u32 v6, v6, 23, v12
	v_or3_b32 v6, v7, v6, v3
.LBB1_13264:
	s_or_b64 exec, exec, s[6:7]
	s_nop 0
	v_mfma_f32_16x16x4f32 a[0:3], v2, v6, a[0:3]
	s_movk_i32 s4, 0xff
	v_and_b32_sdwa v3, v8, s4 dst_sel:DWORD dst_unused:UNUSED_PAD src0_sel:WORD_1 src1_sel:DWORD
	s_movk_i32 s4, 0x7f
	v_cmp_lt_i16_e32 vcc, s4, v3
	s_mov_b64 s[4:5], 0
                                        ; implicit-def: $sgpr10
	s_and_saveexec_b64 s[6:7], vcc
	s_xor_b64 s[6:7], exec, s[6:7]
	s_cbranch_execz .LBB1_13265
; %bb.49105:
	s_getpc_b64 s[14:15]
.Lpost_getpc10216:
	s_add_u32 s14, s14, (.LBB1_27601-.Lpost_getpc10216)&4294967295
	s_addc_u32 s15, s15, (.LBB1_27601-.Lpost_getpc10216)>>32
	s_setpc_b64 s[14:15]
.LBB1_13265:
	s_or_saveexec_b64 s[6:7], s[6:7]
	v_mov_b32_e32 v2, s10
	s_xor_b64 exec, exec, s[6:7]
	s_cbranch_execz .LBB1_13266
; %bb.49107:
	s_getpc_b64 s[14:15]
.Lpost_getpc10217:
	s_add_u32 s14, s14, (.LBB1_27604-.Lpost_getpc10217)&4294967295
	s_addc_u32 s15, s15, (.LBB1_27604-.Lpost_getpc10217)>>32
	s_setpc_b64 s[14:15]
.LBB1_13266:
	s_or_b64 exec, exec, s[6:7]
	s_and_saveexec_b64 s[6:7], s[4:5]
	s_cbranch_execz .LBB1_13268
.LBB1_13267:
	v_bfe_u32 v2, v8, 16, 3
	v_ffbh_u32_e32 v7, v2
	v_min_u32_e32 v7, 32, v7
	v_lshrrev_b32_e32 v3, 19, v8
	v_subrev_u32_e32 v12, 28, v7
	v_and_b32_e32 v3, 15, v3
	v_lshlrev_b32_sdwa v12, v12, v8 dst_sel:DWORD dst_unused:UNUSED_PAD src0_sel:DWORD src1_sel:WORD_1
	v_bfe_u32 v6, v8, 19, 4
	v_sub_u32_e32 v7, 29, v7
	v_and_b32_e32 v12, 7, v12
	v_cmp_eq_u16_e32 vcc, 0, v3
	v_cndmask_b32_e32 v2, v2, v12, vcc
	v_cndmask_b32_e32 v3, v6, v7, vcc
	v_lshlrev_b32_e32 v6, 8, v8
	v_mov_b32_e32 v7, 0x3b800000
	v_lshlrev_b32_e32 v2, 20, v2
	v_and_b32_e32 v6, 0x80000000, v6
	v_lshl_add_u32 v3, v3, 23, v7
	v_or3_b32 v2, v6, v3, v2
.LBB1_13268:
	s_or_b64 exec, exec, s[6:7]
	s_movk_i32 s4, 0xff
	v_and_b32_sdwa v3, v4, s4 dst_sel:DWORD dst_unused:UNUSED_PAD src0_sel:WORD_1 src1_sel:DWORD
	s_movk_i32 s4, 0x7f
	v_cmp_lt_i16_e32 vcc, s4, v3
	s_mov_b64 s[4:5], 0
                                        ; implicit-def: $sgpr10
	s_and_saveexec_b64 s[6:7], vcc
	s_xor_b64 s[6:7], exec, s[6:7]
	s_cbranch_execz .LBB1_13269
; %bb.49109:
	s_getpc_b64 s[14:15]
.Lpost_getpc10218:
	s_add_u32 s14, s14, (.LBB1_27605-.Lpost_getpc10218)&4294967295
	s_addc_u32 s15, s15, (.LBB1_27605-.Lpost_getpc10218)>>32
	s_setpc_b64 s[14:15]
.LBB1_13269:
	s_or_saveexec_b64 s[6:7], s[6:7]
	v_mov_b32_e32 v6, s10
	s_xor_b64 exec, exec, s[6:7]
	s_cbranch_execz .LBB1_13270
; %bb.49111:
	s_getpc_b64 s[14:15]
.Lpost_getpc10219:
	s_add_u32 s14, s14, (.LBB1_27608-.Lpost_getpc10219)&4294967295
	s_addc_u32 s15, s15, (.LBB1_27608-.Lpost_getpc10219)>>32
	s_setpc_b64 s[14:15]
.LBB1_13270:
	s_or_b64 exec, exec, s[6:7]
	s_and_saveexec_b64 s[6:7], s[4:5]
	s_cbranch_execz .LBB1_13272
.LBB1_13271:
	v_bfe_u32 v3, v4, 16, 3
	v_ffbh_u32_e32 v12, v3
	v_min_u32_e32 v12, 32, v12
	v_lshrrev_b32_e32 v6, 19, v4
	v_subrev_u32_e32 v13, 28, v12
	v_and_b32_e32 v6, 15, v6
	v_lshlrev_b32_sdwa v13, v13, v4 dst_sel:DWORD dst_unused:UNUSED_PAD src0_sel:DWORD src1_sel:WORD_1
	v_bfe_u32 v7, v4, 19, 4
	v_sub_u32_e32 v12, 29, v12
	v_and_b32_e32 v13, 7, v13
	v_cmp_eq_u16_e32 vcc, 0, v6
	v_cndmask_b32_e32 v3, v3, v13, vcc
	v_cndmask_b32_e32 v6, v7, v12, vcc
	v_lshlrev_b32_e32 v7, 8, v4
	v_mov_b32_e32 v12, 0x3b800000
	v_lshlrev_b32_e32 v3, 20, v3
	v_and_b32_e32 v7, 0x80000000, v7
	v_lshl_add_u32 v6, v6, 23, v12
	v_or3_b32 v6, v7, v6, v3
.LBB1_13272:
	s_or_b64 exec, exec, s[6:7]
	s_nop 0
	v_mfma_f32_16x16x4f32 a[0:3], v2, v6, a[0:3]
	s_movk_i32 s4, 0x7f
	v_cmp_gt_i16_sdwa s[6:7], v8, s4 src0_sel:BYTE_3 src1_sel:DWORD
	s_mov_b64 s[4:5], 0
                                        ; implicit-def: $sgpr10
	s_and_saveexec_b64 s[8:9], s[6:7]
	s_xor_b64 s[6:7], exec, s[8:9]
	s_cbranch_execz .LBB1_13273
; %bb.49113:
	s_getpc_b64 s[14:15]
.Lpost_getpc10220:
	s_add_u32 s14, s14, (.LBB1_27609-.Lpost_getpc10220)&4294967295
	s_addc_u32 s15, s15, (.LBB1_27609-.Lpost_getpc10220)>>32
	s_setpc_b64 s[14:15]
.LBB1_13273:
	s_or_saveexec_b64 s[6:7], s[6:7]
	v_mov_b32_e32 v2, s10
	s_xor_b64 exec, exec, s[6:7]
	s_cbranch_execz .LBB1_13274
; %bb.49115:
	s_getpc_b64 s[14:15]
.Lpost_getpc10221:
	s_add_u32 s14, s14, (.LBB1_27612-.Lpost_getpc10221)&4294967295
	s_addc_u32 s15, s15, (.LBB1_27612-.Lpost_getpc10221)>>32
	s_setpc_b64 s[14:15]
.LBB1_13274:
	s_or_b64 exec, exec, s[6:7]
	s_and_saveexec_b64 s[6:7], s[4:5]
	s_cbranch_execz .LBB1_13276
.LBB1_13275:
	v_bfe_u32 v2, v8, 24, 3
	v_ffbh_u32_e32 v12, v2
	v_min_u32_e32 v12, 32, v12
	v_lshrrev_b32_e32 v6, 27, v8
	v_subrev_u32_e32 v13, 28, v12
	v_and_b32_e32 v3, 0x80000000, v8
	v_and_b32_e32 v6, 15, v6
	v_bfe_u32 v7, v8, 27, 4
	v_lshlrev_b32_sdwa v8, v13, v8 dst_sel:DWORD dst_unused:UNUSED_PAD src0_sel:DWORD src1_sel:BYTE_3
	v_sub_u32_e32 v12, 29, v12
	v_and_b32_e32 v8, 7, v8
	v_cmp_eq_u16_e32 vcc, 0, v6
	v_cndmask_b32_e32 v2, v2, v8, vcc
	v_cndmask_b32_e32 v6, v7, v12, vcc
	v_mov_b32_e32 v7, 0x3b800000
	v_lshlrev_b32_e32 v2, 20, v2
	v_lshl_add_u32 v6, v6, 23, v7
	v_or3_b32 v2, v3, v6, v2
.LBB1_13276:
	s_or_b64 exec, exec, s[6:7]
	s_movk_i32 s4, 0x7f
	v_cmp_gt_i16_sdwa s[6:7], v4, s4 src0_sel:BYTE_3 src1_sel:DWORD
	s_mov_b64 s[4:5], 0
                                        ; implicit-def: $sgpr10
	s_and_saveexec_b64 s[8:9], s[6:7]
	s_xor_b64 s[6:7], exec, s[8:9]
	s_cbranch_execz .LBB1_13277
; %bb.49117:
	s_getpc_b64 s[14:15]
.Lpost_getpc10222:
	s_add_u32 s14, s14, (.LBB1_27613-.Lpost_getpc10222)&4294967295
	s_addc_u32 s15, s15, (.LBB1_27613-.Lpost_getpc10222)>>32
	s_setpc_b64 s[14:15]
.LBB1_13277:
	s_or_saveexec_b64 s[6:7], s[6:7]
	v_mov_b32_e32 v3, s10
	s_xor_b64 exec, exec, s[6:7]
	s_cbranch_execz .LBB1_13278
; %bb.49119:
	s_getpc_b64 s[14:15]
.Lpost_getpc10223:
	s_add_u32 s14, s14, (.LBB1_27616-.Lpost_getpc10223)&4294967295
	s_addc_u32 s15, s15, (.LBB1_27616-.Lpost_getpc10223)>>32
	s_setpc_b64 s[14:15]
.LBB1_13278:
	s_or_b64 exec, exec, s[6:7]
	s_and_saveexec_b64 s[6:7], s[4:5]
	s_cbranch_execz .LBB1_13280
.LBB1_13279:
	v_bfe_u32 v3, v4, 24, 3
	v_ffbh_u32_e32 v12, v3
	v_min_u32_e32 v12, 32, v12
	v_lshrrev_b32_e32 v7, 27, v4
	v_subrev_u32_e32 v13, 28, v12
	v_and_b32_e32 v6, 0x80000000, v4
	v_and_b32_e32 v7, 15, v7
	v_bfe_u32 v8, v4, 27, 4
	v_lshlrev_b32_sdwa v4, v13, v4 dst_sel:DWORD dst_unused:UNUSED_PAD src0_sel:DWORD src1_sel:BYTE_3
	v_sub_u32_e32 v12, 29, v12
	v_and_b32_e32 v4, 7, v4
	v_cmp_eq_u16_e32 vcc, 0, v7
	v_cndmask_b32_e32 v3, v3, v4, vcc
	v_cndmask_b32_e32 v4, v8, v12, vcc
	v_mov_b32_e32 v7, 0x3b800000
	v_lshlrev_b32_e32 v3, 20, v3
	v_lshl_add_u32 v4, v4, 23, v7
	v_or3_b32 v3, v6, v4, v3
.LBB1_13280:
	s_or_b64 exec, exec, s[6:7]
	s_nop 0
	v_mfma_f32_16x16x4f32 a[0:3], v2, v3, a[0:3]
	s_movk_i32 s4, 0x7f
	v_cmp_gt_i16_sdwa s[6:7], v9, s4 src0_sel:BYTE_0 src1_sel:DWORD
	s_mov_b64 s[4:5], 0
                                        ; implicit-def: $sgpr10
	s_and_saveexec_b64 s[8:9], s[6:7]
	s_xor_b64 s[6:7], exec, s[8:9]
	s_cbranch_execz .LBB1_13281
; %bb.49121:
	s_getpc_b64 s[14:15]
.Lpost_getpc10224:
	s_add_u32 s14, s14, (.LBB1_27617-.Lpost_getpc10224)&4294967295
	s_addc_u32 s15, s15, (.LBB1_27617-.Lpost_getpc10224)>>32
	s_setpc_b64 s[14:15]
.LBB1_13281:
	s_or_saveexec_b64 s[6:7], s[6:7]
	v_mov_b32_e32 v2, s10
	s_xor_b64 exec, exec, s[6:7]
	s_cbranch_execz .LBB1_13282
; %bb.49123:
	s_getpc_b64 s[14:15]
.Lpost_getpc10225:
	s_add_u32 s14, s14, (.LBB1_27620-.Lpost_getpc10225)&4294967295
	s_addc_u32 s15, s15, (.LBB1_27620-.Lpost_getpc10225)>>32
	s_setpc_b64 s[14:15]
.LBB1_13282:
	s_or_b64 exec, exec, s[6:7]
	s_and_saveexec_b64 s[6:7], s[4:5]
	s_cbranch_execz .LBB1_13284
.LBB1_13283:
	v_mov_b32_e32 v2, 8
	v_and_b32_e32 v3, 7, v9
	v_lshrrev_b32_sdwa v2, v2, v9 dst_sel:BYTE_1 dst_unused:UNUSED_PAD src0_sel:DWORD src1_sel:DWORD
	v_ffbh_u32_e32 v4, v3
	v_or_b32_sdwa v2, v9, v2 dst_sel:DWORD dst_unused:UNUSED_PAD src0_sel:BYTE_0 src1_sel:DWORD
	v_min_u32_e32 v4, 32, v4
	v_lshrrev_b16_e32 v2, 3, v2
	v_subrev_u32_e32 v6, 28, v4
	v_and_b32_e32 v2, 15, v2
	v_lshlrev_b32_e32 v6, v6, v9
	v_sub_u32_e32 v4, 29, v4
	v_and_b32_e32 v6, 7, v6
	v_cmp_eq_u16_e32 vcc, 0, v2
	v_cndmask_b32_e32 v3, v3, v6, vcc
	v_cndmask_b32_e32 v2, v2, v4, vcc
	v_lshlrev_b32_e32 v4, 24, v9
	v_mov_b32_e32 v6, 0x3b800000
	v_lshlrev_b32_e32 v3, 20, v3
	v_and_b32_e32 v4, 0x80000000, v4
	v_lshl_add_u32 v2, v2, 23, v6
	v_or3_b32 v2, v4, v2, v3
.LBB1_13284:
	s_or_b64 exec, exec, s[6:7]
	s_movk_i32 s4, 0x7f
	v_cmp_gt_i16_sdwa s[6:7], v5, s4 src0_sel:BYTE_0 src1_sel:DWORD
	s_mov_b64 s[4:5], 0
                                        ; implicit-def: $sgpr10
	s_and_saveexec_b64 s[8:9], s[6:7]
	s_xor_b64 s[6:7], exec, s[8:9]
	s_cbranch_execz .LBB1_13285
; %bb.49125:
	s_getpc_b64 s[14:15]
.Lpost_getpc10226:
	s_add_u32 s14, s14, (.LBB1_27621-.Lpost_getpc10226)&4294967295
	s_addc_u32 s15, s15, (.LBB1_27621-.Lpost_getpc10226)>>32
	s_setpc_b64 s[14:15]
.LBB1_13285:
	s_or_saveexec_b64 s[6:7], s[6:7]
	v_mov_b32_e32 v3, s10
	s_xor_b64 exec, exec, s[6:7]
	s_cbranch_execz .LBB1_13286
; %bb.49127:
	s_getpc_b64 s[14:15]
.Lpost_getpc10227:
	s_add_u32 s14, s14, (.LBB1_27624-.Lpost_getpc10227)&4294967295
	s_addc_u32 s15, s15, (.LBB1_27624-.Lpost_getpc10227)>>32
	s_setpc_b64 s[14:15]
.LBB1_13286:
	s_or_b64 exec, exec, s[6:7]
	s_and_saveexec_b64 s[6:7], s[4:5]
	s_cbranch_execz .LBB1_13288
.LBB1_13287:
	v_mov_b32_e32 v3, 8
	v_and_b32_e32 v4, 7, v5
	v_lshrrev_b32_sdwa v3, v3, v5 dst_sel:BYTE_1 dst_unused:UNUSED_PAD src0_sel:DWORD src1_sel:DWORD
	v_ffbh_u32_e32 v6, v4
	v_or_b32_sdwa v3, v5, v3 dst_sel:DWORD dst_unused:UNUSED_PAD src0_sel:BYTE_0 src1_sel:DWORD
	v_min_u32_e32 v6, 32, v6
	v_lshrrev_b16_e32 v3, 3, v3
	v_subrev_u32_e32 v7, 28, v6
	v_and_b32_e32 v3, 15, v3
	v_lshlrev_b32_e32 v7, v7, v5
	v_sub_u32_e32 v6, 29, v6
	v_and_b32_e32 v7, 7, v7
	v_cmp_eq_u16_e32 vcc, 0, v3
	v_cndmask_b32_e32 v4, v4, v7, vcc
	v_cndmask_b32_e32 v3, v3, v6, vcc
	v_lshlrev_b32_e32 v6, 24, v5
	v_mov_b32_e32 v7, 0x3b800000
	v_lshlrev_b32_e32 v4, 20, v4
	v_and_b32_e32 v6, 0x80000000, v6
	v_lshl_add_u32 v3, v3, 23, v7
	v_or3_b32 v3, v6, v3, v4
.LBB1_13288:
	s_or_b64 exec, exec, s[6:7]
	s_nop 0
	v_mfma_f32_16x16x4f32 a[0:3], v2, v3, a[0:3]
	v_lshrrev_b32_e32 v3, 8, v9
	s_movk_i32 s4, 0x7f
	v_cmp_gt_i16_sdwa s[6:7], v3, s4 src0_sel:BYTE_0 src1_sel:DWORD
	s_mov_b64 s[4:5], 0
                                        ; implicit-def: $sgpr10
	s_and_saveexec_b64 s[8:9], s[6:7]
	s_xor_b64 s[6:7], exec, s[8:9]
	s_cbranch_execz .LBB1_13289
; %bb.49129:
	s_getpc_b64 s[14:15]
.Lpost_getpc10228:
	s_add_u32 s14, s14, (.LBB1_27625-.Lpost_getpc10228)&4294967295
	s_addc_u32 s15, s15, (.LBB1_27625-.Lpost_getpc10228)>>32
	s_setpc_b64 s[14:15]
.LBB1_13289:
	s_or_saveexec_b64 s[6:7], s[6:7]
	v_mov_b32_e32 v2, s10
	s_xor_b64 exec, exec, s[6:7]
	s_cbranch_execz .LBB1_13290
; %bb.49131:
	s_getpc_b64 s[14:15]
.Lpost_getpc10229:
	s_add_u32 s14, s14, (.LBB1_27628-.Lpost_getpc10229)&4294967295
	s_addc_u32 s15, s15, (.LBB1_27628-.Lpost_getpc10229)>>32
	s_setpc_b64 s[14:15]
.LBB1_13290:
	s_or_b64 exec, exec, s[6:7]
	s_and_saveexec_b64 s[6:7], s[4:5]
	s_cbranch_execz .LBB1_13292
.LBB1_13291:
	v_bfe_u32 v2, v9, 8, 3
	v_ffbh_u32_e32 v6, v2
	v_min_u32_e32 v6, 32, v6
	v_lshrrev_b16_e32 v4, 3, v3
	v_subrev_u32_e32 v7, 28, v6
	v_and_b32_e32 v4, 15, v4
	v_lshlrev_b32_e32 v3, v7, v3
	v_sub_u32_e32 v6, 29, v6
	v_and_b32_e32 v3, 7, v3
	v_cmp_eq_u16_e32 vcc, 0, v4
	v_cndmask_b32_e32 v2, v2, v3, vcc
	v_cndmask_b32_e32 v3, v4, v6, vcc
	v_lshlrev_b32_e32 v4, 16, v9
	v_mov_b32_e32 v6, 0x3b800000
	v_lshlrev_b32_e32 v2, 20, v2
	v_and_b32_e32 v4, 0x80000000, v4
	v_lshl_add_u32 v3, v3, 23, v6
	v_or3_b32 v2, v4, v3, v2
.LBB1_13292:
	s_or_b64 exec, exec, s[6:7]
	v_lshrrev_b32_e32 v3, 8, v5
	s_movk_i32 s4, 0x7f
	v_cmp_gt_i16_sdwa s[6:7], v3, s4 src0_sel:BYTE_0 src1_sel:DWORD
	s_mov_b64 s[4:5], 0
                                        ; implicit-def: $sgpr10
	s_and_saveexec_b64 s[8:9], s[6:7]
	s_xor_b64 s[6:7], exec, s[8:9]
	s_cbranch_execz .LBB1_13293
; %bb.49133:
	s_getpc_b64 s[14:15]
.Lpost_getpc10230:
	s_add_u32 s14, s14, (.LBB1_27629-.Lpost_getpc10230)&4294967295
	s_addc_u32 s15, s15, (.LBB1_27629-.Lpost_getpc10230)>>32
	s_setpc_b64 s[14:15]
.LBB1_13293:
	s_or_saveexec_b64 s[6:7], s[6:7]
	v_mov_b32_e32 v4, s10
	s_xor_b64 exec, exec, s[6:7]
	s_cbranch_execz .LBB1_13294
; %bb.49135:
	s_getpc_b64 s[14:15]
.Lpost_getpc10231:
	s_add_u32 s14, s14, (.LBB1_27632-.Lpost_getpc10231)&4294967295
	s_addc_u32 s15, s15, (.LBB1_27632-.Lpost_getpc10231)>>32
	s_setpc_b64 s[14:15]
.LBB1_13294:
	s_or_b64 exec, exec, s[6:7]
	s_and_saveexec_b64 s[6:7], s[4:5]
	s_cbranch_execz .LBB1_13296
.LBB1_13295:
	v_bfe_u32 v4, v5, 8, 3
	v_ffbh_u32_e32 v7, v4
	v_min_u32_e32 v7, 32, v7
	v_lshrrev_b16_e32 v6, 3, v3
	v_subrev_u32_e32 v8, 28, v7
	v_and_b32_e32 v6, 15, v6
	v_lshlrev_b32_e32 v3, v8, v3
	v_sub_u32_e32 v7, 29, v7
	v_and_b32_e32 v3, 7, v3
	v_cmp_eq_u16_e32 vcc, 0, v6
	v_cndmask_b32_e32 v3, v4, v3, vcc
	v_cndmask_b32_e32 v4, v6, v7, vcc
	v_lshlrev_b32_e32 v6, 16, v5
	v_mov_b32_e32 v7, 0x3b800000
	v_lshlrev_b32_e32 v3, 20, v3
	v_and_b32_e32 v6, 0x80000000, v6
	v_lshl_add_u32 v4, v4, 23, v7
	v_or3_b32 v4, v6, v4, v3
.LBB1_13296:
	s_or_b64 exec, exec, s[6:7]
	s_nop 0
	v_mfma_f32_16x16x4f32 a[0:3], v2, v4, a[0:3]
	s_movk_i32 s4, 0xff
	v_and_b32_sdwa v3, v9, s4 dst_sel:DWORD dst_unused:UNUSED_PAD src0_sel:WORD_1 src1_sel:DWORD
	s_movk_i32 s4, 0x7f
	v_cmp_lt_i16_e32 vcc, s4, v3
	s_mov_b64 s[4:5], 0
                                        ; implicit-def: $sgpr10
	s_and_saveexec_b64 s[6:7], vcc
	s_xor_b64 s[6:7], exec, s[6:7]
	s_cbranch_execz .LBB1_13297
; %bb.49137:
	s_getpc_b64 s[14:15]
.Lpost_getpc10232:
	s_add_u32 s14, s14, (.LBB1_27633-.Lpost_getpc10232)&4294967295
	s_addc_u32 s15, s15, (.LBB1_27633-.Lpost_getpc10232)>>32
	s_setpc_b64 s[14:15]
.LBB1_13297:
	s_or_saveexec_b64 s[6:7], s[6:7]
	v_mov_b32_e32 v2, s10
	s_xor_b64 exec, exec, s[6:7]
	s_cbranch_execz .LBB1_13298
; %bb.49139:
	s_getpc_b64 s[14:15]
.Lpost_getpc10233:
	s_add_u32 s14, s14, (.LBB1_27636-.Lpost_getpc10233)&4294967295
	s_addc_u32 s15, s15, (.LBB1_27636-.Lpost_getpc10233)>>32
	s_setpc_b64 s[14:15]
.LBB1_13298:
	s_or_b64 exec, exec, s[6:7]
	s_and_saveexec_b64 s[6:7], s[4:5]
	s_cbranch_execz .LBB1_13300
.LBB1_13299:
	v_bfe_u32 v2, v9, 16, 3
	v_ffbh_u32_e32 v6, v2
	v_min_u32_e32 v6, 32, v6
	v_lshrrev_b32_e32 v3, 19, v9
	v_subrev_u32_e32 v7, 28, v6
	v_and_b32_e32 v3, 15, v3
	v_lshlrev_b32_sdwa v7, v7, v9 dst_sel:DWORD dst_unused:UNUSED_PAD src0_sel:DWORD src1_sel:WORD_1
	v_bfe_u32 v4, v9, 19, 4
	v_sub_u32_e32 v6, 29, v6
	v_and_b32_e32 v7, 7, v7
	v_cmp_eq_u16_e32 vcc, 0, v3
	v_cndmask_b32_e32 v2, v2, v7, vcc
	v_cndmask_b32_e32 v3, v4, v6, vcc
	v_lshlrev_b32_e32 v4, 8, v9
	v_mov_b32_e32 v6, 0x3b800000
	v_lshlrev_b32_e32 v2, 20, v2
	v_and_b32_e32 v4, 0x80000000, v4
	v_lshl_add_u32 v3, v3, 23, v6
	v_or3_b32 v2, v4, v3, v2
.LBB1_13300:
	s_or_b64 exec, exec, s[6:7]
	s_movk_i32 s4, 0xff
	v_and_b32_sdwa v3, v5, s4 dst_sel:DWORD dst_unused:UNUSED_PAD src0_sel:WORD_1 src1_sel:DWORD
	s_movk_i32 s4, 0x7f
	v_cmp_lt_i16_e32 vcc, s4, v3
	s_mov_b64 s[4:5], 0
                                        ; implicit-def: $sgpr10
	s_and_saveexec_b64 s[6:7], vcc
	s_xor_b64 s[6:7], exec, s[6:7]
	s_cbranch_execz .LBB1_13301
; %bb.49141:
	s_getpc_b64 s[14:15]
.Lpost_getpc10234:
	s_add_u32 s14, s14, (.LBB1_27637-.Lpost_getpc10234)&4294967295
	s_addc_u32 s15, s15, (.LBB1_27637-.Lpost_getpc10234)>>32
	s_setpc_b64 s[14:15]
.LBB1_13301:
	s_or_saveexec_b64 s[6:7], s[6:7]
	v_mov_b32_e32 v4, s10
	s_xor_b64 exec, exec, s[6:7]
	s_cbranch_execz .LBB1_13302
; %bb.49143:
	s_getpc_b64 s[14:15]
.Lpost_getpc10235:
	s_add_u32 s14, s14, (.LBB1_27640-.Lpost_getpc10235)&4294967295
	s_addc_u32 s15, s15, (.LBB1_27640-.Lpost_getpc10235)>>32
	s_setpc_b64 s[14:15]
.LBB1_13302:
	s_or_b64 exec, exec, s[6:7]
	s_and_saveexec_b64 s[6:7], s[4:5]
	s_cbranch_execz .LBB1_13304
.LBB1_13303:
	v_bfe_u32 v3, v5, 16, 3
	v_ffbh_u32_e32 v7, v3
	v_min_u32_e32 v7, 32, v7
	v_lshrrev_b32_e32 v4, 19, v5
	v_subrev_u32_e32 v8, 28, v7
	v_and_b32_e32 v4, 15, v4
	v_lshlrev_b32_sdwa v8, v8, v5 dst_sel:DWORD dst_unused:UNUSED_PAD src0_sel:DWORD src1_sel:WORD_1
	v_bfe_u32 v6, v5, 19, 4
	v_sub_u32_e32 v7, 29, v7
	v_and_b32_e32 v8, 7, v8
	v_cmp_eq_u16_e32 vcc, 0, v4
	v_cndmask_b32_e32 v3, v3, v8, vcc
	v_cndmask_b32_e32 v4, v6, v7, vcc
	v_lshlrev_b32_e32 v6, 8, v5
	v_mov_b32_e32 v7, 0x3b800000
	v_lshlrev_b32_e32 v3, 20, v3
	v_and_b32_e32 v6, 0x80000000, v6
	v_lshl_add_u32 v4, v4, 23, v7
	v_or3_b32 v4, v6, v4, v3
.LBB1_13304:
	s_or_b64 exec, exec, s[6:7]
	s_nop 0
	v_mfma_f32_16x16x4f32 a[0:3], v2, v4, a[0:3]
	s_movk_i32 s4, 0x7f
	v_cmp_gt_i16_sdwa s[6:7], v9, s4 src0_sel:BYTE_3 src1_sel:DWORD
	s_mov_b64 s[4:5], 0
                                        ; implicit-def: $sgpr10
	s_and_saveexec_b64 s[8:9], s[6:7]
	s_xor_b64 s[6:7], exec, s[8:9]
	s_cbranch_execz .LBB1_13305
; %bb.49145:
	s_getpc_b64 s[14:15]
.Lpost_getpc10236:
	s_add_u32 s14, s14, (.LBB1_27641-.Lpost_getpc10236)&4294967295
	s_addc_u32 s15, s15, (.LBB1_27641-.Lpost_getpc10236)>>32
	s_setpc_b64 s[14:15]
.LBB1_13305:
	s_or_saveexec_b64 s[6:7], s[6:7]
	v_mov_b32_e32 v2, s10
	s_xor_b64 exec, exec, s[6:7]
	s_cbranch_execz .LBB1_13306
; %bb.49147:
	s_getpc_b64 s[14:15]
.Lpost_getpc10237:
	s_add_u32 s14, s14, (.LBB1_27644-.Lpost_getpc10237)&4294967295
	s_addc_u32 s15, s15, (.LBB1_27644-.Lpost_getpc10237)>>32
	s_setpc_b64 s[14:15]
.LBB1_13306:
	s_or_b64 exec, exec, s[6:7]
	s_and_saveexec_b64 s[6:7], s[4:5]
	s_cbranch_execz .LBB1_13308
.LBB1_13307:
	v_bfe_u32 v2, v9, 24, 3
	v_ffbh_u32_e32 v7, v2
	v_min_u32_e32 v7, 32, v7
	v_lshrrev_b32_e32 v4, 27, v9
	v_subrev_u32_e32 v8, 28, v7
	v_and_b32_e32 v4, 15, v4
	v_lshlrev_b32_sdwa v8, v8, v9 dst_sel:DWORD dst_unused:UNUSED_PAD src0_sel:DWORD src1_sel:BYTE_3
	v_bfe_u32 v6, v9, 27, 4
	v_sub_u32_e32 v7, 29, v7
	v_and_b32_e32 v8, 7, v8
	v_cmp_eq_u16_e32 vcc, 0, v4
	v_cndmask_b32_e32 v2, v2, v8, vcc
	v_cndmask_b32_e32 v4, v6, v7, vcc
	v_mov_b32_e32 v6, 0x3b800000
	v_and_b32_e32 v3, 0x80000000, v9
	v_lshlrev_b32_e32 v2, 20, v2
	v_lshl_add_u32 v4, v4, 23, v6
	v_or3_b32 v2, v3, v4, v2
.LBB1_13308:
	s_or_b64 exec, exec, s[6:7]
	s_movk_i32 s4, 0x7f
	v_cmp_gt_i16_sdwa s[6:7], v5, s4 src0_sel:BYTE_3 src1_sel:DWORD
	s_mov_b64 s[4:5], 0
                                        ; implicit-def: $sgpr10
	s_and_saveexec_b64 s[8:9], s[6:7]
	s_xor_b64 s[6:7], exec, s[8:9]
	s_cbranch_execz .LBB1_13309
; %bb.49149:
	s_getpc_b64 s[14:15]
.Lpost_getpc10238:
	s_add_u32 s14, s14, (.LBB1_27645-.Lpost_getpc10238)&4294967295
	s_addc_u32 s15, s15, (.LBB1_27645-.Lpost_getpc10238)>>32
	s_setpc_b64 s[14:15]
.LBB1_13309:
	s_or_saveexec_b64 s[6:7], s[6:7]
	v_mov_b32_e32 v3, s10
	s_xor_b64 exec, exec, s[6:7]
	s_cbranch_execz .LBB1_13310
; %bb.49151:
	s_getpc_b64 s[14:15]
.Lpost_getpc10239:
	s_add_u32 s14, s14, (.LBB1_27648-.Lpost_getpc10239)&4294967295
	s_addc_u32 s15, s15, (.LBB1_27648-.Lpost_getpc10239)>>32
	s_setpc_b64 s[14:15]
.LBB1_13310:
	s_or_b64 exec, exec, s[6:7]
	s_and_saveexec_b64 s[6:7], s[4:5]
	s_cbranch_execz .LBB1_13312
.LBB1_13311:
	v_bfe_u32 v3, v5, 24, 3
	v_ffbh_u32_e32 v8, v3
	v_min_u32_e32 v8, 32, v8
	v_lshrrev_b32_e32 v6, 27, v5
	v_subrev_u32_e32 v9, 28, v8
	v_and_b32_e32 v4, 0x80000000, v5
	v_and_b32_e32 v6, 15, v6
	v_bfe_u32 v7, v5, 27, 4
	v_lshlrev_b32_sdwa v5, v9, v5 dst_sel:DWORD dst_unused:UNUSED_PAD src0_sel:DWORD src1_sel:BYTE_3
	v_sub_u32_e32 v8, 29, v8
	v_and_b32_e32 v5, 7, v5
	v_cmp_eq_u16_e32 vcc, 0, v6
	v_cndmask_b32_e32 v3, v3, v5, vcc
	v_cndmask_b32_e32 v5, v7, v8, vcc
	v_mov_b32_e32 v6, 0x3b800000
	v_lshlrev_b32_e32 v3, 20, v3
	v_lshl_add_u32 v5, v5, 23, v6
	v_or3_b32 v3, v4, v5, v3
.LBB1_13312:
	s_or_b64 exec, exec, s[6:7]
	s_nop 0
	v_mfma_f32_16x16x4f32 a[0:3], v2, v3, a[0:3]
	s_movk_i32 s4, 0x7f
                                        ; implicit-def: $sgpr10
	s_nop 7
	s_nop 1
	flat_store_dwordx4 v[10:11], a[0:3] offset:752
	flat_load_dwordx4 v[12:15], v[0:1]
	s_nop 0
	flat_load_dwordx2 v[10:11], v[0:1] offset:16
	s_waitcnt vmcnt(0) lgkmcnt(0)
	flat_load_dwordx4 v[6:9], v[12:13] offset:208
	flat_load_dwordx4 v[2:5], v[14:15] offset:128
	s_waitcnt vmcnt(0) lgkmcnt(0)
	v_cmp_gt_i16_sdwa s[6:7], v6, s4 src0_sel:BYTE_0 src1_sel:DWORD
	s_mov_b64 s[4:5], 0
	s_and_saveexec_b64 s[8:9], s[6:7]
	s_xor_b64 s[6:7], exec, s[8:9]
	s_cbranch_execz .LBB1_13313
; %bb.49153:
	s_getpc_b64 s[14:15]
.Lpost_getpc10240:
	s_add_u32 s14, s14, (.LBB1_27649-.Lpost_getpc10240)&4294967295
	s_addc_u32 s15, s15, (.LBB1_27649-.Lpost_getpc10240)>>32
	s_setpc_b64 s[14:15]
.LBB1_13313:
	s_or_saveexec_b64 s[6:7], s[6:7]
	v_mov_b32_e32 v12, s10
	s_xor_b64 exec, exec, s[6:7]
	s_cbranch_execz .LBB1_13314
; %bb.49155:
	s_getpc_b64 s[14:15]
.Lpost_getpc10241:
	s_add_u32 s14, s14, (.LBB1_27652-.Lpost_getpc10241)&4294967295
	s_addc_u32 s15, s15, (.LBB1_27652-.Lpost_getpc10241)>>32
	s_setpc_b64 s[14:15]
.LBB1_13314:
	s_or_b64 exec, exec, s[6:7]
	s_and_saveexec_b64 s[6:7], s[4:5]
	s_cbranch_execz .LBB1_13316
.LBB1_13315:
	v_and_b32_e32 v12, 7, v6
	v_ffbh_u32_e32 v14, v12
	v_min_u32_e32 v14, 32, v14
	v_lshrrev_b16_e32 v13, 3, v6
	v_subrev_u32_e32 v15, 28, v14
	v_and_b32_e32 v13, 15, v13
	v_lshlrev_b32_e32 v15, v15, v6
	v_sub_u32_e32 v14, 29, v14
	v_and_b32_e32 v15, 7, v15
	v_cmp_eq_u16_e32 vcc, 0, v13
	v_cndmask_b32_e32 v12, v12, v15, vcc
	v_cndmask_b32_e32 v13, v13, v14, vcc
	v_lshlrev_b32_e32 v14, 24, v6
	v_mov_b32_e32 v15, 0x3b800000
	v_lshlrev_b32_e32 v12, 20, v12
	v_and_b32_e32 v14, 0x80000000, v14
	v_lshl_add_u32 v13, v13, 23, v15
	v_or3_b32 v12, v14, v13, v12
.LBB1_13316:
	s_or_b64 exec, exec, s[6:7]
	s_movk_i32 s4, 0x7f
	v_cmp_gt_i16_sdwa s[6:7], v2, s4 src0_sel:BYTE_0 src1_sel:DWORD
	s_mov_b64 s[4:5], 0
                                        ; implicit-def: $sgpr10
	s_and_saveexec_b64 s[8:9], s[6:7]
	s_xor_b64 s[6:7], exec, s[8:9]
	s_cbranch_execz .LBB1_13317
; %bb.49157:
	s_getpc_b64 s[14:15]
.Lpost_getpc10242:
	s_add_u32 s14, s14, (.LBB1_27653-.Lpost_getpc10242)&4294967295
	s_addc_u32 s15, s15, (.LBB1_27653-.Lpost_getpc10242)>>32
	s_setpc_b64 s[14:15]
.LBB1_13317:
	s_or_saveexec_b64 s[6:7], s[6:7]
	v_mov_b32_e32 v13, s10
	s_xor_b64 exec, exec, s[6:7]
	s_cbranch_execz .LBB1_13318
; %bb.49159:
	s_getpc_b64 s[14:15]
.Lpost_getpc10243:
	s_add_u32 s14, s14, (.LBB1_27656-.Lpost_getpc10243)&4294967295
	s_addc_u32 s15, s15, (.LBB1_27656-.Lpost_getpc10243)>>32
	s_setpc_b64 s[14:15]
.LBB1_13318:
	s_or_b64 exec, exec, s[6:7]
	s_and_saveexec_b64 s[6:7], s[4:5]
	s_cbranch_execz .LBB1_13320
.LBB1_13319:
	v_and_b32_e32 v13, 7, v2
	v_ffbh_u32_e32 v15, v13
	v_min_u32_e32 v15, 32, v15
	v_lshrrev_b16_e32 v14, 3, v2
	v_subrev_u32_e32 v16, 28, v15
	v_and_b32_e32 v14, 15, v14
	v_lshlrev_b32_e32 v16, v16, v2
	v_sub_u32_e32 v15, 29, v15
	v_and_b32_e32 v16, 7, v16
	v_cmp_eq_u16_e32 vcc, 0, v14
	v_cndmask_b32_e32 v13, v13, v16, vcc
	v_cndmask_b32_e32 v14, v14, v15, vcc
	v_lshlrev_b32_e32 v15, 24, v2
	v_mov_b32_e32 v16, 0x3b800000
	v_lshlrev_b32_e32 v13, 20, v13
	v_and_b32_e32 v15, 0x80000000, v15
	v_lshl_add_u32 v14, v14, 23, v16
	v_or3_b32 v13, v15, v14, v13
.LBB1_13320:
	s_or_b64 exec, exec, s[6:7]
	flat_load_dwordx4 a[0:3], v[10:11] offset:768
	s_movk_i32 s4, 0x7f
                                        ; implicit-def: $sgpr10
	s_waitcnt vmcnt(0) lgkmcnt(0)
	v_mfma_f32_16x16x4f32 a[0:3], v12, v13, a[0:3]
	v_lshrrev_b32_e32 v13, 8, v6
	v_cmp_gt_i16_sdwa s[6:7], v13, s4 src0_sel:BYTE_0 src1_sel:DWORD
	s_mov_b64 s[4:5], 0
	s_and_saveexec_b64 s[8:9], s[6:7]
	s_xor_b64 s[6:7], exec, s[8:9]
	s_cbranch_execz .LBB1_13321
; %bb.49161:
	s_getpc_b64 s[14:15]
.Lpost_getpc10244:
	s_add_u32 s14, s14, (.LBB1_27657-.Lpost_getpc10244)&4294967295
	s_addc_u32 s15, s15, (.LBB1_27657-.Lpost_getpc10244)>>32
	s_setpc_b64 s[14:15]
.LBB1_13321:
	s_or_saveexec_b64 s[6:7], s[6:7]
	v_mov_b32_e32 v12, s10
	s_xor_b64 exec, exec, s[6:7]
	s_cbranch_execz .LBB1_13322
; %bb.49163:
	s_getpc_b64 s[14:15]
.Lpost_getpc10245:
	s_add_u32 s14, s14, (.LBB1_27660-.Lpost_getpc10245)&4294967295
	s_addc_u32 s15, s15, (.LBB1_27660-.Lpost_getpc10245)>>32
	s_setpc_b64 s[14:15]
.LBB1_13322:
	s_or_b64 exec, exec, s[6:7]
	s_and_saveexec_b64 s[6:7], s[4:5]
	s_cbranch_execz .LBB1_13324
.LBB1_13323:
	v_bfe_u32 v12, v6, 8, 3
	v_ffbh_u32_e32 v15, v12
	v_min_u32_e32 v15, 32, v15
	v_lshrrev_b16_e32 v14, 3, v13
	v_subrev_u32_e32 v16, 28, v15
	v_and_b32_e32 v14, 15, v14
	v_lshlrev_b32_e32 v13, v16, v13
	v_sub_u32_e32 v15, 29, v15
	v_and_b32_e32 v13, 7, v13
	v_cmp_eq_u16_e32 vcc, 0, v14
	v_cndmask_b32_e32 v12, v12, v13, vcc
	v_cndmask_b32_e32 v13, v14, v15, vcc
	v_lshlrev_b32_e32 v14, 16, v6
	v_mov_b32_e32 v15, 0x3b800000
	v_lshlrev_b32_e32 v12, 20, v12
	v_and_b32_e32 v14, 0x80000000, v14
	v_lshl_add_u32 v13, v13, 23, v15
	v_or3_b32 v12, v14, v13, v12
.LBB1_13324:
	s_or_b64 exec, exec, s[6:7]
	v_lshrrev_b32_e32 v13, 8, v2
	s_movk_i32 s4, 0x7f
	v_cmp_gt_i16_sdwa s[6:7], v13, s4 src0_sel:BYTE_0 src1_sel:DWORD
	s_mov_b64 s[4:5], 0
                                        ; implicit-def: $sgpr10
	s_and_saveexec_b64 s[8:9], s[6:7]
	s_xor_b64 s[6:7], exec, s[8:9]
	s_cbranch_execz .LBB1_13325
; %bb.49165:
	s_getpc_b64 s[14:15]
.Lpost_getpc10246:
	s_add_u32 s14, s14, (.LBB1_27661-.Lpost_getpc10246)&4294967295
	s_addc_u32 s15, s15, (.LBB1_27661-.Lpost_getpc10246)>>32
	s_setpc_b64 s[14:15]
.LBB1_13325:
	s_or_saveexec_b64 s[6:7], s[6:7]
	v_mov_b32_e32 v14, s10
	s_xor_b64 exec, exec, s[6:7]
	s_cbranch_execz .LBB1_13326
; %bb.49167:
	s_getpc_b64 s[14:15]
.Lpost_getpc10247:
	s_add_u32 s14, s14, (.LBB1_27664-.Lpost_getpc10247)&4294967295
	s_addc_u32 s15, s15, (.LBB1_27664-.Lpost_getpc10247)>>32
	s_setpc_b64 s[14:15]
.LBB1_13326:
	s_or_b64 exec, exec, s[6:7]
	s_and_saveexec_b64 s[6:7], s[4:5]
	s_cbranch_execz .LBB1_13328
.LBB1_13327:
	v_bfe_u32 v14, v2, 8, 3
	v_ffbh_u32_e32 v16, v14
	v_min_u32_e32 v16, 32, v16
	v_lshrrev_b16_e32 v15, 3, v13
	v_subrev_u32_e32 v17, 28, v16
	v_and_b32_e32 v15, 15, v15
	v_lshlrev_b32_e32 v13, v17, v13
	v_sub_u32_e32 v16, 29, v16
	v_and_b32_e32 v13, 7, v13
	v_cmp_eq_u16_e32 vcc, 0, v15
	v_cndmask_b32_e32 v13, v14, v13, vcc
	v_cndmask_b32_e32 v14, v15, v16, vcc
	v_lshlrev_b32_e32 v15, 16, v2
	v_mov_b32_e32 v16, 0x3b800000
	v_lshlrev_b32_e32 v13, 20, v13
	v_and_b32_e32 v15, 0x80000000, v15
	v_lshl_add_u32 v14, v14, 23, v16
	v_or3_b32 v14, v15, v14, v13
.LBB1_13328:
	s_or_b64 exec, exec, s[6:7]
	s_nop 0
	v_mfma_f32_16x16x4f32 a[0:3], v12, v14, a[0:3]
	s_movk_i32 s4, 0xff
	v_and_b32_sdwa v13, v6, s4 dst_sel:DWORD dst_unused:UNUSED_PAD src0_sel:WORD_1 src1_sel:DWORD
	s_movk_i32 s4, 0x7f
	v_cmp_lt_i16_e32 vcc, s4, v13
	s_mov_b64 s[4:5], 0
                                        ; implicit-def: $sgpr10
	s_and_saveexec_b64 s[6:7], vcc
	s_xor_b64 s[6:7], exec, s[6:7]
	s_cbranch_execz .LBB1_13329
; %bb.49169:
	s_getpc_b64 s[14:15]
.Lpost_getpc10248:
	s_add_u32 s14, s14, (.LBB1_27665-.Lpost_getpc10248)&4294967295
	s_addc_u32 s15, s15, (.LBB1_27665-.Lpost_getpc10248)>>32
	s_setpc_b64 s[14:15]
.LBB1_13329:
	s_or_saveexec_b64 s[6:7], s[6:7]
	v_mov_b32_e32 v12, s10
	s_xor_b64 exec, exec, s[6:7]
	s_cbranch_execz .LBB1_13330
; %bb.49171:
	s_getpc_b64 s[14:15]
.Lpost_getpc10249:
	s_add_u32 s14, s14, (.LBB1_27668-.Lpost_getpc10249)&4294967295
	s_addc_u32 s15, s15, (.LBB1_27668-.Lpost_getpc10249)>>32
	s_setpc_b64 s[14:15]
.LBB1_13330:
	s_or_b64 exec, exec, s[6:7]
	s_and_saveexec_b64 s[6:7], s[4:5]
	s_cbranch_execz .LBB1_13332
.LBB1_13331:
	v_bfe_u32 v12, v6, 16, 3
	v_ffbh_u32_e32 v15, v12
	v_min_u32_e32 v15, 32, v15
	v_lshrrev_b32_e32 v13, 19, v6
	v_subrev_u32_e32 v16, 28, v15
	v_and_b32_e32 v13, 15, v13
	v_lshlrev_b32_sdwa v16, v16, v6 dst_sel:DWORD dst_unused:UNUSED_PAD src0_sel:DWORD src1_sel:WORD_1
	v_bfe_u32 v14, v6, 19, 4
	v_sub_u32_e32 v15, 29, v15
	v_and_b32_e32 v16, 7, v16
	v_cmp_eq_u16_e32 vcc, 0, v13
	v_cndmask_b32_e32 v12, v12, v16, vcc
	v_cndmask_b32_e32 v13, v14, v15, vcc
	v_lshlrev_b32_e32 v14, 8, v6
	v_mov_b32_e32 v15, 0x3b800000
	v_lshlrev_b32_e32 v12, 20, v12
	v_and_b32_e32 v14, 0x80000000, v14
	v_lshl_add_u32 v13, v13, 23, v15
	v_or3_b32 v12, v14, v13, v12
.LBB1_13332:
	s_or_b64 exec, exec, s[6:7]
	s_movk_i32 s4, 0xff
	v_and_b32_sdwa v13, v2, s4 dst_sel:DWORD dst_unused:UNUSED_PAD src0_sel:WORD_1 src1_sel:DWORD
	s_movk_i32 s4, 0x7f
	v_cmp_lt_i16_e32 vcc, s4, v13
	s_mov_b64 s[4:5], 0
                                        ; implicit-def: $sgpr10
	s_and_saveexec_b64 s[6:7], vcc
	s_xor_b64 s[6:7], exec, s[6:7]
	s_cbranch_execz .LBB1_13333
; %bb.49173:
	s_getpc_b64 s[14:15]
.Lpost_getpc10250:
	s_add_u32 s14, s14, (.LBB1_27669-.Lpost_getpc10250)&4294967295
	s_addc_u32 s15, s15, (.LBB1_27669-.Lpost_getpc10250)>>32
	s_setpc_b64 s[14:15]
.LBB1_13333:
	s_or_saveexec_b64 s[6:7], s[6:7]
	v_mov_b32_e32 v14, s10
	s_xor_b64 exec, exec, s[6:7]
	s_cbranch_execz .LBB1_13334
; %bb.49175:
	s_getpc_b64 s[14:15]
.Lpost_getpc10251:
	s_add_u32 s14, s14, (.LBB1_27672-.Lpost_getpc10251)&4294967295
	s_addc_u32 s15, s15, (.LBB1_27672-.Lpost_getpc10251)>>32
	s_setpc_b64 s[14:15]
.LBB1_13334:
	s_or_b64 exec, exec, s[6:7]
	s_and_saveexec_b64 s[6:7], s[4:5]
	s_cbranch_execz .LBB1_13336
.LBB1_13335:
	v_bfe_u32 v13, v2, 16, 3
	v_ffbh_u32_e32 v16, v13
	v_min_u32_e32 v16, 32, v16
	v_lshrrev_b32_e32 v14, 19, v2
	v_subrev_u32_e32 v17, 28, v16
	v_and_b32_e32 v14, 15, v14
	v_lshlrev_b32_sdwa v17, v17, v2 dst_sel:DWORD dst_unused:UNUSED_PAD src0_sel:DWORD src1_sel:WORD_1
	v_bfe_u32 v15, v2, 19, 4
	v_sub_u32_e32 v16, 29, v16
	v_and_b32_e32 v17, 7, v17
	v_cmp_eq_u16_e32 vcc, 0, v14
	v_cndmask_b32_e32 v13, v13, v17, vcc
	v_cndmask_b32_e32 v14, v15, v16, vcc
	v_lshlrev_b32_e32 v15, 8, v2
	v_mov_b32_e32 v16, 0x3b800000
	v_lshlrev_b32_e32 v13, 20, v13
	v_and_b32_e32 v15, 0x80000000, v15
	v_lshl_add_u32 v14, v14, 23, v16
	v_or3_b32 v14, v15, v14, v13
.LBB1_13336:
	s_or_b64 exec, exec, s[6:7]
	s_nop 0
	v_mfma_f32_16x16x4f32 a[0:3], v12, v14, a[0:3]
	s_movk_i32 s4, 0x7f
	v_cmp_gt_i16_sdwa s[6:7], v6, s4 src0_sel:BYTE_3 src1_sel:DWORD
	s_mov_b64 s[4:5], 0
                                        ; implicit-def: $sgpr10
	s_and_saveexec_b64 s[8:9], s[6:7]
	s_xor_b64 s[6:7], exec, s[8:9]
	s_cbranch_execz .LBB1_13337
; %bb.49177:
	s_getpc_b64 s[14:15]
.Lpost_getpc10252:
	s_add_u32 s14, s14, (.LBB1_27673-.Lpost_getpc10252)&4294967295
	s_addc_u32 s15, s15, (.LBB1_27673-.Lpost_getpc10252)>>32
	s_setpc_b64 s[14:15]
.LBB1_13337:
	s_or_saveexec_b64 s[6:7], s[6:7]
	v_mov_b32_e32 v12, s10
	s_xor_b64 exec, exec, s[6:7]
	s_cbranch_execz .LBB1_13338
; %bb.49179:
	s_getpc_b64 s[14:15]
.Lpost_getpc10253:
	s_add_u32 s14, s14, (.LBB1_27676-.Lpost_getpc10253)&4294967295
	s_addc_u32 s15, s15, (.LBB1_27676-.Lpost_getpc10253)>>32
	s_setpc_b64 s[14:15]
.LBB1_13338:
	s_or_b64 exec, exec, s[6:7]
	s_and_saveexec_b64 s[6:7], s[4:5]
	s_cbranch_execz .LBB1_13340
.LBB1_13339:
	v_bfe_u32 v12, v6, 24, 3
	v_ffbh_u32_e32 v16, v12
	v_min_u32_e32 v16, 32, v16
	v_lshrrev_b32_e32 v14, 27, v6
	v_subrev_u32_e32 v17, 28, v16
	v_and_b32_e32 v13, 0x80000000, v6
	v_and_b32_e32 v14, 15, v14
	v_bfe_u32 v15, v6, 27, 4
	v_lshlrev_b32_sdwa v6, v17, v6 dst_sel:DWORD dst_unused:UNUSED_PAD src0_sel:DWORD src1_sel:BYTE_3
	v_sub_u32_e32 v16, 29, v16
	v_and_b32_e32 v6, 7, v6
	v_cmp_eq_u16_e32 vcc, 0, v14
	v_cndmask_b32_e32 v6, v12, v6, vcc
	v_cndmask_b32_e32 v12, v15, v16, vcc
	v_mov_b32_e32 v14, 0x3b800000
	v_lshlrev_b32_e32 v6, 20, v6
	v_lshl_add_u32 v12, v12, 23, v14
	v_or3_b32 v12, v13, v12, v6
.LBB1_13340:
	s_or_b64 exec, exec, s[6:7]
	s_movk_i32 s4, 0x7f
	v_cmp_gt_i16_sdwa s[6:7], v2, s4 src0_sel:BYTE_3 src1_sel:DWORD
	s_mov_b64 s[4:5], 0
                                        ; implicit-def: $sgpr10
	s_and_saveexec_b64 s[8:9], s[6:7]
	s_xor_b64 s[6:7], exec, s[8:9]
	s_cbranch_execz .LBB1_13341
; %bb.49181:
	s_getpc_b64 s[14:15]
.Lpost_getpc10254:
	s_add_u32 s14, s14, (.LBB1_27677-.Lpost_getpc10254)&4294967295
	s_addc_u32 s15, s15, (.LBB1_27677-.Lpost_getpc10254)>>32
	s_setpc_b64 s[14:15]
.LBB1_13341:
	s_or_saveexec_b64 s[6:7], s[6:7]
	v_mov_b32_e32 v6, s10
	s_xor_b64 exec, exec, s[6:7]
	s_cbranch_execz .LBB1_13342
; %bb.49183:
	s_getpc_b64 s[14:15]
.Lpost_getpc10255:
	s_add_u32 s14, s14, (.LBB1_27680-.Lpost_getpc10255)&4294967295
	s_addc_u32 s15, s15, (.LBB1_27680-.Lpost_getpc10255)>>32
	s_setpc_b64 s[14:15]
.LBB1_13342:
	s_or_b64 exec, exec, s[6:7]
	s_and_saveexec_b64 s[6:7], s[4:5]
	s_cbranch_execz .LBB1_13344
.LBB1_13343:
	v_bfe_u32 v6, v2, 24, 3
	v_ffbh_u32_e32 v16, v6
	v_min_u32_e32 v16, 32, v16
	v_lshrrev_b32_e32 v14, 27, v2
	v_subrev_u32_e32 v17, 28, v16
	v_and_b32_e32 v13, 0x80000000, v2
	v_and_b32_e32 v14, 15, v14
	v_bfe_u32 v15, v2, 27, 4
	v_lshlrev_b32_sdwa v2, v17, v2 dst_sel:DWORD dst_unused:UNUSED_PAD src0_sel:DWORD src1_sel:BYTE_3
	v_sub_u32_e32 v16, 29, v16
	v_and_b32_e32 v2, 7, v2
	v_cmp_eq_u16_e32 vcc, 0, v14
	v_cndmask_b32_e32 v2, v6, v2, vcc
	v_cndmask_b32_e32 v6, v15, v16, vcc
	v_mov_b32_e32 v14, 0x3b800000
	v_lshlrev_b32_e32 v2, 20, v2
	v_lshl_add_u32 v6, v6, 23, v14
	v_or3_b32 v6, v13, v6, v2
.LBB1_13344:
	s_or_b64 exec, exec, s[6:7]
	s_nop 0
	v_mfma_f32_16x16x4f32 a[0:3], v12, v6, a[0:3]
	s_movk_i32 s4, 0x7f
	v_cmp_gt_i16_sdwa s[6:7], v7, s4 src0_sel:BYTE_0 src1_sel:DWORD
	s_mov_b64 s[4:5], 0
                                        ; implicit-def: $sgpr10
	s_and_saveexec_b64 s[8:9], s[6:7]
	s_xor_b64 s[6:7], exec, s[8:9]
	s_cbranch_execz .LBB1_13345
; %bb.49185:
	s_getpc_b64 s[14:15]
.Lpost_getpc10256:
	s_add_u32 s14, s14, (.LBB1_27681-.Lpost_getpc10256)&4294967295
	s_addc_u32 s15, s15, (.LBB1_27681-.Lpost_getpc10256)>>32
	s_setpc_b64 s[14:15]
.LBB1_13345:
	s_or_saveexec_b64 s[6:7], s[6:7]
	v_mov_b32_e32 v2, s10
	s_xor_b64 exec, exec, s[6:7]
	s_cbranch_execz .LBB1_13346
; %bb.49187:
	s_getpc_b64 s[14:15]
.Lpost_getpc10257:
	s_add_u32 s14, s14, (.LBB1_27684-.Lpost_getpc10257)&4294967295
	s_addc_u32 s15, s15, (.LBB1_27684-.Lpost_getpc10257)>>32
	s_setpc_b64 s[14:15]
.LBB1_13346:
	s_or_b64 exec, exec, s[6:7]
	s_and_saveexec_b64 s[6:7], s[4:5]
	s_cbranch_execz .LBB1_13348
.LBB1_13347:
	v_and_b32_e32 v2, 7, v7
	v_ffbh_u32_e32 v12, v2
	v_min_u32_e32 v12, 32, v12
	v_lshrrev_b16_e32 v6, 3, v7
	v_subrev_u32_e32 v13, 28, v12
	v_and_b32_e32 v6, 15, v6
	v_lshlrev_b32_e32 v13, v13, v7
	v_sub_u32_e32 v12, 29, v12
	v_and_b32_e32 v13, 7, v13
	v_cmp_eq_u16_e32 vcc, 0, v6
	v_cndmask_b32_e32 v2, v2, v13, vcc
	v_cndmask_b32_e32 v6, v6, v12, vcc
	v_lshlrev_b32_e32 v12, 24, v7
	v_mov_b32_e32 v13, 0x3b800000
	v_lshlrev_b32_e32 v2, 20, v2
	v_and_b32_e32 v12, 0x80000000, v12
	v_lshl_add_u32 v6, v6, 23, v13
	v_or3_b32 v2, v12, v6, v2
.LBB1_13348:
	s_or_b64 exec, exec, s[6:7]
	s_movk_i32 s4, 0x7f
	v_cmp_gt_i16_sdwa s[6:7], v3, s4 src0_sel:BYTE_0 src1_sel:DWORD
	s_mov_b64 s[4:5], 0
                                        ; implicit-def: $sgpr10
	s_and_saveexec_b64 s[8:9], s[6:7]
	s_xor_b64 s[6:7], exec, s[8:9]
	s_cbranch_execz .LBB1_13349
; %bb.49189:
	s_getpc_b64 s[14:15]
.Lpost_getpc10258:
	s_add_u32 s14, s14, (.LBB1_27685-.Lpost_getpc10258)&4294967295
	s_addc_u32 s15, s15, (.LBB1_27685-.Lpost_getpc10258)>>32
	s_setpc_b64 s[14:15]
.LBB1_13349:
	s_or_saveexec_b64 s[6:7], s[6:7]
	v_mov_b32_e32 v6, s10
	s_xor_b64 exec, exec, s[6:7]
	s_cbranch_execz .LBB1_13350
; %bb.49191:
	s_getpc_b64 s[14:15]
.Lpost_getpc10259:
	s_add_u32 s14, s14, (.LBB1_27688-.Lpost_getpc10259)&4294967295
	s_addc_u32 s15, s15, (.LBB1_27688-.Lpost_getpc10259)>>32
	s_setpc_b64 s[14:15]
.LBB1_13350:
	s_or_b64 exec, exec, s[6:7]
	s_and_saveexec_b64 s[6:7], s[4:5]
	s_cbranch_execz .LBB1_13352
.LBB1_13351:
	v_and_b32_e32 v6, 7, v3
	v_ffbh_u32_e32 v13, v6
	v_min_u32_e32 v13, 32, v13
	v_lshrrev_b16_e32 v12, 3, v3
	v_subrev_u32_e32 v14, 28, v13
	v_and_b32_e32 v12, 15, v12
	v_lshlrev_b32_e32 v14, v14, v3
	v_sub_u32_e32 v13, 29, v13
	v_and_b32_e32 v14, 7, v14
	v_cmp_eq_u16_e32 vcc, 0, v12
	v_cndmask_b32_e32 v6, v6, v14, vcc
	v_cndmask_b32_e32 v12, v12, v13, vcc
	v_lshlrev_b32_e32 v13, 24, v3
	v_mov_b32_e32 v14, 0x3b800000
	v_lshlrev_b32_e32 v6, 20, v6
	v_and_b32_e32 v13, 0x80000000, v13
	v_lshl_add_u32 v12, v12, 23, v14
	v_or3_b32 v6, v13, v12, v6
.LBB1_13352:
	s_or_b64 exec, exec, s[6:7]
	s_nop 0
	v_mfma_f32_16x16x4f32 a[0:3], v2, v6, a[0:3]
	v_lshrrev_b32_e32 v6, 8, v7
	s_movk_i32 s4, 0x7f
	v_cmp_gt_i16_sdwa s[6:7], v6, s4 src0_sel:BYTE_0 src1_sel:DWORD
	s_mov_b64 s[4:5], 0
                                        ; implicit-def: $sgpr10
	s_and_saveexec_b64 s[8:9], s[6:7]
	s_xor_b64 s[6:7], exec, s[8:9]
	s_cbranch_execz .LBB1_13353
; %bb.49193:
	s_getpc_b64 s[14:15]
.Lpost_getpc10260:
	s_add_u32 s14, s14, (.LBB1_27689-.Lpost_getpc10260)&4294967295
	s_addc_u32 s15, s15, (.LBB1_27689-.Lpost_getpc10260)>>32
	s_setpc_b64 s[14:15]
.LBB1_13353:
	s_or_saveexec_b64 s[6:7], s[6:7]
	v_mov_b32_e32 v2, s10
	s_xor_b64 exec, exec, s[6:7]
	s_cbranch_execz .LBB1_13354
; %bb.49195:
	s_getpc_b64 s[14:15]
.Lpost_getpc10261:
	s_add_u32 s14, s14, (.LBB1_27692-.Lpost_getpc10261)&4294967295
	s_addc_u32 s15, s15, (.LBB1_27692-.Lpost_getpc10261)>>32
	s_setpc_b64 s[14:15]
.LBB1_13354:
	s_or_b64 exec, exec, s[6:7]
	s_and_saveexec_b64 s[6:7], s[4:5]
	s_cbranch_execz .LBB1_13356
.LBB1_13355:
	v_bfe_u32 v2, v7, 8, 3
	v_ffbh_u32_e32 v13, v2
	v_min_u32_e32 v13, 32, v13
	v_lshrrev_b16_e32 v12, 3, v6
	v_subrev_u32_e32 v14, 28, v13
	v_and_b32_e32 v12, 15, v12
	v_lshlrev_b32_e32 v6, v14, v6
	v_sub_u32_e32 v13, 29, v13
	v_and_b32_e32 v6, 7, v6
	v_cmp_eq_u16_e32 vcc, 0, v12
	v_cndmask_b32_e32 v2, v2, v6, vcc
	v_cndmask_b32_e32 v6, v12, v13, vcc
	v_lshlrev_b32_e32 v12, 16, v7
	v_mov_b32_e32 v13, 0x3b800000
	v_lshlrev_b32_e32 v2, 20, v2
	v_and_b32_e32 v12, 0x80000000, v12
	v_lshl_add_u32 v6, v6, 23, v13
	v_or3_b32 v2, v12, v6, v2
.LBB1_13356:
	s_or_b64 exec, exec, s[6:7]
	v_lshrrev_b32_e32 v6, 8, v3
	s_movk_i32 s4, 0x7f
	v_cmp_gt_i16_sdwa s[6:7], v6, s4 src0_sel:BYTE_0 src1_sel:DWORD
	s_mov_b64 s[4:5], 0
                                        ; implicit-def: $sgpr10
	s_and_saveexec_b64 s[8:9], s[6:7]
	s_xor_b64 s[6:7], exec, s[8:9]
	s_cbranch_execz .LBB1_13357
; %bb.49197:
	s_getpc_b64 s[14:15]
.Lpost_getpc10262:
	s_add_u32 s14, s14, (.LBB1_27693-.Lpost_getpc10262)&4294967295
	s_addc_u32 s15, s15, (.LBB1_27693-.Lpost_getpc10262)>>32
	s_setpc_b64 s[14:15]
.LBB1_13357:
	s_or_saveexec_b64 s[6:7], s[6:7]
	v_mov_b32_e32 v12, s10
	s_xor_b64 exec, exec, s[6:7]
	s_cbranch_execz .LBB1_13358
; %bb.49199:
	s_getpc_b64 s[14:15]
.Lpost_getpc10263:
	s_add_u32 s14, s14, (.LBB1_27696-.Lpost_getpc10263)&4294967295
	s_addc_u32 s15, s15, (.LBB1_27696-.Lpost_getpc10263)>>32
	s_setpc_b64 s[14:15]
.LBB1_13358:
	s_or_b64 exec, exec, s[6:7]
	s_and_saveexec_b64 s[6:7], s[4:5]
	s_cbranch_execz .LBB1_13360
.LBB1_13359:
	v_bfe_u32 v12, v3, 8, 3
	v_ffbh_u32_e32 v14, v12
	v_min_u32_e32 v14, 32, v14
	v_lshrrev_b16_e32 v13, 3, v6
	v_subrev_u32_e32 v15, 28, v14
	v_and_b32_e32 v13, 15, v13
	v_lshlrev_b32_e32 v6, v15, v6
	v_sub_u32_e32 v14, 29, v14
	v_and_b32_e32 v6, 7, v6
	v_cmp_eq_u16_e32 vcc, 0, v13
	v_cndmask_b32_e32 v6, v12, v6, vcc
	v_cndmask_b32_e32 v12, v13, v14, vcc
	v_lshlrev_b32_e32 v13, 16, v3
	v_mov_b32_e32 v14, 0x3b800000
	v_lshlrev_b32_e32 v6, 20, v6
	v_and_b32_e32 v13, 0x80000000, v13
	v_lshl_add_u32 v12, v12, 23, v14
	v_or3_b32 v12, v13, v12, v6
.LBB1_13360:
	s_or_b64 exec, exec, s[6:7]
	s_nop 0
	v_mfma_f32_16x16x4f32 a[0:3], v2, v12, a[0:3]
	s_movk_i32 s4, 0xff
	v_and_b32_sdwa v6, v7, s4 dst_sel:DWORD dst_unused:UNUSED_PAD src0_sel:WORD_1 src1_sel:DWORD
	s_movk_i32 s4, 0x7f
	v_cmp_lt_i16_e32 vcc, s4, v6
	s_mov_b64 s[4:5], 0
                                        ; implicit-def: $sgpr10
	s_and_saveexec_b64 s[6:7], vcc
	s_xor_b64 s[6:7], exec, s[6:7]
	s_cbranch_execz .LBB1_13361
; %bb.49201:
	s_getpc_b64 s[14:15]
.Lpost_getpc10264:
	s_add_u32 s14, s14, (.LBB1_27697-.Lpost_getpc10264)&4294967295
	s_addc_u32 s15, s15, (.LBB1_27697-.Lpost_getpc10264)>>32
	s_setpc_b64 s[14:15]
.LBB1_13361:
	s_or_saveexec_b64 s[6:7], s[6:7]
	v_mov_b32_e32 v2, s10
	s_xor_b64 exec, exec, s[6:7]
	s_cbranch_execz .LBB1_13362
; %bb.49203:
	s_getpc_b64 s[14:15]
.Lpost_getpc10265:
	s_add_u32 s14, s14, (.LBB1_27700-.Lpost_getpc10265)&4294967295
	s_addc_u32 s15, s15, (.LBB1_27700-.Lpost_getpc10265)>>32
	s_setpc_b64 s[14:15]
.LBB1_13362:
	s_or_b64 exec, exec, s[6:7]
	s_and_saveexec_b64 s[6:7], s[4:5]
	s_cbranch_execz .LBB1_13364
.LBB1_13363:
	v_bfe_u32 v2, v7, 16, 3
	v_ffbh_u32_e32 v13, v2
	v_min_u32_e32 v13, 32, v13
	v_lshrrev_b32_e32 v6, 19, v7
	v_subrev_u32_e32 v14, 28, v13
	v_and_b32_e32 v6, 15, v6
	v_lshlrev_b32_sdwa v14, v14, v7 dst_sel:DWORD dst_unused:UNUSED_PAD src0_sel:DWORD src1_sel:WORD_1
	v_bfe_u32 v12, v7, 19, 4
	v_sub_u32_e32 v13, 29, v13
	v_and_b32_e32 v14, 7, v14
	v_cmp_eq_u16_e32 vcc, 0, v6
	v_cndmask_b32_e32 v2, v2, v14, vcc
	v_cndmask_b32_e32 v6, v12, v13, vcc
	v_lshlrev_b32_e32 v12, 8, v7
	v_mov_b32_e32 v13, 0x3b800000
	v_lshlrev_b32_e32 v2, 20, v2
	v_and_b32_e32 v12, 0x80000000, v12
	v_lshl_add_u32 v6, v6, 23, v13
	v_or3_b32 v2, v12, v6, v2
.LBB1_13364:
	s_or_b64 exec, exec, s[6:7]
	s_movk_i32 s4, 0xff
	v_and_b32_sdwa v6, v3, s4 dst_sel:DWORD dst_unused:UNUSED_PAD src0_sel:WORD_1 src1_sel:DWORD
	s_movk_i32 s4, 0x7f
	v_cmp_lt_i16_e32 vcc, s4, v6
	s_mov_b64 s[4:5], 0
                                        ; implicit-def: $sgpr10
	s_and_saveexec_b64 s[6:7], vcc
	s_xor_b64 s[6:7], exec, s[6:7]
	s_cbranch_execz .LBB1_13365
; %bb.49205:
	s_getpc_b64 s[14:15]
.Lpost_getpc10266:
	s_add_u32 s14, s14, (.LBB1_27701-.Lpost_getpc10266)&4294967295
	s_addc_u32 s15, s15, (.LBB1_27701-.Lpost_getpc10266)>>32
	s_setpc_b64 s[14:15]
.LBB1_13365:
	s_or_saveexec_b64 s[6:7], s[6:7]
	v_mov_b32_e32 v12, s10
	s_xor_b64 exec, exec, s[6:7]
	s_cbranch_execz .LBB1_13366
; %bb.49207:
	s_getpc_b64 s[14:15]
.Lpost_getpc10267:
	s_add_u32 s14, s14, (.LBB1_27704-.Lpost_getpc10267)&4294967295
	s_addc_u32 s15, s15, (.LBB1_27704-.Lpost_getpc10267)>>32
	s_setpc_b64 s[14:15]
.LBB1_13366:
	s_or_b64 exec, exec, s[6:7]
	s_and_saveexec_b64 s[6:7], s[4:5]
	s_cbranch_execz .LBB1_13368
.LBB1_13367:
	v_bfe_u32 v6, v3, 16, 3
	v_ffbh_u32_e32 v14, v6
	v_min_u32_e32 v14, 32, v14
	v_lshrrev_b32_e32 v12, 19, v3
	v_subrev_u32_e32 v15, 28, v14
	v_and_b32_e32 v12, 15, v12
	v_lshlrev_b32_sdwa v15, v15, v3 dst_sel:DWORD dst_unused:UNUSED_PAD src0_sel:DWORD src1_sel:WORD_1
	v_bfe_u32 v13, v3, 19, 4
	v_sub_u32_e32 v14, 29, v14
	v_and_b32_e32 v15, 7, v15
	v_cmp_eq_u16_e32 vcc, 0, v12
	v_cndmask_b32_e32 v6, v6, v15, vcc
	v_cndmask_b32_e32 v12, v13, v14, vcc
	v_lshlrev_b32_e32 v13, 8, v3
	v_mov_b32_e32 v14, 0x3b800000
	v_lshlrev_b32_e32 v6, 20, v6
	v_and_b32_e32 v13, 0x80000000, v13
	v_lshl_add_u32 v12, v12, 23, v14
	v_or3_b32 v12, v13, v12, v6
.LBB1_13368:
	s_or_b64 exec, exec, s[6:7]
	s_nop 0
	v_mfma_f32_16x16x4f32 a[0:3], v2, v12, a[0:3]
	s_movk_i32 s4, 0x7f
	v_cmp_gt_i16_sdwa s[6:7], v7, s4 src0_sel:BYTE_3 src1_sel:DWORD
	s_mov_b64 s[4:5], 0
                                        ; implicit-def: $sgpr10
	s_and_saveexec_b64 s[8:9], s[6:7]
	s_xor_b64 s[6:7], exec, s[8:9]
	s_cbranch_execz .LBB1_13369
; %bb.49209:
	s_getpc_b64 s[14:15]
.Lpost_getpc10268:
	s_add_u32 s14, s14, (.LBB1_27705-.Lpost_getpc10268)&4294967295
	s_addc_u32 s15, s15, (.LBB1_27705-.Lpost_getpc10268)>>32
	s_setpc_b64 s[14:15]
.LBB1_13369:
	s_or_saveexec_b64 s[6:7], s[6:7]
	v_mov_b32_e32 v2, s10
	s_xor_b64 exec, exec, s[6:7]
	s_cbranch_execz .LBB1_13370
; %bb.49211:
	s_getpc_b64 s[14:15]
.Lpost_getpc10269:
	s_add_u32 s14, s14, (.LBB1_27708-.Lpost_getpc10269)&4294967295
	s_addc_u32 s15, s15, (.LBB1_27708-.Lpost_getpc10269)>>32
	s_setpc_b64 s[14:15]
.LBB1_13370:
	s_or_b64 exec, exec, s[6:7]
	s_and_saveexec_b64 s[6:7], s[4:5]
	s_cbranch_execz .LBB1_13372
.LBB1_13371:
	v_bfe_u32 v2, v7, 24, 3
	v_ffbh_u32_e32 v14, v2
	v_min_u32_e32 v14, 32, v14
	v_lshrrev_b32_e32 v12, 27, v7
	v_subrev_u32_e32 v15, 28, v14
	v_and_b32_e32 v6, 0x80000000, v7
	v_and_b32_e32 v12, 15, v12
	v_bfe_u32 v13, v7, 27, 4
	v_lshlrev_b32_sdwa v7, v15, v7 dst_sel:DWORD dst_unused:UNUSED_PAD src0_sel:DWORD src1_sel:BYTE_3
	v_sub_u32_e32 v14, 29, v14
	v_and_b32_e32 v7, 7, v7
	v_cmp_eq_u16_e32 vcc, 0, v12
	v_cndmask_b32_e32 v2, v2, v7, vcc
	v_cndmask_b32_e32 v7, v13, v14, vcc
	v_mov_b32_e32 v12, 0x3b800000
	v_lshlrev_b32_e32 v2, 20, v2
	v_lshl_add_u32 v7, v7, 23, v12
	v_or3_b32 v2, v6, v7, v2
.LBB1_13372:
	s_or_b64 exec, exec, s[6:7]
	s_movk_i32 s4, 0x7f
	v_cmp_gt_i16_sdwa s[6:7], v3, s4 src0_sel:BYTE_3 src1_sel:DWORD
	s_mov_b64 s[4:5], 0
                                        ; implicit-def: $sgpr10
	s_and_saveexec_b64 s[8:9], s[6:7]
	s_xor_b64 s[6:7], exec, s[8:9]
	s_cbranch_execz .LBB1_13373
; %bb.49213:
	s_getpc_b64 s[14:15]
.Lpost_getpc10270:
	s_add_u32 s14, s14, (.LBB1_27709-.Lpost_getpc10270)&4294967295
	s_addc_u32 s15, s15, (.LBB1_27709-.Lpost_getpc10270)>>32
	s_setpc_b64 s[14:15]
.LBB1_13373:
	s_or_saveexec_b64 s[6:7], s[6:7]
	v_mov_b32_e32 v6, s10
	s_xor_b64 exec, exec, s[6:7]
	s_cbranch_execz .LBB1_13374
; %bb.49215:
	s_getpc_b64 s[14:15]
.Lpost_getpc10271:
	s_add_u32 s14, s14, (.LBB1_27712-.Lpost_getpc10271)&4294967295
	s_addc_u32 s15, s15, (.LBB1_27712-.Lpost_getpc10271)>>32
	s_setpc_b64 s[14:15]
.LBB1_13374:
	s_or_b64 exec, exec, s[6:7]
	s_and_saveexec_b64 s[6:7], s[4:5]
	s_cbranch_execz .LBB1_13376
.LBB1_13375:
	v_bfe_u32 v6, v3, 24, 3
	v_ffbh_u32_e32 v14, v6
	v_min_u32_e32 v14, 32, v14
	v_lshrrev_b32_e32 v12, 27, v3
	v_subrev_u32_e32 v15, 28, v14
	v_and_b32_e32 v7, 0x80000000, v3
	v_and_b32_e32 v12, 15, v12
	v_bfe_u32 v13, v3, 27, 4
	v_lshlrev_b32_sdwa v3, v15, v3 dst_sel:DWORD dst_unused:UNUSED_PAD src0_sel:DWORD src1_sel:BYTE_3
	v_sub_u32_e32 v14, 29, v14
	v_and_b32_e32 v3, 7, v3
	v_cmp_eq_u16_e32 vcc, 0, v12
	v_cndmask_b32_e32 v3, v6, v3, vcc
	v_cndmask_b32_e32 v6, v13, v14, vcc
	v_mov_b32_e32 v12, 0x3b800000
	v_lshlrev_b32_e32 v3, 20, v3
	v_lshl_add_u32 v6, v6, 23, v12
	v_or3_b32 v6, v7, v6, v3
.LBB1_13376:
	s_or_b64 exec, exec, s[6:7]
	s_nop 0
	v_mfma_f32_16x16x4f32 a[0:3], v2, v6, a[0:3]
	s_movk_i32 s4, 0x7f
	v_cmp_gt_i16_sdwa s[6:7], v8, s4 src0_sel:BYTE_0 src1_sel:DWORD
	s_mov_b64 s[4:5], 0
                                        ; implicit-def: $sgpr10
	s_and_saveexec_b64 s[8:9], s[6:7]
	s_xor_b64 s[6:7], exec, s[8:9]
	s_cbranch_execz .LBB1_13377
; %bb.49217:
	s_getpc_b64 s[14:15]
.Lpost_getpc10272:
	s_add_u32 s14, s14, (.LBB1_27713-.Lpost_getpc10272)&4294967295
	s_addc_u32 s15, s15, (.LBB1_27713-.Lpost_getpc10272)>>32
	s_setpc_b64 s[14:15]
.LBB1_13377:
	s_or_saveexec_b64 s[6:7], s[6:7]
	v_mov_b32_e32 v2, s10
	s_xor_b64 exec, exec, s[6:7]
	s_cbranch_execz .LBB1_13378
; %bb.49219:
	s_getpc_b64 s[14:15]
.Lpost_getpc10273:
	s_add_u32 s14, s14, (.LBB1_27716-.Lpost_getpc10273)&4294967295
	s_addc_u32 s15, s15, (.LBB1_27716-.Lpost_getpc10273)>>32
	s_setpc_b64 s[14:15]
.LBB1_13378:
	s_or_b64 exec, exec, s[6:7]
	s_and_saveexec_b64 s[6:7], s[4:5]
	s_cbranch_execz .LBB1_13380
.LBB1_13379:
	v_and_b32_e32 v2, 7, v8
	v_ffbh_u32_e32 v6, v2
	v_min_u32_e32 v6, 32, v6
	v_lshrrev_b16_e32 v3, 3, v8
	v_subrev_u32_e32 v7, 28, v6
	v_and_b32_e32 v3, 15, v3
	v_lshlrev_b32_e32 v7, v7, v8
	v_sub_u32_e32 v6, 29, v6
	v_and_b32_e32 v7, 7, v7
	v_cmp_eq_u16_e32 vcc, 0, v3
	v_cndmask_b32_e32 v2, v2, v7, vcc
	v_cndmask_b32_e32 v3, v3, v6, vcc
	v_lshlrev_b32_e32 v6, 24, v8
	v_mov_b32_e32 v7, 0x3b800000
	v_lshlrev_b32_e32 v2, 20, v2
	v_and_b32_e32 v6, 0x80000000, v6
	v_lshl_add_u32 v3, v3, 23, v7
	v_or3_b32 v2, v6, v3, v2
.LBB1_13380:
	s_or_b64 exec, exec, s[6:7]
	s_movk_i32 s4, 0x7f
	v_cmp_gt_i16_sdwa s[6:7], v4, s4 src0_sel:BYTE_0 src1_sel:DWORD
	s_mov_b64 s[4:5], 0
                                        ; implicit-def: $sgpr10
	s_and_saveexec_b64 s[8:9], s[6:7]
	s_xor_b64 s[6:7], exec, s[8:9]
	s_cbranch_execz .LBB1_13381
; %bb.49221:
	s_getpc_b64 s[14:15]
.Lpost_getpc10274:
	s_add_u32 s14, s14, (.LBB1_27717-.Lpost_getpc10274)&4294967295
	s_addc_u32 s15, s15, (.LBB1_27717-.Lpost_getpc10274)>>32
	s_setpc_b64 s[14:15]
.LBB1_13381:
	s_or_saveexec_b64 s[6:7], s[6:7]
	v_mov_b32_e32 v3, s10
	s_xor_b64 exec, exec, s[6:7]
	s_cbranch_execz .LBB1_13382
; %bb.49223:
	s_getpc_b64 s[14:15]
.Lpost_getpc10275:
	s_add_u32 s14, s14, (.LBB1_27720-.Lpost_getpc10275)&4294967295
	s_addc_u32 s15, s15, (.LBB1_27720-.Lpost_getpc10275)>>32
	s_setpc_b64 s[14:15]
.LBB1_13382:
	s_or_b64 exec, exec, s[6:7]
	s_and_saveexec_b64 s[6:7], s[4:5]
	s_cbranch_execz .LBB1_13384
.LBB1_13383:
	v_and_b32_e32 v3, 7, v4
	v_ffbh_u32_e32 v7, v3
	v_min_u32_e32 v7, 32, v7
	v_lshrrev_b16_e32 v6, 3, v4
	v_subrev_u32_e32 v12, 28, v7
	v_and_b32_e32 v6, 15, v6
	v_lshlrev_b32_e32 v12, v12, v4
	v_sub_u32_e32 v7, 29, v7
	v_and_b32_e32 v12, 7, v12
	v_cmp_eq_u16_e32 vcc, 0, v6
	v_cndmask_b32_e32 v3, v3, v12, vcc
	v_cndmask_b32_e32 v6, v6, v7, vcc
	v_lshlrev_b32_e32 v7, 24, v4
	v_mov_b32_e32 v12, 0x3b800000
	v_lshlrev_b32_e32 v3, 20, v3
	v_and_b32_e32 v7, 0x80000000, v7
	v_lshl_add_u32 v6, v6, 23, v12
	v_or3_b32 v3, v7, v6, v3
.LBB1_13384:
	s_or_b64 exec, exec, s[6:7]
	s_nop 0
	v_mfma_f32_16x16x4f32 a[0:3], v2, v3, a[0:3]
	v_lshrrev_b32_e32 v3, 8, v8
	s_movk_i32 s4, 0x7f
	v_cmp_gt_i16_sdwa s[6:7], v3, s4 src0_sel:BYTE_0 src1_sel:DWORD
	s_mov_b64 s[4:5], 0
                                        ; implicit-def: $sgpr10
	s_and_saveexec_b64 s[8:9], s[6:7]
	s_xor_b64 s[6:7], exec, s[8:9]
	s_cbranch_execz .LBB1_13385
; %bb.49225:
	s_getpc_b64 s[14:15]
.Lpost_getpc10276:
	s_add_u32 s14, s14, (.LBB1_27721-.Lpost_getpc10276)&4294967295
	s_addc_u32 s15, s15, (.LBB1_27721-.Lpost_getpc10276)>>32
	s_setpc_b64 s[14:15]
.LBB1_13385:
	s_or_saveexec_b64 s[6:7], s[6:7]
	v_mov_b32_e32 v2, s10
	s_xor_b64 exec, exec, s[6:7]
	s_cbranch_execz .LBB1_13386
; %bb.49227:
	s_getpc_b64 s[14:15]
.Lpost_getpc10277:
	s_add_u32 s14, s14, (.LBB1_27724-.Lpost_getpc10277)&4294967295
	s_addc_u32 s15, s15, (.LBB1_27724-.Lpost_getpc10277)>>32
	s_setpc_b64 s[14:15]
.LBB1_13386:
	s_or_b64 exec, exec, s[6:7]
	s_and_saveexec_b64 s[6:7], s[4:5]
	s_cbranch_execz .LBB1_13388
.LBB1_13387:
	v_bfe_u32 v2, v8, 8, 3
	v_ffbh_u32_e32 v7, v2
	v_min_u32_e32 v7, 32, v7
	v_lshrrev_b16_e32 v6, 3, v3
	v_subrev_u32_e32 v12, 28, v7
	v_and_b32_e32 v6, 15, v6
	v_lshlrev_b32_e32 v3, v12, v3
	v_sub_u32_e32 v7, 29, v7
	v_and_b32_e32 v3, 7, v3
	v_cmp_eq_u16_e32 vcc, 0, v6
	v_cndmask_b32_e32 v2, v2, v3, vcc
	v_cndmask_b32_e32 v3, v6, v7, vcc
	v_lshlrev_b32_e32 v6, 16, v8
	v_mov_b32_e32 v7, 0x3b800000
	v_lshlrev_b32_e32 v2, 20, v2
	v_and_b32_e32 v6, 0x80000000, v6
	v_lshl_add_u32 v3, v3, 23, v7
	v_or3_b32 v2, v6, v3, v2
.LBB1_13388:
	s_or_b64 exec, exec, s[6:7]
	v_lshrrev_b32_e32 v3, 8, v4
	s_movk_i32 s4, 0x7f
	v_cmp_gt_i16_sdwa s[6:7], v3, s4 src0_sel:BYTE_0 src1_sel:DWORD
	s_mov_b64 s[4:5], 0
                                        ; implicit-def: $sgpr10
	s_and_saveexec_b64 s[8:9], s[6:7]
	s_xor_b64 s[6:7], exec, s[8:9]
	s_cbranch_execz .LBB1_13389
; %bb.49229:
	s_getpc_b64 s[14:15]
.Lpost_getpc10278:
	s_add_u32 s14, s14, (.LBB1_27725-.Lpost_getpc10278)&4294967295
	s_addc_u32 s15, s15, (.LBB1_27725-.Lpost_getpc10278)>>32
	s_setpc_b64 s[14:15]
.LBB1_13389:
	s_or_saveexec_b64 s[6:7], s[6:7]
	v_mov_b32_e32 v6, s10
	s_xor_b64 exec, exec, s[6:7]
	s_cbranch_execz .LBB1_13390
; %bb.49231:
	s_getpc_b64 s[14:15]
.Lpost_getpc10279:
	s_add_u32 s14, s14, (.LBB1_27728-.Lpost_getpc10279)&4294967295
	s_addc_u32 s15, s15, (.LBB1_27728-.Lpost_getpc10279)>>32
	s_setpc_b64 s[14:15]
.LBB1_13390:
	s_or_b64 exec, exec, s[6:7]
	s_and_saveexec_b64 s[6:7], s[4:5]
	s_cbranch_execz .LBB1_13392
.LBB1_13391:
	v_bfe_u32 v6, v4, 8, 3
	v_ffbh_u32_e32 v12, v6
	v_min_u32_e32 v12, 32, v12
	v_lshrrev_b16_e32 v7, 3, v3
	v_subrev_u32_e32 v13, 28, v12
	v_and_b32_e32 v7, 15, v7
	v_lshlrev_b32_e32 v3, v13, v3
	v_sub_u32_e32 v12, 29, v12
	v_and_b32_e32 v3, 7, v3
	v_cmp_eq_u16_e32 vcc, 0, v7
	v_cndmask_b32_e32 v3, v6, v3, vcc
	v_cndmask_b32_e32 v6, v7, v12, vcc
	v_lshlrev_b32_e32 v7, 16, v4
	v_mov_b32_e32 v12, 0x3b800000
	v_lshlrev_b32_e32 v3, 20, v3
	v_and_b32_e32 v7, 0x80000000, v7
	v_lshl_add_u32 v6, v6, 23, v12
	v_or3_b32 v6, v7, v6, v3
.LBB1_13392:
	s_or_b64 exec, exec, s[6:7]
	s_nop 0
	v_mfma_f32_16x16x4f32 a[0:3], v2, v6, a[0:3]
	s_movk_i32 s4, 0xff
	v_and_b32_sdwa v3, v8, s4 dst_sel:DWORD dst_unused:UNUSED_PAD src0_sel:WORD_1 src1_sel:DWORD
	s_movk_i32 s4, 0x7f
	v_cmp_lt_i16_e32 vcc, s4, v3
	s_mov_b64 s[4:5], 0
                                        ; implicit-def: $sgpr10
	s_and_saveexec_b64 s[6:7], vcc
	s_xor_b64 s[6:7], exec, s[6:7]
	s_cbranch_execz .LBB1_13393
; %bb.49233:
	s_getpc_b64 s[14:15]
.Lpost_getpc10280:
	s_add_u32 s14, s14, (.LBB1_27729-.Lpost_getpc10280)&4294967295
	s_addc_u32 s15, s15, (.LBB1_27729-.Lpost_getpc10280)>>32
	s_setpc_b64 s[14:15]
.LBB1_13393:
	s_or_saveexec_b64 s[6:7], s[6:7]
	v_mov_b32_e32 v2, s10
	s_xor_b64 exec, exec, s[6:7]
	s_cbranch_execz .LBB1_13394
; %bb.49235:
	s_getpc_b64 s[14:15]
.Lpost_getpc10281:
	s_add_u32 s14, s14, (.LBB1_27732-.Lpost_getpc10281)&4294967295
	s_addc_u32 s15, s15, (.LBB1_27732-.Lpost_getpc10281)>>32
	s_setpc_b64 s[14:15]
.LBB1_13394:
	s_or_b64 exec, exec, s[6:7]
	s_and_saveexec_b64 s[6:7], s[4:5]
	s_cbranch_execz .LBB1_13396
.LBB1_13395:
	v_bfe_u32 v2, v8, 16, 3
	v_ffbh_u32_e32 v7, v2
	v_min_u32_e32 v7, 32, v7
	v_lshrrev_b32_e32 v3, 19, v8
	v_subrev_u32_e32 v12, 28, v7
	v_and_b32_e32 v3, 15, v3
	v_lshlrev_b32_sdwa v12, v12, v8 dst_sel:DWORD dst_unused:UNUSED_PAD src0_sel:DWORD src1_sel:WORD_1
	v_bfe_u32 v6, v8, 19, 4
	v_sub_u32_e32 v7, 29, v7
	v_and_b32_e32 v12, 7, v12
	v_cmp_eq_u16_e32 vcc, 0, v3
	v_cndmask_b32_e32 v2, v2, v12, vcc
	v_cndmask_b32_e32 v3, v6, v7, vcc
	v_lshlrev_b32_e32 v6, 8, v8
	v_mov_b32_e32 v7, 0x3b800000
	v_lshlrev_b32_e32 v2, 20, v2
	v_and_b32_e32 v6, 0x80000000, v6
	v_lshl_add_u32 v3, v3, 23, v7
	v_or3_b32 v2, v6, v3, v2
.LBB1_13396:
	s_or_b64 exec, exec, s[6:7]
	s_movk_i32 s4, 0xff
	v_and_b32_sdwa v3, v4, s4 dst_sel:DWORD dst_unused:UNUSED_PAD src0_sel:WORD_1 src1_sel:DWORD
	s_movk_i32 s4, 0x7f
	v_cmp_lt_i16_e32 vcc, s4, v3
	s_mov_b64 s[4:5], 0
                                        ; implicit-def: $sgpr10
	s_and_saveexec_b64 s[6:7], vcc
	s_xor_b64 s[6:7], exec, s[6:7]
	s_cbranch_execz .LBB1_13397
; %bb.49237:
	s_getpc_b64 s[14:15]
.Lpost_getpc10282:
	s_add_u32 s14, s14, (.LBB1_27733-.Lpost_getpc10282)&4294967295
	s_addc_u32 s15, s15, (.LBB1_27733-.Lpost_getpc10282)>>32
	s_setpc_b64 s[14:15]
.LBB1_13397:
	s_or_saveexec_b64 s[6:7], s[6:7]
	v_mov_b32_e32 v6, s10
	s_xor_b64 exec, exec, s[6:7]
	s_cbranch_execz .LBB1_13398
; %bb.49239:
	s_getpc_b64 s[14:15]
.Lpost_getpc10283:
	s_add_u32 s14, s14, (.LBB1_27736-.Lpost_getpc10283)&4294967295
	s_addc_u32 s15, s15, (.LBB1_27736-.Lpost_getpc10283)>>32
	s_setpc_b64 s[14:15]
.LBB1_13398:
	s_or_b64 exec, exec, s[6:7]
	s_and_saveexec_b64 s[6:7], s[4:5]
	s_cbranch_execz .LBB1_13400
.LBB1_13399:
	v_bfe_u32 v3, v4, 16, 3
	v_ffbh_u32_e32 v12, v3
	v_min_u32_e32 v12, 32, v12
	v_lshrrev_b32_e32 v6, 19, v4
	v_subrev_u32_e32 v13, 28, v12
	v_and_b32_e32 v6, 15, v6
	v_lshlrev_b32_sdwa v13, v13, v4 dst_sel:DWORD dst_unused:UNUSED_PAD src0_sel:DWORD src1_sel:WORD_1
	v_bfe_u32 v7, v4, 19, 4
	v_sub_u32_e32 v12, 29, v12
	v_and_b32_e32 v13, 7, v13
	v_cmp_eq_u16_e32 vcc, 0, v6
	v_cndmask_b32_e32 v3, v3, v13, vcc
	v_cndmask_b32_e32 v6, v7, v12, vcc
	v_lshlrev_b32_e32 v7, 8, v4
	v_mov_b32_e32 v12, 0x3b800000
	v_lshlrev_b32_e32 v3, 20, v3
	v_and_b32_e32 v7, 0x80000000, v7
	v_lshl_add_u32 v6, v6, 23, v12
	v_or3_b32 v6, v7, v6, v3
.LBB1_13400:
	s_or_b64 exec, exec, s[6:7]
	s_nop 0
	v_mfma_f32_16x16x4f32 a[0:3], v2, v6, a[0:3]
	s_movk_i32 s4, 0x7f
	v_cmp_gt_i16_sdwa s[6:7], v8, s4 src0_sel:BYTE_3 src1_sel:DWORD
	s_mov_b64 s[4:5], 0
                                        ; implicit-def: $sgpr10
	s_and_saveexec_b64 s[8:9], s[6:7]
	s_xor_b64 s[6:7], exec, s[8:9]
	s_cbranch_execz .LBB1_13401
; %bb.49241:
	s_getpc_b64 s[14:15]
.Lpost_getpc10284:
	s_add_u32 s14, s14, (.LBB1_27737-.Lpost_getpc10284)&4294967295
	s_addc_u32 s15, s15, (.LBB1_27737-.Lpost_getpc10284)>>32
	s_setpc_b64 s[14:15]
.LBB1_13401:
	s_or_saveexec_b64 s[6:7], s[6:7]
	v_mov_b32_e32 v2, s10
	s_xor_b64 exec, exec, s[6:7]
	s_cbranch_execz .LBB1_13402
; %bb.49243:
	s_getpc_b64 s[14:15]
.Lpost_getpc10285:
	s_add_u32 s14, s14, (.LBB1_27740-.Lpost_getpc10285)&4294967295
	s_addc_u32 s15, s15, (.LBB1_27740-.Lpost_getpc10285)>>32
	s_setpc_b64 s[14:15]
.LBB1_13402:
	s_or_b64 exec, exec, s[6:7]
	s_and_saveexec_b64 s[6:7], s[4:5]
	s_cbranch_execz .LBB1_13404
.LBB1_13403:
	v_bfe_u32 v2, v8, 24, 3
	v_ffbh_u32_e32 v12, v2
	v_min_u32_e32 v12, 32, v12
	v_lshrrev_b32_e32 v6, 27, v8
	v_subrev_u32_e32 v13, 28, v12
	v_and_b32_e32 v3, 0x80000000, v8
	v_and_b32_e32 v6, 15, v6
	v_bfe_u32 v7, v8, 27, 4
	v_lshlrev_b32_sdwa v8, v13, v8 dst_sel:DWORD dst_unused:UNUSED_PAD src0_sel:DWORD src1_sel:BYTE_3
	v_sub_u32_e32 v12, 29, v12
	v_and_b32_e32 v8, 7, v8
	v_cmp_eq_u16_e32 vcc, 0, v6
	v_cndmask_b32_e32 v2, v2, v8, vcc
	v_cndmask_b32_e32 v6, v7, v12, vcc
	v_mov_b32_e32 v7, 0x3b800000
	v_lshlrev_b32_e32 v2, 20, v2
	v_lshl_add_u32 v6, v6, 23, v7
	v_or3_b32 v2, v3, v6, v2
.LBB1_13404:
	s_or_b64 exec, exec, s[6:7]
	s_movk_i32 s4, 0x7f
	v_cmp_gt_i16_sdwa s[6:7], v4, s4 src0_sel:BYTE_3 src1_sel:DWORD
	s_mov_b64 s[4:5], 0
                                        ; implicit-def: $sgpr10
	s_and_saveexec_b64 s[8:9], s[6:7]
	s_xor_b64 s[6:7], exec, s[8:9]
	s_cbranch_execz .LBB1_13405
; %bb.49245:
	s_getpc_b64 s[14:15]
.Lpost_getpc10286:
	s_add_u32 s14, s14, (.LBB1_27741-.Lpost_getpc10286)&4294967295
	s_addc_u32 s15, s15, (.LBB1_27741-.Lpost_getpc10286)>>32
	s_setpc_b64 s[14:15]
.LBB1_13405:
	s_or_saveexec_b64 s[6:7], s[6:7]
	v_mov_b32_e32 v3, s10
	s_xor_b64 exec, exec, s[6:7]
	s_cbranch_execz .LBB1_13406
; %bb.49247:
	s_getpc_b64 s[14:15]
.Lpost_getpc10287:
	s_add_u32 s14, s14, (.LBB1_27744-.Lpost_getpc10287)&4294967295
	s_addc_u32 s15, s15, (.LBB1_27744-.Lpost_getpc10287)>>32
	s_setpc_b64 s[14:15]
.LBB1_13406:
	s_or_b64 exec, exec, s[6:7]
	s_and_saveexec_b64 s[6:7], s[4:5]
	s_cbranch_execz .LBB1_13408
.LBB1_13407:
	v_bfe_u32 v3, v4, 24, 3
	v_ffbh_u32_e32 v12, v3
	v_min_u32_e32 v12, 32, v12
	v_lshrrev_b32_e32 v7, 27, v4
	v_subrev_u32_e32 v13, 28, v12
	v_and_b32_e32 v6, 0x80000000, v4
	v_and_b32_e32 v7, 15, v7
	v_bfe_u32 v8, v4, 27, 4
	v_lshlrev_b32_sdwa v4, v13, v4 dst_sel:DWORD dst_unused:UNUSED_PAD src0_sel:DWORD src1_sel:BYTE_3
	v_sub_u32_e32 v12, 29, v12
	v_and_b32_e32 v4, 7, v4
	v_cmp_eq_u16_e32 vcc, 0, v7
	v_cndmask_b32_e32 v3, v3, v4, vcc
	v_cndmask_b32_e32 v4, v8, v12, vcc
	v_mov_b32_e32 v7, 0x3b800000
	v_lshlrev_b32_e32 v3, 20, v3
	v_lshl_add_u32 v4, v4, 23, v7
	v_or3_b32 v3, v6, v4, v3
.LBB1_13408:
	s_or_b64 exec, exec, s[6:7]
	s_nop 0
	v_mfma_f32_16x16x4f32 a[0:3], v2, v3, a[0:3]
	s_movk_i32 s4, 0x7f
	v_cmp_gt_i16_sdwa s[6:7], v9, s4 src0_sel:BYTE_0 src1_sel:DWORD
	s_mov_b64 s[4:5], 0
                                        ; implicit-def: $sgpr10
	s_and_saveexec_b64 s[8:9], s[6:7]
	s_xor_b64 s[6:7], exec, s[8:9]
	s_cbranch_execz .LBB1_13409
; %bb.49249:
	s_getpc_b64 s[14:15]
.Lpost_getpc10288:
	s_add_u32 s14, s14, (.LBB1_27745-.Lpost_getpc10288)&4294967295
	s_addc_u32 s15, s15, (.LBB1_27745-.Lpost_getpc10288)>>32
	s_setpc_b64 s[14:15]
.LBB1_13409:
	s_or_saveexec_b64 s[6:7], s[6:7]
	v_mov_b32_e32 v2, s10
	s_xor_b64 exec, exec, s[6:7]
	s_cbranch_execz .LBB1_13410
; %bb.49251:
	s_getpc_b64 s[14:15]
.Lpost_getpc10289:
	s_add_u32 s14, s14, (.LBB1_27748-.Lpost_getpc10289)&4294967295
	s_addc_u32 s15, s15, (.LBB1_27748-.Lpost_getpc10289)>>32
	s_setpc_b64 s[14:15]
.LBB1_13410:
	s_or_b64 exec, exec, s[6:7]
	s_and_saveexec_b64 s[6:7], s[4:5]
	s_cbranch_execz .LBB1_13412
.LBB1_13411:
	v_mov_b32_e32 v2, 8
	v_and_b32_e32 v3, 7, v9
	v_lshrrev_b32_sdwa v2, v2, v9 dst_sel:BYTE_1 dst_unused:UNUSED_PAD src0_sel:DWORD src1_sel:DWORD
	v_ffbh_u32_e32 v4, v3
	v_or_b32_sdwa v2, v9, v2 dst_sel:DWORD dst_unused:UNUSED_PAD src0_sel:BYTE_0 src1_sel:DWORD
	v_min_u32_e32 v4, 32, v4
	v_lshrrev_b16_e32 v2, 3, v2
	v_subrev_u32_e32 v6, 28, v4
	v_and_b32_e32 v2, 15, v2
	v_lshlrev_b32_e32 v6, v6, v9
	v_sub_u32_e32 v4, 29, v4
	v_and_b32_e32 v6, 7, v6
	v_cmp_eq_u16_e32 vcc, 0, v2
	v_cndmask_b32_e32 v3, v3, v6, vcc
	v_cndmask_b32_e32 v2, v2, v4, vcc
	v_lshlrev_b32_e32 v4, 24, v9
	v_mov_b32_e32 v6, 0x3b800000
	v_lshlrev_b32_e32 v3, 20, v3
	v_and_b32_e32 v4, 0x80000000, v4
	v_lshl_add_u32 v2, v2, 23, v6
	v_or3_b32 v2, v4, v2, v3
.LBB1_13412:
	s_or_b64 exec, exec, s[6:7]
	s_movk_i32 s4, 0x7f
	v_cmp_gt_i16_sdwa s[6:7], v5, s4 src0_sel:BYTE_0 src1_sel:DWORD
	s_mov_b64 s[4:5], 0
                                        ; implicit-def: $sgpr10
	s_and_saveexec_b64 s[8:9], s[6:7]
	s_xor_b64 s[6:7], exec, s[8:9]
	s_cbranch_execz .LBB1_13413
; %bb.49253:
	s_getpc_b64 s[14:15]
.Lpost_getpc10290:
	s_add_u32 s14, s14, (.LBB1_27749-.Lpost_getpc10290)&4294967295
	s_addc_u32 s15, s15, (.LBB1_27749-.Lpost_getpc10290)>>32
	s_setpc_b64 s[14:15]
.LBB1_13413:
	s_or_saveexec_b64 s[6:7], s[6:7]
	v_mov_b32_e32 v3, s10
	s_xor_b64 exec, exec, s[6:7]
	s_cbranch_execz .LBB1_13414
; %bb.49255:
	s_getpc_b64 s[14:15]
.Lpost_getpc10291:
	s_add_u32 s14, s14, (.LBB1_27752-.Lpost_getpc10291)&4294967295
	s_addc_u32 s15, s15, (.LBB1_27752-.Lpost_getpc10291)>>32
	s_setpc_b64 s[14:15]
.LBB1_13414:
	s_or_b64 exec, exec, s[6:7]
	s_and_saveexec_b64 s[6:7], s[4:5]
	s_cbranch_execz .LBB1_13416
.LBB1_13415:
	v_mov_b32_e32 v3, 8
	v_and_b32_e32 v4, 7, v5
	v_lshrrev_b32_sdwa v3, v3, v5 dst_sel:BYTE_1 dst_unused:UNUSED_PAD src0_sel:DWORD src1_sel:DWORD
	v_ffbh_u32_e32 v6, v4
	v_or_b32_sdwa v3, v5, v3 dst_sel:DWORD dst_unused:UNUSED_PAD src0_sel:BYTE_0 src1_sel:DWORD
	v_min_u32_e32 v6, 32, v6
	v_lshrrev_b16_e32 v3, 3, v3
	v_subrev_u32_e32 v7, 28, v6
	v_and_b32_e32 v3, 15, v3
	v_lshlrev_b32_e32 v7, v7, v5
	v_sub_u32_e32 v6, 29, v6
	v_and_b32_e32 v7, 7, v7
	v_cmp_eq_u16_e32 vcc, 0, v3
	v_cndmask_b32_e32 v4, v4, v7, vcc
	v_cndmask_b32_e32 v3, v3, v6, vcc
	v_lshlrev_b32_e32 v6, 24, v5
	v_mov_b32_e32 v7, 0x3b800000
	v_lshlrev_b32_e32 v4, 20, v4
	v_and_b32_e32 v6, 0x80000000, v6
	v_lshl_add_u32 v3, v3, 23, v7
	v_or3_b32 v3, v6, v3, v4
.LBB1_13416:
	s_or_b64 exec, exec, s[6:7]
	s_nop 0
	v_mfma_f32_16x16x4f32 a[0:3], v2, v3, a[0:3]
	v_lshrrev_b32_e32 v3, 8, v9
	s_movk_i32 s4, 0x7f
	v_cmp_gt_i16_sdwa s[6:7], v3, s4 src0_sel:BYTE_0 src1_sel:DWORD
	s_mov_b64 s[4:5], 0
                                        ; implicit-def: $sgpr10
	s_and_saveexec_b64 s[8:9], s[6:7]
	s_xor_b64 s[6:7], exec, s[8:9]
	s_cbranch_execz .LBB1_13417
; %bb.49257:
	s_getpc_b64 s[14:15]
.Lpost_getpc10292:
	s_add_u32 s14, s14, (.LBB1_27753-.Lpost_getpc10292)&4294967295
	s_addc_u32 s15, s15, (.LBB1_27753-.Lpost_getpc10292)>>32
	s_setpc_b64 s[14:15]
.LBB1_13417:
	s_or_saveexec_b64 s[6:7], s[6:7]
	v_mov_b32_e32 v2, s10
	s_xor_b64 exec, exec, s[6:7]
	s_cbranch_execz .LBB1_13418
; %bb.49259:
	s_getpc_b64 s[14:15]
.Lpost_getpc10293:
	s_add_u32 s14, s14, (.LBB1_27756-.Lpost_getpc10293)&4294967295
	s_addc_u32 s15, s15, (.LBB1_27756-.Lpost_getpc10293)>>32
	s_setpc_b64 s[14:15]
.LBB1_13418:
	s_or_b64 exec, exec, s[6:7]
	s_and_saveexec_b64 s[6:7], s[4:5]
	s_cbranch_execz .LBB1_13420
.LBB1_13419:
	v_bfe_u32 v2, v9, 8, 3
	v_ffbh_u32_e32 v6, v2
	v_min_u32_e32 v6, 32, v6
	v_lshrrev_b16_e32 v4, 3, v3
	v_subrev_u32_e32 v7, 28, v6
	v_and_b32_e32 v4, 15, v4
	v_lshlrev_b32_e32 v3, v7, v3
	v_sub_u32_e32 v6, 29, v6
	v_and_b32_e32 v3, 7, v3
	v_cmp_eq_u16_e32 vcc, 0, v4
	v_cndmask_b32_e32 v2, v2, v3, vcc
	v_cndmask_b32_e32 v3, v4, v6, vcc
	v_lshlrev_b32_e32 v4, 16, v9
	v_mov_b32_e32 v6, 0x3b800000
	v_lshlrev_b32_e32 v2, 20, v2
	v_and_b32_e32 v4, 0x80000000, v4
	v_lshl_add_u32 v3, v3, 23, v6
	v_or3_b32 v2, v4, v3, v2
.LBB1_13420:
	s_or_b64 exec, exec, s[6:7]
	v_lshrrev_b32_e32 v3, 8, v5
	s_movk_i32 s4, 0x7f
	v_cmp_gt_i16_sdwa s[6:7], v3, s4 src0_sel:BYTE_0 src1_sel:DWORD
	s_mov_b64 s[4:5], 0
                                        ; implicit-def: $sgpr10
	s_and_saveexec_b64 s[8:9], s[6:7]
	s_xor_b64 s[6:7], exec, s[8:9]
	s_cbranch_execz .LBB1_13421
; %bb.49261:
	s_getpc_b64 s[14:15]
.Lpost_getpc10294:
	s_add_u32 s14, s14, (.LBB1_27757-.Lpost_getpc10294)&4294967295
	s_addc_u32 s15, s15, (.LBB1_27757-.Lpost_getpc10294)>>32
	s_setpc_b64 s[14:15]
.LBB1_13421:
	s_or_saveexec_b64 s[6:7], s[6:7]
	v_mov_b32_e32 v4, s10
	s_xor_b64 exec, exec, s[6:7]
	s_cbranch_execz .LBB1_13422
; %bb.49263:
	s_getpc_b64 s[14:15]
.Lpost_getpc10295:
	s_add_u32 s14, s14, (.LBB1_27760-.Lpost_getpc10295)&4294967295
	s_addc_u32 s15, s15, (.LBB1_27760-.Lpost_getpc10295)>>32
	s_setpc_b64 s[14:15]
.LBB1_13422:
	s_or_b64 exec, exec, s[6:7]
	s_and_saveexec_b64 s[6:7], s[4:5]
	s_cbranch_execz .LBB1_13424
.LBB1_13423:
	v_bfe_u32 v4, v5, 8, 3
	v_ffbh_u32_e32 v7, v4
	v_min_u32_e32 v7, 32, v7
	v_lshrrev_b16_e32 v6, 3, v3
	v_subrev_u32_e32 v8, 28, v7
	v_and_b32_e32 v6, 15, v6
	v_lshlrev_b32_e32 v3, v8, v3
	v_sub_u32_e32 v7, 29, v7
	v_and_b32_e32 v3, 7, v3
	v_cmp_eq_u16_e32 vcc, 0, v6
	v_cndmask_b32_e32 v3, v4, v3, vcc
	v_cndmask_b32_e32 v4, v6, v7, vcc
	v_lshlrev_b32_e32 v6, 16, v5
	v_mov_b32_e32 v7, 0x3b800000
	v_lshlrev_b32_e32 v3, 20, v3
	v_and_b32_e32 v6, 0x80000000, v6
	v_lshl_add_u32 v4, v4, 23, v7
	v_or3_b32 v4, v6, v4, v3
.LBB1_13424:
	s_or_b64 exec, exec, s[6:7]
	s_nop 0
	v_mfma_f32_16x16x4f32 a[0:3], v2, v4, a[0:3]
	s_movk_i32 s4, 0xff
	v_and_b32_sdwa v3, v9, s4 dst_sel:DWORD dst_unused:UNUSED_PAD src0_sel:WORD_1 src1_sel:DWORD
	s_movk_i32 s4, 0x7f
	v_cmp_lt_i16_e32 vcc, s4, v3
	s_mov_b64 s[4:5], 0
                                        ; implicit-def: $sgpr10
	s_and_saveexec_b64 s[6:7], vcc
	s_xor_b64 s[6:7], exec, s[6:7]
	s_cbranch_execz .LBB1_13425
; %bb.49265:
	s_getpc_b64 s[14:15]
.Lpost_getpc10296:
	s_add_u32 s14, s14, (.LBB1_27761-.Lpost_getpc10296)&4294967295
	s_addc_u32 s15, s15, (.LBB1_27761-.Lpost_getpc10296)>>32
	s_setpc_b64 s[14:15]
.LBB1_13425:
	s_or_saveexec_b64 s[6:7], s[6:7]
	v_mov_b32_e32 v2, s10
	s_xor_b64 exec, exec, s[6:7]
	s_cbranch_execz .LBB1_13426
; %bb.49267:
	s_getpc_b64 s[14:15]
.Lpost_getpc10297:
	s_add_u32 s14, s14, (.LBB1_27764-.Lpost_getpc10297)&4294967295
	s_addc_u32 s15, s15, (.LBB1_27764-.Lpost_getpc10297)>>32
	s_setpc_b64 s[14:15]
.LBB1_13426:
	s_or_b64 exec, exec, s[6:7]
	s_and_saveexec_b64 s[6:7], s[4:5]
	s_cbranch_execz .LBB1_13428
.LBB1_13427:
	v_bfe_u32 v2, v9, 16, 3
	v_ffbh_u32_e32 v6, v2
	v_min_u32_e32 v6, 32, v6
	v_lshrrev_b32_e32 v3, 19, v9
	v_subrev_u32_e32 v7, 28, v6
	v_and_b32_e32 v3, 15, v3
	v_lshlrev_b32_sdwa v7, v7, v9 dst_sel:DWORD dst_unused:UNUSED_PAD src0_sel:DWORD src1_sel:WORD_1
	v_bfe_u32 v4, v9, 19, 4
	v_sub_u32_e32 v6, 29, v6
	v_and_b32_e32 v7, 7, v7
	v_cmp_eq_u16_e32 vcc, 0, v3
	v_cndmask_b32_e32 v2, v2, v7, vcc
	v_cndmask_b32_e32 v3, v4, v6, vcc
	v_lshlrev_b32_e32 v4, 8, v9
	v_mov_b32_e32 v6, 0x3b800000
	v_lshlrev_b32_e32 v2, 20, v2
	v_and_b32_e32 v4, 0x80000000, v4
	v_lshl_add_u32 v3, v3, 23, v6
	v_or3_b32 v2, v4, v3, v2
.LBB1_13428:
	s_or_b64 exec, exec, s[6:7]
	s_movk_i32 s4, 0xff
	v_and_b32_sdwa v3, v5, s4 dst_sel:DWORD dst_unused:UNUSED_PAD src0_sel:WORD_1 src1_sel:DWORD
	s_movk_i32 s4, 0x7f
	v_cmp_lt_i16_e32 vcc, s4, v3
	s_mov_b64 s[4:5], 0
                                        ; implicit-def: $sgpr10
	s_and_saveexec_b64 s[6:7], vcc
	s_xor_b64 s[6:7], exec, s[6:7]
	s_cbranch_execz .LBB1_13429
; %bb.49269:
	s_getpc_b64 s[14:15]
.Lpost_getpc10298:
	s_add_u32 s14, s14, (.LBB1_27765-.Lpost_getpc10298)&4294967295
	s_addc_u32 s15, s15, (.LBB1_27765-.Lpost_getpc10298)>>32
	s_setpc_b64 s[14:15]
.LBB1_13429:
	s_or_saveexec_b64 s[6:7], s[6:7]
	v_mov_b32_e32 v4, s10
	s_xor_b64 exec, exec, s[6:7]
	s_cbranch_execz .LBB1_13430
; %bb.49271:
	s_getpc_b64 s[14:15]
.Lpost_getpc10299:
	s_add_u32 s14, s14, (.LBB1_27768-.Lpost_getpc10299)&4294967295
	s_addc_u32 s15, s15, (.LBB1_27768-.Lpost_getpc10299)>>32
	s_setpc_b64 s[14:15]
.LBB1_13430:
	s_or_b64 exec, exec, s[6:7]
	s_and_saveexec_b64 s[6:7], s[4:5]
	s_cbranch_execz .LBB1_13432
.LBB1_13431:
	v_bfe_u32 v3, v5, 16, 3
	v_ffbh_u32_e32 v7, v3
	v_min_u32_e32 v7, 32, v7
	v_lshrrev_b32_e32 v4, 19, v5
	v_subrev_u32_e32 v8, 28, v7
	v_and_b32_e32 v4, 15, v4
	v_lshlrev_b32_sdwa v8, v8, v5 dst_sel:DWORD dst_unused:UNUSED_PAD src0_sel:DWORD src1_sel:WORD_1
	v_bfe_u32 v6, v5, 19, 4
	v_sub_u32_e32 v7, 29, v7
	v_and_b32_e32 v8, 7, v8
	v_cmp_eq_u16_e32 vcc, 0, v4
	v_cndmask_b32_e32 v3, v3, v8, vcc
	v_cndmask_b32_e32 v4, v6, v7, vcc
	v_lshlrev_b32_e32 v6, 8, v5
	v_mov_b32_e32 v7, 0x3b800000
	v_lshlrev_b32_e32 v3, 20, v3
	v_and_b32_e32 v6, 0x80000000, v6
	v_lshl_add_u32 v4, v4, 23, v7
	v_or3_b32 v4, v6, v4, v3
.LBB1_13432:
	s_or_b64 exec, exec, s[6:7]
	s_nop 0
	v_mfma_f32_16x16x4f32 a[0:3], v2, v4, a[0:3]
	s_movk_i32 s4, 0x7f
	v_cmp_gt_i16_sdwa s[6:7], v9, s4 src0_sel:BYTE_3 src1_sel:DWORD
	s_mov_b64 s[4:5], 0
                                        ; implicit-def: $sgpr10
	s_and_saveexec_b64 s[8:9], s[6:7]
	s_xor_b64 s[6:7], exec, s[8:9]
	s_cbranch_execz .LBB1_13433
; %bb.49273:
	s_getpc_b64 s[14:15]
.Lpost_getpc10300:
	s_add_u32 s14, s14, (.LBB1_27769-.Lpost_getpc10300)&4294967295
	s_addc_u32 s15, s15, (.LBB1_27769-.Lpost_getpc10300)>>32
	s_setpc_b64 s[14:15]
.LBB1_13433:
	s_or_saveexec_b64 s[6:7], s[6:7]
	v_mov_b32_e32 v2, s10
	s_xor_b64 exec, exec, s[6:7]
	s_cbranch_execz .LBB1_13434
; %bb.49275:
	s_getpc_b64 s[14:15]
.Lpost_getpc10301:
	s_add_u32 s14, s14, (.LBB1_27772-.Lpost_getpc10301)&4294967295
	s_addc_u32 s15, s15, (.LBB1_27772-.Lpost_getpc10301)>>32
	s_setpc_b64 s[14:15]
.LBB1_13434:
	s_or_b64 exec, exec, s[6:7]
	s_and_saveexec_b64 s[6:7], s[4:5]
	s_cbranch_execz .LBB1_13436
.LBB1_13435:
	v_bfe_u32 v2, v9, 24, 3
	v_ffbh_u32_e32 v7, v2
	v_min_u32_e32 v7, 32, v7
	v_lshrrev_b32_e32 v4, 27, v9
	v_subrev_u32_e32 v8, 28, v7
	v_and_b32_e32 v4, 15, v4
	v_lshlrev_b32_sdwa v8, v8, v9 dst_sel:DWORD dst_unused:UNUSED_PAD src0_sel:DWORD src1_sel:BYTE_3
	v_bfe_u32 v6, v9, 27, 4
	v_sub_u32_e32 v7, 29, v7
	v_and_b32_e32 v8, 7, v8
	v_cmp_eq_u16_e32 vcc, 0, v4
	v_cndmask_b32_e32 v2, v2, v8, vcc
	v_cndmask_b32_e32 v4, v6, v7, vcc
	v_mov_b32_e32 v6, 0x3b800000
	v_and_b32_e32 v3, 0x80000000, v9
	v_lshlrev_b32_e32 v2, 20, v2
	v_lshl_add_u32 v4, v4, 23, v6
	v_or3_b32 v2, v3, v4, v2
.LBB1_13436:
	s_or_b64 exec, exec, s[6:7]
	s_movk_i32 s4, 0x7f
	v_cmp_gt_i16_sdwa s[6:7], v5, s4 src0_sel:BYTE_3 src1_sel:DWORD
	s_mov_b64 s[4:5], 0
                                        ; implicit-def: $sgpr10
	s_and_saveexec_b64 s[8:9], s[6:7]
	s_xor_b64 s[6:7], exec, s[8:9]
	s_cbranch_execz .LBB1_13437
; %bb.49277:
	s_getpc_b64 s[14:15]
.Lpost_getpc10302:
	s_add_u32 s14, s14, (.LBB1_27773-.Lpost_getpc10302)&4294967295
	s_addc_u32 s15, s15, (.LBB1_27773-.Lpost_getpc10302)>>32
	s_setpc_b64 s[14:15]
.LBB1_13437:
	s_or_saveexec_b64 s[6:7], s[6:7]
	v_mov_b32_e32 v3, s10
	s_xor_b64 exec, exec, s[6:7]
	s_cbranch_execz .LBB1_13438
; %bb.49279:
	s_getpc_b64 s[14:15]
.Lpost_getpc10303:
	s_add_u32 s14, s14, (.LBB1_27776-.Lpost_getpc10303)&4294967295
	s_addc_u32 s15, s15, (.LBB1_27776-.Lpost_getpc10303)>>32
	s_setpc_b64 s[14:15]
.LBB1_13438:
	s_or_b64 exec, exec, s[6:7]
	s_and_saveexec_b64 s[6:7], s[4:5]
	s_cbranch_execz .LBB1_13440
.LBB1_13439:
	v_bfe_u32 v3, v5, 24, 3
	v_ffbh_u32_e32 v8, v3
	v_min_u32_e32 v8, 32, v8
	v_lshrrev_b32_e32 v6, 27, v5
	v_subrev_u32_e32 v9, 28, v8
	v_and_b32_e32 v4, 0x80000000, v5
	v_and_b32_e32 v6, 15, v6
	v_bfe_u32 v7, v5, 27, 4
	v_lshlrev_b32_sdwa v5, v9, v5 dst_sel:DWORD dst_unused:UNUSED_PAD src0_sel:DWORD src1_sel:BYTE_3
	v_sub_u32_e32 v8, 29, v8
	v_and_b32_e32 v5, 7, v5
	v_cmp_eq_u16_e32 vcc, 0, v6
	v_cndmask_b32_e32 v3, v3, v5, vcc
	v_cndmask_b32_e32 v5, v7, v8, vcc
	v_mov_b32_e32 v6, 0x3b800000
	v_lshlrev_b32_e32 v3, 20, v3
	v_lshl_add_u32 v5, v5, 23, v6
	v_or3_b32 v3, v4, v5, v3
.LBB1_13440:
	s_or_b64 exec, exec, s[6:7]
	s_nop 0
	v_mfma_f32_16x16x4f32 a[0:3], v2, v3, a[0:3]
	s_movk_i32 s4, 0x7f
                                        ; implicit-def: $sgpr10
	s_nop 7
	s_nop 1
	flat_store_dwordx4 v[10:11], a[0:3] offset:768
	flat_load_dwordx4 v[12:15], v[0:1]
	s_nop 0
	flat_load_dwordx2 v[10:11], v[0:1] offset:16
	s_waitcnt vmcnt(0) lgkmcnt(0)
	flat_load_dwordx4 v[6:9], v[12:13] offset:208
	flat_load_dwordx4 v[2:5], v[14:15] offset:144
	s_waitcnt vmcnt(0) lgkmcnt(0)
	v_cmp_gt_i16_sdwa s[6:7], v6, s4 src0_sel:BYTE_0 src1_sel:DWORD
	s_mov_b64 s[4:5], 0
	s_and_saveexec_b64 s[8:9], s[6:7]
	s_xor_b64 s[6:7], exec, s[8:9]
	s_cbranch_execz .LBB1_13441
; %bb.49281:
	s_getpc_b64 s[14:15]
.Lpost_getpc10304:
	s_add_u32 s14, s14, (.LBB1_27777-.Lpost_getpc10304)&4294967295
	s_addc_u32 s15, s15, (.LBB1_27777-.Lpost_getpc10304)>>32
	s_setpc_b64 s[14:15]
.LBB1_13441:
	s_or_saveexec_b64 s[6:7], s[6:7]
	v_mov_b32_e32 v12, s10
	s_xor_b64 exec, exec, s[6:7]
	s_cbranch_execz .LBB1_13442
; %bb.49283:
	s_getpc_b64 s[14:15]
.Lpost_getpc10305:
	s_add_u32 s14, s14, (.LBB1_27780-.Lpost_getpc10305)&4294967295
	s_addc_u32 s15, s15, (.LBB1_27780-.Lpost_getpc10305)>>32
	s_setpc_b64 s[14:15]
.LBB1_13442:
	s_or_b64 exec, exec, s[6:7]
	s_and_saveexec_b64 s[6:7], s[4:5]
	s_cbranch_execz .LBB1_13444
.LBB1_13443:
	v_and_b32_e32 v12, 7, v6
	v_ffbh_u32_e32 v14, v12
	v_min_u32_e32 v14, 32, v14
	v_lshrrev_b16_e32 v13, 3, v6
	v_subrev_u32_e32 v15, 28, v14
	v_and_b32_e32 v13, 15, v13
	v_lshlrev_b32_e32 v15, v15, v6
	v_sub_u32_e32 v14, 29, v14
	v_and_b32_e32 v15, 7, v15
	v_cmp_eq_u16_e32 vcc, 0, v13
	v_cndmask_b32_e32 v12, v12, v15, vcc
	v_cndmask_b32_e32 v13, v13, v14, vcc
	v_lshlrev_b32_e32 v14, 24, v6
	v_mov_b32_e32 v15, 0x3b800000
	v_lshlrev_b32_e32 v12, 20, v12
	v_and_b32_e32 v14, 0x80000000, v14
	v_lshl_add_u32 v13, v13, 23, v15
	v_or3_b32 v12, v14, v13, v12
.LBB1_13444:
	s_or_b64 exec, exec, s[6:7]
	s_movk_i32 s4, 0x7f
	v_cmp_gt_i16_sdwa s[6:7], v2, s4 src0_sel:BYTE_0 src1_sel:DWORD
	s_mov_b64 s[4:5], 0
                                        ; implicit-def: $sgpr10
	s_and_saveexec_b64 s[8:9], s[6:7]
	s_xor_b64 s[6:7], exec, s[8:9]
	s_cbranch_execz .LBB1_13445
; %bb.49285:
	s_getpc_b64 s[14:15]
.Lpost_getpc10306:
	s_add_u32 s14, s14, (.LBB1_27781-.Lpost_getpc10306)&4294967295
	s_addc_u32 s15, s15, (.LBB1_27781-.Lpost_getpc10306)>>32
	s_setpc_b64 s[14:15]
.LBB1_13445:
	s_or_saveexec_b64 s[6:7], s[6:7]
	v_mov_b32_e32 v13, s10
	s_xor_b64 exec, exec, s[6:7]
	s_cbranch_execz .LBB1_13446
; %bb.49287:
	s_getpc_b64 s[14:15]
.Lpost_getpc10307:
	s_add_u32 s14, s14, (.LBB1_27784-.Lpost_getpc10307)&4294967295
	s_addc_u32 s15, s15, (.LBB1_27784-.Lpost_getpc10307)>>32
	s_setpc_b64 s[14:15]
.LBB1_13446:
	s_or_b64 exec, exec, s[6:7]
	s_and_saveexec_b64 s[6:7], s[4:5]
	s_cbranch_execz .LBB1_13448
.LBB1_13447:
	v_and_b32_e32 v13, 7, v2
	v_ffbh_u32_e32 v15, v13
	v_min_u32_e32 v15, 32, v15
	v_lshrrev_b16_e32 v14, 3, v2
	v_subrev_u32_e32 v16, 28, v15
	v_and_b32_e32 v14, 15, v14
	v_lshlrev_b32_e32 v16, v16, v2
	v_sub_u32_e32 v15, 29, v15
	v_and_b32_e32 v16, 7, v16
	v_cmp_eq_u16_e32 vcc, 0, v14
	v_cndmask_b32_e32 v13, v13, v16, vcc
	v_cndmask_b32_e32 v14, v14, v15, vcc
	v_lshlrev_b32_e32 v15, 24, v2
	v_mov_b32_e32 v16, 0x3b800000
	v_lshlrev_b32_e32 v13, 20, v13
	v_and_b32_e32 v15, 0x80000000, v15
	v_lshl_add_u32 v14, v14, 23, v16
	v_or3_b32 v13, v15, v14, v13
.LBB1_13448:
	s_or_b64 exec, exec, s[6:7]
	flat_load_dwordx4 a[0:3], v[10:11] offset:784
	s_movk_i32 s4, 0x7f
                                        ; implicit-def: $sgpr10
	s_waitcnt vmcnt(0) lgkmcnt(0)
	v_mfma_f32_16x16x4f32 a[0:3], v12, v13, a[0:3]
	v_lshrrev_b32_e32 v13, 8, v6
	v_cmp_gt_i16_sdwa s[6:7], v13, s4 src0_sel:BYTE_0 src1_sel:DWORD
	s_mov_b64 s[4:5], 0
	s_and_saveexec_b64 s[8:9], s[6:7]
	s_xor_b64 s[6:7], exec, s[8:9]
	s_cbranch_execz .LBB1_13449
; %bb.49289:
	s_getpc_b64 s[14:15]
.Lpost_getpc10308:
	s_add_u32 s14, s14, (.LBB1_27785-.Lpost_getpc10308)&4294967295
	s_addc_u32 s15, s15, (.LBB1_27785-.Lpost_getpc10308)>>32
	s_setpc_b64 s[14:15]
.LBB1_13449:
	s_or_saveexec_b64 s[6:7], s[6:7]
	v_mov_b32_e32 v12, s10
	s_xor_b64 exec, exec, s[6:7]
	s_cbranch_execz .LBB1_13450
; %bb.49291:
	s_getpc_b64 s[14:15]
.Lpost_getpc10309:
	s_add_u32 s14, s14, (.LBB1_27788-.Lpost_getpc10309)&4294967295
	s_addc_u32 s15, s15, (.LBB1_27788-.Lpost_getpc10309)>>32
	s_setpc_b64 s[14:15]
.LBB1_13450:
	s_or_b64 exec, exec, s[6:7]
	s_and_saveexec_b64 s[6:7], s[4:5]
	s_cbranch_execz .LBB1_13452
.LBB1_13451:
	v_bfe_u32 v12, v6, 8, 3
	v_ffbh_u32_e32 v15, v12
	v_min_u32_e32 v15, 32, v15
	v_lshrrev_b16_e32 v14, 3, v13
	v_subrev_u32_e32 v16, 28, v15
	v_and_b32_e32 v14, 15, v14
	v_lshlrev_b32_e32 v13, v16, v13
	v_sub_u32_e32 v15, 29, v15
	v_and_b32_e32 v13, 7, v13
	v_cmp_eq_u16_e32 vcc, 0, v14
	v_cndmask_b32_e32 v12, v12, v13, vcc
	v_cndmask_b32_e32 v13, v14, v15, vcc
	v_lshlrev_b32_e32 v14, 16, v6
	v_mov_b32_e32 v15, 0x3b800000
	v_lshlrev_b32_e32 v12, 20, v12
	v_and_b32_e32 v14, 0x80000000, v14
	v_lshl_add_u32 v13, v13, 23, v15
	v_or3_b32 v12, v14, v13, v12
.LBB1_13452:
	s_or_b64 exec, exec, s[6:7]
	v_lshrrev_b32_e32 v13, 8, v2
	s_movk_i32 s4, 0x7f
	v_cmp_gt_i16_sdwa s[6:7], v13, s4 src0_sel:BYTE_0 src1_sel:DWORD
	s_mov_b64 s[4:5], 0
                                        ; implicit-def: $sgpr10
	s_and_saveexec_b64 s[8:9], s[6:7]
	s_xor_b64 s[6:7], exec, s[8:9]
	s_cbranch_execz .LBB1_13453
; %bb.49293:
	s_getpc_b64 s[14:15]
.Lpost_getpc10310:
	s_add_u32 s14, s14, (.LBB1_27789-.Lpost_getpc10310)&4294967295
	s_addc_u32 s15, s15, (.LBB1_27789-.Lpost_getpc10310)>>32
	s_setpc_b64 s[14:15]
.LBB1_13453:
	s_or_saveexec_b64 s[6:7], s[6:7]
	v_mov_b32_e32 v14, s10
	s_xor_b64 exec, exec, s[6:7]
	s_cbranch_execz .LBB1_13454
; %bb.49295:
	s_getpc_b64 s[14:15]
.Lpost_getpc10311:
	s_add_u32 s14, s14, (.LBB1_27792-.Lpost_getpc10311)&4294967295
	s_addc_u32 s15, s15, (.LBB1_27792-.Lpost_getpc10311)>>32
	s_setpc_b64 s[14:15]
.LBB1_13454:
	s_or_b64 exec, exec, s[6:7]
	s_and_saveexec_b64 s[6:7], s[4:5]
	s_cbranch_execz .LBB1_13456
.LBB1_13455:
	v_bfe_u32 v14, v2, 8, 3
	v_ffbh_u32_e32 v16, v14
	v_min_u32_e32 v16, 32, v16
	v_lshrrev_b16_e32 v15, 3, v13
	v_subrev_u32_e32 v17, 28, v16
	v_and_b32_e32 v15, 15, v15
	v_lshlrev_b32_e32 v13, v17, v13
	v_sub_u32_e32 v16, 29, v16
	v_and_b32_e32 v13, 7, v13
	v_cmp_eq_u16_e32 vcc, 0, v15
	v_cndmask_b32_e32 v13, v14, v13, vcc
	v_cndmask_b32_e32 v14, v15, v16, vcc
	v_lshlrev_b32_e32 v15, 16, v2
	v_mov_b32_e32 v16, 0x3b800000
	v_lshlrev_b32_e32 v13, 20, v13
	v_and_b32_e32 v15, 0x80000000, v15
	v_lshl_add_u32 v14, v14, 23, v16
	v_or3_b32 v14, v15, v14, v13
.LBB1_13456:
	s_or_b64 exec, exec, s[6:7]
	s_nop 0
	v_mfma_f32_16x16x4f32 a[0:3], v12, v14, a[0:3]
	s_movk_i32 s4, 0xff
	v_and_b32_sdwa v13, v6, s4 dst_sel:DWORD dst_unused:UNUSED_PAD src0_sel:WORD_1 src1_sel:DWORD
	s_movk_i32 s4, 0x7f
	v_cmp_lt_i16_e32 vcc, s4, v13
	s_mov_b64 s[4:5], 0
                                        ; implicit-def: $sgpr10
	s_and_saveexec_b64 s[6:7], vcc
	s_xor_b64 s[6:7], exec, s[6:7]
	s_cbranch_execz .LBB1_13457
; %bb.49297:
	s_getpc_b64 s[14:15]
.Lpost_getpc10312:
	s_add_u32 s14, s14, (.LBB1_27793-.Lpost_getpc10312)&4294967295
	s_addc_u32 s15, s15, (.LBB1_27793-.Lpost_getpc10312)>>32
	s_setpc_b64 s[14:15]
.LBB1_13457:
	s_or_saveexec_b64 s[6:7], s[6:7]
	v_mov_b32_e32 v12, s10
	s_xor_b64 exec, exec, s[6:7]
	s_cbranch_execz .LBB1_13458
; %bb.49299:
	s_getpc_b64 s[14:15]
.Lpost_getpc10313:
	s_add_u32 s14, s14, (.LBB1_27796-.Lpost_getpc10313)&4294967295
	s_addc_u32 s15, s15, (.LBB1_27796-.Lpost_getpc10313)>>32
	s_setpc_b64 s[14:15]
.LBB1_13458:
	s_or_b64 exec, exec, s[6:7]
	s_and_saveexec_b64 s[6:7], s[4:5]
	s_cbranch_execz .LBB1_13460
.LBB1_13459:
	v_bfe_u32 v12, v6, 16, 3
	v_ffbh_u32_e32 v15, v12
	v_min_u32_e32 v15, 32, v15
	v_lshrrev_b32_e32 v13, 19, v6
	v_subrev_u32_e32 v16, 28, v15
	v_and_b32_e32 v13, 15, v13
	v_lshlrev_b32_sdwa v16, v16, v6 dst_sel:DWORD dst_unused:UNUSED_PAD src0_sel:DWORD src1_sel:WORD_1
	v_bfe_u32 v14, v6, 19, 4
	v_sub_u32_e32 v15, 29, v15
	v_and_b32_e32 v16, 7, v16
	v_cmp_eq_u16_e32 vcc, 0, v13
	v_cndmask_b32_e32 v12, v12, v16, vcc
	v_cndmask_b32_e32 v13, v14, v15, vcc
	v_lshlrev_b32_e32 v14, 8, v6
	v_mov_b32_e32 v15, 0x3b800000
	v_lshlrev_b32_e32 v12, 20, v12
	v_and_b32_e32 v14, 0x80000000, v14
	v_lshl_add_u32 v13, v13, 23, v15
	v_or3_b32 v12, v14, v13, v12
.LBB1_13460:
	s_or_b64 exec, exec, s[6:7]
	s_movk_i32 s4, 0xff
	v_and_b32_sdwa v13, v2, s4 dst_sel:DWORD dst_unused:UNUSED_PAD src0_sel:WORD_1 src1_sel:DWORD
	s_movk_i32 s4, 0x7f
	v_cmp_lt_i16_e32 vcc, s4, v13
	s_mov_b64 s[4:5], 0
                                        ; implicit-def: $sgpr10
	s_and_saveexec_b64 s[6:7], vcc
	s_xor_b64 s[6:7], exec, s[6:7]
	s_cbranch_execz .LBB1_13461
; %bb.49301:
	s_getpc_b64 s[14:15]
.Lpost_getpc10314:
	s_add_u32 s14, s14, (.LBB1_27797-.Lpost_getpc10314)&4294967295
	s_addc_u32 s15, s15, (.LBB1_27797-.Lpost_getpc10314)>>32
	s_setpc_b64 s[14:15]
.LBB1_13461:
	s_or_saveexec_b64 s[6:7], s[6:7]
	v_mov_b32_e32 v14, s10
	s_xor_b64 exec, exec, s[6:7]
	s_cbranch_execz .LBB1_13462
; %bb.49303:
	s_getpc_b64 s[14:15]
.Lpost_getpc10315:
	s_add_u32 s14, s14, (.LBB1_27800-.Lpost_getpc10315)&4294967295
	s_addc_u32 s15, s15, (.LBB1_27800-.Lpost_getpc10315)>>32
	s_setpc_b64 s[14:15]
.LBB1_13462:
	s_or_b64 exec, exec, s[6:7]
	s_and_saveexec_b64 s[6:7], s[4:5]
	s_cbranch_execz .LBB1_13464
.LBB1_13463:
	v_bfe_u32 v13, v2, 16, 3
	v_ffbh_u32_e32 v16, v13
	v_min_u32_e32 v16, 32, v16
	v_lshrrev_b32_e32 v14, 19, v2
	v_subrev_u32_e32 v17, 28, v16
	v_and_b32_e32 v14, 15, v14
	v_lshlrev_b32_sdwa v17, v17, v2 dst_sel:DWORD dst_unused:UNUSED_PAD src0_sel:DWORD src1_sel:WORD_1
	v_bfe_u32 v15, v2, 19, 4
	v_sub_u32_e32 v16, 29, v16
	v_and_b32_e32 v17, 7, v17
	v_cmp_eq_u16_e32 vcc, 0, v14
	v_cndmask_b32_e32 v13, v13, v17, vcc
	v_cndmask_b32_e32 v14, v15, v16, vcc
	v_lshlrev_b32_e32 v15, 8, v2
	v_mov_b32_e32 v16, 0x3b800000
	v_lshlrev_b32_e32 v13, 20, v13
	v_and_b32_e32 v15, 0x80000000, v15
	v_lshl_add_u32 v14, v14, 23, v16
	v_or3_b32 v14, v15, v14, v13
.LBB1_13464:
	s_or_b64 exec, exec, s[6:7]
	s_nop 0
	v_mfma_f32_16x16x4f32 a[0:3], v12, v14, a[0:3]
	s_movk_i32 s4, 0x7f
	v_cmp_gt_i16_sdwa s[6:7], v6, s4 src0_sel:BYTE_3 src1_sel:DWORD
	s_mov_b64 s[4:5], 0
                                        ; implicit-def: $sgpr10
	s_and_saveexec_b64 s[8:9], s[6:7]
	s_xor_b64 s[6:7], exec, s[8:9]
	s_cbranch_execz .LBB1_13465
; %bb.49305:
	s_getpc_b64 s[14:15]
.Lpost_getpc10316:
	s_add_u32 s14, s14, (.LBB1_27801-.Lpost_getpc10316)&4294967295
	s_addc_u32 s15, s15, (.LBB1_27801-.Lpost_getpc10316)>>32
	s_setpc_b64 s[14:15]
.LBB1_13465:
	s_or_saveexec_b64 s[6:7], s[6:7]
	v_mov_b32_e32 v12, s10
	s_xor_b64 exec, exec, s[6:7]
	s_cbranch_execz .LBB1_13466
; %bb.49307:
	s_getpc_b64 s[14:15]
.Lpost_getpc10317:
	s_add_u32 s14, s14, (.LBB1_27804-.Lpost_getpc10317)&4294967295
	s_addc_u32 s15, s15, (.LBB1_27804-.Lpost_getpc10317)>>32
	s_setpc_b64 s[14:15]
.LBB1_13466:
	s_or_b64 exec, exec, s[6:7]
	s_and_saveexec_b64 s[6:7], s[4:5]
	s_cbranch_execz .LBB1_13468
.LBB1_13467:
	v_bfe_u32 v12, v6, 24, 3
	v_ffbh_u32_e32 v16, v12
	v_min_u32_e32 v16, 32, v16
	v_lshrrev_b32_e32 v14, 27, v6
	v_subrev_u32_e32 v17, 28, v16
	v_and_b32_e32 v13, 0x80000000, v6
	v_and_b32_e32 v14, 15, v14
	v_bfe_u32 v15, v6, 27, 4
	v_lshlrev_b32_sdwa v6, v17, v6 dst_sel:DWORD dst_unused:UNUSED_PAD src0_sel:DWORD src1_sel:BYTE_3
	v_sub_u32_e32 v16, 29, v16
	v_and_b32_e32 v6, 7, v6
	v_cmp_eq_u16_e32 vcc, 0, v14
	v_cndmask_b32_e32 v6, v12, v6, vcc
	v_cndmask_b32_e32 v12, v15, v16, vcc
	v_mov_b32_e32 v14, 0x3b800000
	v_lshlrev_b32_e32 v6, 20, v6
	v_lshl_add_u32 v12, v12, 23, v14
	v_or3_b32 v12, v13, v12, v6
.LBB1_13468:
	s_or_b64 exec, exec, s[6:7]
	s_movk_i32 s4, 0x7f
	v_cmp_gt_i16_sdwa s[6:7], v2, s4 src0_sel:BYTE_3 src1_sel:DWORD
	s_mov_b64 s[4:5], 0
                                        ; implicit-def: $sgpr10
	s_and_saveexec_b64 s[8:9], s[6:7]
	s_xor_b64 s[6:7], exec, s[8:9]
	s_cbranch_execz .LBB1_13469
; %bb.49309:
	s_getpc_b64 s[14:15]
.Lpost_getpc10318:
	s_add_u32 s14, s14, (.LBB1_27805-.Lpost_getpc10318)&4294967295
	s_addc_u32 s15, s15, (.LBB1_27805-.Lpost_getpc10318)>>32
	s_setpc_b64 s[14:15]
.LBB1_13469:
	s_or_saveexec_b64 s[6:7], s[6:7]
	v_mov_b32_e32 v6, s10
	s_xor_b64 exec, exec, s[6:7]
	s_cbranch_execz .LBB1_13470
; %bb.49311:
	s_getpc_b64 s[14:15]
.Lpost_getpc10319:
	s_add_u32 s14, s14, (.LBB1_27808-.Lpost_getpc10319)&4294967295
	s_addc_u32 s15, s15, (.LBB1_27808-.Lpost_getpc10319)>>32
	s_setpc_b64 s[14:15]
.LBB1_13470:
	s_or_b64 exec, exec, s[6:7]
	s_and_saveexec_b64 s[6:7], s[4:5]
	s_cbranch_execz .LBB1_13472
.LBB1_13471:
	v_bfe_u32 v6, v2, 24, 3
	v_ffbh_u32_e32 v16, v6
	v_min_u32_e32 v16, 32, v16
	v_lshrrev_b32_e32 v14, 27, v2
	v_subrev_u32_e32 v17, 28, v16
	v_and_b32_e32 v13, 0x80000000, v2
	v_and_b32_e32 v14, 15, v14
	v_bfe_u32 v15, v2, 27, 4
	v_lshlrev_b32_sdwa v2, v17, v2 dst_sel:DWORD dst_unused:UNUSED_PAD src0_sel:DWORD src1_sel:BYTE_3
	v_sub_u32_e32 v16, 29, v16
	v_and_b32_e32 v2, 7, v2
	v_cmp_eq_u16_e32 vcc, 0, v14
	v_cndmask_b32_e32 v2, v6, v2, vcc
	v_cndmask_b32_e32 v6, v15, v16, vcc
	v_mov_b32_e32 v14, 0x3b800000
	v_lshlrev_b32_e32 v2, 20, v2
	v_lshl_add_u32 v6, v6, 23, v14
	v_or3_b32 v6, v13, v6, v2
.LBB1_13472:
	s_or_b64 exec, exec, s[6:7]
	s_nop 0
	v_mfma_f32_16x16x4f32 a[0:3], v12, v6, a[0:3]
	s_movk_i32 s4, 0x7f
	v_cmp_gt_i16_sdwa s[6:7], v7, s4 src0_sel:BYTE_0 src1_sel:DWORD
	s_mov_b64 s[4:5], 0
                                        ; implicit-def: $sgpr10
	s_and_saveexec_b64 s[8:9], s[6:7]
	s_xor_b64 s[6:7], exec, s[8:9]
	s_cbranch_execz .LBB1_13473
; %bb.49313:
	s_getpc_b64 s[14:15]
.Lpost_getpc10320:
	s_add_u32 s14, s14, (.LBB1_27809-.Lpost_getpc10320)&4294967295
	s_addc_u32 s15, s15, (.LBB1_27809-.Lpost_getpc10320)>>32
	s_setpc_b64 s[14:15]
.LBB1_13473:
	s_or_saveexec_b64 s[6:7], s[6:7]
	v_mov_b32_e32 v2, s10
	s_xor_b64 exec, exec, s[6:7]
	s_cbranch_execz .LBB1_13474
; %bb.49315:
	s_getpc_b64 s[14:15]
.Lpost_getpc10321:
	s_add_u32 s14, s14, (.LBB1_27812-.Lpost_getpc10321)&4294967295
	s_addc_u32 s15, s15, (.LBB1_27812-.Lpost_getpc10321)>>32
	s_setpc_b64 s[14:15]
.LBB1_13474:
	s_or_b64 exec, exec, s[6:7]
	s_and_saveexec_b64 s[6:7], s[4:5]
	s_cbranch_execz .LBB1_13476
.LBB1_13475:
	v_and_b32_e32 v2, 7, v7
	v_ffbh_u32_e32 v12, v2
	v_min_u32_e32 v12, 32, v12
	v_lshrrev_b16_e32 v6, 3, v7
	v_subrev_u32_e32 v13, 28, v12
	v_and_b32_e32 v6, 15, v6
	v_lshlrev_b32_e32 v13, v13, v7
	v_sub_u32_e32 v12, 29, v12
	v_and_b32_e32 v13, 7, v13
	v_cmp_eq_u16_e32 vcc, 0, v6
	v_cndmask_b32_e32 v2, v2, v13, vcc
	v_cndmask_b32_e32 v6, v6, v12, vcc
	v_lshlrev_b32_e32 v12, 24, v7
	v_mov_b32_e32 v13, 0x3b800000
	v_lshlrev_b32_e32 v2, 20, v2
	v_and_b32_e32 v12, 0x80000000, v12
	v_lshl_add_u32 v6, v6, 23, v13
	v_or3_b32 v2, v12, v6, v2
.LBB1_13476:
	s_or_b64 exec, exec, s[6:7]
	s_movk_i32 s4, 0x7f
	v_cmp_gt_i16_sdwa s[6:7], v3, s4 src0_sel:BYTE_0 src1_sel:DWORD
	s_mov_b64 s[4:5], 0
                                        ; implicit-def: $sgpr10
	s_and_saveexec_b64 s[8:9], s[6:7]
	s_xor_b64 s[6:7], exec, s[8:9]
	s_cbranch_execz .LBB1_13477
; %bb.49317:
	s_getpc_b64 s[14:15]
.Lpost_getpc10322:
	s_add_u32 s14, s14, (.LBB1_27813-.Lpost_getpc10322)&4294967295
	s_addc_u32 s15, s15, (.LBB1_27813-.Lpost_getpc10322)>>32
	s_setpc_b64 s[14:15]
.LBB1_13477:
	s_or_saveexec_b64 s[6:7], s[6:7]
	v_mov_b32_e32 v6, s10
	s_xor_b64 exec, exec, s[6:7]
	s_cbranch_execz .LBB1_13478
; %bb.49319:
	s_getpc_b64 s[14:15]
.Lpost_getpc10323:
	s_add_u32 s14, s14, (.LBB1_27816-.Lpost_getpc10323)&4294967295
	s_addc_u32 s15, s15, (.LBB1_27816-.Lpost_getpc10323)>>32
	s_setpc_b64 s[14:15]
.LBB1_13478:
	s_or_b64 exec, exec, s[6:7]
	s_and_saveexec_b64 s[6:7], s[4:5]
	s_cbranch_execz .LBB1_13480
.LBB1_13479:
	v_and_b32_e32 v6, 7, v3
	v_ffbh_u32_e32 v13, v6
	v_min_u32_e32 v13, 32, v13
	v_lshrrev_b16_e32 v12, 3, v3
	v_subrev_u32_e32 v14, 28, v13
	v_and_b32_e32 v12, 15, v12
	v_lshlrev_b32_e32 v14, v14, v3
	v_sub_u32_e32 v13, 29, v13
	v_and_b32_e32 v14, 7, v14
	v_cmp_eq_u16_e32 vcc, 0, v12
	v_cndmask_b32_e32 v6, v6, v14, vcc
	v_cndmask_b32_e32 v12, v12, v13, vcc
	v_lshlrev_b32_e32 v13, 24, v3
	v_mov_b32_e32 v14, 0x3b800000
	v_lshlrev_b32_e32 v6, 20, v6
	v_and_b32_e32 v13, 0x80000000, v13
	v_lshl_add_u32 v12, v12, 23, v14
	v_or3_b32 v6, v13, v12, v6
.LBB1_13480:
	s_or_b64 exec, exec, s[6:7]
	s_nop 0
	v_mfma_f32_16x16x4f32 a[0:3], v2, v6, a[0:3]
	v_lshrrev_b32_e32 v6, 8, v7
	s_movk_i32 s4, 0x7f
	v_cmp_gt_i16_sdwa s[6:7], v6, s4 src0_sel:BYTE_0 src1_sel:DWORD
	s_mov_b64 s[4:5], 0
                                        ; implicit-def: $sgpr10
	s_and_saveexec_b64 s[8:9], s[6:7]
	s_xor_b64 s[6:7], exec, s[8:9]
	s_cbranch_execz .LBB1_13481
; %bb.49321:
	s_getpc_b64 s[14:15]
.Lpost_getpc10324:
	s_add_u32 s14, s14, (.LBB1_27817-.Lpost_getpc10324)&4294967295
	s_addc_u32 s15, s15, (.LBB1_27817-.Lpost_getpc10324)>>32
	s_setpc_b64 s[14:15]
.LBB1_13481:
	s_or_saveexec_b64 s[6:7], s[6:7]
	v_mov_b32_e32 v2, s10
	s_xor_b64 exec, exec, s[6:7]
	s_cbranch_execz .LBB1_13482
; %bb.49323:
	s_getpc_b64 s[14:15]
.Lpost_getpc10325:
	s_add_u32 s14, s14, (.LBB1_27820-.Lpost_getpc10325)&4294967295
	s_addc_u32 s15, s15, (.LBB1_27820-.Lpost_getpc10325)>>32
	s_setpc_b64 s[14:15]
.LBB1_13482:
	s_or_b64 exec, exec, s[6:7]
	s_and_saveexec_b64 s[6:7], s[4:5]
	s_cbranch_execz .LBB1_13484
.LBB1_13483:
	v_bfe_u32 v2, v7, 8, 3
	v_ffbh_u32_e32 v13, v2
	v_min_u32_e32 v13, 32, v13
	v_lshrrev_b16_e32 v12, 3, v6
	v_subrev_u32_e32 v14, 28, v13
	v_and_b32_e32 v12, 15, v12
	v_lshlrev_b32_e32 v6, v14, v6
	v_sub_u32_e32 v13, 29, v13
	v_and_b32_e32 v6, 7, v6
	v_cmp_eq_u16_e32 vcc, 0, v12
	v_cndmask_b32_e32 v2, v2, v6, vcc
	v_cndmask_b32_e32 v6, v12, v13, vcc
	v_lshlrev_b32_e32 v12, 16, v7
	v_mov_b32_e32 v13, 0x3b800000
	v_lshlrev_b32_e32 v2, 20, v2
	v_and_b32_e32 v12, 0x80000000, v12
	v_lshl_add_u32 v6, v6, 23, v13
	v_or3_b32 v2, v12, v6, v2
.LBB1_13484:
	s_or_b64 exec, exec, s[6:7]
	v_lshrrev_b32_e32 v6, 8, v3
	s_movk_i32 s4, 0x7f
	v_cmp_gt_i16_sdwa s[6:7], v6, s4 src0_sel:BYTE_0 src1_sel:DWORD
	s_mov_b64 s[4:5], 0
                                        ; implicit-def: $sgpr10
	s_and_saveexec_b64 s[8:9], s[6:7]
	s_xor_b64 s[6:7], exec, s[8:9]
	s_cbranch_execz .LBB1_13485
; %bb.49325:
	s_getpc_b64 s[14:15]
.Lpost_getpc10326:
	s_add_u32 s14, s14, (.LBB1_27821-.Lpost_getpc10326)&4294967295
	s_addc_u32 s15, s15, (.LBB1_27821-.Lpost_getpc10326)>>32
	s_setpc_b64 s[14:15]
.LBB1_13485:
	s_or_saveexec_b64 s[6:7], s[6:7]
	v_mov_b32_e32 v12, s10
	s_xor_b64 exec, exec, s[6:7]
	s_cbranch_execz .LBB1_13486
; %bb.49327:
	s_getpc_b64 s[14:15]
.Lpost_getpc10327:
	s_add_u32 s14, s14, (.LBB1_27824-.Lpost_getpc10327)&4294967295
	s_addc_u32 s15, s15, (.LBB1_27824-.Lpost_getpc10327)>>32
	s_setpc_b64 s[14:15]
.LBB1_13486:
	s_or_b64 exec, exec, s[6:7]
	s_and_saveexec_b64 s[6:7], s[4:5]
	s_cbranch_execz .LBB1_13488
.LBB1_13487:
	v_bfe_u32 v12, v3, 8, 3
	v_ffbh_u32_e32 v14, v12
	v_min_u32_e32 v14, 32, v14
	v_lshrrev_b16_e32 v13, 3, v6
	v_subrev_u32_e32 v15, 28, v14
	v_and_b32_e32 v13, 15, v13
	v_lshlrev_b32_e32 v6, v15, v6
	v_sub_u32_e32 v14, 29, v14
	v_and_b32_e32 v6, 7, v6
	v_cmp_eq_u16_e32 vcc, 0, v13
	v_cndmask_b32_e32 v6, v12, v6, vcc
	v_cndmask_b32_e32 v12, v13, v14, vcc
	v_lshlrev_b32_e32 v13, 16, v3
	v_mov_b32_e32 v14, 0x3b800000
	v_lshlrev_b32_e32 v6, 20, v6
	v_and_b32_e32 v13, 0x80000000, v13
	v_lshl_add_u32 v12, v12, 23, v14
	v_or3_b32 v12, v13, v12, v6
.LBB1_13488:
	s_or_b64 exec, exec, s[6:7]
	s_nop 0
	v_mfma_f32_16x16x4f32 a[0:3], v2, v12, a[0:3]
	s_movk_i32 s4, 0xff
	v_and_b32_sdwa v6, v7, s4 dst_sel:DWORD dst_unused:UNUSED_PAD src0_sel:WORD_1 src1_sel:DWORD
	s_movk_i32 s4, 0x7f
	v_cmp_lt_i16_e32 vcc, s4, v6
	s_mov_b64 s[4:5], 0
                                        ; implicit-def: $sgpr10
	s_and_saveexec_b64 s[6:7], vcc
	s_xor_b64 s[6:7], exec, s[6:7]
	s_cbranch_execz .LBB1_13489
; %bb.49329:
	s_getpc_b64 s[14:15]
.Lpost_getpc10328:
	s_add_u32 s14, s14, (.LBB1_27825-.Lpost_getpc10328)&4294967295
	s_addc_u32 s15, s15, (.LBB1_27825-.Lpost_getpc10328)>>32
	s_setpc_b64 s[14:15]
.LBB1_13489:
	s_or_saveexec_b64 s[6:7], s[6:7]
	v_mov_b32_e32 v2, s10
	s_xor_b64 exec, exec, s[6:7]
	s_cbranch_execz .LBB1_13490
; %bb.49331:
	s_getpc_b64 s[14:15]
.Lpost_getpc10329:
	s_add_u32 s14, s14, (.LBB1_27828-.Lpost_getpc10329)&4294967295
	s_addc_u32 s15, s15, (.LBB1_27828-.Lpost_getpc10329)>>32
	s_setpc_b64 s[14:15]
.LBB1_13490:
	s_or_b64 exec, exec, s[6:7]
	s_and_saveexec_b64 s[6:7], s[4:5]
	s_cbranch_execz .LBB1_13492
.LBB1_13491:
	v_bfe_u32 v2, v7, 16, 3
	v_ffbh_u32_e32 v13, v2
	v_min_u32_e32 v13, 32, v13
	v_lshrrev_b32_e32 v6, 19, v7
	v_subrev_u32_e32 v14, 28, v13
	v_and_b32_e32 v6, 15, v6
	v_lshlrev_b32_sdwa v14, v14, v7 dst_sel:DWORD dst_unused:UNUSED_PAD src0_sel:DWORD src1_sel:WORD_1
	v_bfe_u32 v12, v7, 19, 4
	v_sub_u32_e32 v13, 29, v13
	v_and_b32_e32 v14, 7, v14
	v_cmp_eq_u16_e32 vcc, 0, v6
	v_cndmask_b32_e32 v2, v2, v14, vcc
	v_cndmask_b32_e32 v6, v12, v13, vcc
	v_lshlrev_b32_e32 v12, 8, v7
	v_mov_b32_e32 v13, 0x3b800000
	v_lshlrev_b32_e32 v2, 20, v2
	v_and_b32_e32 v12, 0x80000000, v12
	v_lshl_add_u32 v6, v6, 23, v13
	v_or3_b32 v2, v12, v6, v2
.LBB1_13492:
	s_or_b64 exec, exec, s[6:7]
	s_movk_i32 s4, 0xff
	v_and_b32_sdwa v6, v3, s4 dst_sel:DWORD dst_unused:UNUSED_PAD src0_sel:WORD_1 src1_sel:DWORD
	s_movk_i32 s4, 0x7f
	v_cmp_lt_i16_e32 vcc, s4, v6
	s_mov_b64 s[4:5], 0
                                        ; implicit-def: $sgpr10
	s_and_saveexec_b64 s[6:7], vcc
	s_xor_b64 s[6:7], exec, s[6:7]
	s_cbranch_execz .LBB1_13493
; %bb.49333:
	s_getpc_b64 s[14:15]
.Lpost_getpc10330:
	s_add_u32 s14, s14, (.LBB1_27829-.Lpost_getpc10330)&4294967295
	s_addc_u32 s15, s15, (.LBB1_27829-.Lpost_getpc10330)>>32
	s_setpc_b64 s[14:15]
.LBB1_13493:
	s_or_saveexec_b64 s[6:7], s[6:7]
	v_mov_b32_e32 v12, s10
	s_xor_b64 exec, exec, s[6:7]
	s_cbranch_execz .LBB1_13494
; %bb.49335:
	s_getpc_b64 s[14:15]
.Lpost_getpc10331:
	s_add_u32 s14, s14, (.LBB1_27832-.Lpost_getpc10331)&4294967295
	s_addc_u32 s15, s15, (.LBB1_27832-.Lpost_getpc10331)>>32
	s_setpc_b64 s[14:15]
.LBB1_13494:
	s_or_b64 exec, exec, s[6:7]
	s_and_saveexec_b64 s[6:7], s[4:5]
	s_cbranch_execz .LBB1_13496
.LBB1_13495:
	v_bfe_u32 v6, v3, 16, 3
	v_ffbh_u32_e32 v14, v6
	v_min_u32_e32 v14, 32, v14
	v_lshrrev_b32_e32 v12, 19, v3
	v_subrev_u32_e32 v15, 28, v14
	v_and_b32_e32 v12, 15, v12
	v_lshlrev_b32_sdwa v15, v15, v3 dst_sel:DWORD dst_unused:UNUSED_PAD src0_sel:DWORD src1_sel:WORD_1
	v_bfe_u32 v13, v3, 19, 4
	v_sub_u32_e32 v14, 29, v14
	v_and_b32_e32 v15, 7, v15
	v_cmp_eq_u16_e32 vcc, 0, v12
	v_cndmask_b32_e32 v6, v6, v15, vcc
	v_cndmask_b32_e32 v12, v13, v14, vcc
	v_lshlrev_b32_e32 v13, 8, v3
	v_mov_b32_e32 v14, 0x3b800000
	v_lshlrev_b32_e32 v6, 20, v6
	v_and_b32_e32 v13, 0x80000000, v13
	v_lshl_add_u32 v12, v12, 23, v14
	v_or3_b32 v12, v13, v12, v6
.LBB1_13496:
	s_or_b64 exec, exec, s[6:7]
	s_nop 0
	v_mfma_f32_16x16x4f32 a[0:3], v2, v12, a[0:3]
	s_movk_i32 s4, 0x7f
	v_cmp_gt_i16_sdwa s[6:7], v7, s4 src0_sel:BYTE_3 src1_sel:DWORD
	s_mov_b64 s[4:5], 0
                                        ; implicit-def: $sgpr10
	s_and_saveexec_b64 s[8:9], s[6:7]
	s_xor_b64 s[6:7], exec, s[8:9]
	s_cbranch_execz .LBB1_13497
; %bb.49337:
	s_getpc_b64 s[14:15]
.Lpost_getpc10332:
	s_add_u32 s14, s14, (.LBB1_27833-.Lpost_getpc10332)&4294967295
	s_addc_u32 s15, s15, (.LBB1_27833-.Lpost_getpc10332)>>32
	s_setpc_b64 s[14:15]
.LBB1_13497:
	s_or_saveexec_b64 s[6:7], s[6:7]
	v_mov_b32_e32 v2, s10
	s_xor_b64 exec, exec, s[6:7]
	s_cbranch_execz .LBB1_13498
; %bb.49339:
	s_getpc_b64 s[14:15]
.Lpost_getpc10333:
	s_add_u32 s14, s14, (.LBB1_27836-.Lpost_getpc10333)&4294967295
	s_addc_u32 s15, s15, (.LBB1_27836-.Lpost_getpc10333)>>32
	s_setpc_b64 s[14:15]
.LBB1_13498:
	s_or_b64 exec, exec, s[6:7]
	s_and_saveexec_b64 s[6:7], s[4:5]
	s_cbranch_execz .LBB1_13500
.LBB1_13499:
	v_bfe_u32 v2, v7, 24, 3
	v_ffbh_u32_e32 v14, v2
	v_min_u32_e32 v14, 32, v14
	v_lshrrev_b32_e32 v12, 27, v7
	v_subrev_u32_e32 v15, 28, v14
	v_and_b32_e32 v6, 0x80000000, v7
	v_and_b32_e32 v12, 15, v12
	v_bfe_u32 v13, v7, 27, 4
	v_lshlrev_b32_sdwa v7, v15, v7 dst_sel:DWORD dst_unused:UNUSED_PAD src0_sel:DWORD src1_sel:BYTE_3
	v_sub_u32_e32 v14, 29, v14
	v_and_b32_e32 v7, 7, v7
	v_cmp_eq_u16_e32 vcc, 0, v12
	v_cndmask_b32_e32 v2, v2, v7, vcc
	v_cndmask_b32_e32 v7, v13, v14, vcc
	v_mov_b32_e32 v12, 0x3b800000
	v_lshlrev_b32_e32 v2, 20, v2
	v_lshl_add_u32 v7, v7, 23, v12
	v_or3_b32 v2, v6, v7, v2
.LBB1_13500:
	s_or_b64 exec, exec, s[6:7]
	s_movk_i32 s4, 0x7f
	v_cmp_gt_i16_sdwa s[6:7], v3, s4 src0_sel:BYTE_3 src1_sel:DWORD
	s_mov_b64 s[4:5], 0
                                        ; implicit-def: $sgpr10
	s_and_saveexec_b64 s[8:9], s[6:7]
	s_xor_b64 s[6:7], exec, s[8:9]
	s_cbranch_execz .LBB1_13501
; %bb.49341:
	s_getpc_b64 s[14:15]
.Lpost_getpc10334:
	s_add_u32 s14, s14, (.LBB1_27837-.Lpost_getpc10334)&4294967295
	s_addc_u32 s15, s15, (.LBB1_27837-.Lpost_getpc10334)>>32
	s_setpc_b64 s[14:15]
.LBB1_13501:
	s_or_saveexec_b64 s[6:7], s[6:7]
	v_mov_b32_e32 v6, s10
	s_xor_b64 exec, exec, s[6:7]
	s_cbranch_execz .LBB1_13502
; %bb.49343:
	s_getpc_b64 s[14:15]
.Lpost_getpc10335:
	s_add_u32 s14, s14, (.LBB1_27840-.Lpost_getpc10335)&4294967295
	s_addc_u32 s15, s15, (.LBB1_27840-.Lpost_getpc10335)>>32
	s_setpc_b64 s[14:15]
.LBB1_13502:
	s_or_b64 exec, exec, s[6:7]
	s_and_saveexec_b64 s[6:7], s[4:5]
	s_cbranch_execz .LBB1_13504
.LBB1_13503:
	v_bfe_u32 v6, v3, 24, 3
	v_ffbh_u32_e32 v14, v6
	v_min_u32_e32 v14, 32, v14
	v_lshrrev_b32_e32 v12, 27, v3
	v_subrev_u32_e32 v15, 28, v14
	v_and_b32_e32 v7, 0x80000000, v3
	v_and_b32_e32 v12, 15, v12
	v_bfe_u32 v13, v3, 27, 4
	v_lshlrev_b32_sdwa v3, v15, v3 dst_sel:DWORD dst_unused:UNUSED_PAD src0_sel:DWORD src1_sel:BYTE_3
	v_sub_u32_e32 v14, 29, v14
	v_and_b32_e32 v3, 7, v3
	v_cmp_eq_u16_e32 vcc, 0, v12
	v_cndmask_b32_e32 v3, v6, v3, vcc
	v_cndmask_b32_e32 v6, v13, v14, vcc
	v_mov_b32_e32 v12, 0x3b800000
	v_lshlrev_b32_e32 v3, 20, v3
	v_lshl_add_u32 v6, v6, 23, v12
	v_or3_b32 v6, v7, v6, v3
.LBB1_13504:
	s_or_b64 exec, exec, s[6:7]
	s_nop 0
	v_mfma_f32_16x16x4f32 a[0:3], v2, v6, a[0:3]
	s_movk_i32 s4, 0x7f
	v_cmp_gt_i16_sdwa s[6:7], v8, s4 src0_sel:BYTE_0 src1_sel:DWORD
	s_mov_b64 s[4:5], 0
                                        ; implicit-def: $sgpr10
	s_and_saveexec_b64 s[8:9], s[6:7]
	s_xor_b64 s[6:7], exec, s[8:9]
	s_cbranch_execz .LBB1_13505
; %bb.49345:
	s_getpc_b64 s[14:15]
.Lpost_getpc10336:
	s_add_u32 s14, s14, (.LBB1_27841-.Lpost_getpc10336)&4294967295
	s_addc_u32 s15, s15, (.LBB1_27841-.Lpost_getpc10336)>>32
	s_setpc_b64 s[14:15]
.LBB1_13505:
	s_or_saveexec_b64 s[6:7], s[6:7]
	v_mov_b32_e32 v2, s10
	s_xor_b64 exec, exec, s[6:7]
	s_cbranch_execz .LBB1_13506
; %bb.49347:
	s_getpc_b64 s[14:15]
.Lpost_getpc10337:
	s_add_u32 s14, s14, (.LBB1_27844-.Lpost_getpc10337)&4294967295
	s_addc_u32 s15, s15, (.LBB1_27844-.Lpost_getpc10337)>>32
	s_setpc_b64 s[14:15]
.LBB1_13506:
	s_or_b64 exec, exec, s[6:7]
	s_and_saveexec_b64 s[6:7], s[4:5]
	s_cbranch_execz .LBB1_13508
.LBB1_13507:
	v_and_b32_e32 v2, 7, v8
	v_ffbh_u32_e32 v6, v2
	v_min_u32_e32 v6, 32, v6
	v_lshrrev_b16_e32 v3, 3, v8
	v_subrev_u32_e32 v7, 28, v6
	v_and_b32_e32 v3, 15, v3
	v_lshlrev_b32_e32 v7, v7, v8
	v_sub_u32_e32 v6, 29, v6
	v_and_b32_e32 v7, 7, v7
	v_cmp_eq_u16_e32 vcc, 0, v3
	v_cndmask_b32_e32 v2, v2, v7, vcc
	v_cndmask_b32_e32 v3, v3, v6, vcc
	v_lshlrev_b32_e32 v6, 24, v8
	v_mov_b32_e32 v7, 0x3b800000
	v_lshlrev_b32_e32 v2, 20, v2
	v_and_b32_e32 v6, 0x80000000, v6
	v_lshl_add_u32 v3, v3, 23, v7
	v_or3_b32 v2, v6, v3, v2
.LBB1_13508:
	s_or_b64 exec, exec, s[6:7]
	s_movk_i32 s4, 0x7f
	v_cmp_gt_i16_sdwa s[6:7], v4, s4 src0_sel:BYTE_0 src1_sel:DWORD
	s_mov_b64 s[4:5], 0
                                        ; implicit-def: $sgpr10
	s_and_saveexec_b64 s[8:9], s[6:7]
	s_xor_b64 s[6:7], exec, s[8:9]
	s_cbranch_execz .LBB1_13509
; %bb.49349:
	s_getpc_b64 s[14:15]
.Lpost_getpc10338:
	s_add_u32 s14, s14, (.LBB1_27845-.Lpost_getpc10338)&4294967295
	s_addc_u32 s15, s15, (.LBB1_27845-.Lpost_getpc10338)>>32
	s_setpc_b64 s[14:15]
.LBB1_13509:
	s_or_saveexec_b64 s[6:7], s[6:7]
	v_mov_b32_e32 v3, s10
	s_xor_b64 exec, exec, s[6:7]
	s_cbranch_execz .LBB1_13510
; %bb.49351:
	s_getpc_b64 s[14:15]
.Lpost_getpc10339:
	s_add_u32 s14, s14, (.LBB1_27848-.Lpost_getpc10339)&4294967295
	s_addc_u32 s15, s15, (.LBB1_27848-.Lpost_getpc10339)>>32
	s_setpc_b64 s[14:15]
.LBB1_13510:
	s_or_b64 exec, exec, s[6:7]
	s_and_saveexec_b64 s[6:7], s[4:5]
	s_cbranch_execz .LBB1_13512
.LBB1_13511:
	v_and_b32_e32 v3, 7, v4
	v_ffbh_u32_e32 v7, v3
	v_min_u32_e32 v7, 32, v7
	v_lshrrev_b16_e32 v6, 3, v4
	v_subrev_u32_e32 v12, 28, v7
	v_and_b32_e32 v6, 15, v6
	v_lshlrev_b32_e32 v12, v12, v4
	v_sub_u32_e32 v7, 29, v7
	v_and_b32_e32 v12, 7, v12
	v_cmp_eq_u16_e32 vcc, 0, v6
	v_cndmask_b32_e32 v3, v3, v12, vcc
	v_cndmask_b32_e32 v6, v6, v7, vcc
	v_lshlrev_b32_e32 v7, 24, v4
	v_mov_b32_e32 v12, 0x3b800000
	v_lshlrev_b32_e32 v3, 20, v3
	v_and_b32_e32 v7, 0x80000000, v7
	v_lshl_add_u32 v6, v6, 23, v12
	v_or3_b32 v3, v7, v6, v3
.LBB1_13512:
	s_or_b64 exec, exec, s[6:7]
	s_nop 0
	v_mfma_f32_16x16x4f32 a[0:3], v2, v3, a[0:3]
	v_lshrrev_b32_e32 v3, 8, v8
	s_movk_i32 s4, 0x7f
	v_cmp_gt_i16_sdwa s[6:7], v3, s4 src0_sel:BYTE_0 src1_sel:DWORD
	s_mov_b64 s[4:5], 0
                                        ; implicit-def: $sgpr10
	s_and_saveexec_b64 s[8:9], s[6:7]
	s_xor_b64 s[6:7], exec, s[8:9]
	s_cbranch_execz .LBB1_13513
; %bb.49353:
	s_getpc_b64 s[14:15]
.Lpost_getpc10340:
	s_add_u32 s14, s14, (.LBB1_27849-.Lpost_getpc10340)&4294967295
	s_addc_u32 s15, s15, (.LBB1_27849-.Lpost_getpc10340)>>32
	s_setpc_b64 s[14:15]
.LBB1_13513:
	s_or_saveexec_b64 s[6:7], s[6:7]
	v_mov_b32_e32 v2, s10
	s_xor_b64 exec, exec, s[6:7]
	s_cbranch_execz .LBB1_13514
; %bb.49355:
	s_getpc_b64 s[14:15]
.Lpost_getpc10341:
	s_add_u32 s14, s14, (.LBB1_27852-.Lpost_getpc10341)&4294967295
	s_addc_u32 s15, s15, (.LBB1_27852-.Lpost_getpc10341)>>32
	s_setpc_b64 s[14:15]
.LBB1_13514:
	s_or_b64 exec, exec, s[6:7]
	s_and_saveexec_b64 s[6:7], s[4:5]
	s_cbranch_execz .LBB1_13516
.LBB1_13515:
	v_bfe_u32 v2, v8, 8, 3
	v_ffbh_u32_e32 v7, v2
	v_min_u32_e32 v7, 32, v7
	v_lshrrev_b16_e32 v6, 3, v3
	v_subrev_u32_e32 v12, 28, v7
	v_and_b32_e32 v6, 15, v6
	v_lshlrev_b32_e32 v3, v12, v3
	v_sub_u32_e32 v7, 29, v7
	v_and_b32_e32 v3, 7, v3
	v_cmp_eq_u16_e32 vcc, 0, v6
	v_cndmask_b32_e32 v2, v2, v3, vcc
	v_cndmask_b32_e32 v3, v6, v7, vcc
	v_lshlrev_b32_e32 v6, 16, v8
	v_mov_b32_e32 v7, 0x3b800000
	v_lshlrev_b32_e32 v2, 20, v2
	v_and_b32_e32 v6, 0x80000000, v6
	v_lshl_add_u32 v3, v3, 23, v7
	v_or3_b32 v2, v6, v3, v2
.LBB1_13516:
	s_or_b64 exec, exec, s[6:7]
	v_lshrrev_b32_e32 v3, 8, v4
	s_movk_i32 s4, 0x7f
	v_cmp_gt_i16_sdwa s[6:7], v3, s4 src0_sel:BYTE_0 src1_sel:DWORD
	s_mov_b64 s[4:5], 0
                                        ; implicit-def: $sgpr10
	s_and_saveexec_b64 s[8:9], s[6:7]
	s_xor_b64 s[6:7], exec, s[8:9]
	s_cbranch_execz .LBB1_13517
; %bb.49357:
	s_getpc_b64 s[14:15]
.Lpost_getpc10342:
	s_add_u32 s14, s14, (.LBB1_27853-.Lpost_getpc10342)&4294967295
	s_addc_u32 s15, s15, (.LBB1_27853-.Lpost_getpc10342)>>32
	s_setpc_b64 s[14:15]
.LBB1_13517:
	s_or_saveexec_b64 s[6:7], s[6:7]
	v_mov_b32_e32 v6, s10
	s_xor_b64 exec, exec, s[6:7]
	s_cbranch_execz .LBB1_13518
; %bb.49359:
	s_getpc_b64 s[14:15]
.Lpost_getpc10343:
	s_add_u32 s14, s14, (.LBB1_27856-.Lpost_getpc10343)&4294967295
	s_addc_u32 s15, s15, (.LBB1_27856-.Lpost_getpc10343)>>32
	s_setpc_b64 s[14:15]
.LBB1_13518:
	s_or_b64 exec, exec, s[6:7]
	s_and_saveexec_b64 s[6:7], s[4:5]
	s_cbranch_execz .LBB1_13520
.LBB1_13519:
	v_bfe_u32 v6, v4, 8, 3
	v_ffbh_u32_e32 v12, v6
	v_min_u32_e32 v12, 32, v12
	v_lshrrev_b16_e32 v7, 3, v3
	v_subrev_u32_e32 v13, 28, v12
	v_and_b32_e32 v7, 15, v7
	v_lshlrev_b32_e32 v3, v13, v3
	v_sub_u32_e32 v12, 29, v12
	v_and_b32_e32 v3, 7, v3
	v_cmp_eq_u16_e32 vcc, 0, v7
	v_cndmask_b32_e32 v3, v6, v3, vcc
	v_cndmask_b32_e32 v6, v7, v12, vcc
	v_lshlrev_b32_e32 v7, 16, v4
	v_mov_b32_e32 v12, 0x3b800000
	v_lshlrev_b32_e32 v3, 20, v3
	v_and_b32_e32 v7, 0x80000000, v7
	v_lshl_add_u32 v6, v6, 23, v12
	v_or3_b32 v6, v7, v6, v3
.LBB1_13520:
	s_or_b64 exec, exec, s[6:7]
	s_nop 0
	v_mfma_f32_16x16x4f32 a[0:3], v2, v6, a[0:3]
	s_movk_i32 s4, 0xff
	v_and_b32_sdwa v3, v8, s4 dst_sel:DWORD dst_unused:UNUSED_PAD src0_sel:WORD_1 src1_sel:DWORD
	s_movk_i32 s4, 0x7f
	v_cmp_lt_i16_e32 vcc, s4, v3
	s_mov_b64 s[4:5], 0
                                        ; implicit-def: $sgpr10
	s_and_saveexec_b64 s[6:7], vcc
	s_xor_b64 s[6:7], exec, s[6:7]
	s_cbranch_execz .LBB1_13521
; %bb.49361:
	s_getpc_b64 s[14:15]
.Lpost_getpc10344:
	s_add_u32 s14, s14, (.LBB1_27857-.Lpost_getpc10344)&4294967295
	s_addc_u32 s15, s15, (.LBB1_27857-.Lpost_getpc10344)>>32
	s_setpc_b64 s[14:15]
.LBB1_13521:
	s_or_saveexec_b64 s[6:7], s[6:7]
	v_mov_b32_e32 v2, s10
	s_xor_b64 exec, exec, s[6:7]
	s_cbranch_execz .LBB1_13522
; %bb.49363:
	s_getpc_b64 s[14:15]
.Lpost_getpc10345:
	s_add_u32 s14, s14, (.LBB1_27860-.Lpost_getpc10345)&4294967295
	s_addc_u32 s15, s15, (.LBB1_27860-.Lpost_getpc10345)>>32
	s_setpc_b64 s[14:15]
.LBB1_13522:
	s_or_b64 exec, exec, s[6:7]
	s_and_saveexec_b64 s[6:7], s[4:5]
	s_cbranch_execz .LBB1_13524
.LBB1_13523:
	v_bfe_u32 v2, v8, 16, 3
	v_ffbh_u32_e32 v7, v2
	v_min_u32_e32 v7, 32, v7
	v_lshrrev_b32_e32 v3, 19, v8
	v_subrev_u32_e32 v12, 28, v7
	v_and_b32_e32 v3, 15, v3
	v_lshlrev_b32_sdwa v12, v12, v8 dst_sel:DWORD dst_unused:UNUSED_PAD src0_sel:DWORD src1_sel:WORD_1
	v_bfe_u32 v6, v8, 19, 4
	v_sub_u32_e32 v7, 29, v7
	v_and_b32_e32 v12, 7, v12
	v_cmp_eq_u16_e32 vcc, 0, v3
	v_cndmask_b32_e32 v2, v2, v12, vcc
	v_cndmask_b32_e32 v3, v6, v7, vcc
	v_lshlrev_b32_e32 v6, 8, v8
	v_mov_b32_e32 v7, 0x3b800000
	v_lshlrev_b32_e32 v2, 20, v2
	v_and_b32_e32 v6, 0x80000000, v6
	v_lshl_add_u32 v3, v3, 23, v7
	v_or3_b32 v2, v6, v3, v2
.LBB1_13524:
	s_or_b64 exec, exec, s[6:7]
	s_movk_i32 s4, 0xff
	v_and_b32_sdwa v3, v4, s4 dst_sel:DWORD dst_unused:UNUSED_PAD src0_sel:WORD_1 src1_sel:DWORD
	s_movk_i32 s4, 0x7f
	v_cmp_lt_i16_e32 vcc, s4, v3
	s_mov_b64 s[4:5], 0
                                        ; implicit-def: $sgpr10
	s_and_saveexec_b64 s[6:7], vcc
	s_xor_b64 s[6:7], exec, s[6:7]
	s_cbranch_execz .LBB1_13525
; %bb.49365:
	s_getpc_b64 s[14:15]
.Lpost_getpc10346:
	s_add_u32 s14, s14, (.LBB1_27861-.Lpost_getpc10346)&4294967295
	s_addc_u32 s15, s15, (.LBB1_27861-.Lpost_getpc10346)>>32
	s_setpc_b64 s[14:15]
.LBB1_13525:
	s_or_saveexec_b64 s[6:7], s[6:7]
	v_mov_b32_e32 v6, s10
	s_xor_b64 exec, exec, s[6:7]
	s_cbranch_execz .LBB1_13526
; %bb.49367:
	s_getpc_b64 s[14:15]
.Lpost_getpc10347:
	s_add_u32 s14, s14, (.LBB1_27864-.Lpost_getpc10347)&4294967295
	s_addc_u32 s15, s15, (.LBB1_27864-.Lpost_getpc10347)>>32
	s_setpc_b64 s[14:15]
.LBB1_13526:
	s_or_b64 exec, exec, s[6:7]
	s_and_saveexec_b64 s[6:7], s[4:5]
	s_cbranch_execz .LBB1_13528
.LBB1_13527:
	v_bfe_u32 v3, v4, 16, 3
	v_ffbh_u32_e32 v12, v3
	v_min_u32_e32 v12, 32, v12
	v_lshrrev_b32_e32 v6, 19, v4
	v_subrev_u32_e32 v13, 28, v12
	v_and_b32_e32 v6, 15, v6
	v_lshlrev_b32_sdwa v13, v13, v4 dst_sel:DWORD dst_unused:UNUSED_PAD src0_sel:DWORD src1_sel:WORD_1
	v_bfe_u32 v7, v4, 19, 4
	v_sub_u32_e32 v12, 29, v12
	v_and_b32_e32 v13, 7, v13
	v_cmp_eq_u16_e32 vcc, 0, v6
	v_cndmask_b32_e32 v3, v3, v13, vcc
	v_cndmask_b32_e32 v6, v7, v12, vcc
	v_lshlrev_b32_e32 v7, 8, v4
	v_mov_b32_e32 v12, 0x3b800000
	v_lshlrev_b32_e32 v3, 20, v3
	v_and_b32_e32 v7, 0x80000000, v7
	v_lshl_add_u32 v6, v6, 23, v12
	v_or3_b32 v6, v7, v6, v3
.LBB1_13528:
	s_or_b64 exec, exec, s[6:7]
	s_nop 0
	v_mfma_f32_16x16x4f32 a[0:3], v2, v6, a[0:3]
	s_movk_i32 s4, 0x7f
	v_cmp_gt_i16_sdwa s[6:7], v8, s4 src0_sel:BYTE_3 src1_sel:DWORD
	s_mov_b64 s[4:5], 0
                                        ; implicit-def: $sgpr10
	s_and_saveexec_b64 s[8:9], s[6:7]
	s_xor_b64 s[6:7], exec, s[8:9]
	s_cbranch_execz .LBB1_13529
; %bb.49369:
	s_getpc_b64 s[14:15]
.Lpost_getpc10348:
	s_add_u32 s14, s14, (.LBB1_27865-.Lpost_getpc10348)&4294967295
	s_addc_u32 s15, s15, (.LBB1_27865-.Lpost_getpc10348)>>32
	s_setpc_b64 s[14:15]
.LBB1_13529:
	s_or_saveexec_b64 s[6:7], s[6:7]
	v_mov_b32_e32 v2, s10
	s_xor_b64 exec, exec, s[6:7]
	s_cbranch_execz .LBB1_13530
; %bb.49371:
	s_getpc_b64 s[14:15]
.Lpost_getpc10349:
	s_add_u32 s14, s14, (.LBB1_27868-.Lpost_getpc10349)&4294967295
	s_addc_u32 s15, s15, (.LBB1_27868-.Lpost_getpc10349)>>32
	s_setpc_b64 s[14:15]
.LBB1_13530:
	s_or_b64 exec, exec, s[6:7]
	s_and_saveexec_b64 s[6:7], s[4:5]
	s_cbranch_execz .LBB1_13532
.LBB1_13531:
	v_bfe_u32 v2, v8, 24, 3
	v_ffbh_u32_e32 v12, v2
	v_min_u32_e32 v12, 32, v12
	v_lshrrev_b32_e32 v6, 27, v8
	v_subrev_u32_e32 v13, 28, v12
	v_and_b32_e32 v3, 0x80000000, v8
	v_and_b32_e32 v6, 15, v6
	v_bfe_u32 v7, v8, 27, 4
	v_lshlrev_b32_sdwa v8, v13, v8 dst_sel:DWORD dst_unused:UNUSED_PAD src0_sel:DWORD src1_sel:BYTE_3
	v_sub_u32_e32 v12, 29, v12
	v_and_b32_e32 v8, 7, v8
	v_cmp_eq_u16_e32 vcc, 0, v6
	v_cndmask_b32_e32 v2, v2, v8, vcc
	v_cndmask_b32_e32 v6, v7, v12, vcc
	v_mov_b32_e32 v7, 0x3b800000
	v_lshlrev_b32_e32 v2, 20, v2
	v_lshl_add_u32 v6, v6, 23, v7
	v_or3_b32 v2, v3, v6, v2
.LBB1_13532:
	s_or_b64 exec, exec, s[6:7]
	s_movk_i32 s4, 0x7f
	v_cmp_gt_i16_sdwa s[6:7], v4, s4 src0_sel:BYTE_3 src1_sel:DWORD
	s_mov_b64 s[4:5], 0
                                        ; implicit-def: $sgpr10
	s_and_saveexec_b64 s[8:9], s[6:7]
	s_xor_b64 s[6:7], exec, s[8:9]
	s_cbranch_execz .LBB1_13533
; %bb.49373:
	s_getpc_b64 s[14:15]
.Lpost_getpc10350:
	s_add_u32 s14, s14, (.LBB1_27869-.Lpost_getpc10350)&4294967295
	s_addc_u32 s15, s15, (.LBB1_27869-.Lpost_getpc10350)>>32
	s_setpc_b64 s[14:15]
.LBB1_13533:
	s_or_saveexec_b64 s[6:7], s[6:7]
	v_mov_b32_e32 v3, s10
	s_xor_b64 exec, exec, s[6:7]
	s_cbranch_execz .LBB1_13534
; %bb.49375:
	s_getpc_b64 s[14:15]
.Lpost_getpc10351:
	s_add_u32 s14, s14, (.LBB1_27872-.Lpost_getpc10351)&4294967295
	s_addc_u32 s15, s15, (.LBB1_27872-.Lpost_getpc10351)>>32
	s_setpc_b64 s[14:15]
.LBB1_13534:
	s_or_b64 exec, exec, s[6:7]
	s_and_saveexec_b64 s[6:7], s[4:5]
	s_cbranch_execz .LBB1_13536
.LBB1_13535:
	v_bfe_u32 v3, v4, 24, 3
	v_ffbh_u32_e32 v12, v3
	v_min_u32_e32 v12, 32, v12
	v_lshrrev_b32_e32 v7, 27, v4
	v_subrev_u32_e32 v13, 28, v12
	v_and_b32_e32 v6, 0x80000000, v4
	v_and_b32_e32 v7, 15, v7
	v_bfe_u32 v8, v4, 27, 4
	v_lshlrev_b32_sdwa v4, v13, v4 dst_sel:DWORD dst_unused:UNUSED_PAD src0_sel:DWORD src1_sel:BYTE_3
	v_sub_u32_e32 v12, 29, v12
	v_and_b32_e32 v4, 7, v4
	v_cmp_eq_u16_e32 vcc, 0, v7
	v_cndmask_b32_e32 v3, v3, v4, vcc
	v_cndmask_b32_e32 v4, v8, v12, vcc
	v_mov_b32_e32 v7, 0x3b800000
	v_lshlrev_b32_e32 v3, 20, v3
	v_lshl_add_u32 v4, v4, 23, v7
	v_or3_b32 v3, v6, v4, v3
.LBB1_13536:
	s_or_b64 exec, exec, s[6:7]
	s_nop 0
	v_mfma_f32_16x16x4f32 a[0:3], v2, v3, a[0:3]
	s_movk_i32 s4, 0x7f
	v_cmp_gt_i16_sdwa s[6:7], v9, s4 src0_sel:BYTE_0 src1_sel:DWORD
	s_mov_b64 s[4:5], 0
                                        ; implicit-def: $sgpr10
	s_and_saveexec_b64 s[8:9], s[6:7]
	s_xor_b64 s[6:7], exec, s[8:9]
	s_cbranch_execz .LBB1_13537
; %bb.49377:
	s_getpc_b64 s[14:15]
.Lpost_getpc10352:
	s_add_u32 s14, s14, (.LBB1_27873-.Lpost_getpc10352)&4294967295
	s_addc_u32 s15, s15, (.LBB1_27873-.Lpost_getpc10352)>>32
	s_setpc_b64 s[14:15]
.LBB1_13537:
	s_or_saveexec_b64 s[6:7], s[6:7]
	v_mov_b32_e32 v2, s10
	s_xor_b64 exec, exec, s[6:7]
	s_cbranch_execz .LBB1_13538
; %bb.49379:
	s_getpc_b64 s[14:15]
.Lpost_getpc10353:
	s_add_u32 s14, s14, (.LBB1_27876-.Lpost_getpc10353)&4294967295
	s_addc_u32 s15, s15, (.LBB1_27876-.Lpost_getpc10353)>>32
	s_setpc_b64 s[14:15]
.LBB1_13538:
	s_or_b64 exec, exec, s[6:7]
	s_and_saveexec_b64 s[6:7], s[4:5]
	s_cbranch_execz .LBB1_13540
.LBB1_13539:
	v_mov_b32_e32 v2, 8
	v_and_b32_e32 v3, 7, v9
	v_lshrrev_b32_sdwa v2, v2, v9 dst_sel:BYTE_1 dst_unused:UNUSED_PAD src0_sel:DWORD src1_sel:DWORD
	v_ffbh_u32_e32 v4, v3
	v_or_b32_sdwa v2, v9, v2 dst_sel:DWORD dst_unused:UNUSED_PAD src0_sel:BYTE_0 src1_sel:DWORD
	v_min_u32_e32 v4, 32, v4
	v_lshrrev_b16_e32 v2, 3, v2
	v_subrev_u32_e32 v6, 28, v4
	v_and_b32_e32 v2, 15, v2
	v_lshlrev_b32_e32 v6, v6, v9
	v_sub_u32_e32 v4, 29, v4
	v_and_b32_e32 v6, 7, v6
	v_cmp_eq_u16_e32 vcc, 0, v2
	v_cndmask_b32_e32 v3, v3, v6, vcc
	v_cndmask_b32_e32 v2, v2, v4, vcc
	v_lshlrev_b32_e32 v4, 24, v9
	v_mov_b32_e32 v6, 0x3b800000
	v_lshlrev_b32_e32 v3, 20, v3
	v_and_b32_e32 v4, 0x80000000, v4
	v_lshl_add_u32 v2, v2, 23, v6
	v_or3_b32 v2, v4, v2, v3
.LBB1_13540:
	s_or_b64 exec, exec, s[6:7]
	s_movk_i32 s4, 0x7f
	v_cmp_gt_i16_sdwa s[6:7], v5, s4 src0_sel:BYTE_0 src1_sel:DWORD
	s_mov_b64 s[4:5], 0
                                        ; implicit-def: $sgpr10
	s_and_saveexec_b64 s[8:9], s[6:7]
	s_xor_b64 s[6:7], exec, s[8:9]
	s_cbranch_execz .LBB1_13541
; %bb.49381:
	s_getpc_b64 s[14:15]
.Lpost_getpc10354:
	s_add_u32 s14, s14, (.LBB1_27877-.Lpost_getpc10354)&4294967295
	s_addc_u32 s15, s15, (.LBB1_27877-.Lpost_getpc10354)>>32
	s_setpc_b64 s[14:15]
.LBB1_13541:
	s_or_saveexec_b64 s[6:7], s[6:7]
	v_mov_b32_e32 v3, s10
	s_xor_b64 exec, exec, s[6:7]
	s_cbranch_execz .LBB1_13542
; %bb.49383:
	s_getpc_b64 s[14:15]
.Lpost_getpc10355:
	s_add_u32 s14, s14, (.LBB1_27880-.Lpost_getpc10355)&4294967295
	s_addc_u32 s15, s15, (.LBB1_27880-.Lpost_getpc10355)>>32
	s_setpc_b64 s[14:15]
.LBB1_13542:
	s_or_b64 exec, exec, s[6:7]
	s_and_saveexec_b64 s[6:7], s[4:5]
	s_cbranch_execz .LBB1_13544
.LBB1_13543:
	v_mov_b32_e32 v3, 8
	v_and_b32_e32 v4, 7, v5
	v_lshrrev_b32_sdwa v3, v3, v5 dst_sel:BYTE_1 dst_unused:UNUSED_PAD src0_sel:DWORD src1_sel:DWORD
	v_ffbh_u32_e32 v6, v4
	v_or_b32_sdwa v3, v5, v3 dst_sel:DWORD dst_unused:UNUSED_PAD src0_sel:BYTE_0 src1_sel:DWORD
	v_min_u32_e32 v6, 32, v6
	v_lshrrev_b16_e32 v3, 3, v3
	v_subrev_u32_e32 v7, 28, v6
	v_and_b32_e32 v3, 15, v3
	v_lshlrev_b32_e32 v7, v7, v5
	v_sub_u32_e32 v6, 29, v6
	v_and_b32_e32 v7, 7, v7
	v_cmp_eq_u16_e32 vcc, 0, v3
	v_cndmask_b32_e32 v4, v4, v7, vcc
	v_cndmask_b32_e32 v3, v3, v6, vcc
	v_lshlrev_b32_e32 v6, 24, v5
	v_mov_b32_e32 v7, 0x3b800000
	v_lshlrev_b32_e32 v4, 20, v4
	v_and_b32_e32 v6, 0x80000000, v6
	v_lshl_add_u32 v3, v3, 23, v7
	v_or3_b32 v3, v6, v3, v4
.LBB1_13544:
	s_or_b64 exec, exec, s[6:7]
	s_nop 0
	v_mfma_f32_16x16x4f32 a[0:3], v2, v3, a[0:3]
	v_lshrrev_b32_e32 v3, 8, v9
	s_movk_i32 s4, 0x7f
	v_cmp_gt_i16_sdwa s[6:7], v3, s4 src0_sel:BYTE_0 src1_sel:DWORD
	s_mov_b64 s[4:5], 0
                                        ; implicit-def: $sgpr10
	s_and_saveexec_b64 s[8:9], s[6:7]
	s_xor_b64 s[6:7], exec, s[8:9]
	s_cbranch_execz .LBB1_13545
; %bb.49385:
	s_getpc_b64 s[14:15]
.Lpost_getpc10356:
	s_add_u32 s14, s14, (.LBB1_27881-.Lpost_getpc10356)&4294967295
	s_addc_u32 s15, s15, (.LBB1_27881-.Lpost_getpc10356)>>32
	s_setpc_b64 s[14:15]
.LBB1_13545:
	s_or_saveexec_b64 s[6:7], s[6:7]
	v_mov_b32_e32 v2, s10
	s_xor_b64 exec, exec, s[6:7]
	s_cbranch_execz .LBB1_13546
; %bb.49387:
	s_getpc_b64 s[14:15]
.Lpost_getpc10357:
	s_add_u32 s14, s14, (.LBB1_27884-.Lpost_getpc10357)&4294967295
	s_addc_u32 s15, s15, (.LBB1_27884-.Lpost_getpc10357)>>32
	s_setpc_b64 s[14:15]
.LBB1_13546:
	s_or_b64 exec, exec, s[6:7]
	s_and_saveexec_b64 s[6:7], s[4:5]
	s_cbranch_execz .LBB1_13548
.LBB1_13547:
	v_bfe_u32 v2, v9, 8, 3
	v_ffbh_u32_e32 v6, v2
	v_min_u32_e32 v6, 32, v6
	v_lshrrev_b16_e32 v4, 3, v3
	v_subrev_u32_e32 v7, 28, v6
	v_and_b32_e32 v4, 15, v4
	v_lshlrev_b32_e32 v3, v7, v3
	v_sub_u32_e32 v6, 29, v6
	v_and_b32_e32 v3, 7, v3
	v_cmp_eq_u16_e32 vcc, 0, v4
	v_cndmask_b32_e32 v2, v2, v3, vcc
	v_cndmask_b32_e32 v3, v4, v6, vcc
	v_lshlrev_b32_e32 v4, 16, v9
	v_mov_b32_e32 v6, 0x3b800000
	v_lshlrev_b32_e32 v2, 20, v2
	v_and_b32_e32 v4, 0x80000000, v4
	v_lshl_add_u32 v3, v3, 23, v6
	v_or3_b32 v2, v4, v3, v2
.LBB1_13548:
	s_or_b64 exec, exec, s[6:7]
	v_lshrrev_b32_e32 v3, 8, v5
	s_movk_i32 s4, 0x7f
	v_cmp_gt_i16_sdwa s[6:7], v3, s4 src0_sel:BYTE_0 src1_sel:DWORD
	s_mov_b64 s[4:5], 0
                                        ; implicit-def: $sgpr10
	s_and_saveexec_b64 s[8:9], s[6:7]
	s_xor_b64 s[6:7], exec, s[8:9]
	s_cbranch_execz .LBB1_13549
; %bb.49389:
	s_getpc_b64 s[14:15]
.Lpost_getpc10358:
	s_add_u32 s14, s14, (.LBB1_27885-.Lpost_getpc10358)&4294967295
	s_addc_u32 s15, s15, (.LBB1_27885-.Lpost_getpc10358)>>32
	s_setpc_b64 s[14:15]
.LBB1_13549:
	s_or_saveexec_b64 s[6:7], s[6:7]
	v_mov_b32_e32 v4, s10
	s_xor_b64 exec, exec, s[6:7]
	s_cbranch_execz .LBB1_13550
; %bb.49391:
	s_getpc_b64 s[14:15]
.Lpost_getpc10359:
	s_add_u32 s14, s14, (.LBB1_27888-.Lpost_getpc10359)&4294967295
	s_addc_u32 s15, s15, (.LBB1_27888-.Lpost_getpc10359)>>32
	s_setpc_b64 s[14:15]
.LBB1_13550:
	s_or_b64 exec, exec, s[6:7]
	s_and_saveexec_b64 s[6:7], s[4:5]
	s_cbranch_execz .LBB1_13552
.LBB1_13551:
	v_bfe_u32 v4, v5, 8, 3
	v_ffbh_u32_e32 v7, v4
	v_min_u32_e32 v7, 32, v7
	v_lshrrev_b16_e32 v6, 3, v3
	v_subrev_u32_e32 v8, 28, v7
	v_and_b32_e32 v6, 15, v6
	v_lshlrev_b32_e32 v3, v8, v3
	v_sub_u32_e32 v7, 29, v7
	v_and_b32_e32 v3, 7, v3
	v_cmp_eq_u16_e32 vcc, 0, v6
	v_cndmask_b32_e32 v3, v4, v3, vcc
	v_cndmask_b32_e32 v4, v6, v7, vcc
	v_lshlrev_b32_e32 v6, 16, v5
	v_mov_b32_e32 v7, 0x3b800000
	v_lshlrev_b32_e32 v3, 20, v3
	v_and_b32_e32 v6, 0x80000000, v6
	v_lshl_add_u32 v4, v4, 23, v7
	v_or3_b32 v4, v6, v4, v3
.LBB1_13552:
	s_or_b64 exec, exec, s[6:7]
	s_nop 0
	v_mfma_f32_16x16x4f32 a[0:3], v2, v4, a[0:3]
	s_movk_i32 s4, 0xff
	v_and_b32_sdwa v3, v9, s4 dst_sel:DWORD dst_unused:UNUSED_PAD src0_sel:WORD_1 src1_sel:DWORD
	s_movk_i32 s4, 0x7f
	v_cmp_lt_i16_e32 vcc, s4, v3
	s_mov_b64 s[4:5], 0
                                        ; implicit-def: $sgpr10
	s_and_saveexec_b64 s[6:7], vcc
	s_xor_b64 s[6:7], exec, s[6:7]
	s_cbranch_execz .LBB1_13553
; %bb.49393:
	s_getpc_b64 s[14:15]
.Lpost_getpc10360:
	s_add_u32 s14, s14, (.LBB1_27889-.Lpost_getpc10360)&4294967295
	s_addc_u32 s15, s15, (.LBB1_27889-.Lpost_getpc10360)>>32
	s_setpc_b64 s[14:15]
.LBB1_13553:
	s_or_saveexec_b64 s[6:7], s[6:7]
	v_mov_b32_e32 v2, s10
	s_xor_b64 exec, exec, s[6:7]
	s_cbranch_execz .LBB1_13554
; %bb.49395:
	s_getpc_b64 s[14:15]
.Lpost_getpc10361:
	s_add_u32 s14, s14, (.LBB1_27892-.Lpost_getpc10361)&4294967295
	s_addc_u32 s15, s15, (.LBB1_27892-.Lpost_getpc10361)>>32
	s_setpc_b64 s[14:15]
.LBB1_13554:
	s_or_b64 exec, exec, s[6:7]
	s_and_saveexec_b64 s[6:7], s[4:5]
	s_cbranch_execz .LBB1_13556
.LBB1_13555:
	v_bfe_u32 v2, v9, 16, 3
	v_ffbh_u32_e32 v6, v2
	v_min_u32_e32 v6, 32, v6
	v_lshrrev_b32_e32 v3, 19, v9
	v_subrev_u32_e32 v7, 28, v6
	v_and_b32_e32 v3, 15, v3
	v_lshlrev_b32_sdwa v7, v7, v9 dst_sel:DWORD dst_unused:UNUSED_PAD src0_sel:DWORD src1_sel:WORD_1
	v_bfe_u32 v4, v9, 19, 4
	v_sub_u32_e32 v6, 29, v6
	v_and_b32_e32 v7, 7, v7
	v_cmp_eq_u16_e32 vcc, 0, v3
	v_cndmask_b32_e32 v2, v2, v7, vcc
	v_cndmask_b32_e32 v3, v4, v6, vcc
	v_lshlrev_b32_e32 v4, 8, v9
	v_mov_b32_e32 v6, 0x3b800000
	v_lshlrev_b32_e32 v2, 20, v2
	v_and_b32_e32 v4, 0x80000000, v4
	v_lshl_add_u32 v3, v3, 23, v6
	v_or3_b32 v2, v4, v3, v2
.LBB1_13556:
	s_or_b64 exec, exec, s[6:7]
	s_movk_i32 s4, 0xff
	v_and_b32_sdwa v3, v5, s4 dst_sel:DWORD dst_unused:UNUSED_PAD src0_sel:WORD_1 src1_sel:DWORD
	s_movk_i32 s4, 0x7f
	v_cmp_lt_i16_e32 vcc, s4, v3
	s_mov_b64 s[4:5], 0
                                        ; implicit-def: $sgpr10
	s_and_saveexec_b64 s[6:7], vcc
	s_xor_b64 s[6:7], exec, s[6:7]
	s_cbranch_execz .LBB1_13557
; %bb.49397:
	s_getpc_b64 s[14:15]
.Lpost_getpc10362:
	s_add_u32 s14, s14, (.LBB1_27893-.Lpost_getpc10362)&4294967295
	s_addc_u32 s15, s15, (.LBB1_27893-.Lpost_getpc10362)>>32
	s_setpc_b64 s[14:15]
.LBB1_13557:
	s_or_saveexec_b64 s[6:7], s[6:7]
	v_mov_b32_e32 v4, s10
	s_xor_b64 exec, exec, s[6:7]
	s_cbranch_execz .LBB1_13558
; %bb.49399:
	s_getpc_b64 s[14:15]
.Lpost_getpc10363:
	s_add_u32 s14, s14, (.LBB1_27896-.Lpost_getpc10363)&4294967295
	s_addc_u32 s15, s15, (.LBB1_27896-.Lpost_getpc10363)>>32
	s_setpc_b64 s[14:15]
.LBB1_13558:
	s_or_b64 exec, exec, s[6:7]
	s_and_saveexec_b64 s[6:7], s[4:5]
	s_cbranch_execz .LBB1_13560
.LBB1_13559:
	v_bfe_u32 v3, v5, 16, 3
	v_ffbh_u32_e32 v7, v3
	v_min_u32_e32 v7, 32, v7
	v_lshrrev_b32_e32 v4, 19, v5
	v_subrev_u32_e32 v8, 28, v7
	v_and_b32_e32 v4, 15, v4
	v_lshlrev_b32_sdwa v8, v8, v5 dst_sel:DWORD dst_unused:UNUSED_PAD src0_sel:DWORD src1_sel:WORD_1
	v_bfe_u32 v6, v5, 19, 4
	v_sub_u32_e32 v7, 29, v7
	v_and_b32_e32 v8, 7, v8
	v_cmp_eq_u16_e32 vcc, 0, v4
	v_cndmask_b32_e32 v3, v3, v8, vcc
	v_cndmask_b32_e32 v4, v6, v7, vcc
	v_lshlrev_b32_e32 v6, 8, v5
	v_mov_b32_e32 v7, 0x3b800000
	v_lshlrev_b32_e32 v3, 20, v3
	v_and_b32_e32 v6, 0x80000000, v6
	v_lshl_add_u32 v4, v4, 23, v7
	v_or3_b32 v4, v6, v4, v3
.LBB1_13560:
	s_or_b64 exec, exec, s[6:7]
	s_nop 0
	v_mfma_f32_16x16x4f32 a[0:3], v2, v4, a[0:3]
	s_movk_i32 s4, 0x7f
	v_cmp_gt_i16_sdwa s[6:7], v9, s4 src0_sel:BYTE_3 src1_sel:DWORD
	s_mov_b64 s[4:5], 0
                                        ; implicit-def: $sgpr10
	s_and_saveexec_b64 s[8:9], s[6:7]
	s_xor_b64 s[6:7], exec, s[8:9]
	s_cbranch_execz .LBB1_13561
; %bb.49401:
	s_getpc_b64 s[14:15]
.Lpost_getpc10364:
	s_add_u32 s14, s14, (.LBB1_27897-.Lpost_getpc10364)&4294967295
	s_addc_u32 s15, s15, (.LBB1_27897-.Lpost_getpc10364)>>32
	s_setpc_b64 s[14:15]
.LBB1_13561:
	s_or_saveexec_b64 s[6:7], s[6:7]
	v_mov_b32_e32 v2, s10
	s_xor_b64 exec, exec, s[6:7]
	s_cbranch_execz .LBB1_13562
; %bb.49403:
	s_getpc_b64 s[14:15]
.Lpost_getpc10365:
	s_add_u32 s14, s14, (.LBB1_27900-.Lpost_getpc10365)&4294967295
	s_addc_u32 s15, s15, (.LBB1_27900-.Lpost_getpc10365)>>32
	s_setpc_b64 s[14:15]
.LBB1_13562:
	s_or_b64 exec, exec, s[6:7]
	s_and_saveexec_b64 s[6:7], s[4:5]
	s_cbranch_execz .LBB1_13564
.LBB1_13563:
	v_bfe_u32 v2, v9, 24, 3
	v_ffbh_u32_e32 v7, v2
	v_min_u32_e32 v7, 32, v7
	v_lshrrev_b32_e32 v4, 27, v9
	v_subrev_u32_e32 v8, 28, v7
	v_and_b32_e32 v4, 15, v4
	v_lshlrev_b32_sdwa v8, v8, v9 dst_sel:DWORD dst_unused:UNUSED_PAD src0_sel:DWORD src1_sel:BYTE_3
	v_bfe_u32 v6, v9, 27, 4
	v_sub_u32_e32 v7, 29, v7
	v_and_b32_e32 v8, 7, v8
	v_cmp_eq_u16_e32 vcc, 0, v4
	v_cndmask_b32_e32 v2, v2, v8, vcc
	v_cndmask_b32_e32 v4, v6, v7, vcc
	v_mov_b32_e32 v6, 0x3b800000
	v_and_b32_e32 v3, 0x80000000, v9
	v_lshlrev_b32_e32 v2, 20, v2
	v_lshl_add_u32 v4, v4, 23, v6
	v_or3_b32 v2, v3, v4, v2
.LBB1_13564:
	s_or_b64 exec, exec, s[6:7]
	s_movk_i32 s4, 0x7f
	v_cmp_gt_i16_sdwa s[6:7], v5, s4 src0_sel:BYTE_3 src1_sel:DWORD
	s_mov_b64 s[4:5], 0
                                        ; implicit-def: $sgpr10
	s_and_saveexec_b64 s[8:9], s[6:7]
	s_xor_b64 s[6:7], exec, s[8:9]
	s_cbranch_execz .LBB1_13565
; %bb.49405:
	s_getpc_b64 s[14:15]
.Lpost_getpc10366:
	s_add_u32 s14, s14, (.LBB1_27901-.Lpost_getpc10366)&4294967295
	s_addc_u32 s15, s15, (.LBB1_27901-.Lpost_getpc10366)>>32
	s_setpc_b64 s[14:15]
.LBB1_13565:
	s_or_saveexec_b64 s[6:7], s[6:7]
	v_mov_b32_e32 v3, s10
	s_xor_b64 exec, exec, s[6:7]
	s_cbranch_execz .LBB1_13566
; %bb.49407:
	s_getpc_b64 s[14:15]
.Lpost_getpc10367:
	s_add_u32 s14, s14, (.LBB1_27904-.Lpost_getpc10367)&4294967295
	s_addc_u32 s15, s15, (.LBB1_27904-.Lpost_getpc10367)>>32
	s_setpc_b64 s[14:15]
.LBB1_13566:
	s_or_b64 exec, exec, s[6:7]
	s_and_saveexec_b64 s[6:7], s[4:5]
	s_cbranch_execz .LBB1_13568
.LBB1_13567:
	v_bfe_u32 v3, v5, 24, 3
	v_ffbh_u32_e32 v8, v3
	v_min_u32_e32 v8, 32, v8
	v_lshrrev_b32_e32 v6, 27, v5
	v_subrev_u32_e32 v9, 28, v8
	v_and_b32_e32 v4, 0x80000000, v5
	v_and_b32_e32 v6, 15, v6
	v_bfe_u32 v7, v5, 27, 4
	v_lshlrev_b32_sdwa v5, v9, v5 dst_sel:DWORD dst_unused:UNUSED_PAD src0_sel:DWORD src1_sel:BYTE_3
	v_sub_u32_e32 v8, 29, v8
	v_and_b32_e32 v5, 7, v5
	v_cmp_eq_u16_e32 vcc, 0, v6
	v_cndmask_b32_e32 v3, v3, v5, vcc
	v_cndmask_b32_e32 v5, v7, v8, vcc
	v_mov_b32_e32 v6, 0x3b800000
	v_lshlrev_b32_e32 v3, 20, v3
	v_lshl_add_u32 v5, v5, 23, v6
	v_or3_b32 v3, v4, v5, v3
.LBB1_13568:
	s_or_b64 exec, exec, s[6:7]
	s_nop 0
	v_mfma_f32_16x16x4f32 a[0:3], v2, v3, a[0:3]
	s_movk_i32 s4, 0x7f
                                        ; implicit-def: $sgpr10
	s_nop 7
	s_nop 1
	flat_store_dwordx4 v[10:11], a[0:3] offset:784
	flat_load_dwordx4 v[12:15], v[0:1]
	s_nop 0
	flat_load_dwordx2 v[10:11], v[0:1] offset:16
	s_waitcnt vmcnt(0) lgkmcnt(0)
	flat_load_dwordx4 v[6:9], v[12:13] offset:208
	flat_load_dwordx4 v[2:5], v[14:15] offset:160
	s_waitcnt vmcnt(0) lgkmcnt(0)
	v_cmp_gt_i16_sdwa s[6:7], v6, s4 src0_sel:BYTE_0 src1_sel:DWORD
	s_mov_b64 s[4:5], 0
	s_and_saveexec_b64 s[8:9], s[6:7]
	s_xor_b64 s[6:7], exec, s[8:9]
	s_cbranch_execz .LBB1_13569
; %bb.49409:
	s_getpc_b64 s[14:15]
.Lpost_getpc10368:
	s_add_u32 s14, s14, (.LBB1_27905-.Lpost_getpc10368)&4294967295
	s_addc_u32 s15, s15, (.LBB1_27905-.Lpost_getpc10368)>>32
	s_setpc_b64 s[14:15]
.LBB1_13569:
	s_or_saveexec_b64 s[6:7], s[6:7]
	v_mov_b32_e32 v12, s10
	s_xor_b64 exec, exec, s[6:7]
	s_cbranch_execz .LBB1_13570
; %bb.49411:
	s_getpc_b64 s[14:15]
.Lpost_getpc10369:
	s_add_u32 s14, s14, (.LBB1_27908-.Lpost_getpc10369)&4294967295
	s_addc_u32 s15, s15, (.LBB1_27908-.Lpost_getpc10369)>>32
	s_setpc_b64 s[14:15]
.LBB1_13570:
	s_or_b64 exec, exec, s[6:7]
	s_and_saveexec_b64 s[6:7], s[4:5]
	s_cbranch_execz .LBB1_13572
.LBB1_13571:
	v_and_b32_e32 v12, 7, v6
	v_ffbh_u32_e32 v14, v12
	v_min_u32_e32 v14, 32, v14
	v_lshrrev_b16_e32 v13, 3, v6
	v_subrev_u32_e32 v15, 28, v14
	v_and_b32_e32 v13, 15, v13
	v_lshlrev_b32_e32 v15, v15, v6
	v_sub_u32_e32 v14, 29, v14
	v_and_b32_e32 v15, 7, v15
	v_cmp_eq_u16_e32 vcc, 0, v13
	v_cndmask_b32_e32 v12, v12, v15, vcc
	v_cndmask_b32_e32 v13, v13, v14, vcc
	v_lshlrev_b32_e32 v14, 24, v6
	v_mov_b32_e32 v15, 0x3b800000
	v_lshlrev_b32_e32 v12, 20, v12
	v_and_b32_e32 v14, 0x80000000, v14
	v_lshl_add_u32 v13, v13, 23, v15
	v_or3_b32 v12, v14, v13, v12
.LBB1_13572:
	s_or_b64 exec, exec, s[6:7]
	s_movk_i32 s4, 0x7f
	v_cmp_gt_i16_sdwa s[6:7], v2, s4 src0_sel:BYTE_0 src1_sel:DWORD
	s_mov_b64 s[4:5], 0
                                        ; implicit-def: $sgpr10
	s_and_saveexec_b64 s[8:9], s[6:7]
	s_xor_b64 s[6:7], exec, s[8:9]
	s_cbranch_execz .LBB1_13573
; %bb.49413:
	s_getpc_b64 s[14:15]
.Lpost_getpc10370:
	s_add_u32 s14, s14, (.LBB1_27909-.Lpost_getpc10370)&4294967295
	s_addc_u32 s15, s15, (.LBB1_27909-.Lpost_getpc10370)>>32
	s_setpc_b64 s[14:15]
.LBB1_13573:
	s_or_saveexec_b64 s[6:7], s[6:7]
	v_mov_b32_e32 v13, s10
	s_xor_b64 exec, exec, s[6:7]
	s_cbranch_execz .LBB1_13574
; %bb.49415:
	s_getpc_b64 s[14:15]
.Lpost_getpc10371:
	s_add_u32 s14, s14, (.LBB1_27912-.Lpost_getpc10371)&4294967295
	s_addc_u32 s15, s15, (.LBB1_27912-.Lpost_getpc10371)>>32
	s_setpc_b64 s[14:15]
.LBB1_13574:
	s_or_b64 exec, exec, s[6:7]
	s_and_saveexec_b64 s[6:7], s[4:5]
	s_cbranch_execz .LBB1_13576
.LBB1_13575:
	v_and_b32_e32 v13, 7, v2
	v_ffbh_u32_e32 v15, v13
	v_min_u32_e32 v15, 32, v15
	v_lshrrev_b16_e32 v14, 3, v2
	v_subrev_u32_e32 v16, 28, v15
	v_and_b32_e32 v14, 15, v14
	v_lshlrev_b32_e32 v16, v16, v2
	v_sub_u32_e32 v15, 29, v15
	v_and_b32_e32 v16, 7, v16
	v_cmp_eq_u16_e32 vcc, 0, v14
	v_cndmask_b32_e32 v13, v13, v16, vcc
	v_cndmask_b32_e32 v14, v14, v15, vcc
	v_lshlrev_b32_e32 v15, 24, v2
	v_mov_b32_e32 v16, 0x3b800000
	v_lshlrev_b32_e32 v13, 20, v13
	v_and_b32_e32 v15, 0x80000000, v15
	v_lshl_add_u32 v14, v14, 23, v16
	v_or3_b32 v13, v15, v14, v13
.LBB1_13576:
	s_or_b64 exec, exec, s[6:7]
	flat_load_dwordx4 a[0:3], v[10:11] offset:800
	s_movk_i32 s4, 0x7f
                                        ; implicit-def: $sgpr10
	s_waitcnt vmcnt(0) lgkmcnt(0)
	v_mfma_f32_16x16x4f32 a[0:3], v12, v13, a[0:3]
	v_lshrrev_b32_e32 v13, 8, v6
	v_cmp_gt_i16_sdwa s[6:7], v13, s4 src0_sel:BYTE_0 src1_sel:DWORD
	s_mov_b64 s[4:5], 0
	s_and_saveexec_b64 s[8:9], s[6:7]
	s_xor_b64 s[6:7], exec, s[8:9]
	s_cbranch_execz .LBB1_13577
; %bb.49417:
	s_getpc_b64 s[14:15]
.Lpost_getpc10372:
	s_add_u32 s14, s14, (.LBB1_27913-.Lpost_getpc10372)&4294967295
	s_addc_u32 s15, s15, (.LBB1_27913-.Lpost_getpc10372)>>32
	s_setpc_b64 s[14:15]
.LBB1_13577:
	s_or_saveexec_b64 s[6:7], s[6:7]
	v_mov_b32_e32 v12, s10
	s_xor_b64 exec, exec, s[6:7]
	s_cbranch_execz .LBB1_13578
; %bb.49419:
	s_getpc_b64 s[14:15]
.Lpost_getpc10373:
	s_add_u32 s14, s14, (.LBB1_27916-.Lpost_getpc10373)&4294967295
	s_addc_u32 s15, s15, (.LBB1_27916-.Lpost_getpc10373)>>32
	s_setpc_b64 s[14:15]
.LBB1_13578:
	s_or_b64 exec, exec, s[6:7]
	s_and_saveexec_b64 s[6:7], s[4:5]
	s_cbranch_execz .LBB1_13580
.LBB1_13579:
	v_bfe_u32 v12, v6, 8, 3
	v_ffbh_u32_e32 v15, v12
	v_min_u32_e32 v15, 32, v15
	v_lshrrev_b16_e32 v14, 3, v13
	v_subrev_u32_e32 v16, 28, v15
	v_and_b32_e32 v14, 15, v14
	v_lshlrev_b32_e32 v13, v16, v13
	v_sub_u32_e32 v15, 29, v15
	v_and_b32_e32 v13, 7, v13
	v_cmp_eq_u16_e32 vcc, 0, v14
	v_cndmask_b32_e32 v12, v12, v13, vcc
	v_cndmask_b32_e32 v13, v14, v15, vcc
	v_lshlrev_b32_e32 v14, 16, v6
	v_mov_b32_e32 v15, 0x3b800000
	v_lshlrev_b32_e32 v12, 20, v12
	v_and_b32_e32 v14, 0x80000000, v14
	v_lshl_add_u32 v13, v13, 23, v15
	v_or3_b32 v12, v14, v13, v12
.LBB1_13580:
	s_or_b64 exec, exec, s[6:7]
	v_lshrrev_b32_e32 v13, 8, v2
	s_movk_i32 s4, 0x7f
	v_cmp_gt_i16_sdwa s[6:7], v13, s4 src0_sel:BYTE_0 src1_sel:DWORD
	s_mov_b64 s[4:5], 0
                                        ; implicit-def: $sgpr10
	s_and_saveexec_b64 s[8:9], s[6:7]
	s_xor_b64 s[6:7], exec, s[8:9]
	s_cbranch_execz .LBB1_13581
; %bb.49421:
	s_getpc_b64 s[14:15]
.Lpost_getpc10374:
	s_add_u32 s14, s14, (.LBB1_27917-.Lpost_getpc10374)&4294967295
	s_addc_u32 s15, s15, (.LBB1_27917-.Lpost_getpc10374)>>32
	s_setpc_b64 s[14:15]
.LBB1_13581:
	s_or_saveexec_b64 s[6:7], s[6:7]
	v_mov_b32_e32 v14, s10
	s_xor_b64 exec, exec, s[6:7]
	s_cbranch_execz .LBB1_13582
; %bb.49423:
	s_getpc_b64 s[14:15]
.Lpost_getpc10375:
	s_add_u32 s14, s14, (.LBB1_27920-.Lpost_getpc10375)&4294967295
	s_addc_u32 s15, s15, (.LBB1_27920-.Lpost_getpc10375)>>32
	s_setpc_b64 s[14:15]
.LBB1_13582:
	s_or_b64 exec, exec, s[6:7]
	s_and_saveexec_b64 s[6:7], s[4:5]
	s_cbranch_execz .LBB1_13584
.LBB1_13583:
	v_bfe_u32 v14, v2, 8, 3
	v_ffbh_u32_e32 v16, v14
	v_min_u32_e32 v16, 32, v16
	v_lshrrev_b16_e32 v15, 3, v13
	v_subrev_u32_e32 v17, 28, v16
	v_and_b32_e32 v15, 15, v15
	v_lshlrev_b32_e32 v13, v17, v13
	v_sub_u32_e32 v16, 29, v16
	v_and_b32_e32 v13, 7, v13
	v_cmp_eq_u16_e32 vcc, 0, v15
	v_cndmask_b32_e32 v13, v14, v13, vcc
	v_cndmask_b32_e32 v14, v15, v16, vcc
	v_lshlrev_b32_e32 v15, 16, v2
	v_mov_b32_e32 v16, 0x3b800000
	v_lshlrev_b32_e32 v13, 20, v13
	v_and_b32_e32 v15, 0x80000000, v15
	v_lshl_add_u32 v14, v14, 23, v16
	v_or3_b32 v14, v15, v14, v13
.LBB1_13584:
	s_or_b64 exec, exec, s[6:7]
	s_nop 0
	v_mfma_f32_16x16x4f32 a[0:3], v12, v14, a[0:3]
	s_movk_i32 s4, 0xff
	v_and_b32_sdwa v13, v6, s4 dst_sel:DWORD dst_unused:UNUSED_PAD src0_sel:WORD_1 src1_sel:DWORD
	s_movk_i32 s4, 0x7f
	v_cmp_lt_i16_e32 vcc, s4, v13
	s_mov_b64 s[4:5], 0
                                        ; implicit-def: $sgpr10
	s_and_saveexec_b64 s[6:7], vcc
	s_xor_b64 s[6:7], exec, s[6:7]
	s_cbranch_execz .LBB1_13585
; %bb.49425:
	s_getpc_b64 s[14:15]
.Lpost_getpc10376:
	s_add_u32 s14, s14, (.LBB1_27921-.Lpost_getpc10376)&4294967295
	s_addc_u32 s15, s15, (.LBB1_27921-.Lpost_getpc10376)>>32
	s_setpc_b64 s[14:15]
.LBB1_13585:
	s_or_saveexec_b64 s[6:7], s[6:7]
	v_mov_b32_e32 v12, s10
	s_xor_b64 exec, exec, s[6:7]
	s_cbranch_execz .LBB1_13586
; %bb.49427:
	s_getpc_b64 s[14:15]
.Lpost_getpc10377:
	s_add_u32 s14, s14, (.LBB1_27924-.Lpost_getpc10377)&4294967295
	s_addc_u32 s15, s15, (.LBB1_27924-.Lpost_getpc10377)>>32
	s_setpc_b64 s[14:15]
.LBB1_13586:
	s_or_b64 exec, exec, s[6:7]
	s_and_saveexec_b64 s[6:7], s[4:5]
	s_cbranch_execz .LBB1_13588
.LBB1_13587:
	v_bfe_u32 v12, v6, 16, 3
	v_ffbh_u32_e32 v15, v12
	v_min_u32_e32 v15, 32, v15
	v_lshrrev_b32_e32 v13, 19, v6
	v_subrev_u32_e32 v16, 28, v15
	v_and_b32_e32 v13, 15, v13
	v_lshlrev_b32_sdwa v16, v16, v6 dst_sel:DWORD dst_unused:UNUSED_PAD src0_sel:DWORD src1_sel:WORD_1
	v_bfe_u32 v14, v6, 19, 4
	v_sub_u32_e32 v15, 29, v15
	v_and_b32_e32 v16, 7, v16
	v_cmp_eq_u16_e32 vcc, 0, v13
	v_cndmask_b32_e32 v12, v12, v16, vcc
	v_cndmask_b32_e32 v13, v14, v15, vcc
	v_lshlrev_b32_e32 v14, 8, v6
	v_mov_b32_e32 v15, 0x3b800000
	v_lshlrev_b32_e32 v12, 20, v12
	v_and_b32_e32 v14, 0x80000000, v14
	v_lshl_add_u32 v13, v13, 23, v15
	v_or3_b32 v12, v14, v13, v12
.LBB1_13588:
	s_or_b64 exec, exec, s[6:7]
	s_movk_i32 s4, 0xff
	v_and_b32_sdwa v13, v2, s4 dst_sel:DWORD dst_unused:UNUSED_PAD src0_sel:WORD_1 src1_sel:DWORD
	s_movk_i32 s4, 0x7f
	v_cmp_lt_i16_e32 vcc, s4, v13
	s_mov_b64 s[4:5], 0
                                        ; implicit-def: $sgpr10
	s_and_saveexec_b64 s[6:7], vcc
	s_xor_b64 s[6:7], exec, s[6:7]
	s_cbranch_execz .LBB1_13589
; %bb.49429:
	s_getpc_b64 s[14:15]
.Lpost_getpc10378:
	s_add_u32 s14, s14, (.LBB1_27925-.Lpost_getpc10378)&4294967295
	s_addc_u32 s15, s15, (.LBB1_27925-.Lpost_getpc10378)>>32
	s_setpc_b64 s[14:15]
.LBB1_13589:
	s_or_saveexec_b64 s[6:7], s[6:7]
	v_mov_b32_e32 v14, s10
	s_xor_b64 exec, exec, s[6:7]
	s_cbranch_execz .LBB1_13590
; %bb.49431:
	s_getpc_b64 s[14:15]
.Lpost_getpc10379:
	s_add_u32 s14, s14, (.LBB1_27928-.Lpost_getpc10379)&4294967295
	s_addc_u32 s15, s15, (.LBB1_27928-.Lpost_getpc10379)>>32
	s_setpc_b64 s[14:15]
.LBB1_13590:
	s_or_b64 exec, exec, s[6:7]
	s_and_saveexec_b64 s[6:7], s[4:5]
	s_cbranch_execz .LBB1_13592
.LBB1_13591:
	v_bfe_u32 v13, v2, 16, 3
	v_ffbh_u32_e32 v16, v13
	v_min_u32_e32 v16, 32, v16
	v_lshrrev_b32_e32 v14, 19, v2
	v_subrev_u32_e32 v17, 28, v16
	v_and_b32_e32 v14, 15, v14
	v_lshlrev_b32_sdwa v17, v17, v2 dst_sel:DWORD dst_unused:UNUSED_PAD src0_sel:DWORD src1_sel:WORD_1
	v_bfe_u32 v15, v2, 19, 4
	v_sub_u32_e32 v16, 29, v16
	v_and_b32_e32 v17, 7, v17
	v_cmp_eq_u16_e32 vcc, 0, v14
	v_cndmask_b32_e32 v13, v13, v17, vcc
	v_cndmask_b32_e32 v14, v15, v16, vcc
	v_lshlrev_b32_e32 v15, 8, v2
	v_mov_b32_e32 v16, 0x3b800000
	v_lshlrev_b32_e32 v13, 20, v13
	v_and_b32_e32 v15, 0x80000000, v15
	v_lshl_add_u32 v14, v14, 23, v16
	v_or3_b32 v14, v15, v14, v13
.LBB1_13592:
	s_or_b64 exec, exec, s[6:7]
	s_nop 0
	v_mfma_f32_16x16x4f32 a[0:3], v12, v14, a[0:3]
	s_movk_i32 s4, 0x7f
	v_cmp_gt_i16_sdwa s[6:7], v6, s4 src0_sel:BYTE_3 src1_sel:DWORD
	s_mov_b64 s[4:5], 0
                                        ; implicit-def: $sgpr10
	s_and_saveexec_b64 s[8:9], s[6:7]
	s_xor_b64 s[6:7], exec, s[8:9]
	s_cbranch_execz .LBB1_13593
; %bb.49433:
	s_getpc_b64 s[14:15]
.Lpost_getpc10380:
	s_add_u32 s14, s14, (.LBB1_27929-.Lpost_getpc10380)&4294967295
	s_addc_u32 s15, s15, (.LBB1_27929-.Lpost_getpc10380)>>32
	s_setpc_b64 s[14:15]
.LBB1_13593:
	s_or_saveexec_b64 s[6:7], s[6:7]
	v_mov_b32_e32 v12, s10
	s_xor_b64 exec, exec, s[6:7]
	s_cbranch_execz .LBB1_13594
; %bb.49435:
	s_getpc_b64 s[14:15]
.Lpost_getpc10381:
	s_add_u32 s14, s14, (.LBB1_27932-.Lpost_getpc10381)&4294967295
	s_addc_u32 s15, s15, (.LBB1_27932-.Lpost_getpc10381)>>32
	s_setpc_b64 s[14:15]
.LBB1_13594:
	s_or_b64 exec, exec, s[6:7]
	s_and_saveexec_b64 s[6:7], s[4:5]
	s_cbranch_execz .LBB1_13596
.LBB1_13595:
	v_bfe_u32 v12, v6, 24, 3
	v_ffbh_u32_e32 v16, v12
	v_min_u32_e32 v16, 32, v16
	v_lshrrev_b32_e32 v14, 27, v6
	v_subrev_u32_e32 v17, 28, v16
	v_and_b32_e32 v13, 0x80000000, v6
	v_and_b32_e32 v14, 15, v14
	v_bfe_u32 v15, v6, 27, 4
	v_lshlrev_b32_sdwa v6, v17, v6 dst_sel:DWORD dst_unused:UNUSED_PAD src0_sel:DWORD src1_sel:BYTE_3
	v_sub_u32_e32 v16, 29, v16
	v_and_b32_e32 v6, 7, v6
	v_cmp_eq_u16_e32 vcc, 0, v14
	v_cndmask_b32_e32 v6, v12, v6, vcc
	v_cndmask_b32_e32 v12, v15, v16, vcc
	v_mov_b32_e32 v14, 0x3b800000
	v_lshlrev_b32_e32 v6, 20, v6
	v_lshl_add_u32 v12, v12, 23, v14
	v_or3_b32 v12, v13, v12, v6
.LBB1_13596:
	s_or_b64 exec, exec, s[6:7]
	s_movk_i32 s4, 0x7f
	v_cmp_gt_i16_sdwa s[6:7], v2, s4 src0_sel:BYTE_3 src1_sel:DWORD
	s_mov_b64 s[4:5], 0
                                        ; implicit-def: $sgpr10
	s_and_saveexec_b64 s[8:9], s[6:7]
	s_xor_b64 s[6:7], exec, s[8:9]
	s_cbranch_execz .LBB1_13597
; %bb.49437:
	s_getpc_b64 s[14:15]
.Lpost_getpc10382:
	s_add_u32 s14, s14, (.LBB1_27933-.Lpost_getpc10382)&4294967295
	s_addc_u32 s15, s15, (.LBB1_27933-.Lpost_getpc10382)>>32
	s_setpc_b64 s[14:15]
.LBB1_13597:
	s_or_saveexec_b64 s[6:7], s[6:7]
	v_mov_b32_e32 v6, s10
	s_xor_b64 exec, exec, s[6:7]
	s_cbranch_execz .LBB1_13598
; %bb.49439:
	s_getpc_b64 s[14:15]
.Lpost_getpc10383:
	s_add_u32 s14, s14, (.LBB1_27936-.Lpost_getpc10383)&4294967295
	s_addc_u32 s15, s15, (.LBB1_27936-.Lpost_getpc10383)>>32
	s_setpc_b64 s[14:15]
.LBB1_13598:
	s_or_b64 exec, exec, s[6:7]
	s_and_saveexec_b64 s[6:7], s[4:5]
	s_cbranch_execz .LBB1_13600
.LBB1_13599:
	v_bfe_u32 v6, v2, 24, 3
	v_ffbh_u32_e32 v16, v6
	v_min_u32_e32 v16, 32, v16
	v_lshrrev_b32_e32 v14, 27, v2
	v_subrev_u32_e32 v17, 28, v16
	v_and_b32_e32 v13, 0x80000000, v2
	v_and_b32_e32 v14, 15, v14
	v_bfe_u32 v15, v2, 27, 4
	v_lshlrev_b32_sdwa v2, v17, v2 dst_sel:DWORD dst_unused:UNUSED_PAD src0_sel:DWORD src1_sel:BYTE_3
	v_sub_u32_e32 v16, 29, v16
	v_and_b32_e32 v2, 7, v2
	v_cmp_eq_u16_e32 vcc, 0, v14
	v_cndmask_b32_e32 v2, v6, v2, vcc
	v_cndmask_b32_e32 v6, v15, v16, vcc
	v_mov_b32_e32 v14, 0x3b800000
	v_lshlrev_b32_e32 v2, 20, v2
	v_lshl_add_u32 v6, v6, 23, v14
	v_or3_b32 v6, v13, v6, v2
.LBB1_13600:
	s_or_b64 exec, exec, s[6:7]
	s_nop 0
	v_mfma_f32_16x16x4f32 a[0:3], v12, v6, a[0:3]
	s_movk_i32 s4, 0x7f
	v_cmp_gt_i16_sdwa s[6:7], v7, s4 src0_sel:BYTE_0 src1_sel:DWORD
	s_mov_b64 s[4:5], 0
                                        ; implicit-def: $sgpr10
	s_and_saveexec_b64 s[8:9], s[6:7]
	s_xor_b64 s[6:7], exec, s[8:9]
	s_cbranch_execz .LBB1_13601
; %bb.49441:
	s_getpc_b64 s[14:15]
.Lpost_getpc10384:
	s_add_u32 s14, s14, (.LBB1_27937-.Lpost_getpc10384)&4294967295
	s_addc_u32 s15, s15, (.LBB1_27937-.Lpost_getpc10384)>>32
	s_setpc_b64 s[14:15]
.LBB1_13601:
	s_or_saveexec_b64 s[6:7], s[6:7]
	v_mov_b32_e32 v2, s10
	s_xor_b64 exec, exec, s[6:7]
	s_cbranch_execz .LBB1_13602
; %bb.49443:
	s_getpc_b64 s[14:15]
.Lpost_getpc10385:
	s_add_u32 s14, s14, (.LBB1_27940-.Lpost_getpc10385)&4294967295
	s_addc_u32 s15, s15, (.LBB1_27940-.Lpost_getpc10385)>>32
	s_setpc_b64 s[14:15]
.LBB1_13602:
	s_or_b64 exec, exec, s[6:7]
	s_and_saveexec_b64 s[6:7], s[4:5]
	s_cbranch_execz .LBB1_13604
.LBB1_13603:
	v_and_b32_e32 v2, 7, v7
	v_ffbh_u32_e32 v12, v2
	v_min_u32_e32 v12, 32, v12
	v_lshrrev_b16_e32 v6, 3, v7
	v_subrev_u32_e32 v13, 28, v12
	v_and_b32_e32 v6, 15, v6
	v_lshlrev_b32_e32 v13, v13, v7
	v_sub_u32_e32 v12, 29, v12
	v_and_b32_e32 v13, 7, v13
	v_cmp_eq_u16_e32 vcc, 0, v6
	v_cndmask_b32_e32 v2, v2, v13, vcc
	v_cndmask_b32_e32 v6, v6, v12, vcc
	v_lshlrev_b32_e32 v12, 24, v7
	v_mov_b32_e32 v13, 0x3b800000
	v_lshlrev_b32_e32 v2, 20, v2
	v_and_b32_e32 v12, 0x80000000, v12
	v_lshl_add_u32 v6, v6, 23, v13
	v_or3_b32 v2, v12, v6, v2
.LBB1_13604:
	s_or_b64 exec, exec, s[6:7]
	s_movk_i32 s4, 0x7f
	v_cmp_gt_i16_sdwa s[6:7], v3, s4 src0_sel:BYTE_0 src1_sel:DWORD
	s_mov_b64 s[4:5], 0
                                        ; implicit-def: $sgpr10
	s_and_saveexec_b64 s[8:9], s[6:7]
	s_xor_b64 s[6:7], exec, s[8:9]
	s_cbranch_execz .LBB1_13605
; %bb.49445:
	s_getpc_b64 s[14:15]
.Lpost_getpc10386:
	s_add_u32 s14, s14, (.LBB1_27941-.Lpost_getpc10386)&4294967295
	s_addc_u32 s15, s15, (.LBB1_27941-.Lpost_getpc10386)>>32
	s_setpc_b64 s[14:15]
.LBB1_13605:
	s_or_saveexec_b64 s[6:7], s[6:7]
	v_mov_b32_e32 v6, s10
	s_xor_b64 exec, exec, s[6:7]
	s_cbranch_execz .LBB1_13606
; %bb.49447:
	s_getpc_b64 s[14:15]
.Lpost_getpc10387:
	s_add_u32 s14, s14, (.LBB1_27944-.Lpost_getpc10387)&4294967295
	s_addc_u32 s15, s15, (.LBB1_27944-.Lpost_getpc10387)>>32
	s_setpc_b64 s[14:15]
.LBB1_13606:
	s_or_b64 exec, exec, s[6:7]
	s_and_saveexec_b64 s[6:7], s[4:5]
	s_cbranch_execz .LBB1_13608
.LBB1_13607:
	v_and_b32_e32 v6, 7, v3
	v_ffbh_u32_e32 v13, v6
	v_min_u32_e32 v13, 32, v13
	v_lshrrev_b16_e32 v12, 3, v3
	v_subrev_u32_e32 v14, 28, v13
	v_and_b32_e32 v12, 15, v12
	v_lshlrev_b32_e32 v14, v14, v3
	v_sub_u32_e32 v13, 29, v13
	v_and_b32_e32 v14, 7, v14
	v_cmp_eq_u16_e32 vcc, 0, v12
	v_cndmask_b32_e32 v6, v6, v14, vcc
	v_cndmask_b32_e32 v12, v12, v13, vcc
	v_lshlrev_b32_e32 v13, 24, v3
	v_mov_b32_e32 v14, 0x3b800000
	v_lshlrev_b32_e32 v6, 20, v6
	v_and_b32_e32 v13, 0x80000000, v13
	v_lshl_add_u32 v12, v12, 23, v14
	v_or3_b32 v6, v13, v12, v6
.LBB1_13608:
	s_or_b64 exec, exec, s[6:7]
	s_nop 0
	v_mfma_f32_16x16x4f32 a[0:3], v2, v6, a[0:3]
	v_lshrrev_b32_e32 v6, 8, v7
	s_movk_i32 s4, 0x7f
	v_cmp_gt_i16_sdwa s[6:7], v6, s4 src0_sel:BYTE_0 src1_sel:DWORD
	s_mov_b64 s[4:5], 0
                                        ; implicit-def: $sgpr10
	s_and_saveexec_b64 s[8:9], s[6:7]
	s_xor_b64 s[6:7], exec, s[8:9]
	s_cbranch_execz .LBB1_13609
; %bb.49449:
	s_getpc_b64 s[14:15]
.Lpost_getpc10388:
	s_add_u32 s14, s14, (.LBB1_27945-.Lpost_getpc10388)&4294967295
	s_addc_u32 s15, s15, (.LBB1_27945-.Lpost_getpc10388)>>32
	s_setpc_b64 s[14:15]
.LBB1_13609:
	s_or_saveexec_b64 s[6:7], s[6:7]
	v_mov_b32_e32 v2, s10
	s_xor_b64 exec, exec, s[6:7]
	s_cbranch_execz .LBB1_13610
; %bb.49451:
	s_getpc_b64 s[14:15]
.Lpost_getpc10389:
	s_add_u32 s14, s14, (.LBB1_27948-.Lpost_getpc10389)&4294967295
	s_addc_u32 s15, s15, (.LBB1_27948-.Lpost_getpc10389)>>32
	s_setpc_b64 s[14:15]
.LBB1_13610:
	s_or_b64 exec, exec, s[6:7]
	s_and_saveexec_b64 s[6:7], s[4:5]
	s_cbranch_execz .LBB1_13612
.LBB1_13611:
	v_bfe_u32 v2, v7, 8, 3
	v_ffbh_u32_e32 v13, v2
	v_min_u32_e32 v13, 32, v13
	v_lshrrev_b16_e32 v12, 3, v6
	v_subrev_u32_e32 v14, 28, v13
	v_and_b32_e32 v12, 15, v12
	v_lshlrev_b32_e32 v6, v14, v6
	v_sub_u32_e32 v13, 29, v13
	v_and_b32_e32 v6, 7, v6
	v_cmp_eq_u16_e32 vcc, 0, v12
	v_cndmask_b32_e32 v2, v2, v6, vcc
	v_cndmask_b32_e32 v6, v12, v13, vcc
	v_lshlrev_b32_e32 v12, 16, v7
	v_mov_b32_e32 v13, 0x3b800000
	v_lshlrev_b32_e32 v2, 20, v2
	v_and_b32_e32 v12, 0x80000000, v12
	v_lshl_add_u32 v6, v6, 23, v13
	v_or3_b32 v2, v12, v6, v2
.LBB1_13612:
	s_or_b64 exec, exec, s[6:7]
	v_lshrrev_b32_e32 v6, 8, v3
	s_movk_i32 s4, 0x7f
	v_cmp_gt_i16_sdwa s[6:7], v6, s4 src0_sel:BYTE_0 src1_sel:DWORD
	s_mov_b64 s[4:5], 0
                                        ; implicit-def: $sgpr10
	s_and_saveexec_b64 s[8:9], s[6:7]
	s_xor_b64 s[6:7], exec, s[8:9]
	s_cbranch_execz .LBB1_13613
; %bb.49453:
	s_getpc_b64 s[14:15]
.Lpost_getpc10390:
	s_add_u32 s14, s14, (.LBB1_27949-.Lpost_getpc10390)&4294967295
	s_addc_u32 s15, s15, (.LBB1_27949-.Lpost_getpc10390)>>32
	s_setpc_b64 s[14:15]
.LBB1_13613:
	s_or_saveexec_b64 s[6:7], s[6:7]
	v_mov_b32_e32 v12, s10
	s_xor_b64 exec, exec, s[6:7]
	s_cbranch_execz .LBB1_13614
; %bb.49455:
	s_getpc_b64 s[14:15]
.Lpost_getpc10391:
	s_add_u32 s14, s14, (.LBB1_27952-.Lpost_getpc10391)&4294967295
	s_addc_u32 s15, s15, (.LBB1_27952-.Lpost_getpc10391)>>32
	s_setpc_b64 s[14:15]
.LBB1_13614:
	s_or_b64 exec, exec, s[6:7]
	s_and_saveexec_b64 s[6:7], s[4:5]
	s_cbranch_execz .LBB1_13616
.LBB1_13615:
	v_bfe_u32 v12, v3, 8, 3
	v_ffbh_u32_e32 v14, v12
	v_min_u32_e32 v14, 32, v14
	v_lshrrev_b16_e32 v13, 3, v6
	v_subrev_u32_e32 v15, 28, v14
	v_and_b32_e32 v13, 15, v13
	v_lshlrev_b32_e32 v6, v15, v6
	v_sub_u32_e32 v14, 29, v14
	v_and_b32_e32 v6, 7, v6
	v_cmp_eq_u16_e32 vcc, 0, v13
	v_cndmask_b32_e32 v6, v12, v6, vcc
	v_cndmask_b32_e32 v12, v13, v14, vcc
	v_lshlrev_b32_e32 v13, 16, v3
	v_mov_b32_e32 v14, 0x3b800000
	v_lshlrev_b32_e32 v6, 20, v6
	v_and_b32_e32 v13, 0x80000000, v13
	v_lshl_add_u32 v12, v12, 23, v14
	v_or3_b32 v12, v13, v12, v6
.LBB1_13616:
	s_or_b64 exec, exec, s[6:7]
	s_nop 0
	v_mfma_f32_16x16x4f32 a[0:3], v2, v12, a[0:3]
	s_movk_i32 s4, 0xff
	v_and_b32_sdwa v6, v7, s4 dst_sel:DWORD dst_unused:UNUSED_PAD src0_sel:WORD_1 src1_sel:DWORD
	s_movk_i32 s4, 0x7f
	v_cmp_lt_i16_e32 vcc, s4, v6
	s_mov_b64 s[4:5], 0
                                        ; implicit-def: $sgpr10
	s_and_saveexec_b64 s[6:7], vcc
	s_xor_b64 s[6:7], exec, s[6:7]
	s_cbranch_execz .LBB1_13617
; %bb.49457:
	s_getpc_b64 s[14:15]
.Lpost_getpc10392:
	s_add_u32 s14, s14, (.LBB1_27953-.Lpost_getpc10392)&4294967295
	s_addc_u32 s15, s15, (.LBB1_27953-.Lpost_getpc10392)>>32
	s_setpc_b64 s[14:15]
.LBB1_13617:
	s_or_saveexec_b64 s[6:7], s[6:7]
	v_mov_b32_e32 v2, s10
	s_xor_b64 exec, exec, s[6:7]
	s_cbranch_execz .LBB1_13618
; %bb.49459:
	s_getpc_b64 s[14:15]
.Lpost_getpc10393:
	s_add_u32 s14, s14, (.LBB1_27956-.Lpost_getpc10393)&4294967295
	s_addc_u32 s15, s15, (.LBB1_27956-.Lpost_getpc10393)>>32
	s_setpc_b64 s[14:15]
.LBB1_13618:
	s_or_b64 exec, exec, s[6:7]
	s_and_saveexec_b64 s[6:7], s[4:5]
	s_cbranch_execz .LBB1_13620
.LBB1_13619:
	v_bfe_u32 v2, v7, 16, 3
	v_ffbh_u32_e32 v13, v2
	v_min_u32_e32 v13, 32, v13
	v_lshrrev_b32_e32 v6, 19, v7
	v_subrev_u32_e32 v14, 28, v13
	v_and_b32_e32 v6, 15, v6
	v_lshlrev_b32_sdwa v14, v14, v7 dst_sel:DWORD dst_unused:UNUSED_PAD src0_sel:DWORD src1_sel:WORD_1
	v_bfe_u32 v12, v7, 19, 4
	v_sub_u32_e32 v13, 29, v13
	v_and_b32_e32 v14, 7, v14
	v_cmp_eq_u16_e32 vcc, 0, v6
	v_cndmask_b32_e32 v2, v2, v14, vcc
	v_cndmask_b32_e32 v6, v12, v13, vcc
	v_lshlrev_b32_e32 v12, 8, v7
	v_mov_b32_e32 v13, 0x3b800000
	v_lshlrev_b32_e32 v2, 20, v2
	v_and_b32_e32 v12, 0x80000000, v12
	v_lshl_add_u32 v6, v6, 23, v13
	v_or3_b32 v2, v12, v6, v2
.LBB1_13620:
	s_or_b64 exec, exec, s[6:7]
	s_movk_i32 s4, 0xff
	v_and_b32_sdwa v6, v3, s4 dst_sel:DWORD dst_unused:UNUSED_PAD src0_sel:WORD_1 src1_sel:DWORD
	s_movk_i32 s4, 0x7f
	v_cmp_lt_i16_e32 vcc, s4, v6
	s_mov_b64 s[4:5], 0
                                        ; implicit-def: $sgpr10
	s_and_saveexec_b64 s[6:7], vcc
	s_xor_b64 s[6:7], exec, s[6:7]
	s_cbranch_execz .LBB1_13621
; %bb.49461:
	s_getpc_b64 s[14:15]
.Lpost_getpc10394:
	s_add_u32 s14, s14, (.LBB1_27957-.Lpost_getpc10394)&4294967295
	s_addc_u32 s15, s15, (.LBB1_27957-.Lpost_getpc10394)>>32
	s_setpc_b64 s[14:15]
.LBB1_13621:
	s_or_saveexec_b64 s[6:7], s[6:7]
	v_mov_b32_e32 v12, s10
	s_xor_b64 exec, exec, s[6:7]
	s_cbranch_execz .LBB1_13622
; %bb.49463:
	s_getpc_b64 s[14:15]
.Lpost_getpc10395:
	s_add_u32 s14, s14, (.LBB1_27960-.Lpost_getpc10395)&4294967295
	s_addc_u32 s15, s15, (.LBB1_27960-.Lpost_getpc10395)>>32
	s_setpc_b64 s[14:15]
.LBB1_13622:
	s_or_b64 exec, exec, s[6:7]
	s_and_saveexec_b64 s[6:7], s[4:5]
	s_cbranch_execz .LBB1_13624
.LBB1_13623:
	v_bfe_u32 v6, v3, 16, 3
	v_ffbh_u32_e32 v14, v6
	v_min_u32_e32 v14, 32, v14
	v_lshrrev_b32_e32 v12, 19, v3
	v_subrev_u32_e32 v15, 28, v14
	v_and_b32_e32 v12, 15, v12
	v_lshlrev_b32_sdwa v15, v15, v3 dst_sel:DWORD dst_unused:UNUSED_PAD src0_sel:DWORD src1_sel:WORD_1
	v_bfe_u32 v13, v3, 19, 4
	v_sub_u32_e32 v14, 29, v14
	v_and_b32_e32 v15, 7, v15
	v_cmp_eq_u16_e32 vcc, 0, v12
	v_cndmask_b32_e32 v6, v6, v15, vcc
	v_cndmask_b32_e32 v12, v13, v14, vcc
	v_lshlrev_b32_e32 v13, 8, v3
	v_mov_b32_e32 v14, 0x3b800000
	v_lshlrev_b32_e32 v6, 20, v6
	v_and_b32_e32 v13, 0x80000000, v13
	v_lshl_add_u32 v12, v12, 23, v14
	v_or3_b32 v12, v13, v12, v6
.LBB1_13624:
	s_or_b64 exec, exec, s[6:7]
	s_nop 0
	v_mfma_f32_16x16x4f32 a[0:3], v2, v12, a[0:3]
	s_movk_i32 s4, 0x7f
	v_cmp_gt_i16_sdwa s[6:7], v7, s4 src0_sel:BYTE_3 src1_sel:DWORD
	s_mov_b64 s[4:5], 0
                                        ; implicit-def: $sgpr10
	s_and_saveexec_b64 s[8:9], s[6:7]
	s_xor_b64 s[6:7], exec, s[8:9]
	s_cbranch_execz .LBB1_13625
; %bb.49465:
	s_getpc_b64 s[14:15]
.Lpost_getpc10396:
	s_add_u32 s14, s14, (.LBB1_27961-.Lpost_getpc10396)&4294967295
	s_addc_u32 s15, s15, (.LBB1_27961-.Lpost_getpc10396)>>32
	s_setpc_b64 s[14:15]
.LBB1_13625:
	s_or_saveexec_b64 s[6:7], s[6:7]
	v_mov_b32_e32 v2, s10
	s_xor_b64 exec, exec, s[6:7]
	s_cbranch_execz .LBB1_13626
; %bb.49467:
	s_getpc_b64 s[14:15]
.Lpost_getpc10397:
	s_add_u32 s14, s14, (.LBB1_27964-.Lpost_getpc10397)&4294967295
	s_addc_u32 s15, s15, (.LBB1_27964-.Lpost_getpc10397)>>32
	s_setpc_b64 s[14:15]
.LBB1_13626:
	s_or_b64 exec, exec, s[6:7]
	s_and_saveexec_b64 s[6:7], s[4:5]
	s_cbranch_execz .LBB1_13628
.LBB1_13627:
	v_bfe_u32 v2, v7, 24, 3
	v_ffbh_u32_e32 v14, v2
	v_min_u32_e32 v14, 32, v14
	v_lshrrev_b32_e32 v12, 27, v7
	v_subrev_u32_e32 v15, 28, v14
	v_and_b32_e32 v6, 0x80000000, v7
	v_and_b32_e32 v12, 15, v12
	v_bfe_u32 v13, v7, 27, 4
	v_lshlrev_b32_sdwa v7, v15, v7 dst_sel:DWORD dst_unused:UNUSED_PAD src0_sel:DWORD src1_sel:BYTE_3
	v_sub_u32_e32 v14, 29, v14
	v_and_b32_e32 v7, 7, v7
	v_cmp_eq_u16_e32 vcc, 0, v12
	v_cndmask_b32_e32 v2, v2, v7, vcc
	v_cndmask_b32_e32 v7, v13, v14, vcc
	v_mov_b32_e32 v12, 0x3b800000
	v_lshlrev_b32_e32 v2, 20, v2
	v_lshl_add_u32 v7, v7, 23, v12
	v_or3_b32 v2, v6, v7, v2
.LBB1_13628:
	s_or_b64 exec, exec, s[6:7]
	s_movk_i32 s4, 0x7f
	v_cmp_gt_i16_sdwa s[6:7], v3, s4 src0_sel:BYTE_3 src1_sel:DWORD
	s_mov_b64 s[4:5], 0
                                        ; implicit-def: $sgpr10
	s_and_saveexec_b64 s[8:9], s[6:7]
	s_xor_b64 s[6:7], exec, s[8:9]
	s_cbranch_execz .LBB1_13629
; %bb.49469:
	s_getpc_b64 s[14:15]
.Lpost_getpc10398:
	s_add_u32 s14, s14, (.LBB1_27965-.Lpost_getpc10398)&4294967295
	s_addc_u32 s15, s15, (.LBB1_27965-.Lpost_getpc10398)>>32
	s_setpc_b64 s[14:15]
.LBB1_13629:
	s_or_saveexec_b64 s[6:7], s[6:7]
	v_mov_b32_e32 v6, s10
	s_xor_b64 exec, exec, s[6:7]
	s_cbranch_execz .LBB1_13630
; %bb.49471:
	s_getpc_b64 s[14:15]
.Lpost_getpc10399:
	s_add_u32 s14, s14, (.LBB1_27968-.Lpost_getpc10399)&4294967295
	s_addc_u32 s15, s15, (.LBB1_27968-.Lpost_getpc10399)>>32
	s_setpc_b64 s[14:15]
.LBB1_13630:
	s_or_b64 exec, exec, s[6:7]
	s_and_saveexec_b64 s[6:7], s[4:5]
	s_cbranch_execz .LBB1_13632
.LBB1_13631:
	v_bfe_u32 v6, v3, 24, 3
	v_ffbh_u32_e32 v14, v6
	v_min_u32_e32 v14, 32, v14
	v_lshrrev_b32_e32 v12, 27, v3
	v_subrev_u32_e32 v15, 28, v14
	v_and_b32_e32 v7, 0x80000000, v3
	v_and_b32_e32 v12, 15, v12
	v_bfe_u32 v13, v3, 27, 4
	v_lshlrev_b32_sdwa v3, v15, v3 dst_sel:DWORD dst_unused:UNUSED_PAD src0_sel:DWORD src1_sel:BYTE_3
	v_sub_u32_e32 v14, 29, v14
	v_and_b32_e32 v3, 7, v3
	v_cmp_eq_u16_e32 vcc, 0, v12
	v_cndmask_b32_e32 v3, v6, v3, vcc
	v_cndmask_b32_e32 v6, v13, v14, vcc
	v_mov_b32_e32 v12, 0x3b800000
	v_lshlrev_b32_e32 v3, 20, v3
	v_lshl_add_u32 v6, v6, 23, v12
	v_or3_b32 v6, v7, v6, v3
.LBB1_13632:
	s_or_b64 exec, exec, s[6:7]
	s_nop 0
	v_mfma_f32_16x16x4f32 a[0:3], v2, v6, a[0:3]
	s_movk_i32 s4, 0x7f
	v_cmp_gt_i16_sdwa s[6:7], v8, s4 src0_sel:BYTE_0 src1_sel:DWORD
	s_mov_b64 s[4:5], 0
                                        ; implicit-def: $sgpr10
	s_and_saveexec_b64 s[8:9], s[6:7]
	s_xor_b64 s[6:7], exec, s[8:9]
	s_cbranch_execz .LBB1_13633
; %bb.49473:
	s_getpc_b64 s[14:15]
.Lpost_getpc10400:
	s_add_u32 s14, s14, (.LBB1_27969-.Lpost_getpc10400)&4294967295
	s_addc_u32 s15, s15, (.LBB1_27969-.Lpost_getpc10400)>>32
	s_setpc_b64 s[14:15]
.LBB1_13633:
	s_or_saveexec_b64 s[6:7], s[6:7]
	v_mov_b32_e32 v2, s10
	s_xor_b64 exec, exec, s[6:7]
	s_cbranch_execz .LBB1_13634
; %bb.49475:
	s_getpc_b64 s[14:15]
.Lpost_getpc10401:
	s_add_u32 s14, s14, (.LBB1_27972-.Lpost_getpc10401)&4294967295
	s_addc_u32 s15, s15, (.LBB1_27972-.Lpost_getpc10401)>>32
	s_setpc_b64 s[14:15]
.LBB1_13634:
	s_or_b64 exec, exec, s[6:7]
	s_and_saveexec_b64 s[6:7], s[4:5]
	s_cbranch_execz .LBB1_13636
.LBB1_13635:
	v_and_b32_e32 v2, 7, v8
	v_ffbh_u32_e32 v6, v2
	v_min_u32_e32 v6, 32, v6
	v_lshrrev_b16_e32 v3, 3, v8
	v_subrev_u32_e32 v7, 28, v6
	v_and_b32_e32 v3, 15, v3
	v_lshlrev_b32_e32 v7, v7, v8
	v_sub_u32_e32 v6, 29, v6
	v_and_b32_e32 v7, 7, v7
	v_cmp_eq_u16_e32 vcc, 0, v3
	v_cndmask_b32_e32 v2, v2, v7, vcc
	v_cndmask_b32_e32 v3, v3, v6, vcc
	v_lshlrev_b32_e32 v6, 24, v8
	v_mov_b32_e32 v7, 0x3b800000
	v_lshlrev_b32_e32 v2, 20, v2
	v_and_b32_e32 v6, 0x80000000, v6
	v_lshl_add_u32 v3, v3, 23, v7
	v_or3_b32 v2, v6, v3, v2
.LBB1_13636:
	s_or_b64 exec, exec, s[6:7]
	s_movk_i32 s4, 0x7f
	v_cmp_gt_i16_sdwa s[6:7], v4, s4 src0_sel:BYTE_0 src1_sel:DWORD
	s_mov_b64 s[4:5], 0
                                        ; implicit-def: $sgpr10
	s_and_saveexec_b64 s[8:9], s[6:7]
	s_xor_b64 s[6:7], exec, s[8:9]
	s_cbranch_execz .LBB1_13637
; %bb.49477:
	s_getpc_b64 s[14:15]
.Lpost_getpc10402:
	s_add_u32 s14, s14, (.LBB1_27973-.Lpost_getpc10402)&4294967295
	s_addc_u32 s15, s15, (.LBB1_27973-.Lpost_getpc10402)>>32
	s_setpc_b64 s[14:15]
.LBB1_13637:
	s_or_saveexec_b64 s[6:7], s[6:7]
	v_mov_b32_e32 v3, s10
	s_xor_b64 exec, exec, s[6:7]
	s_cbranch_execz .LBB1_13638
; %bb.49479:
	s_getpc_b64 s[14:15]
.Lpost_getpc10403:
	s_add_u32 s14, s14, (.LBB1_27976-.Lpost_getpc10403)&4294967295
	s_addc_u32 s15, s15, (.LBB1_27976-.Lpost_getpc10403)>>32
	s_setpc_b64 s[14:15]
.LBB1_13638:
	s_or_b64 exec, exec, s[6:7]
	s_and_saveexec_b64 s[6:7], s[4:5]
	s_cbranch_execz .LBB1_13640
.LBB1_13639:
	v_and_b32_e32 v3, 7, v4
	v_ffbh_u32_e32 v7, v3
	v_min_u32_e32 v7, 32, v7
	v_lshrrev_b16_e32 v6, 3, v4
	v_subrev_u32_e32 v12, 28, v7
	v_and_b32_e32 v6, 15, v6
	v_lshlrev_b32_e32 v12, v12, v4
	v_sub_u32_e32 v7, 29, v7
	v_and_b32_e32 v12, 7, v12
	v_cmp_eq_u16_e32 vcc, 0, v6
	v_cndmask_b32_e32 v3, v3, v12, vcc
	v_cndmask_b32_e32 v6, v6, v7, vcc
	v_lshlrev_b32_e32 v7, 24, v4
	v_mov_b32_e32 v12, 0x3b800000
	v_lshlrev_b32_e32 v3, 20, v3
	v_and_b32_e32 v7, 0x80000000, v7
	v_lshl_add_u32 v6, v6, 23, v12
	v_or3_b32 v3, v7, v6, v3
.LBB1_13640:
	s_or_b64 exec, exec, s[6:7]
	s_nop 0
	v_mfma_f32_16x16x4f32 a[0:3], v2, v3, a[0:3]
	v_lshrrev_b32_e32 v3, 8, v8
	s_movk_i32 s4, 0x7f
	v_cmp_gt_i16_sdwa s[6:7], v3, s4 src0_sel:BYTE_0 src1_sel:DWORD
	s_mov_b64 s[4:5], 0
                                        ; implicit-def: $sgpr10
	s_and_saveexec_b64 s[8:9], s[6:7]
	s_xor_b64 s[6:7], exec, s[8:9]
	s_cbranch_execz .LBB1_13641
; %bb.49481:
	s_getpc_b64 s[14:15]
.Lpost_getpc10404:
	s_add_u32 s14, s14, (.LBB1_27977-.Lpost_getpc10404)&4294967295
	s_addc_u32 s15, s15, (.LBB1_27977-.Lpost_getpc10404)>>32
	s_setpc_b64 s[14:15]
.LBB1_13641:
	s_or_saveexec_b64 s[6:7], s[6:7]
	v_mov_b32_e32 v2, s10
	s_xor_b64 exec, exec, s[6:7]
	s_cbranch_execz .LBB1_13642
; %bb.49483:
	s_getpc_b64 s[14:15]
.Lpost_getpc10405:
	s_add_u32 s14, s14, (.LBB1_27980-.Lpost_getpc10405)&4294967295
	s_addc_u32 s15, s15, (.LBB1_27980-.Lpost_getpc10405)>>32
	s_setpc_b64 s[14:15]
.LBB1_13642:
	s_or_b64 exec, exec, s[6:7]
	s_and_saveexec_b64 s[6:7], s[4:5]
	s_cbranch_execz .LBB1_13644
.LBB1_13643:
	v_bfe_u32 v2, v8, 8, 3
	v_ffbh_u32_e32 v7, v2
	v_min_u32_e32 v7, 32, v7
	v_lshrrev_b16_e32 v6, 3, v3
	v_subrev_u32_e32 v12, 28, v7
	v_and_b32_e32 v6, 15, v6
	v_lshlrev_b32_e32 v3, v12, v3
	v_sub_u32_e32 v7, 29, v7
	v_and_b32_e32 v3, 7, v3
	v_cmp_eq_u16_e32 vcc, 0, v6
	v_cndmask_b32_e32 v2, v2, v3, vcc
	v_cndmask_b32_e32 v3, v6, v7, vcc
	v_lshlrev_b32_e32 v6, 16, v8
	v_mov_b32_e32 v7, 0x3b800000
	v_lshlrev_b32_e32 v2, 20, v2
	v_and_b32_e32 v6, 0x80000000, v6
	v_lshl_add_u32 v3, v3, 23, v7
	v_or3_b32 v2, v6, v3, v2
.LBB1_13644:
	s_or_b64 exec, exec, s[6:7]
	v_lshrrev_b32_e32 v3, 8, v4
	s_movk_i32 s4, 0x7f
	v_cmp_gt_i16_sdwa s[6:7], v3, s4 src0_sel:BYTE_0 src1_sel:DWORD
	s_mov_b64 s[4:5], 0
                                        ; implicit-def: $sgpr10
	s_and_saveexec_b64 s[8:9], s[6:7]
	s_xor_b64 s[6:7], exec, s[8:9]
	s_cbranch_execz .LBB1_13645
; %bb.49485:
	s_getpc_b64 s[14:15]
.Lpost_getpc10406:
	s_add_u32 s14, s14, (.LBB1_27981-.Lpost_getpc10406)&4294967295
	s_addc_u32 s15, s15, (.LBB1_27981-.Lpost_getpc10406)>>32
	s_setpc_b64 s[14:15]
.LBB1_13645:
	s_or_saveexec_b64 s[6:7], s[6:7]
	v_mov_b32_e32 v6, s10
	s_xor_b64 exec, exec, s[6:7]
	s_cbranch_execz .LBB1_13646
; %bb.49487:
	s_getpc_b64 s[14:15]
.Lpost_getpc10407:
	s_add_u32 s14, s14, (.LBB1_27984-.Lpost_getpc10407)&4294967295
	s_addc_u32 s15, s15, (.LBB1_27984-.Lpost_getpc10407)>>32
	s_setpc_b64 s[14:15]
.LBB1_13646:
	s_or_b64 exec, exec, s[6:7]
	s_and_saveexec_b64 s[6:7], s[4:5]
	s_cbranch_execz .LBB1_13648
.LBB1_13647:
	v_bfe_u32 v6, v4, 8, 3
	v_ffbh_u32_e32 v12, v6
	v_min_u32_e32 v12, 32, v12
	v_lshrrev_b16_e32 v7, 3, v3
	v_subrev_u32_e32 v13, 28, v12
	v_and_b32_e32 v7, 15, v7
	v_lshlrev_b32_e32 v3, v13, v3
	v_sub_u32_e32 v12, 29, v12
	v_and_b32_e32 v3, 7, v3
	v_cmp_eq_u16_e32 vcc, 0, v7
	v_cndmask_b32_e32 v3, v6, v3, vcc
	v_cndmask_b32_e32 v6, v7, v12, vcc
	v_lshlrev_b32_e32 v7, 16, v4
	v_mov_b32_e32 v12, 0x3b800000
	v_lshlrev_b32_e32 v3, 20, v3
	v_and_b32_e32 v7, 0x80000000, v7
	v_lshl_add_u32 v6, v6, 23, v12
	v_or3_b32 v6, v7, v6, v3
.LBB1_13648:
	s_or_b64 exec, exec, s[6:7]
	s_nop 0
	v_mfma_f32_16x16x4f32 a[0:3], v2, v6, a[0:3]
	s_movk_i32 s4, 0xff
	v_and_b32_sdwa v3, v8, s4 dst_sel:DWORD dst_unused:UNUSED_PAD src0_sel:WORD_1 src1_sel:DWORD
	s_movk_i32 s4, 0x7f
	v_cmp_lt_i16_e32 vcc, s4, v3
	s_mov_b64 s[4:5], 0
                                        ; implicit-def: $sgpr10
	s_and_saveexec_b64 s[6:7], vcc
	s_xor_b64 s[6:7], exec, s[6:7]
	s_cbranch_execz .LBB1_13649
; %bb.49489:
	s_getpc_b64 s[14:15]
.Lpost_getpc10408:
	s_add_u32 s14, s14, (.LBB1_27985-.Lpost_getpc10408)&4294967295
	s_addc_u32 s15, s15, (.LBB1_27985-.Lpost_getpc10408)>>32
	s_setpc_b64 s[14:15]
.LBB1_13649:
	s_or_saveexec_b64 s[6:7], s[6:7]
	v_mov_b32_e32 v2, s10
	s_xor_b64 exec, exec, s[6:7]
	s_cbranch_execz .LBB1_13650
; %bb.49491:
	s_getpc_b64 s[14:15]
.Lpost_getpc10409:
	s_add_u32 s14, s14, (.LBB1_27988-.Lpost_getpc10409)&4294967295
	s_addc_u32 s15, s15, (.LBB1_27988-.Lpost_getpc10409)>>32
	s_setpc_b64 s[14:15]
.LBB1_13650:
	s_or_b64 exec, exec, s[6:7]
	s_and_saveexec_b64 s[6:7], s[4:5]
	s_cbranch_execz .LBB1_13652
.LBB1_13651:
	v_bfe_u32 v2, v8, 16, 3
	v_ffbh_u32_e32 v7, v2
	v_min_u32_e32 v7, 32, v7
	v_lshrrev_b32_e32 v3, 19, v8
	v_subrev_u32_e32 v12, 28, v7
	v_and_b32_e32 v3, 15, v3
	v_lshlrev_b32_sdwa v12, v12, v8 dst_sel:DWORD dst_unused:UNUSED_PAD src0_sel:DWORD src1_sel:WORD_1
	v_bfe_u32 v6, v8, 19, 4
	v_sub_u32_e32 v7, 29, v7
	v_and_b32_e32 v12, 7, v12
	v_cmp_eq_u16_e32 vcc, 0, v3
	v_cndmask_b32_e32 v2, v2, v12, vcc
	v_cndmask_b32_e32 v3, v6, v7, vcc
	v_lshlrev_b32_e32 v6, 8, v8
	v_mov_b32_e32 v7, 0x3b800000
	v_lshlrev_b32_e32 v2, 20, v2
	v_and_b32_e32 v6, 0x80000000, v6
	v_lshl_add_u32 v3, v3, 23, v7
	v_or3_b32 v2, v6, v3, v2
.LBB1_13652:
	s_or_b64 exec, exec, s[6:7]
	s_movk_i32 s4, 0xff
	v_and_b32_sdwa v3, v4, s4 dst_sel:DWORD dst_unused:UNUSED_PAD src0_sel:WORD_1 src1_sel:DWORD
	s_movk_i32 s4, 0x7f
	v_cmp_lt_i16_e32 vcc, s4, v3
	s_mov_b64 s[4:5], 0
                                        ; implicit-def: $sgpr10
	s_and_saveexec_b64 s[6:7], vcc
	s_xor_b64 s[6:7], exec, s[6:7]
	s_cbranch_execz .LBB1_13653
; %bb.49493:
	s_getpc_b64 s[14:15]
.Lpost_getpc10410:
	s_add_u32 s14, s14, (.LBB1_27989-.Lpost_getpc10410)&4294967295
	s_addc_u32 s15, s15, (.LBB1_27989-.Lpost_getpc10410)>>32
	s_setpc_b64 s[14:15]
.LBB1_13653:
	s_or_saveexec_b64 s[6:7], s[6:7]
	v_mov_b32_e32 v6, s10
	s_xor_b64 exec, exec, s[6:7]
	s_cbranch_execz .LBB1_13654
; %bb.49495:
	s_getpc_b64 s[14:15]
.Lpost_getpc10411:
	s_add_u32 s14, s14, (.LBB1_27992-.Lpost_getpc10411)&4294967295
	s_addc_u32 s15, s15, (.LBB1_27992-.Lpost_getpc10411)>>32
	s_setpc_b64 s[14:15]
.LBB1_13654:
	s_or_b64 exec, exec, s[6:7]
	s_and_saveexec_b64 s[6:7], s[4:5]
	s_cbranch_execz .LBB1_13656
.LBB1_13655:
	v_bfe_u32 v3, v4, 16, 3
	v_ffbh_u32_e32 v12, v3
	v_min_u32_e32 v12, 32, v12
	v_lshrrev_b32_e32 v6, 19, v4
	v_subrev_u32_e32 v13, 28, v12
	v_and_b32_e32 v6, 15, v6
	v_lshlrev_b32_sdwa v13, v13, v4 dst_sel:DWORD dst_unused:UNUSED_PAD src0_sel:DWORD src1_sel:WORD_1
	v_bfe_u32 v7, v4, 19, 4
	v_sub_u32_e32 v12, 29, v12
	v_and_b32_e32 v13, 7, v13
	v_cmp_eq_u16_e32 vcc, 0, v6
	v_cndmask_b32_e32 v3, v3, v13, vcc
	v_cndmask_b32_e32 v6, v7, v12, vcc
	v_lshlrev_b32_e32 v7, 8, v4
	v_mov_b32_e32 v12, 0x3b800000
	v_lshlrev_b32_e32 v3, 20, v3
	v_and_b32_e32 v7, 0x80000000, v7
	v_lshl_add_u32 v6, v6, 23, v12
	v_or3_b32 v6, v7, v6, v3
.LBB1_13656:
	s_or_b64 exec, exec, s[6:7]
	s_nop 0
	v_mfma_f32_16x16x4f32 a[0:3], v2, v6, a[0:3]
	s_movk_i32 s4, 0x7f
	v_cmp_gt_i16_sdwa s[6:7], v8, s4 src0_sel:BYTE_3 src1_sel:DWORD
	s_mov_b64 s[4:5], 0
                                        ; implicit-def: $sgpr10
	s_and_saveexec_b64 s[8:9], s[6:7]
	s_xor_b64 s[6:7], exec, s[8:9]
	s_cbranch_execz .LBB1_13657
; %bb.49497:
	s_getpc_b64 s[14:15]
.Lpost_getpc10412:
	s_add_u32 s14, s14, (.LBB1_27993-.Lpost_getpc10412)&4294967295
	s_addc_u32 s15, s15, (.LBB1_27993-.Lpost_getpc10412)>>32
	s_setpc_b64 s[14:15]
.LBB1_13657:
	s_or_saveexec_b64 s[6:7], s[6:7]
	v_mov_b32_e32 v2, s10
	s_xor_b64 exec, exec, s[6:7]
	s_cbranch_execz .LBB1_13658
; %bb.49499:
	s_getpc_b64 s[14:15]
.Lpost_getpc10413:
	s_add_u32 s14, s14, (.LBB1_27996-.Lpost_getpc10413)&4294967295
	s_addc_u32 s15, s15, (.LBB1_27996-.Lpost_getpc10413)>>32
	s_setpc_b64 s[14:15]
.LBB1_13658:
	s_or_b64 exec, exec, s[6:7]
	s_and_saveexec_b64 s[6:7], s[4:5]
	s_cbranch_execz .LBB1_13660
.LBB1_13659:
	v_bfe_u32 v2, v8, 24, 3
	v_ffbh_u32_e32 v12, v2
	v_min_u32_e32 v12, 32, v12
	v_lshrrev_b32_e32 v6, 27, v8
	v_subrev_u32_e32 v13, 28, v12
	v_and_b32_e32 v3, 0x80000000, v8
	v_and_b32_e32 v6, 15, v6
	v_bfe_u32 v7, v8, 27, 4
	v_lshlrev_b32_sdwa v8, v13, v8 dst_sel:DWORD dst_unused:UNUSED_PAD src0_sel:DWORD src1_sel:BYTE_3
	v_sub_u32_e32 v12, 29, v12
	v_and_b32_e32 v8, 7, v8
	v_cmp_eq_u16_e32 vcc, 0, v6
	v_cndmask_b32_e32 v2, v2, v8, vcc
	v_cndmask_b32_e32 v6, v7, v12, vcc
	v_mov_b32_e32 v7, 0x3b800000
	v_lshlrev_b32_e32 v2, 20, v2
	v_lshl_add_u32 v6, v6, 23, v7
	v_or3_b32 v2, v3, v6, v2
.LBB1_13660:
	s_or_b64 exec, exec, s[6:7]
	s_movk_i32 s4, 0x7f
	v_cmp_gt_i16_sdwa s[6:7], v4, s4 src0_sel:BYTE_3 src1_sel:DWORD
	s_mov_b64 s[4:5], 0
                                        ; implicit-def: $sgpr10
	s_and_saveexec_b64 s[8:9], s[6:7]
	s_xor_b64 s[6:7], exec, s[8:9]
	s_cbranch_execz .LBB1_13661
; %bb.49501:
	s_getpc_b64 s[14:15]
.Lpost_getpc10414:
	s_add_u32 s14, s14, (.LBB1_27997-.Lpost_getpc10414)&4294967295
	s_addc_u32 s15, s15, (.LBB1_27997-.Lpost_getpc10414)>>32
	s_setpc_b64 s[14:15]
.LBB1_13661:
	s_or_saveexec_b64 s[6:7], s[6:7]
	v_mov_b32_e32 v3, s10
	s_xor_b64 exec, exec, s[6:7]
	s_cbranch_execz .LBB1_13662
; %bb.49503:
	s_getpc_b64 s[14:15]
.Lpost_getpc10415:
	s_add_u32 s14, s14, (.LBB1_28000-.Lpost_getpc10415)&4294967295
	s_addc_u32 s15, s15, (.LBB1_28000-.Lpost_getpc10415)>>32
	s_setpc_b64 s[14:15]
.LBB1_13662:
	s_or_b64 exec, exec, s[6:7]
	s_and_saveexec_b64 s[6:7], s[4:5]
	s_cbranch_execz .LBB1_13664
.LBB1_13663:
	v_bfe_u32 v3, v4, 24, 3
	v_ffbh_u32_e32 v12, v3
	v_min_u32_e32 v12, 32, v12
	v_lshrrev_b32_e32 v7, 27, v4
	v_subrev_u32_e32 v13, 28, v12
	v_and_b32_e32 v6, 0x80000000, v4
	v_and_b32_e32 v7, 15, v7
	v_bfe_u32 v8, v4, 27, 4
	v_lshlrev_b32_sdwa v4, v13, v4 dst_sel:DWORD dst_unused:UNUSED_PAD src0_sel:DWORD src1_sel:BYTE_3
	v_sub_u32_e32 v12, 29, v12
	v_and_b32_e32 v4, 7, v4
	v_cmp_eq_u16_e32 vcc, 0, v7
	v_cndmask_b32_e32 v3, v3, v4, vcc
	v_cndmask_b32_e32 v4, v8, v12, vcc
	v_mov_b32_e32 v7, 0x3b800000
	v_lshlrev_b32_e32 v3, 20, v3
	v_lshl_add_u32 v4, v4, 23, v7
	v_or3_b32 v3, v6, v4, v3
.LBB1_13664:
	s_or_b64 exec, exec, s[6:7]
	s_nop 0
	v_mfma_f32_16x16x4f32 a[0:3], v2, v3, a[0:3]
	s_movk_i32 s4, 0x7f
	v_cmp_gt_i16_sdwa s[6:7], v9, s4 src0_sel:BYTE_0 src1_sel:DWORD
	s_mov_b64 s[4:5], 0
                                        ; implicit-def: $sgpr10
	s_and_saveexec_b64 s[8:9], s[6:7]
	s_xor_b64 s[6:7], exec, s[8:9]
	s_cbranch_execz .LBB1_13665
; %bb.49505:
	s_getpc_b64 s[14:15]
.Lpost_getpc10416:
	s_add_u32 s14, s14, (.LBB1_28001-.Lpost_getpc10416)&4294967295
	s_addc_u32 s15, s15, (.LBB1_28001-.Lpost_getpc10416)>>32
	s_setpc_b64 s[14:15]
.LBB1_13665:
	s_or_saveexec_b64 s[6:7], s[6:7]
	v_mov_b32_e32 v2, s10
	s_xor_b64 exec, exec, s[6:7]
	s_cbranch_execz .LBB1_13666
; %bb.49507:
	s_getpc_b64 s[14:15]
.Lpost_getpc10417:
	s_add_u32 s14, s14, (.LBB1_28004-.Lpost_getpc10417)&4294967295
	s_addc_u32 s15, s15, (.LBB1_28004-.Lpost_getpc10417)>>32
	s_setpc_b64 s[14:15]
.LBB1_13666:
	s_or_b64 exec, exec, s[6:7]
	s_and_saveexec_b64 s[6:7], s[4:5]
	s_cbranch_execz .LBB1_13668
.LBB1_13667:
	v_mov_b32_e32 v2, 8
	v_and_b32_e32 v3, 7, v9
	v_lshrrev_b32_sdwa v2, v2, v9 dst_sel:BYTE_1 dst_unused:UNUSED_PAD src0_sel:DWORD src1_sel:DWORD
	v_ffbh_u32_e32 v4, v3
	v_or_b32_sdwa v2, v9, v2 dst_sel:DWORD dst_unused:UNUSED_PAD src0_sel:BYTE_0 src1_sel:DWORD
	v_min_u32_e32 v4, 32, v4
	v_lshrrev_b16_e32 v2, 3, v2
	v_subrev_u32_e32 v6, 28, v4
	v_and_b32_e32 v2, 15, v2
	v_lshlrev_b32_e32 v6, v6, v9
	v_sub_u32_e32 v4, 29, v4
	v_and_b32_e32 v6, 7, v6
	v_cmp_eq_u16_e32 vcc, 0, v2
	v_cndmask_b32_e32 v3, v3, v6, vcc
	v_cndmask_b32_e32 v2, v2, v4, vcc
	v_lshlrev_b32_e32 v4, 24, v9
	v_mov_b32_e32 v6, 0x3b800000
	v_lshlrev_b32_e32 v3, 20, v3
	v_and_b32_e32 v4, 0x80000000, v4
	v_lshl_add_u32 v2, v2, 23, v6
	v_or3_b32 v2, v4, v2, v3
.LBB1_13668:
	s_or_b64 exec, exec, s[6:7]
	s_movk_i32 s4, 0x7f
	v_cmp_gt_i16_sdwa s[6:7], v5, s4 src0_sel:BYTE_0 src1_sel:DWORD
	s_mov_b64 s[4:5], 0
                                        ; implicit-def: $sgpr10
	s_and_saveexec_b64 s[8:9], s[6:7]
	s_xor_b64 s[6:7], exec, s[8:9]
	s_cbranch_execz .LBB1_13669
; %bb.49509:
	s_getpc_b64 s[14:15]
.Lpost_getpc10418:
	s_add_u32 s14, s14, (.LBB1_28005-.Lpost_getpc10418)&4294967295
	s_addc_u32 s15, s15, (.LBB1_28005-.Lpost_getpc10418)>>32
	s_setpc_b64 s[14:15]
.LBB1_13669:
	s_or_saveexec_b64 s[6:7], s[6:7]
	v_mov_b32_e32 v3, s10
	s_xor_b64 exec, exec, s[6:7]
	s_cbranch_execz .LBB1_13670
; %bb.49511:
	s_getpc_b64 s[14:15]
.Lpost_getpc10419:
	s_add_u32 s14, s14, (.LBB1_28008-.Lpost_getpc10419)&4294967295
	s_addc_u32 s15, s15, (.LBB1_28008-.Lpost_getpc10419)>>32
	s_setpc_b64 s[14:15]
.LBB1_13670:
	s_or_b64 exec, exec, s[6:7]
	s_and_saveexec_b64 s[6:7], s[4:5]
	s_cbranch_execz .LBB1_13672
.LBB1_13671:
	v_mov_b32_e32 v3, 8
	v_and_b32_e32 v4, 7, v5
	v_lshrrev_b32_sdwa v3, v3, v5 dst_sel:BYTE_1 dst_unused:UNUSED_PAD src0_sel:DWORD src1_sel:DWORD
	v_ffbh_u32_e32 v6, v4
	v_or_b32_sdwa v3, v5, v3 dst_sel:DWORD dst_unused:UNUSED_PAD src0_sel:BYTE_0 src1_sel:DWORD
	v_min_u32_e32 v6, 32, v6
	v_lshrrev_b16_e32 v3, 3, v3
	v_subrev_u32_e32 v7, 28, v6
	v_and_b32_e32 v3, 15, v3
	v_lshlrev_b32_e32 v7, v7, v5
	v_sub_u32_e32 v6, 29, v6
	v_and_b32_e32 v7, 7, v7
	v_cmp_eq_u16_e32 vcc, 0, v3
	v_cndmask_b32_e32 v4, v4, v7, vcc
	v_cndmask_b32_e32 v3, v3, v6, vcc
	v_lshlrev_b32_e32 v6, 24, v5
	v_mov_b32_e32 v7, 0x3b800000
	v_lshlrev_b32_e32 v4, 20, v4
	v_and_b32_e32 v6, 0x80000000, v6
	v_lshl_add_u32 v3, v3, 23, v7
	v_or3_b32 v3, v6, v3, v4
.LBB1_13672:
	s_or_b64 exec, exec, s[6:7]
	s_nop 0
	v_mfma_f32_16x16x4f32 a[0:3], v2, v3, a[0:3]
	v_lshrrev_b32_e32 v3, 8, v9
	s_movk_i32 s4, 0x7f
	v_cmp_gt_i16_sdwa s[6:7], v3, s4 src0_sel:BYTE_0 src1_sel:DWORD
	s_mov_b64 s[4:5], 0
                                        ; implicit-def: $sgpr10
	s_and_saveexec_b64 s[8:9], s[6:7]
	s_xor_b64 s[6:7], exec, s[8:9]
	s_cbranch_execz .LBB1_13673
; %bb.49513:
	s_getpc_b64 s[14:15]
.Lpost_getpc10420:
	s_add_u32 s14, s14, (.LBB1_28009-.Lpost_getpc10420)&4294967295
	s_addc_u32 s15, s15, (.LBB1_28009-.Lpost_getpc10420)>>32
	s_setpc_b64 s[14:15]
.LBB1_13673:
	s_or_saveexec_b64 s[6:7], s[6:7]
	v_mov_b32_e32 v2, s10
	s_xor_b64 exec, exec, s[6:7]
	s_cbranch_execz .LBB1_13674
; %bb.49515:
	s_getpc_b64 s[14:15]
.Lpost_getpc10421:
	s_add_u32 s14, s14, (.LBB1_28012-.Lpost_getpc10421)&4294967295
	s_addc_u32 s15, s15, (.LBB1_28012-.Lpost_getpc10421)>>32
	s_setpc_b64 s[14:15]
.LBB1_13674:
	s_or_b64 exec, exec, s[6:7]
	s_and_saveexec_b64 s[6:7], s[4:5]
	s_cbranch_execz .LBB1_13676
.LBB1_13675:
	v_bfe_u32 v2, v9, 8, 3
	v_ffbh_u32_e32 v6, v2
	v_min_u32_e32 v6, 32, v6
	v_lshrrev_b16_e32 v4, 3, v3
	v_subrev_u32_e32 v7, 28, v6
	v_and_b32_e32 v4, 15, v4
	v_lshlrev_b32_e32 v3, v7, v3
	v_sub_u32_e32 v6, 29, v6
	v_and_b32_e32 v3, 7, v3
	v_cmp_eq_u16_e32 vcc, 0, v4
	v_cndmask_b32_e32 v2, v2, v3, vcc
	v_cndmask_b32_e32 v3, v4, v6, vcc
	v_lshlrev_b32_e32 v4, 16, v9
	v_mov_b32_e32 v6, 0x3b800000
	v_lshlrev_b32_e32 v2, 20, v2
	v_and_b32_e32 v4, 0x80000000, v4
	v_lshl_add_u32 v3, v3, 23, v6
	v_or3_b32 v2, v4, v3, v2
.LBB1_13676:
	s_or_b64 exec, exec, s[6:7]
	v_lshrrev_b32_e32 v3, 8, v5
	s_movk_i32 s4, 0x7f
	v_cmp_gt_i16_sdwa s[6:7], v3, s4 src0_sel:BYTE_0 src1_sel:DWORD
	s_mov_b64 s[4:5], 0
                                        ; implicit-def: $sgpr10
	s_and_saveexec_b64 s[8:9], s[6:7]
	s_xor_b64 s[6:7], exec, s[8:9]
	s_cbranch_execz .LBB1_13677
; %bb.49517:
	s_getpc_b64 s[14:15]
.Lpost_getpc10422:
	s_add_u32 s14, s14, (.LBB1_28013-.Lpost_getpc10422)&4294967295
	s_addc_u32 s15, s15, (.LBB1_28013-.Lpost_getpc10422)>>32
	s_setpc_b64 s[14:15]
.LBB1_13677:
	s_or_saveexec_b64 s[6:7], s[6:7]
	v_mov_b32_e32 v4, s10
	s_xor_b64 exec, exec, s[6:7]
	s_cbranch_execz .LBB1_13678
; %bb.49519:
	s_getpc_b64 s[14:15]
.Lpost_getpc10423:
	s_add_u32 s14, s14, (.LBB1_28016-.Lpost_getpc10423)&4294967295
	s_addc_u32 s15, s15, (.LBB1_28016-.Lpost_getpc10423)>>32
	s_setpc_b64 s[14:15]
.LBB1_13678:
	s_or_b64 exec, exec, s[6:7]
	s_and_saveexec_b64 s[6:7], s[4:5]
	s_cbranch_execz .LBB1_13680
.LBB1_13679:
	v_bfe_u32 v4, v5, 8, 3
	v_ffbh_u32_e32 v7, v4
	v_min_u32_e32 v7, 32, v7
	v_lshrrev_b16_e32 v6, 3, v3
	v_subrev_u32_e32 v8, 28, v7
	v_and_b32_e32 v6, 15, v6
	v_lshlrev_b32_e32 v3, v8, v3
	v_sub_u32_e32 v7, 29, v7
	v_and_b32_e32 v3, 7, v3
	v_cmp_eq_u16_e32 vcc, 0, v6
	v_cndmask_b32_e32 v3, v4, v3, vcc
	v_cndmask_b32_e32 v4, v6, v7, vcc
	v_lshlrev_b32_e32 v6, 16, v5
	v_mov_b32_e32 v7, 0x3b800000
	v_lshlrev_b32_e32 v3, 20, v3
	v_and_b32_e32 v6, 0x80000000, v6
	v_lshl_add_u32 v4, v4, 23, v7
	v_or3_b32 v4, v6, v4, v3
.LBB1_13680:
	s_or_b64 exec, exec, s[6:7]
	s_nop 0
	v_mfma_f32_16x16x4f32 a[0:3], v2, v4, a[0:3]
	s_movk_i32 s4, 0xff
	v_and_b32_sdwa v3, v9, s4 dst_sel:DWORD dst_unused:UNUSED_PAD src0_sel:WORD_1 src1_sel:DWORD
	s_movk_i32 s4, 0x7f
	v_cmp_lt_i16_e32 vcc, s4, v3
	s_mov_b64 s[4:5], 0
                                        ; implicit-def: $sgpr10
	s_and_saveexec_b64 s[6:7], vcc
	s_xor_b64 s[6:7], exec, s[6:7]
	s_cbranch_execz .LBB1_13681
; %bb.49521:
	s_getpc_b64 s[14:15]
.Lpost_getpc10424:
	s_add_u32 s14, s14, (.LBB1_28017-.Lpost_getpc10424)&4294967295
	s_addc_u32 s15, s15, (.LBB1_28017-.Lpost_getpc10424)>>32
	s_setpc_b64 s[14:15]
.LBB1_13681:
	s_or_saveexec_b64 s[6:7], s[6:7]
	v_mov_b32_e32 v2, s10
	s_xor_b64 exec, exec, s[6:7]
	s_cbranch_execz .LBB1_13682
; %bb.49523:
	s_getpc_b64 s[14:15]
.Lpost_getpc10425:
	s_add_u32 s14, s14, (.LBB1_28020-.Lpost_getpc10425)&4294967295
	s_addc_u32 s15, s15, (.LBB1_28020-.Lpost_getpc10425)>>32
	s_setpc_b64 s[14:15]
.LBB1_13682:
	s_or_b64 exec, exec, s[6:7]
	s_and_saveexec_b64 s[6:7], s[4:5]
	s_cbranch_execz .LBB1_13684
.LBB1_13683:
	v_bfe_u32 v2, v9, 16, 3
	v_ffbh_u32_e32 v6, v2
	v_min_u32_e32 v6, 32, v6
	v_lshrrev_b32_e32 v3, 19, v9
	v_subrev_u32_e32 v7, 28, v6
	v_and_b32_e32 v3, 15, v3
	v_lshlrev_b32_sdwa v7, v7, v9 dst_sel:DWORD dst_unused:UNUSED_PAD src0_sel:DWORD src1_sel:WORD_1
	v_bfe_u32 v4, v9, 19, 4
	v_sub_u32_e32 v6, 29, v6
	v_and_b32_e32 v7, 7, v7
	v_cmp_eq_u16_e32 vcc, 0, v3
	v_cndmask_b32_e32 v2, v2, v7, vcc
	v_cndmask_b32_e32 v3, v4, v6, vcc
	v_lshlrev_b32_e32 v4, 8, v9
	v_mov_b32_e32 v6, 0x3b800000
	v_lshlrev_b32_e32 v2, 20, v2
	v_and_b32_e32 v4, 0x80000000, v4
	v_lshl_add_u32 v3, v3, 23, v6
	v_or3_b32 v2, v4, v3, v2
.LBB1_13684:
	s_or_b64 exec, exec, s[6:7]
	s_movk_i32 s4, 0xff
	v_and_b32_sdwa v3, v5, s4 dst_sel:DWORD dst_unused:UNUSED_PAD src0_sel:WORD_1 src1_sel:DWORD
	s_movk_i32 s4, 0x7f
	v_cmp_lt_i16_e32 vcc, s4, v3
	s_mov_b64 s[4:5], 0
                                        ; implicit-def: $sgpr10
	s_and_saveexec_b64 s[6:7], vcc
	s_xor_b64 s[6:7], exec, s[6:7]
	s_cbranch_execz .LBB1_13685
; %bb.49525:
	s_getpc_b64 s[14:15]
.Lpost_getpc10426:
	s_add_u32 s14, s14, (.LBB1_28021-.Lpost_getpc10426)&4294967295
	s_addc_u32 s15, s15, (.LBB1_28021-.Lpost_getpc10426)>>32
	s_setpc_b64 s[14:15]
.LBB1_13685:
	s_or_saveexec_b64 s[6:7], s[6:7]
	v_mov_b32_e32 v4, s10
	s_xor_b64 exec, exec, s[6:7]
	s_cbranch_execz .LBB1_13686
; %bb.49527:
	s_getpc_b64 s[14:15]
.Lpost_getpc10427:
	s_add_u32 s14, s14, (.LBB1_28024-.Lpost_getpc10427)&4294967295
	s_addc_u32 s15, s15, (.LBB1_28024-.Lpost_getpc10427)>>32
	s_setpc_b64 s[14:15]
.LBB1_13686:
	s_or_b64 exec, exec, s[6:7]
	s_and_saveexec_b64 s[6:7], s[4:5]
	s_cbranch_execz .LBB1_13688
.LBB1_13687:
	v_bfe_u32 v3, v5, 16, 3
	v_ffbh_u32_e32 v7, v3
	v_min_u32_e32 v7, 32, v7
	v_lshrrev_b32_e32 v4, 19, v5
	v_subrev_u32_e32 v8, 28, v7
	v_and_b32_e32 v4, 15, v4
	v_lshlrev_b32_sdwa v8, v8, v5 dst_sel:DWORD dst_unused:UNUSED_PAD src0_sel:DWORD src1_sel:WORD_1
	v_bfe_u32 v6, v5, 19, 4
	v_sub_u32_e32 v7, 29, v7
	v_and_b32_e32 v8, 7, v8
	v_cmp_eq_u16_e32 vcc, 0, v4
	v_cndmask_b32_e32 v3, v3, v8, vcc
	v_cndmask_b32_e32 v4, v6, v7, vcc
	v_lshlrev_b32_e32 v6, 8, v5
	v_mov_b32_e32 v7, 0x3b800000
	v_lshlrev_b32_e32 v3, 20, v3
	v_and_b32_e32 v6, 0x80000000, v6
	v_lshl_add_u32 v4, v4, 23, v7
	v_or3_b32 v4, v6, v4, v3
.LBB1_13688:
	s_or_b64 exec, exec, s[6:7]
	s_nop 0
	v_mfma_f32_16x16x4f32 a[0:3], v2, v4, a[0:3]
	s_movk_i32 s4, 0x7f
	v_cmp_gt_i16_sdwa s[6:7], v9, s4 src0_sel:BYTE_3 src1_sel:DWORD
	s_mov_b64 s[4:5], 0
                                        ; implicit-def: $sgpr10
	s_and_saveexec_b64 s[8:9], s[6:7]
	s_xor_b64 s[6:7], exec, s[8:9]
	s_cbranch_execz .LBB1_13689
; %bb.49529:
	s_getpc_b64 s[14:15]
.Lpost_getpc10428:
	s_add_u32 s14, s14, (.LBB1_28025-.Lpost_getpc10428)&4294967295
	s_addc_u32 s15, s15, (.LBB1_28025-.Lpost_getpc10428)>>32
	s_setpc_b64 s[14:15]
.LBB1_13689:
	s_or_saveexec_b64 s[6:7], s[6:7]
	v_mov_b32_e32 v2, s10
	s_xor_b64 exec, exec, s[6:7]
	s_cbranch_execz .LBB1_13690
; %bb.49531:
	s_getpc_b64 s[14:15]
.Lpost_getpc10429:
	s_add_u32 s14, s14, (.LBB1_28028-.Lpost_getpc10429)&4294967295
	s_addc_u32 s15, s15, (.LBB1_28028-.Lpost_getpc10429)>>32
	s_setpc_b64 s[14:15]
.LBB1_13690:
	s_or_b64 exec, exec, s[6:7]
	s_and_saveexec_b64 s[6:7], s[4:5]
	s_cbranch_execz .LBB1_13692
.LBB1_13691:
	v_bfe_u32 v2, v9, 24, 3
	v_ffbh_u32_e32 v7, v2
	v_min_u32_e32 v7, 32, v7
	v_lshrrev_b32_e32 v4, 27, v9
	v_subrev_u32_e32 v8, 28, v7
	v_and_b32_e32 v4, 15, v4
	v_lshlrev_b32_sdwa v8, v8, v9 dst_sel:DWORD dst_unused:UNUSED_PAD src0_sel:DWORD src1_sel:BYTE_3
	v_bfe_u32 v6, v9, 27, 4
	v_sub_u32_e32 v7, 29, v7
	v_and_b32_e32 v8, 7, v8
	v_cmp_eq_u16_e32 vcc, 0, v4
	v_cndmask_b32_e32 v2, v2, v8, vcc
	v_cndmask_b32_e32 v4, v6, v7, vcc
	v_mov_b32_e32 v6, 0x3b800000
	v_and_b32_e32 v3, 0x80000000, v9
	v_lshlrev_b32_e32 v2, 20, v2
	v_lshl_add_u32 v4, v4, 23, v6
	v_or3_b32 v2, v3, v4, v2
.LBB1_13692:
	s_or_b64 exec, exec, s[6:7]
	s_movk_i32 s4, 0x7f
	v_cmp_gt_i16_sdwa s[6:7], v5, s4 src0_sel:BYTE_3 src1_sel:DWORD
	s_mov_b64 s[4:5], 0
                                        ; implicit-def: $sgpr10
	s_and_saveexec_b64 s[8:9], s[6:7]
	s_xor_b64 s[6:7], exec, s[8:9]
	s_cbranch_execz .LBB1_13693
; %bb.49533:
	s_getpc_b64 s[14:15]
.Lpost_getpc10430:
	s_add_u32 s14, s14, (.LBB1_28029-.Lpost_getpc10430)&4294967295
	s_addc_u32 s15, s15, (.LBB1_28029-.Lpost_getpc10430)>>32
	s_setpc_b64 s[14:15]
.LBB1_13693:
	s_or_saveexec_b64 s[6:7], s[6:7]
	v_mov_b32_e32 v3, s10
	s_xor_b64 exec, exec, s[6:7]
	s_cbranch_execz .LBB1_13694
; %bb.49535:
	s_getpc_b64 s[14:15]
.Lpost_getpc10431:
	s_add_u32 s14, s14, (.LBB1_28032-.Lpost_getpc10431)&4294967295
	s_addc_u32 s15, s15, (.LBB1_28032-.Lpost_getpc10431)>>32
	s_setpc_b64 s[14:15]
.LBB1_13694:
	s_or_b64 exec, exec, s[6:7]
	s_and_saveexec_b64 s[6:7], s[4:5]
	s_cbranch_execz .LBB1_13696
.LBB1_13695:
	v_bfe_u32 v3, v5, 24, 3
	v_ffbh_u32_e32 v8, v3
	v_min_u32_e32 v8, 32, v8
	v_lshrrev_b32_e32 v6, 27, v5
	v_subrev_u32_e32 v9, 28, v8
	v_and_b32_e32 v4, 0x80000000, v5
	v_and_b32_e32 v6, 15, v6
	v_bfe_u32 v7, v5, 27, 4
	v_lshlrev_b32_sdwa v5, v9, v5 dst_sel:DWORD dst_unused:UNUSED_PAD src0_sel:DWORD src1_sel:BYTE_3
	v_sub_u32_e32 v8, 29, v8
	v_and_b32_e32 v5, 7, v5
	v_cmp_eq_u16_e32 vcc, 0, v6
	v_cndmask_b32_e32 v3, v3, v5, vcc
	v_cndmask_b32_e32 v5, v7, v8, vcc
	v_mov_b32_e32 v6, 0x3b800000
	v_lshlrev_b32_e32 v3, 20, v3
	v_lshl_add_u32 v5, v5, 23, v6
	v_or3_b32 v3, v4, v5, v3
.LBB1_13696:
	s_or_b64 exec, exec, s[6:7]
	s_nop 0
	v_mfma_f32_16x16x4f32 a[0:3], v2, v3, a[0:3]
	s_movk_i32 s4, 0x7f
                                        ; implicit-def: $sgpr10
	s_nop 7
	s_nop 1
	flat_store_dwordx4 v[10:11], a[0:3] offset:800
	flat_load_dwordx4 v[12:15], v[0:1]
	s_nop 0
	flat_load_dwordx2 v[10:11], v[0:1] offset:16
	s_waitcnt vmcnt(0) lgkmcnt(0)
	flat_load_dwordx4 v[6:9], v[12:13] offset:208
	flat_load_dwordx4 v[2:5], v[14:15] offset:176
	s_waitcnt vmcnt(0) lgkmcnt(0)
	v_cmp_gt_i16_sdwa s[6:7], v6, s4 src0_sel:BYTE_0 src1_sel:DWORD
	s_mov_b64 s[4:5], 0
	s_and_saveexec_b64 s[8:9], s[6:7]
	s_xor_b64 s[6:7], exec, s[8:9]
	s_cbranch_execz .LBB1_13697
; %bb.49537:
	s_getpc_b64 s[14:15]
.Lpost_getpc10432:
	s_add_u32 s14, s14, (.LBB1_28033-.Lpost_getpc10432)&4294967295
	s_addc_u32 s15, s15, (.LBB1_28033-.Lpost_getpc10432)>>32
	s_setpc_b64 s[14:15]
.LBB1_13697:
	s_or_saveexec_b64 s[6:7], s[6:7]
	v_mov_b32_e32 v12, s10
	s_xor_b64 exec, exec, s[6:7]
	s_cbranch_execz .LBB1_13698
; %bb.49539:
	s_getpc_b64 s[14:15]
.Lpost_getpc10433:
	s_add_u32 s14, s14, (.LBB1_28036-.Lpost_getpc10433)&4294967295
	s_addc_u32 s15, s15, (.LBB1_28036-.Lpost_getpc10433)>>32
	s_setpc_b64 s[14:15]
.LBB1_13698:
	s_or_b64 exec, exec, s[6:7]
	s_and_saveexec_b64 s[6:7], s[4:5]
	s_cbranch_execz .LBB1_13700
.LBB1_13699:
	v_and_b32_e32 v12, 7, v6
	v_ffbh_u32_e32 v14, v12
	v_min_u32_e32 v14, 32, v14
	v_lshrrev_b16_e32 v13, 3, v6
	v_subrev_u32_e32 v15, 28, v14
	v_and_b32_e32 v13, 15, v13
	v_lshlrev_b32_e32 v15, v15, v6
	v_sub_u32_e32 v14, 29, v14
	v_and_b32_e32 v15, 7, v15
	v_cmp_eq_u16_e32 vcc, 0, v13
	v_cndmask_b32_e32 v12, v12, v15, vcc
	v_cndmask_b32_e32 v13, v13, v14, vcc
	v_lshlrev_b32_e32 v14, 24, v6
	v_mov_b32_e32 v15, 0x3b800000
	v_lshlrev_b32_e32 v12, 20, v12
	v_and_b32_e32 v14, 0x80000000, v14
	v_lshl_add_u32 v13, v13, 23, v15
	v_or3_b32 v12, v14, v13, v12
.LBB1_13700:
	s_or_b64 exec, exec, s[6:7]
	s_movk_i32 s4, 0x7f
	v_cmp_gt_i16_sdwa s[6:7], v2, s4 src0_sel:BYTE_0 src1_sel:DWORD
	s_mov_b64 s[4:5], 0
                                        ; implicit-def: $sgpr10
	s_and_saveexec_b64 s[8:9], s[6:7]
	s_xor_b64 s[6:7], exec, s[8:9]
	s_cbranch_execz .LBB1_13701
; %bb.49541:
	s_getpc_b64 s[14:15]
.Lpost_getpc10434:
	s_add_u32 s14, s14, (.LBB1_28037-.Lpost_getpc10434)&4294967295
	s_addc_u32 s15, s15, (.LBB1_28037-.Lpost_getpc10434)>>32
	s_setpc_b64 s[14:15]
.LBB1_13701:
	s_or_saveexec_b64 s[6:7], s[6:7]
	v_mov_b32_e32 v13, s10
	s_xor_b64 exec, exec, s[6:7]
	s_cbranch_execz .LBB1_13702
; %bb.49543:
	s_getpc_b64 s[14:15]
.Lpost_getpc10435:
	s_add_u32 s14, s14, (.LBB1_28040-.Lpost_getpc10435)&4294967295
	s_addc_u32 s15, s15, (.LBB1_28040-.Lpost_getpc10435)>>32
	s_setpc_b64 s[14:15]
.LBB1_13702:
	s_or_b64 exec, exec, s[6:7]
	s_and_saveexec_b64 s[6:7], s[4:5]
	s_cbranch_execz .LBB1_13704
.LBB1_13703:
	v_and_b32_e32 v13, 7, v2
	v_ffbh_u32_e32 v15, v13
	v_min_u32_e32 v15, 32, v15
	v_lshrrev_b16_e32 v14, 3, v2
	v_subrev_u32_e32 v16, 28, v15
	v_and_b32_e32 v14, 15, v14
	v_lshlrev_b32_e32 v16, v16, v2
	v_sub_u32_e32 v15, 29, v15
	v_and_b32_e32 v16, 7, v16
	v_cmp_eq_u16_e32 vcc, 0, v14
	v_cndmask_b32_e32 v13, v13, v16, vcc
	v_cndmask_b32_e32 v14, v14, v15, vcc
	v_lshlrev_b32_e32 v15, 24, v2
	v_mov_b32_e32 v16, 0x3b800000
	v_lshlrev_b32_e32 v13, 20, v13
	v_and_b32_e32 v15, 0x80000000, v15
	v_lshl_add_u32 v14, v14, 23, v16
	v_or3_b32 v13, v15, v14, v13
.LBB1_13704:
	s_or_b64 exec, exec, s[6:7]
	flat_load_dwordx4 a[0:3], v[10:11] offset:816
	s_movk_i32 s4, 0x7f
                                        ; implicit-def: $sgpr10
	s_waitcnt vmcnt(0) lgkmcnt(0)
	v_mfma_f32_16x16x4f32 a[0:3], v12, v13, a[0:3]
	v_lshrrev_b32_e32 v13, 8, v6
	v_cmp_gt_i16_sdwa s[6:7], v13, s4 src0_sel:BYTE_0 src1_sel:DWORD
	s_mov_b64 s[4:5], 0
	s_and_saveexec_b64 s[8:9], s[6:7]
	s_xor_b64 s[6:7], exec, s[8:9]
	s_cbranch_execz .LBB1_13705
; %bb.49545:
	s_getpc_b64 s[14:15]
.Lpost_getpc10436:
	s_add_u32 s14, s14, (.LBB1_28041-.Lpost_getpc10436)&4294967295
	s_addc_u32 s15, s15, (.LBB1_28041-.Lpost_getpc10436)>>32
	s_setpc_b64 s[14:15]
.LBB1_13705:
	s_or_saveexec_b64 s[6:7], s[6:7]
	v_mov_b32_e32 v12, s10
	s_xor_b64 exec, exec, s[6:7]
	s_cbranch_execz .LBB1_13706
; %bb.49547:
	s_getpc_b64 s[14:15]
.Lpost_getpc10437:
	s_add_u32 s14, s14, (.LBB1_28044-.Lpost_getpc10437)&4294967295
	s_addc_u32 s15, s15, (.LBB1_28044-.Lpost_getpc10437)>>32
	s_setpc_b64 s[14:15]
.LBB1_13706:
	s_or_b64 exec, exec, s[6:7]
	s_and_saveexec_b64 s[6:7], s[4:5]
	s_cbranch_execz .LBB1_13708
.LBB1_13707:
	v_bfe_u32 v12, v6, 8, 3
	v_ffbh_u32_e32 v15, v12
	v_min_u32_e32 v15, 32, v15
	v_lshrrev_b16_e32 v14, 3, v13
	v_subrev_u32_e32 v16, 28, v15
	v_and_b32_e32 v14, 15, v14
	v_lshlrev_b32_e32 v13, v16, v13
	v_sub_u32_e32 v15, 29, v15
	v_and_b32_e32 v13, 7, v13
	v_cmp_eq_u16_e32 vcc, 0, v14
	v_cndmask_b32_e32 v12, v12, v13, vcc
	v_cndmask_b32_e32 v13, v14, v15, vcc
	v_lshlrev_b32_e32 v14, 16, v6
	v_mov_b32_e32 v15, 0x3b800000
	v_lshlrev_b32_e32 v12, 20, v12
	v_and_b32_e32 v14, 0x80000000, v14
	v_lshl_add_u32 v13, v13, 23, v15
	v_or3_b32 v12, v14, v13, v12
.LBB1_13708:
	s_or_b64 exec, exec, s[6:7]
	v_lshrrev_b32_e32 v13, 8, v2
	s_movk_i32 s4, 0x7f
	v_cmp_gt_i16_sdwa s[6:7], v13, s4 src0_sel:BYTE_0 src1_sel:DWORD
	s_mov_b64 s[4:5], 0
                                        ; implicit-def: $sgpr10
	s_and_saveexec_b64 s[8:9], s[6:7]
	s_xor_b64 s[6:7], exec, s[8:9]
	s_cbranch_execz .LBB1_13709
; %bb.49549:
	s_getpc_b64 s[14:15]
.Lpost_getpc10438:
	s_add_u32 s14, s14, (.LBB1_28045-.Lpost_getpc10438)&4294967295
	s_addc_u32 s15, s15, (.LBB1_28045-.Lpost_getpc10438)>>32
	s_setpc_b64 s[14:15]
.LBB1_13709:
	s_or_saveexec_b64 s[6:7], s[6:7]
	v_mov_b32_e32 v14, s10
	s_xor_b64 exec, exec, s[6:7]
	s_cbranch_execz .LBB1_13710
; %bb.49551:
	s_getpc_b64 s[14:15]
.Lpost_getpc10439:
	s_add_u32 s14, s14, (.LBB1_28048-.Lpost_getpc10439)&4294967295
	s_addc_u32 s15, s15, (.LBB1_28048-.Lpost_getpc10439)>>32
	s_setpc_b64 s[14:15]
.LBB1_13710:
	s_or_b64 exec, exec, s[6:7]
	s_and_saveexec_b64 s[6:7], s[4:5]
	s_cbranch_execz .LBB1_13712
.LBB1_13711:
	v_bfe_u32 v14, v2, 8, 3
	v_ffbh_u32_e32 v16, v14
	v_min_u32_e32 v16, 32, v16
	v_lshrrev_b16_e32 v15, 3, v13
	v_subrev_u32_e32 v17, 28, v16
	v_and_b32_e32 v15, 15, v15
	v_lshlrev_b32_e32 v13, v17, v13
	v_sub_u32_e32 v16, 29, v16
	v_and_b32_e32 v13, 7, v13
	v_cmp_eq_u16_e32 vcc, 0, v15
	v_cndmask_b32_e32 v13, v14, v13, vcc
	v_cndmask_b32_e32 v14, v15, v16, vcc
	v_lshlrev_b32_e32 v15, 16, v2
	v_mov_b32_e32 v16, 0x3b800000
	v_lshlrev_b32_e32 v13, 20, v13
	v_and_b32_e32 v15, 0x80000000, v15
	v_lshl_add_u32 v14, v14, 23, v16
	v_or3_b32 v14, v15, v14, v13
.LBB1_13712:
	s_or_b64 exec, exec, s[6:7]
	s_nop 0
	v_mfma_f32_16x16x4f32 a[0:3], v12, v14, a[0:3]
	s_movk_i32 s4, 0xff
	v_and_b32_sdwa v13, v6, s4 dst_sel:DWORD dst_unused:UNUSED_PAD src0_sel:WORD_1 src1_sel:DWORD
	s_movk_i32 s4, 0x7f
	v_cmp_lt_i16_e32 vcc, s4, v13
	s_mov_b64 s[4:5], 0
                                        ; implicit-def: $sgpr10
	s_and_saveexec_b64 s[6:7], vcc
	s_xor_b64 s[6:7], exec, s[6:7]
	s_cbranch_execz .LBB1_13713
; %bb.49553:
	s_getpc_b64 s[14:15]
.Lpost_getpc10440:
	s_add_u32 s14, s14, (.LBB1_28049-.Lpost_getpc10440)&4294967295
	s_addc_u32 s15, s15, (.LBB1_28049-.Lpost_getpc10440)>>32
	s_setpc_b64 s[14:15]
.LBB1_13713:
	s_or_saveexec_b64 s[6:7], s[6:7]
	v_mov_b32_e32 v12, s10
	s_xor_b64 exec, exec, s[6:7]
	s_cbranch_execz .LBB1_13714
; %bb.49555:
	s_getpc_b64 s[14:15]
.Lpost_getpc10441:
	s_add_u32 s14, s14, (.LBB1_28052-.Lpost_getpc10441)&4294967295
	s_addc_u32 s15, s15, (.LBB1_28052-.Lpost_getpc10441)>>32
	s_setpc_b64 s[14:15]
.LBB1_13714:
	s_or_b64 exec, exec, s[6:7]
	s_and_saveexec_b64 s[6:7], s[4:5]
	s_cbranch_execz .LBB1_13716
.LBB1_13715:
	v_bfe_u32 v12, v6, 16, 3
	v_ffbh_u32_e32 v15, v12
	v_min_u32_e32 v15, 32, v15
	v_lshrrev_b32_e32 v13, 19, v6
	v_subrev_u32_e32 v16, 28, v15
	v_and_b32_e32 v13, 15, v13
	v_lshlrev_b32_sdwa v16, v16, v6 dst_sel:DWORD dst_unused:UNUSED_PAD src0_sel:DWORD src1_sel:WORD_1
	v_bfe_u32 v14, v6, 19, 4
	v_sub_u32_e32 v15, 29, v15
	v_and_b32_e32 v16, 7, v16
	v_cmp_eq_u16_e32 vcc, 0, v13
	v_cndmask_b32_e32 v12, v12, v16, vcc
	v_cndmask_b32_e32 v13, v14, v15, vcc
	v_lshlrev_b32_e32 v14, 8, v6
	v_mov_b32_e32 v15, 0x3b800000
	v_lshlrev_b32_e32 v12, 20, v12
	v_and_b32_e32 v14, 0x80000000, v14
	v_lshl_add_u32 v13, v13, 23, v15
	v_or3_b32 v12, v14, v13, v12
.LBB1_13716:
	s_or_b64 exec, exec, s[6:7]
	s_movk_i32 s4, 0xff
	v_and_b32_sdwa v13, v2, s4 dst_sel:DWORD dst_unused:UNUSED_PAD src0_sel:WORD_1 src1_sel:DWORD
	s_movk_i32 s4, 0x7f
	v_cmp_lt_i16_e32 vcc, s4, v13
	s_mov_b64 s[4:5], 0
                                        ; implicit-def: $sgpr10
	s_and_saveexec_b64 s[6:7], vcc
	s_xor_b64 s[6:7], exec, s[6:7]
	s_cbranch_execz .LBB1_13717
; %bb.49557:
	s_getpc_b64 s[14:15]
.Lpost_getpc10442:
	s_add_u32 s14, s14, (.LBB1_28053-.Lpost_getpc10442)&4294967295
	s_addc_u32 s15, s15, (.LBB1_28053-.Lpost_getpc10442)>>32
	s_setpc_b64 s[14:15]
.LBB1_13717:
	s_or_saveexec_b64 s[6:7], s[6:7]
	v_mov_b32_e32 v14, s10
	s_xor_b64 exec, exec, s[6:7]
	s_cbranch_execz .LBB1_13718
; %bb.49559:
	s_getpc_b64 s[14:15]
.Lpost_getpc10443:
	s_add_u32 s14, s14, (.LBB1_28056-.Lpost_getpc10443)&4294967295
	s_addc_u32 s15, s15, (.LBB1_28056-.Lpost_getpc10443)>>32
	s_setpc_b64 s[14:15]
.LBB1_13718:
	s_or_b64 exec, exec, s[6:7]
	s_and_saveexec_b64 s[6:7], s[4:5]
	s_cbranch_execz .LBB1_13720
.LBB1_13719:
	v_bfe_u32 v13, v2, 16, 3
	v_ffbh_u32_e32 v16, v13
	v_min_u32_e32 v16, 32, v16
	v_lshrrev_b32_e32 v14, 19, v2
	v_subrev_u32_e32 v17, 28, v16
	v_and_b32_e32 v14, 15, v14
	v_lshlrev_b32_sdwa v17, v17, v2 dst_sel:DWORD dst_unused:UNUSED_PAD src0_sel:DWORD src1_sel:WORD_1
	v_bfe_u32 v15, v2, 19, 4
	v_sub_u32_e32 v16, 29, v16
	v_and_b32_e32 v17, 7, v17
	v_cmp_eq_u16_e32 vcc, 0, v14
	v_cndmask_b32_e32 v13, v13, v17, vcc
	v_cndmask_b32_e32 v14, v15, v16, vcc
	v_lshlrev_b32_e32 v15, 8, v2
	v_mov_b32_e32 v16, 0x3b800000
	v_lshlrev_b32_e32 v13, 20, v13
	v_and_b32_e32 v15, 0x80000000, v15
	v_lshl_add_u32 v14, v14, 23, v16
	v_or3_b32 v14, v15, v14, v13
.LBB1_13720:
	s_or_b64 exec, exec, s[6:7]
	s_nop 0
	v_mfma_f32_16x16x4f32 a[0:3], v12, v14, a[0:3]
	s_movk_i32 s4, 0x7f
	v_cmp_gt_i16_sdwa s[6:7], v6, s4 src0_sel:BYTE_3 src1_sel:DWORD
	s_mov_b64 s[4:5], 0
                                        ; implicit-def: $sgpr10
	s_and_saveexec_b64 s[8:9], s[6:7]
	s_xor_b64 s[6:7], exec, s[8:9]
	s_cbranch_execz .LBB1_13721
; %bb.49561:
	s_getpc_b64 s[14:15]
.Lpost_getpc10444:
	s_add_u32 s14, s14, (.LBB1_28057-.Lpost_getpc10444)&4294967295
	s_addc_u32 s15, s15, (.LBB1_28057-.Lpost_getpc10444)>>32
	s_setpc_b64 s[14:15]
.LBB1_13721:
	s_or_saveexec_b64 s[6:7], s[6:7]
	v_mov_b32_e32 v12, s10
	s_xor_b64 exec, exec, s[6:7]
	s_cbranch_execz .LBB1_13722
; %bb.49563:
	s_getpc_b64 s[14:15]
.Lpost_getpc10445:
	s_add_u32 s14, s14, (.LBB1_28060-.Lpost_getpc10445)&4294967295
	s_addc_u32 s15, s15, (.LBB1_28060-.Lpost_getpc10445)>>32
	s_setpc_b64 s[14:15]
.LBB1_13722:
	s_or_b64 exec, exec, s[6:7]
	s_and_saveexec_b64 s[6:7], s[4:5]
	s_cbranch_execz .LBB1_13724
.LBB1_13723:
	v_bfe_u32 v12, v6, 24, 3
	v_ffbh_u32_e32 v16, v12
	v_min_u32_e32 v16, 32, v16
	v_lshrrev_b32_e32 v14, 27, v6
	v_subrev_u32_e32 v17, 28, v16
	v_and_b32_e32 v13, 0x80000000, v6
	v_and_b32_e32 v14, 15, v14
	v_bfe_u32 v15, v6, 27, 4
	v_lshlrev_b32_sdwa v6, v17, v6 dst_sel:DWORD dst_unused:UNUSED_PAD src0_sel:DWORD src1_sel:BYTE_3
	v_sub_u32_e32 v16, 29, v16
	v_and_b32_e32 v6, 7, v6
	v_cmp_eq_u16_e32 vcc, 0, v14
	v_cndmask_b32_e32 v6, v12, v6, vcc
	v_cndmask_b32_e32 v12, v15, v16, vcc
	v_mov_b32_e32 v14, 0x3b800000
	v_lshlrev_b32_e32 v6, 20, v6
	v_lshl_add_u32 v12, v12, 23, v14
	v_or3_b32 v12, v13, v12, v6
.LBB1_13724:
	s_or_b64 exec, exec, s[6:7]
	s_movk_i32 s4, 0x7f
	v_cmp_gt_i16_sdwa s[6:7], v2, s4 src0_sel:BYTE_3 src1_sel:DWORD
	s_mov_b64 s[4:5], 0
                                        ; implicit-def: $sgpr10
	s_and_saveexec_b64 s[8:9], s[6:7]
	s_xor_b64 s[6:7], exec, s[8:9]
	s_cbranch_execz .LBB1_13725
; %bb.49565:
	s_getpc_b64 s[14:15]
.Lpost_getpc10446:
	s_add_u32 s14, s14, (.LBB1_28061-.Lpost_getpc10446)&4294967295
	s_addc_u32 s15, s15, (.LBB1_28061-.Lpost_getpc10446)>>32
	s_setpc_b64 s[14:15]
.LBB1_13725:
	s_or_saveexec_b64 s[6:7], s[6:7]
	v_mov_b32_e32 v6, s10
	s_xor_b64 exec, exec, s[6:7]
	s_cbranch_execz .LBB1_13726
; %bb.49567:
	s_getpc_b64 s[14:15]
.Lpost_getpc10447:
	s_add_u32 s14, s14, (.LBB1_28064-.Lpost_getpc10447)&4294967295
	s_addc_u32 s15, s15, (.LBB1_28064-.Lpost_getpc10447)>>32
	s_setpc_b64 s[14:15]
.LBB1_13726:
	s_or_b64 exec, exec, s[6:7]
	s_and_saveexec_b64 s[6:7], s[4:5]
	s_cbranch_execz .LBB1_13728
.LBB1_13727:
	v_bfe_u32 v6, v2, 24, 3
	v_ffbh_u32_e32 v16, v6
	v_min_u32_e32 v16, 32, v16
	v_lshrrev_b32_e32 v14, 27, v2
	v_subrev_u32_e32 v17, 28, v16
	v_and_b32_e32 v13, 0x80000000, v2
	v_and_b32_e32 v14, 15, v14
	v_bfe_u32 v15, v2, 27, 4
	v_lshlrev_b32_sdwa v2, v17, v2 dst_sel:DWORD dst_unused:UNUSED_PAD src0_sel:DWORD src1_sel:BYTE_3
	v_sub_u32_e32 v16, 29, v16
	v_and_b32_e32 v2, 7, v2
	v_cmp_eq_u16_e32 vcc, 0, v14
	v_cndmask_b32_e32 v2, v6, v2, vcc
	v_cndmask_b32_e32 v6, v15, v16, vcc
	v_mov_b32_e32 v14, 0x3b800000
	v_lshlrev_b32_e32 v2, 20, v2
	v_lshl_add_u32 v6, v6, 23, v14
	v_or3_b32 v6, v13, v6, v2
.LBB1_13728:
	s_or_b64 exec, exec, s[6:7]
	s_nop 0
	v_mfma_f32_16x16x4f32 a[0:3], v12, v6, a[0:3]
	s_movk_i32 s4, 0x7f
	v_cmp_gt_i16_sdwa s[6:7], v7, s4 src0_sel:BYTE_0 src1_sel:DWORD
	s_mov_b64 s[4:5], 0
                                        ; implicit-def: $sgpr10
	s_and_saveexec_b64 s[8:9], s[6:7]
	s_xor_b64 s[6:7], exec, s[8:9]
	s_cbranch_execz .LBB1_13729
; %bb.49569:
	s_getpc_b64 s[14:15]
.Lpost_getpc10448:
	s_add_u32 s14, s14, (.LBB1_28065-.Lpost_getpc10448)&4294967295
	s_addc_u32 s15, s15, (.LBB1_28065-.Lpost_getpc10448)>>32
	s_setpc_b64 s[14:15]
.LBB1_13729:
	s_or_saveexec_b64 s[6:7], s[6:7]
	v_mov_b32_e32 v2, s10
	s_xor_b64 exec, exec, s[6:7]
	s_cbranch_execz .LBB1_13730
; %bb.49571:
	s_getpc_b64 s[14:15]
.Lpost_getpc10449:
	s_add_u32 s14, s14, (.LBB1_28068-.Lpost_getpc10449)&4294967295
	s_addc_u32 s15, s15, (.LBB1_28068-.Lpost_getpc10449)>>32
	s_setpc_b64 s[14:15]
.LBB1_13730:
	s_or_b64 exec, exec, s[6:7]
	s_and_saveexec_b64 s[6:7], s[4:5]
	s_cbranch_execz .LBB1_13732
.LBB1_13731:
	v_and_b32_e32 v2, 7, v7
	v_ffbh_u32_e32 v12, v2
	v_min_u32_e32 v12, 32, v12
	v_lshrrev_b16_e32 v6, 3, v7
	v_subrev_u32_e32 v13, 28, v12
	v_and_b32_e32 v6, 15, v6
	v_lshlrev_b32_e32 v13, v13, v7
	v_sub_u32_e32 v12, 29, v12
	v_and_b32_e32 v13, 7, v13
	v_cmp_eq_u16_e32 vcc, 0, v6
	v_cndmask_b32_e32 v2, v2, v13, vcc
	v_cndmask_b32_e32 v6, v6, v12, vcc
	v_lshlrev_b32_e32 v12, 24, v7
	v_mov_b32_e32 v13, 0x3b800000
	v_lshlrev_b32_e32 v2, 20, v2
	v_and_b32_e32 v12, 0x80000000, v12
	v_lshl_add_u32 v6, v6, 23, v13
	v_or3_b32 v2, v12, v6, v2
.LBB1_13732:
	s_or_b64 exec, exec, s[6:7]
	s_movk_i32 s4, 0x7f
	v_cmp_gt_i16_sdwa s[6:7], v3, s4 src0_sel:BYTE_0 src1_sel:DWORD
	s_mov_b64 s[4:5], 0
                                        ; implicit-def: $sgpr10
	s_and_saveexec_b64 s[8:9], s[6:7]
	s_xor_b64 s[6:7], exec, s[8:9]
	s_cbranch_execz .LBB1_13733
; %bb.49573:
	s_getpc_b64 s[14:15]
.Lpost_getpc10450:
	s_add_u32 s14, s14, (.LBB1_28069-.Lpost_getpc10450)&4294967295
	s_addc_u32 s15, s15, (.LBB1_28069-.Lpost_getpc10450)>>32
	s_setpc_b64 s[14:15]
.LBB1_13733:
	s_or_saveexec_b64 s[6:7], s[6:7]
	v_mov_b32_e32 v6, s10
	s_xor_b64 exec, exec, s[6:7]
	s_cbranch_execz .LBB1_13734
; %bb.49575:
	s_getpc_b64 s[14:15]
.Lpost_getpc10451:
	s_add_u32 s14, s14, (.LBB1_28072-.Lpost_getpc10451)&4294967295
	s_addc_u32 s15, s15, (.LBB1_28072-.Lpost_getpc10451)>>32
	s_setpc_b64 s[14:15]
.LBB1_13734:
	s_or_b64 exec, exec, s[6:7]
	s_and_saveexec_b64 s[6:7], s[4:5]
	s_cbranch_execz .LBB1_13736
.LBB1_13735:
	v_and_b32_e32 v6, 7, v3
	v_ffbh_u32_e32 v13, v6
	v_min_u32_e32 v13, 32, v13
	v_lshrrev_b16_e32 v12, 3, v3
	v_subrev_u32_e32 v14, 28, v13
	v_and_b32_e32 v12, 15, v12
	v_lshlrev_b32_e32 v14, v14, v3
	v_sub_u32_e32 v13, 29, v13
	v_and_b32_e32 v14, 7, v14
	v_cmp_eq_u16_e32 vcc, 0, v12
	v_cndmask_b32_e32 v6, v6, v14, vcc
	v_cndmask_b32_e32 v12, v12, v13, vcc
	v_lshlrev_b32_e32 v13, 24, v3
	v_mov_b32_e32 v14, 0x3b800000
	v_lshlrev_b32_e32 v6, 20, v6
	v_and_b32_e32 v13, 0x80000000, v13
	v_lshl_add_u32 v12, v12, 23, v14
	v_or3_b32 v6, v13, v12, v6
.LBB1_13736:
	s_or_b64 exec, exec, s[6:7]
	s_nop 0
	v_mfma_f32_16x16x4f32 a[0:3], v2, v6, a[0:3]
	v_lshrrev_b32_e32 v6, 8, v7
	s_movk_i32 s4, 0x7f
	v_cmp_gt_i16_sdwa s[6:7], v6, s4 src0_sel:BYTE_0 src1_sel:DWORD
	s_mov_b64 s[4:5], 0
                                        ; implicit-def: $sgpr10
	s_and_saveexec_b64 s[8:9], s[6:7]
	s_xor_b64 s[6:7], exec, s[8:9]
	s_cbranch_execz .LBB1_13737
; %bb.49577:
	s_getpc_b64 s[14:15]
.Lpost_getpc10452:
	s_add_u32 s14, s14, (.LBB1_28073-.Lpost_getpc10452)&4294967295
	s_addc_u32 s15, s15, (.LBB1_28073-.Lpost_getpc10452)>>32
	s_setpc_b64 s[14:15]
.LBB1_13737:
	s_or_saveexec_b64 s[6:7], s[6:7]
	v_mov_b32_e32 v2, s10
	s_xor_b64 exec, exec, s[6:7]
	s_cbranch_execz .LBB1_13738
; %bb.49579:
	s_getpc_b64 s[14:15]
.Lpost_getpc10453:
	s_add_u32 s14, s14, (.LBB1_28076-.Lpost_getpc10453)&4294967295
	s_addc_u32 s15, s15, (.LBB1_28076-.Lpost_getpc10453)>>32
	s_setpc_b64 s[14:15]
.LBB1_13738:
	s_or_b64 exec, exec, s[6:7]
	s_and_saveexec_b64 s[6:7], s[4:5]
	s_cbranch_execz .LBB1_13740
.LBB1_13739:
	v_bfe_u32 v2, v7, 8, 3
	v_ffbh_u32_e32 v13, v2
	v_min_u32_e32 v13, 32, v13
	v_lshrrev_b16_e32 v12, 3, v6
	v_subrev_u32_e32 v14, 28, v13
	v_and_b32_e32 v12, 15, v12
	v_lshlrev_b32_e32 v6, v14, v6
	v_sub_u32_e32 v13, 29, v13
	v_and_b32_e32 v6, 7, v6
	v_cmp_eq_u16_e32 vcc, 0, v12
	v_cndmask_b32_e32 v2, v2, v6, vcc
	v_cndmask_b32_e32 v6, v12, v13, vcc
	v_lshlrev_b32_e32 v12, 16, v7
	v_mov_b32_e32 v13, 0x3b800000
	v_lshlrev_b32_e32 v2, 20, v2
	v_and_b32_e32 v12, 0x80000000, v12
	v_lshl_add_u32 v6, v6, 23, v13
	v_or3_b32 v2, v12, v6, v2
.LBB1_13740:
	s_or_b64 exec, exec, s[6:7]
	v_lshrrev_b32_e32 v6, 8, v3
	s_movk_i32 s4, 0x7f
	v_cmp_gt_i16_sdwa s[6:7], v6, s4 src0_sel:BYTE_0 src1_sel:DWORD
	s_mov_b64 s[4:5], 0
                                        ; implicit-def: $sgpr10
	s_and_saveexec_b64 s[8:9], s[6:7]
	s_xor_b64 s[6:7], exec, s[8:9]
	s_cbranch_execz .LBB1_13741
; %bb.49581:
	s_getpc_b64 s[14:15]
.Lpost_getpc10454:
	s_add_u32 s14, s14, (.LBB1_28077-.Lpost_getpc10454)&4294967295
	s_addc_u32 s15, s15, (.LBB1_28077-.Lpost_getpc10454)>>32
	s_setpc_b64 s[14:15]
.LBB1_13741:
	s_or_saveexec_b64 s[6:7], s[6:7]
	v_mov_b32_e32 v12, s10
	s_xor_b64 exec, exec, s[6:7]
	s_cbranch_execz .LBB1_13742
; %bb.49583:
	s_getpc_b64 s[14:15]
.Lpost_getpc10455:
	s_add_u32 s14, s14, (.LBB1_28080-.Lpost_getpc10455)&4294967295
	s_addc_u32 s15, s15, (.LBB1_28080-.Lpost_getpc10455)>>32
	s_setpc_b64 s[14:15]
.LBB1_13742:
	s_or_b64 exec, exec, s[6:7]
	s_and_saveexec_b64 s[6:7], s[4:5]
	s_cbranch_execz .LBB1_13744
.LBB1_13743:
	v_bfe_u32 v12, v3, 8, 3
	v_ffbh_u32_e32 v14, v12
	v_min_u32_e32 v14, 32, v14
	v_lshrrev_b16_e32 v13, 3, v6
	v_subrev_u32_e32 v15, 28, v14
	v_and_b32_e32 v13, 15, v13
	v_lshlrev_b32_e32 v6, v15, v6
	v_sub_u32_e32 v14, 29, v14
	v_and_b32_e32 v6, 7, v6
	v_cmp_eq_u16_e32 vcc, 0, v13
	v_cndmask_b32_e32 v6, v12, v6, vcc
	v_cndmask_b32_e32 v12, v13, v14, vcc
	v_lshlrev_b32_e32 v13, 16, v3
	v_mov_b32_e32 v14, 0x3b800000
	v_lshlrev_b32_e32 v6, 20, v6
	v_and_b32_e32 v13, 0x80000000, v13
	v_lshl_add_u32 v12, v12, 23, v14
	v_or3_b32 v12, v13, v12, v6
.LBB1_13744:
	s_or_b64 exec, exec, s[6:7]
	s_nop 0
	v_mfma_f32_16x16x4f32 a[0:3], v2, v12, a[0:3]
	s_movk_i32 s4, 0xff
	v_and_b32_sdwa v6, v7, s4 dst_sel:DWORD dst_unused:UNUSED_PAD src0_sel:WORD_1 src1_sel:DWORD
	s_movk_i32 s4, 0x7f
	v_cmp_lt_i16_e32 vcc, s4, v6
	s_mov_b64 s[4:5], 0
                                        ; implicit-def: $sgpr10
	s_and_saveexec_b64 s[6:7], vcc
	s_xor_b64 s[6:7], exec, s[6:7]
	s_cbranch_execz .LBB1_13745
; %bb.49585:
	s_getpc_b64 s[14:15]
.Lpost_getpc10456:
	s_add_u32 s14, s14, (.LBB1_28081-.Lpost_getpc10456)&4294967295
	s_addc_u32 s15, s15, (.LBB1_28081-.Lpost_getpc10456)>>32
	s_setpc_b64 s[14:15]
.LBB1_13745:
	s_or_saveexec_b64 s[6:7], s[6:7]
	v_mov_b32_e32 v2, s10
	s_xor_b64 exec, exec, s[6:7]
	s_cbranch_execz .LBB1_13746
; %bb.49587:
	s_getpc_b64 s[14:15]
.Lpost_getpc10457:
	s_add_u32 s14, s14, (.LBB1_28084-.Lpost_getpc10457)&4294967295
	s_addc_u32 s15, s15, (.LBB1_28084-.Lpost_getpc10457)>>32
	s_setpc_b64 s[14:15]
.LBB1_13746:
	s_or_b64 exec, exec, s[6:7]
	s_and_saveexec_b64 s[6:7], s[4:5]
	s_cbranch_execz .LBB1_13748
.LBB1_13747:
	v_bfe_u32 v2, v7, 16, 3
	v_ffbh_u32_e32 v13, v2
	v_min_u32_e32 v13, 32, v13
	v_lshrrev_b32_e32 v6, 19, v7
	v_subrev_u32_e32 v14, 28, v13
	v_and_b32_e32 v6, 15, v6
	v_lshlrev_b32_sdwa v14, v14, v7 dst_sel:DWORD dst_unused:UNUSED_PAD src0_sel:DWORD src1_sel:WORD_1
	v_bfe_u32 v12, v7, 19, 4
	v_sub_u32_e32 v13, 29, v13
	v_and_b32_e32 v14, 7, v14
	v_cmp_eq_u16_e32 vcc, 0, v6
	v_cndmask_b32_e32 v2, v2, v14, vcc
	v_cndmask_b32_e32 v6, v12, v13, vcc
	v_lshlrev_b32_e32 v12, 8, v7
	v_mov_b32_e32 v13, 0x3b800000
	v_lshlrev_b32_e32 v2, 20, v2
	v_and_b32_e32 v12, 0x80000000, v12
	v_lshl_add_u32 v6, v6, 23, v13
	v_or3_b32 v2, v12, v6, v2
.LBB1_13748:
	s_or_b64 exec, exec, s[6:7]
	s_movk_i32 s4, 0xff
	v_and_b32_sdwa v6, v3, s4 dst_sel:DWORD dst_unused:UNUSED_PAD src0_sel:WORD_1 src1_sel:DWORD
	s_movk_i32 s4, 0x7f
	v_cmp_lt_i16_e32 vcc, s4, v6
	s_mov_b64 s[4:5], 0
                                        ; implicit-def: $sgpr10
	s_and_saveexec_b64 s[6:7], vcc
	s_xor_b64 s[6:7], exec, s[6:7]
	s_cbranch_execz .LBB1_13749
; %bb.49589:
	s_getpc_b64 s[14:15]
.Lpost_getpc10458:
	s_add_u32 s14, s14, (.LBB1_28085-.Lpost_getpc10458)&4294967295
	s_addc_u32 s15, s15, (.LBB1_28085-.Lpost_getpc10458)>>32
	s_setpc_b64 s[14:15]
.LBB1_13749:
	s_or_saveexec_b64 s[6:7], s[6:7]
	v_mov_b32_e32 v12, s10
	s_xor_b64 exec, exec, s[6:7]
	s_cbranch_execz .LBB1_13750
; %bb.49591:
	s_getpc_b64 s[14:15]
.Lpost_getpc10459:
	s_add_u32 s14, s14, (.LBB1_28088-.Lpost_getpc10459)&4294967295
	s_addc_u32 s15, s15, (.LBB1_28088-.Lpost_getpc10459)>>32
	s_setpc_b64 s[14:15]
.LBB1_13750:
	s_or_b64 exec, exec, s[6:7]
	s_and_saveexec_b64 s[6:7], s[4:5]
	s_cbranch_execz .LBB1_13752
.LBB1_13751:
	v_bfe_u32 v6, v3, 16, 3
	v_ffbh_u32_e32 v14, v6
	v_min_u32_e32 v14, 32, v14
	v_lshrrev_b32_e32 v12, 19, v3
	v_subrev_u32_e32 v15, 28, v14
	v_and_b32_e32 v12, 15, v12
	v_lshlrev_b32_sdwa v15, v15, v3 dst_sel:DWORD dst_unused:UNUSED_PAD src0_sel:DWORD src1_sel:WORD_1
	v_bfe_u32 v13, v3, 19, 4
	v_sub_u32_e32 v14, 29, v14
	v_and_b32_e32 v15, 7, v15
	v_cmp_eq_u16_e32 vcc, 0, v12
	v_cndmask_b32_e32 v6, v6, v15, vcc
	v_cndmask_b32_e32 v12, v13, v14, vcc
	v_lshlrev_b32_e32 v13, 8, v3
	v_mov_b32_e32 v14, 0x3b800000
	v_lshlrev_b32_e32 v6, 20, v6
	v_and_b32_e32 v13, 0x80000000, v13
	v_lshl_add_u32 v12, v12, 23, v14
	v_or3_b32 v12, v13, v12, v6
.LBB1_13752:
	s_or_b64 exec, exec, s[6:7]
	s_nop 0
	v_mfma_f32_16x16x4f32 a[0:3], v2, v12, a[0:3]
	s_movk_i32 s4, 0x7f
	v_cmp_gt_i16_sdwa s[6:7], v7, s4 src0_sel:BYTE_3 src1_sel:DWORD
	s_mov_b64 s[4:5], 0
                                        ; implicit-def: $sgpr10
	s_and_saveexec_b64 s[8:9], s[6:7]
	s_xor_b64 s[6:7], exec, s[8:9]
	s_cbranch_execz .LBB1_13753
; %bb.49593:
	s_getpc_b64 s[14:15]
.Lpost_getpc10460:
	s_add_u32 s14, s14, (.LBB1_28089-.Lpost_getpc10460)&4294967295
	s_addc_u32 s15, s15, (.LBB1_28089-.Lpost_getpc10460)>>32
	s_setpc_b64 s[14:15]
.LBB1_13753:
	s_or_saveexec_b64 s[6:7], s[6:7]
	v_mov_b32_e32 v2, s10
	s_xor_b64 exec, exec, s[6:7]
	s_cbranch_execz .LBB1_13754
; %bb.49595:
	s_getpc_b64 s[14:15]
.Lpost_getpc10461:
	s_add_u32 s14, s14, (.LBB1_28092-.Lpost_getpc10461)&4294967295
	s_addc_u32 s15, s15, (.LBB1_28092-.Lpost_getpc10461)>>32
	s_setpc_b64 s[14:15]
.LBB1_13754:
	s_or_b64 exec, exec, s[6:7]
	s_and_saveexec_b64 s[6:7], s[4:5]
	s_cbranch_execz .LBB1_13756
.LBB1_13755:
	v_bfe_u32 v2, v7, 24, 3
	v_ffbh_u32_e32 v14, v2
	v_min_u32_e32 v14, 32, v14
	v_lshrrev_b32_e32 v12, 27, v7
	v_subrev_u32_e32 v15, 28, v14
	v_and_b32_e32 v6, 0x80000000, v7
	v_and_b32_e32 v12, 15, v12
	v_bfe_u32 v13, v7, 27, 4
	v_lshlrev_b32_sdwa v7, v15, v7 dst_sel:DWORD dst_unused:UNUSED_PAD src0_sel:DWORD src1_sel:BYTE_3
	v_sub_u32_e32 v14, 29, v14
	v_and_b32_e32 v7, 7, v7
	v_cmp_eq_u16_e32 vcc, 0, v12
	v_cndmask_b32_e32 v2, v2, v7, vcc
	v_cndmask_b32_e32 v7, v13, v14, vcc
	v_mov_b32_e32 v12, 0x3b800000
	v_lshlrev_b32_e32 v2, 20, v2
	v_lshl_add_u32 v7, v7, 23, v12
	v_or3_b32 v2, v6, v7, v2
.LBB1_13756:
	s_or_b64 exec, exec, s[6:7]
	s_movk_i32 s4, 0x7f
	v_cmp_gt_i16_sdwa s[6:7], v3, s4 src0_sel:BYTE_3 src1_sel:DWORD
	s_mov_b64 s[4:5], 0
                                        ; implicit-def: $sgpr10
	s_and_saveexec_b64 s[8:9], s[6:7]
	s_xor_b64 s[6:7], exec, s[8:9]
	s_cbranch_execz .LBB1_13757
; %bb.49597:
	s_getpc_b64 s[14:15]
.Lpost_getpc10462:
	s_add_u32 s14, s14, (.LBB1_28093-.Lpost_getpc10462)&4294967295
	s_addc_u32 s15, s15, (.LBB1_28093-.Lpost_getpc10462)>>32
	s_setpc_b64 s[14:15]
.LBB1_13757:
	s_or_saveexec_b64 s[6:7], s[6:7]
	v_mov_b32_e32 v6, s10
	s_xor_b64 exec, exec, s[6:7]
	s_cbranch_execz .LBB1_13758
; %bb.49599:
	s_getpc_b64 s[14:15]
.Lpost_getpc10463:
	s_add_u32 s14, s14, (.LBB1_28096-.Lpost_getpc10463)&4294967295
	s_addc_u32 s15, s15, (.LBB1_28096-.Lpost_getpc10463)>>32
	s_setpc_b64 s[14:15]
.LBB1_13758:
	s_or_b64 exec, exec, s[6:7]
	s_and_saveexec_b64 s[6:7], s[4:5]
	s_cbranch_execz .LBB1_13760
.LBB1_13759:
	v_bfe_u32 v6, v3, 24, 3
	v_ffbh_u32_e32 v14, v6
	v_min_u32_e32 v14, 32, v14
	v_lshrrev_b32_e32 v12, 27, v3
	v_subrev_u32_e32 v15, 28, v14
	v_and_b32_e32 v7, 0x80000000, v3
	v_and_b32_e32 v12, 15, v12
	v_bfe_u32 v13, v3, 27, 4
	v_lshlrev_b32_sdwa v3, v15, v3 dst_sel:DWORD dst_unused:UNUSED_PAD src0_sel:DWORD src1_sel:BYTE_3
	v_sub_u32_e32 v14, 29, v14
	v_and_b32_e32 v3, 7, v3
	v_cmp_eq_u16_e32 vcc, 0, v12
	v_cndmask_b32_e32 v3, v6, v3, vcc
	v_cndmask_b32_e32 v6, v13, v14, vcc
	v_mov_b32_e32 v12, 0x3b800000
	v_lshlrev_b32_e32 v3, 20, v3
	v_lshl_add_u32 v6, v6, 23, v12
	v_or3_b32 v6, v7, v6, v3
.LBB1_13760:
	s_or_b64 exec, exec, s[6:7]
	s_nop 0
	v_mfma_f32_16x16x4f32 a[0:3], v2, v6, a[0:3]
	s_movk_i32 s4, 0x7f
	v_cmp_gt_i16_sdwa s[6:7], v8, s4 src0_sel:BYTE_0 src1_sel:DWORD
	s_mov_b64 s[4:5], 0
                                        ; implicit-def: $sgpr10
	s_and_saveexec_b64 s[8:9], s[6:7]
	s_xor_b64 s[6:7], exec, s[8:9]
	s_cbranch_execz .LBB1_13761
; %bb.49601:
	s_getpc_b64 s[14:15]
.Lpost_getpc10464:
	s_add_u32 s14, s14, (.LBB1_28097-.Lpost_getpc10464)&4294967295
	s_addc_u32 s15, s15, (.LBB1_28097-.Lpost_getpc10464)>>32
	s_setpc_b64 s[14:15]
.LBB1_13761:
	s_or_saveexec_b64 s[6:7], s[6:7]
	v_mov_b32_e32 v2, s10
	s_xor_b64 exec, exec, s[6:7]
	s_cbranch_execz .LBB1_13762
; %bb.49603:
	s_getpc_b64 s[14:15]
.Lpost_getpc10465:
	s_add_u32 s14, s14, (.LBB1_28100-.Lpost_getpc10465)&4294967295
	s_addc_u32 s15, s15, (.LBB1_28100-.Lpost_getpc10465)>>32
	s_setpc_b64 s[14:15]
.LBB1_13762:
	s_or_b64 exec, exec, s[6:7]
	s_and_saveexec_b64 s[6:7], s[4:5]
	s_cbranch_execz .LBB1_13764
.LBB1_13763:
	v_and_b32_e32 v2, 7, v8
	v_ffbh_u32_e32 v6, v2
	v_min_u32_e32 v6, 32, v6
	v_lshrrev_b16_e32 v3, 3, v8
	v_subrev_u32_e32 v7, 28, v6
	v_and_b32_e32 v3, 15, v3
	v_lshlrev_b32_e32 v7, v7, v8
	v_sub_u32_e32 v6, 29, v6
	v_and_b32_e32 v7, 7, v7
	v_cmp_eq_u16_e32 vcc, 0, v3
	v_cndmask_b32_e32 v2, v2, v7, vcc
	v_cndmask_b32_e32 v3, v3, v6, vcc
	v_lshlrev_b32_e32 v6, 24, v8
	v_mov_b32_e32 v7, 0x3b800000
	v_lshlrev_b32_e32 v2, 20, v2
	v_and_b32_e32 v6, 0x80000000, v6
	v_lshl_add_u32 v3, v3, 23, v7
	v_or3_b32 v2, v6, v3, v2
.LBB1_13764:
	s_or_b64 exec, exec, s[6:7]
	s_movk_i32 s4, 0x7f
	v_cmp_gt_i16_sdwa s[6:7], v4, s4 src0_sel:BYTE_0 src1_sel:DWORD
	s_mov_b64 s[4:5], 0
                                        ; implicit-def: $sgpr10
	s_and_saveexec_b64 s[8:9], s[6:7]
	s_xor_b64 s[6:7], exec, s[8:9]
	s_cbranch_execz .LBB1_13765
; %bb.49605:
	s_getpc_b64 s[14:15]
.Lpost_getpc10466:
	s_add_u32 s14, s14, (.LBB1_28101-.Lpost_getpc10466)&4294967295
	s_addc_u32 s15, s15, (.LBB1_28101-.Lpost_getpc10466)>>32
	s_setpc_b64 s[14:15]
.LBB1_13765:
	s_or_saveexec_b64 s[6:7], s[6:7]
	v_mov_b32_e32 v3, s10
	s_xor_b64 exec, exec, s[6:7]
	s_cbranch_execz .LBB1_13766
; %bb.49607:
	s_getpc_b64 s[14:15]
.Lpost_getpc10467:
	s_add_u32 s14, s14, (.LBB1_28104-.Lpost_getpc10467)&4294967295
	s_addc_u32 s15, s15, (.LBB1_28104-.Lpost_getpc10467)>>32
	s_setpc_b64 s[14:15]
.LBB1_13766:
	s_or_b64 exec, exec, s[6:7]
	s_and_saveexec_b64 s[6:7], s[4:5]
	s_cbranch_execz .LBB1_13768
.LBB1_13767:
	v_and_b32_e32 v3, 7, v4
	v_ffbh_u32_e32 v7, v3
	v_min_u32_e32 v7, 32, v7
	v_lshrrev_b16_e32 v6, 3, v4
	v_subrev_u32_e32 v12, 28, v7
	v_and_b32_e32 v6, 15, v6
	v_lshlrev_b32_e32 v12, v12, v4
	v_sub_u32_e32 v7, 29, v7
	v_and_b32_e32 v12, 7, v12
	v_cmp_eq_u16_e32 vcc, 0, v6
	v_cndmask_b32_e32 v3, v3, v12, vcc
	v_cndmask_b32_e32 v6, v6, v7, vcc
	v_lshlrev_b32_e32 v7, 24, v4
	v_mov_b32_e32 v12, 0x3b800000
	v_lshlrev_b32_e32 v3, 20, v3
	v_and_b32_e32 v7, 0x80000000, v7
	v_lshl_add_u32 v6, v6, 23, v12
	v_or3_b32 v3, v7, v6, v3
.LBB1_13768:
	s_or_b64 exec, exec, s[6:7]
	s_nop 0
	v_mfma_f32_16x16x4f32 a[0:3], v2, v3, a[0:3]
	v_lshrrev_b32_e32 v3, 8, v8
	s_movk_i32 s4, 0x7f
	v_cmp_gt_i16_sdwa s[6:7], v3, s4 src0_sel:BYTE_0 src1_sel:DWORD
	s_mov_b64 s[4:5], 0
                                        ; implicit-def: $sgpr10
	s_and_saveexec_b64 s[8:9], s[6:7]
	s_xor_b64 s[6:7], exec, s[8:9]
	s_cbranch_execz .LBB1_13769
; %bb.49609:
	s_getpc_b64 s[14:15]
.Lpost_getpc10468:
	s_add_u32 s14, s14, (.LBB1_28105-.Lpost_getpc10468)&4294967295
	s_addc_u32 s15, s15, (.LBB1_28105-.Lpost_getpc10468)>>32
	s_setpc_b64 s[14:15]
.LBB1_13769:
	s_or_saveexec_b64 s[6:7], s[6:7]
	v_mov_b32_e32 v2, s10
	s_xor_b64 exec, exec, s[6:7]
	s_cbranch_execz .LBB1_13770
; %bb.49611:
	s_getpc_b64 s[14:15]
.Lpost_getpc10469:
	s_add_u32 s14, s14, (.LBB1_28108-.Lpost_getpc10469)&4294967295
	s_addc_u32 s15, s15, (.LBB1_28108-.Lpost_getpc10469)>>32
	s_setpc_b64 s[14:15]
.LBB1_13770:
	s_or_b64 exec, exec, s[6:7]
	s_and_saveexec_b64 s[6:7], s[4:5]
	s_cbranch_execz .LBB1_13772
.LBB1_13771:
	v_bfe_u32 v2, v8, 8, 3
	v_ffbh_u32_e32 v7, v2
	v_min_u32_e32 v7, 32, v7
	v_lshrrev_b16_e32 v6, 3, v3
	v_subrev_u32_e32 v12, 28, v7
	v_and_b32_e32 v6, 15, v6
	v_lshlrev_b32_e32 v3, v12, v3
	v_sub_u32_e32 v7, 29, v7
	v_and_b32_e32 v3, 7, v3
	v_cmp_eq_u16_e32 vcc, 0, v6
	v_cndmask_b32_e32 v2, v2, v3, vcc
	v_cndmask_b32_e32 v3, v6, v7, vcc
	v_lshlrev_b32_e32 v6, 16, v8
	v_mov_b32_e32 v7, 0x3b800000
	v_lshlrev_b32_e32 v2, 20, v2
	v_and_b32_e32 v6, 0x80000000, v6
	v_lshl_add_u32 v3, v3, 23, v7
	v_or3_b32 v2, v6, v3, v2
.LBB1_13772:
	s_or_b64 exec, exec, s[6:7]
	v_lshrrev_b32_e32 v3, 8, v4
	s_movk_i32 s4, 0x7f
	v_cmp_gt_i16_sdwa s[6:7], v3, s4 src0_sel:BYTE_0 src1_sel:DWORD
	s_mov_b64 s[4:5], 0
                                        ; implicit-def: $sgpr10
	s_and_saveexec_b64 s[8:9], s[6:7]
	s_xor_b64 s[6:7], exec, s[8:9]
	s_cbranch_execz .LBB1_13773
; %bb.49613:
	s_getpc_b64 s[14:15]
.Lpost_getpc10470:
	s_add_u32 s14, s14, (.LBB1_28109-.Lpost_getpc10470)&4294967295
	s_addc_u32 s15, s15, (.LBB1_28109-.Lpost_getpc10470)>>32
	s_setpc_b64 s[14:15]
.LBB1_13773:
	s_or_saveexec_b64 s[6:7], s[6:7]
	v_mov_b32_e32 v6, s10
	s_xor_b64 exec, exec, s[6:7]
	s_cbranch_execz .LBB1_13774
; %bb.49615:
	s_getpc_b64 s[14:15]
.Lpost_getpc10471:
	s_add_u32 s14, s14, (.LBB1_28112-.Lpost_getpc10471)&4294967295
	s_addc_u32 s15, s15, (.LBB1_28112-.Lpost_getpc10471)>>32
	s_setpc_b64 s[14:15]
.LBB1_13774:
	s_or_b64 exec, exec, s[6:7]
	s_and_saveexec_b64 s[6:7], s[4:5]
	s_cbranch_execz .LBB1_13776
.LBB1_13775:
	v_bfe_u32 v6, v4, 8, 3
	v_ffbh_u32_e32 v12, v6
	v_min_u32_e32 v12, 32, v12
	v_lshrrev_b16_e32 v7, 3, v3
	v_subrev_u32_e32 v13, 28, v12
	v_and_b32_e32 v7, 15, v7
	v_lshlrev_b32_e32 v3, v13, v3
	v_sub_u32_e32 v12, 29, v12
	v_and_b32_e32 v3, 7, v3
	v_cmp_eq_u16_e32 vcc, 0, v7
	v_cndmask_b32_e32 v3, v6, v3, vcc
	v_cndmask_b32_e32 v6, v7, v12, vcc
	v_lshlrev_b32_e32 v7, 16, v4
	v_mov_b32_e32 v12, 0x3b800000
	v_lshlrev_b32_e32 v3, 20, v3
	v_and_b32_e32 v7, 0x80000000, v7
	v_lshl_add_u32 v6, v6, 23, v12
	v_or3_b32 v6, v7, v6, v3
.LBB1_13776:
	s_or_b64 exec, exec, s[6:7]
	s_nop 0
	v_mfma_f32_16x16x4f32 a[0:3], v2, v6, a[0:3]
	s_movk_i32 s4, 0xff
	v_and_b32_sdwa v3, v8, s4 dst_sel:DWORD dst_unused:UNUSED_PAD src0_sel:WORD_1 src1_sel:DWORD
	s_movk_i32 s4, 0x7f
	v_cmp_lt_i16_e32 vcc, s4, v3
	s_mov_b64 s[4:5], 0
                                        ; implicit-def: $sgpr10
	s_and_saveexec_b64 s[6:7], vcc
	s_xor_b64 s[6:7], exec, s[6:7]
	s_cbranch_execz .LBB1_13777
; %bb.49617:
	s_getpc_b64 s[14:15]
.Lpost_getpc10472:
	s_add_u32 s14, s14, (.LBB1_28113-.Lpost_getpc10472)&4294967295
	s_addc_u32 s15, s15, (.LBB1_28113-.Lpost_getpc10472)>>32
	s_setpc_b64 s[14:15]
.LBB1_13777:
	s_or_saveexec_b64 s[6:7], s[6:7]
	v_mov_b32_e32 v2, s10
	s_xor_b64 exec, exec, s[6:7]
	s_cbranch_execz .LBB1_13778
; %bb.49619:
	s_getpc_b64 s[14:15]
.Lpost_getpc10473:
	s_add_u32 s14, s14, (.LBB1_28116-.Lpost_getpc10473)&4294967295
	s_addc_u32 s15, s15, (.LBB1_28116-.Lpost_getpc10473)>>32
	s_setpc_b64 s[14:15]
.LBB1_13778:
	s_or_b64 exec, exec, s[6:7]
	s_and_saveexec_b64 s[6:7], s[4:5]
	s_cbranch_execz .LBB1_13780
.LBB1_13779:
	v_bfe_u32 v2, v8, 16, 3
	v_ffbh_u32_e32 v7, v2
	v_min_u32_e32 v7, 32, v7
	v_lshrrev_b32_e32 v3, 19, v8
	v_subrev_u32_e32 v12, 28, v7
	v_and_b32_e32 v3, 15, v3
	v_lshlrev_b32_sdwa v12, v12, v8 dst_sel:DWORD dst_unused:UNUSED_PAD src0_sel:DWORD src1_sel:WORD_1
	v_bfe_u32 v6, v8, 19, 4
	v_sub_u32_e32 v7, 29, v7
	v_and_b32_e32 v12, 7, v12
	v_cmp_eq_u16_e32 vcc, 0, v3
	v_cndmask_b32_e32 v2, v2, v12, vcc
	v_cndmask_b32_e32 v3, v6, v7, vcc
	v_lshlrev_b32_e32 v6, 8, v8
	v_mov_b32_e32 v7, 0x3b800000
	v_lshlrev_b32_e32 v2, 20, v2
	v_and_b32_e32 v6, 0x80000000, v6
	v_lshl_add_u32 v3, v3, 23, v7
	v_or3_b32 v2, v6, v3, v2
.LBB1_13780:
	s_or_b64 exec, exec, s[6:7]
	s_movk_i32 s4, 0xff
	v_and_b32_sdwa v3, v4, s4 dst_sel:DWORD dst_unused:UNUSED_PAD src0_sel:WORD_1 src1_sel:DWORD
	s_movk_i32 s4, 0x7f
	v_cmp_lt_i16_e32 vcc, s4, v3
	s_mov_b64 s[4:5], 0
                                        ; implicit-def: $sgpr10
	s_and_saveexec_b64 s[6:7], vcc
	s_xor_b64 s[6:7], exec, s[6:7]
	s_cbranch_execz .LBB1_13781
; %bb.49621:
	s_getpc_b64 s[14:15]
.Lpost_getpc10474:
	s_add_u32 s14, s14, (.LBB1_28117-.Lpost_getpc10474)&4294967295
	s_addc_u32 s15, s15, (.LBB1_28117-.Lpost_getpc10474)>>32
	s_setpc_b64 s[14:15]
.LBB1_13781:
	s_or_saveexec_b64 s[6:7], s[6:7]
	v_mov_b32_e32 v6, s10
	s_xor_b64 exec, exec, s[6:7]
	s_cbranch_execz .LBB1_13782
; %bb.49623:
	s_getpc_b64 s[14:15]
.Lpost_getpc10475:
	s_add_u32 s14, s14, (.LBB1_28120-.Lpost_getpc10475)&4294967295
	s_addc_u32 s15, s15, (.LBB1_28120-.Lpost_getpc10475)>>32
	s_setpc_b64 s[14:15]
.LBB1_13782:
	s_or_b64 exec, exec, s[6:7]
	s_and_saveexec_b64 s[6:7], s[4:5]
	s_cbranch_execz .LBB1_13784
.LBB1_13783:
	v_bfe_u32 v3, v4, 16, 3
	v_ffbh_u32_e32 v12, v3
	v_min_u32_e32 v12, 32, v12
	v_lshrrev_b32_e32 v6, 19, v4
	v_subrev_u32_e32 v13, 28, v12
	v_and_b32_e32 v6, 15, v6
	v_lshlrev_b32_sdwa v13, v13, v4 dst_sel:DWORD dst_unused:UNUSED_PAD src0_sel:DWORD src1_sel:WORD_1
	v_bfe_u32 v7, v4, 19, 4
	v_sub_u32_e32 v12, 29, v12
	v_and_b32_e32 v13, 7, v13
	v_cmp_eq_u16_e32 vcc, 0, v6
	v_cndmask_b32_e32 v3, v3, v13, vcc
	v_cndmask_b32_e32 v6, v7, v12, vcc
	v_lshlrev_b32_e32 v7, 8, v4
	v_mov_b32_e32 v12, 0x3b800000
	v_lshlrev_b32_e32 v3, 20, v3
	v_and_b32_e32 v7, 0x80000000, v7
	v_lshl_add_u32 v6, v6, 23, v12
	v_or3_b32 v6, v7, v6, v3
.LBB1_13784:
	s_or_b64 exec, exec, s[6:7]
	s_nop 0
	v_mfma_f32_16x16x4f32 a[0:3], v2, v6, a[0:3]
	s_movk_i32 s4, 0x7f
	v_cmp_gt_i16_sdwa s[6:7], v8, s4 src0_sel:BYTE_3 src1_sel:DWORD
	s_mov_b64 s[4:5], 0
                                        ; implicit-def: $sgpr10
	s_and_saveexec_b64 s[8:9], s[6:7]
	s_xor_b64 s[6:7], exec, s[8:9]
	s_cbranch_execz .LBB1_13785
; %bb.49625:
	s_getpc_b64 s[14:15]
.Lpost_getpc10476:
	s_add_u32 s14, s14, (.LBB1_28121-.Lpost_getpc10476)&4294967295
	s_addc_u32 s15, s15, (.LBB1_28121-.Lpost_getpc10476)>>32
	s_setpc_b64 s[14:15]
.LBB1_13785:
	s_or_saveexec_b64 s[6:7], s[6:7]
	v_mov_b32_e32 v2, s10
	s_xor_b64 exec, exec, s[6:7]
	s_cbranch_execz .LBB1_13786
; %bb.49627:
	s_getpc_b64 s[14:15]
.Lpost_getpc10477:
	s_add_u32 s14, s14, (.LBB1_28124-.Lpost_getpc10477)&4294967295
	s_addc_u32 s15, s15, (.LBB1_28124-.Lpost_getpc10477)>>32
	s_setpc_b64 s[14:15]
.LBB1_13786:
	s_or_b64 exec, exec, s[6:7]
	s_and_saveexec_b64 s[6:7], s[4:5]
	s_cbranch_execz .LBB1_13788
.LBB1_13787:
	v_bfe_u32 v2, v8, 24, 3
	v_ffbh_u32_e32 v12, v2
	v_min_u32_e32 v12, 32, v12
	v_lshrrev_b32_e32 v6, 27, v8
	v_subrev_u32_e32 v13, 28, v12
	v_and_b32_e32 v3, 0x80000000, v8
	v_and_b32_e32 v6, 15, v6
	v_bfe_u32 v7, v8, 27, 4
	v_lshlrev_b32_sdwa v8, v13, v8 dst_sel:DWORD dst_unused:UNUSED_PAD src0_sel:DWORD src1_sel:BYTE_3
	v_sub_u32_e32 v12, 29, v12
	v_and_b32_e32 v8, 7, v8
	v_cmp_eq_u16_e32 vcc, 0, v6
	v_cndmask_b32_e32 v2, v2, v8, vcc
	v_cndmask_b32_e32 v6, v7, v12, vcc
	v_mov_b32_e32 v7, 0x3b800000
	v_lshlrev_b32_e32 v2, 20, v2
	v_lshl_add_u32 v6, v6, 23, v7
	v_or3_b32 v2, v3, v6, v2
.LBB1_13788:
	s_or_b64 exec, exec, s[6:7]
	s_movk_i32 s4, 0x7f
	v_cmp_gt_i16_sdwa s[6:7], v4, s4 src0_sel:BYTE_3 src1_sel:DWORD
	s_mov_b64 s[4:5], 0
                                        ; implicit-def: $sgpr10
	s_and_saveexec_b64 s[8:9], s[6:7]
	s_xor_b64 s[6:7], exec, s[8:9]
	s_cbranch_execz .LBB1_13789
; %bb.49629:
	s_getpc_b64 s[14:15]
.Lpost_getpc10478:
	s_add_u32 s14, s14, (.LBB1_28125-.Lpost_getpc10478)&4294967295
	s_addc_u32 s15, s15, (.LBB1_28125-.Lpost_getpc10478)>>32
	s_setpc_b64 s[14:15]
.LBB1_13789:
	s_or_saveexec_b64 s[6:7], s[6:7]
	v_mov_b32_e32 v3, s10
	s_xor_b64 exec, exec, s[6:7]
	s_cbranch_execz .LBB1_13790
; %bb.49631:
	s_getpc_b64 s[14:15]
.Lpost_getpc10479:
	s_add_u32 s14, s14, (.LBB1_28128-.Lpost_getpc10479)&4294967295
	s_addc_u32 s15, s15, (.LBB1_28128-.Lpost_getpc10479)>>32
	s_setpc_b64 s[14:15]
.LBB1_13790:
	s_or_b64 exec, exec, s[6:7]
	s_and_saveexec_b64 s[6:7], s[4:5]
	s_cbranch_execz .LBB1_13792
.LBB1_13791:
	v_bfe_u32 v3, v4, 24, 3
	v_ffbh_u32_e32 v12, v3
	v_min_u32_e32 v12, 32, v12
	v_lshrrev_b32_e32 v7, 27, v4
	v_subrev_u32_e32 v13, 28, v12
	v_and_b32_e32 v6, 0x80000000, v4
	v_and_b32_e32 v7, 15, v7
	v_bfe_u32 v8, v4, 27, 4
	v_lshlrev_b32_sdwa v4, v13, v4 dst_sel:DWORD dst_unused:UNUSED_PAD src0_sel:DWORD src1_sel:BYTE_3
	v_sub_u32_e32 v12, 29, v12
	v_and_b32_e32 v4, 7, v4
	v_cmp_eq_u16_e32 vcc, 0, v7
	v_cndmask_b32_e32 v3, v3, v4, vcc
	v_cndmask_b32_e32 v4, v8, v12, vcc
	v_mov_b32_e32 v7, 0x3b800000
	v_lshlrev_b32_e32 v3, 20, v3
	v_lshl_add_u32 v4, v4, 23, v7
	v_or3_b32 v3, v6, v4, v3
.LBB1_13792:
	s_or_b64 exec, exec, s[6:7]
	s_nop 0
	v_mfma_f32_16x16x4f32 a[0:3], v2, v3, a[0:3]
	s_movk_i32 s4, 0x7f
	v_cmp_gt_i16_sdwa s[6:7], v9, s4 src0_sel:BYTE_0 src1_sel:DWORD
	s_mov_b64 s[4:5], 0
                                        ; implicit-def: $sgpr10
	s_and_saveexec_b64 s[8:9], s[6:7]
	s_xor_b64 s[6:7], exec, s[8:9]
	s_cbranch_execz .LBB1_13793
; %bb.49633:
	s_getpc_b64 s[14:15]
.Lpost_getpc10480:
	s_add_u32 s14, s14, (.LBB1_28129-.Lpost_getpc10480)&4294967295
	s_addc_u32 s15, s15, (.LBB1_28129-.Lpost_getpc10480)>>32
	s_setpc_b64 s[14:15]
.LBB1_13793:
	s_or_saveexec_b64 s[6:7], s[6:7]
	v_mov_b32_e32 v2, s10
	s_xor_b64 exec, exec, s[6:7]
	s_cbranch_execz .LBB1_13794
; %bb.49635:
	s_getpc_b64 s[14:15]
.Lpost_getpc10481:
	s_add_u32 s14, s14, (.LBB1_28132-.Lpost_getpc10481)&4294967295
	s_addc_u32 s15, s15, (.LBB1_28132-.Lpost_getpc10481)>>32
	s_setpc_b64 s[14:15]
.LBB1_13794:
	s_or_b64 exec, exec, s[6:7]
	s_and_saveexec_b64 s[6:7], s[4:5]
	s_cbranch_execz .LBB1_13796
.LBB1_13795:
	v_mov_b32_e32 v2, 8
	v_and_b32_e32 v3, 7, v9
	v_lshrrev_b32_sdwa v2, v2, v9 dst_sel:BYTE_1 dst_unused:UNUSED_PAD src0_sel:DWORD src1_sel:DWORD
	v_ffbh_u32_e32 v4, v3
	v_or_b32_sdwa v2, v9, v2 dst_sel:DWORD dst_unused:UNUSED_PAD src0_sel:BYTE_0 src1_sel:DWORD
	v_min_u32_e32 v4, 32, v4
	v_lshrrev_b16_e32 v2, 3, v2
	v_subrev_u32_e32 v6, 28, v4
	v_and_b32_e32 v2, 15, v2
	v_lshlrev_b32_e32 v6, v6, v9
	v_sub_u32_e32 v4, 29, v4
	v_and_b32_e32 v6, 7, v6
	v_cmp_eq_u16_e32 vcc, 0, v2
	v_cndmask_b32_e32 v3, v3, v6, vcc
	v_cndmask_b32_e32 v2, v2, v4, vcc
	v_lshlrev_b32_e32 v4, 24, v9
	v_mov_b32_e32 v6, 0x3b800000
	v_lshlrev_b32_e32 v3, 20, v3
	v_and_b32_e32 v4, 0x80000000, v4
	v_lshl_add_u32 v2, v2, 23, v6
	v_or3_b32 v2, v4, v2, v3
.LBB1_13796:
	s_or_b64 exec, exec, s[6:7]
	s_movk_i32 s4, 0x7f
	v_cmp_gt_i16_sdwa s[6:7], v5, s4 src0_sel:BYTE_0 src1_sel:DWORD
	s_mov_b64 s[4:5], 0
                                        ; implicit-def: $sgpr10
	s_and_saveexec_b64 s[8:9], s[6:7]
	s_xor_b64 s[6:7], exec, s[8:9]
	s_cbranch_execz .LBB1_13797
; %bb.49637:
	s_getpc_b64 s[14:15]
.Lpost_getpc10482:
	s_add_u32 s14, s14, (.LBB1_28133-.Lpost_getpc10482)&4294967295
	s_addc_u32 s15, s15, (.LBB1_28133-.Lpost_getpc10482)>>32
	s_setpc_b64 s[14:15]
.LBB1_13797:
	s_or_saveexec_b64 s[6:7], s[6:7]
	v_mov_b32_e32 v3, s10
	s_xor_b64 exec, exec, s[6:7]
	s_cbranch_execz .LBB1_13798
; %bb.49639:
	s_getpc_b64 s[14:15]
.Lpost_getpc10483:
	s_add_u32 s14, s14, (.LBB1_28136-.Lpost_getpc10483)&4294967295
	s_addc_u32 s15, s15, (.LBB1_28136-.Lpost_getpc10483)>>32
	s_setpc_b64 s[14:15]
.LBB1_13798:
	s_or_b64 exec, exec, s[6:7]
	s_and_saveexec_b64 s[6:7], s[4:5]
	s_cbranch_execz .LBB1_13800
.LBB1_13799:
	v_mov_b32_e32 v3, 8
	v_and_b32_e32 v4, 7, v5
	v_lshrrev_b32_sdwa v3, v3, v5 dst_sel:BYTE_1 dst_unused:UNUSED_PAD src0_sel:DWORD src1_sel:DWORD
	v_ffbh_u32_e32 v6, v4
	v_or_b32_sdwa v3, v5, v3 dst_sel:DWORD dst_unused:UNUSED_PAD src0_sel:BYTE_0 src1_sel:DWORD
	v_min_u32_e32 v6, 32, v6
	v_lshrrev_b16_e32 v3, 3, v3
	v_subrev_u32_e32 v7, 28, v6
	v_and_b32_e32 v3, 15, v3
	v_lshlrev_b32_e32 v7, v7, v5
	v_sub_u32_e32 v6, 29, v6
	v_and_b32_e32 v7, 7, v7
	v_cmp_eq_u16_e32 vcc, 0, v3
	v_cndmask_b32_e32 v4, v4, v7, vcc
	v_cndmask_b32_e32 v3, v3, v6, vcc
	v_lshlrev_b32_e32 v6, 24, v5
	v_mov_b32_e32 v7, 0x3b800000
	v_lshlrev_b32_e32 v4, 20, v4
	v_and_b32_e32 v6, 0x80000000, v6
	v_lshl_add_u32 v3, v3, 23, v7
	v_or3_b32 v3, v6, v3, v4
.LBB1_13800:
	s_or_b64 exec, exec, s[6:7]
	s_nop 0
	v_mfma_f32_16x16x4f32 a[0:3], v2, v3, a[0:3]
	v_lshrrev_b32_e32 v3, 8, v9
	s_movk_i32 s4, 0x7f
	v_cmp_gt_i16_sdwa s[6:7], v3, s4 src0_sel:BYTE_0 src1_sel:DWORD
	s_mov_b64 s[4:5], 0
                                        ; implicit-def: $sgpr10
	s_and_saveexec_b64 s[8:9], s[6:7]
	s_xor_b64 s[6:7], exec, s[8:9]
	s_cbranch_execz .LBB1_13801
; %bb.49641:
	s_getpc_b64 s[14:15]
.Lpost_getpc10484:
	s_add_u32 s14, s14, (.LBB1_28137-.Lpost_getpc10484)&4294967295
	s_addc_u32 s15, s15, (.LBB1_28137-.Lpost_getpc10484)>>32
	s_setpc_b64 s[14:15]
.LBB1_13801:
	s_or_saveexec_b64 s[6:7], s[6:7]
	v_mov_b32_e32 v2, s10
	s_xor_b64 exec, exec, s[6:7]
	s_cbranch_execz .LBB1_13802
; %bb.49643:
	s_getpc_b64 s[14:15]
.Lpost_getpc10485:
	s_add_u32 s14, s14, (.LBB1_28140-.Lpost_getpc10485)&4294967295
	s_addc_u32 s15, s15, (.LBB1_28140-.Lpost_getpc10485)>>32
	s_setpc_b64 s[14:15]
.LBB1_13802:
	s_or_b64 exec, exec, s[6:7]
	s_and_saveexec_b64 s[6:7], s[4:5]
	s_cbranch_execz .LBB1_13804
.LBB1_13803:
	v_bfe_u32 v2, v9, 8, 3
	v_ffbh_u32_e32 v6, v2
	v_min_u32_e32 v6, 32, v6
	v_lshrrev_b16_e32 v4, 3, v3
	v_subrev_u32_e32 v7, 28, v6
	v_and_b32_e32 v4, 15, v4
	v_lshlrev_b32_e32 v3, v7, v3
	v_sub_u32_e32 v6, 29, v6
	v_and_b32_e32 v3, 7, v3
	v_cmp_eq_u16_e32 vcc, 0, v4
	v_cndmask_b32_e32 v2, v2, v3, vcc
	v_cndmask_b32_e32 v3, v4, v6, vcc
	v_lshlrev_b32_e32 v4, 16, v9
	v_mov_b32_e32 v6, 0x3b800000
	v_lshlrev_b32_e32 v2, 20, v2
	v_and_b32_e32 v4, 0x80000000, v4
	v_lshl_add_u32 v3, v3, 23, v6
	v_or3_b32 v2, v4, v3, v2
.LBB1_13804:
	s_or_b64 exec, exec, s[6:7]
	v_lshrrev_b32_e32 v3, 8, v5
	s_movk_i32 s4, 0x7f
	v_cmp_gt_i16_sdwa s[6:7], v3, s4 src0_sel:BYTE_0 src1_sel:DWORD
	s_mov_b64 s[4:5], 0
                                        ; implicit-def: $sgpr10
	s_and_saveexec_b64 s[8:9], s[6:7]
	s_xor_b64 s[6:7], exec, s[8:9]
	s_cbranch_execz .LBB1_13805
; %bb.49645:
	s_getpc_b64 s[14:15]
.Lpost_getpc10486:
	s_add_u32 s14, s14, (.LBB1_28141-.Lpost_getpc10486)&4294967295
	s_addc_u32 s15, s15, (.LBB1_28141-.Lpost_getpc10486)>>32
	s_setpc_b64 s[14:15]
.LBB1_13805:
	s_or_saveexec_b64 s[6:7], s[6:7]
	v_mov_b32_e32 v4, s10
	s_xor_b64 exec, exec, s[6:7]
	s_cbranch_execz .LBB1_13806
; %bb.49647:
	s_getpc_b64 s[14:15]
.Lpost_getpc10487:
	s_add_u32 s14, s14, (.LBB1_28144-.Lpost_getpc10487)&4294967295
	s_addc_u32 s15, s15, (.LBB1_28144-.Lpost_getpc10487)>>32
	s_setpc_b64 s[14:15]
.LBB1_13806:
	s_or_b64 exec, exec, s[6:7]
	s_and_saveexec_b64 s[6:7], s[4:5]
	s_cbranch_execz .LBB1_13808
.LBB1_13807:
	v_bfe_u32 v4, v5, 8, 3
	v_ffbh_u32_e32 v7, v4
	v_min_u32_e32 v7, 32, v7
	v_lshrrev_b16_e32 v6, 3, v3
	v_subrev_u32_e32 v8, 28, v7
	v_and_b32_e32 v6, 15, v6
	v_lshlrev_b32_e32 v3, v8, v3
	v_sub_u32_e32 v7, 29, v7
	v_and_b32_e32 v3, 7, v3
	v_cmp_eq_u16_e32 vcc, 0, v6
	v_cndmask_b32_e32 v3, v4, v3, vcc
	v_cndmask_b32_e32 v4, v6, v7, vcc
	v_lshlrev_b32_e32 v6, 16, v5
	v_mov_b32_e32 v7, 0x3b800000
	v_lshlrev_b32_e32 v3, 20, v3
	v_and_b32_e32 v6, 0x80000000, v6
	v_lshl_add_u32 v4, v4, 23, v7
	v_or3_b32 v4, v6, v4, v3
.LBB1_13808:
	s_or_b64 exec, exec, s[6:7]
	s_nop 0
	v_mfma_f32_16x16x4f32 a[0:3], v2, v4, a[0:3]
	s_movk_i32 s4, 0xff
	v_and_b32_sdwa v3, v9, s4 dst_sel:DWORD dst_unused:UNUSED_PAD src0_sel:WORD_1 src1_sel:DWORD
	s_movk_i32 s4, 0x7f
	v_cmp_lt_i16_e32 vcc, s4, v3
	s_mov_b64 s[4:5], 0
                                        ; implicit-def: $sgpr10
	s_and_saveexec_b64 s[6:7], vcc
	s_xor_b64 s[6:7], exec, s[6:7]
	s_cbranch_execz .LBB1_13809
; %bb.49649:
	s_getpc_b64 s[14:15]
.Lpost_getpc10488:
	s_add_u32 s14, s14, (.LBB1_28145-.Lpost_getpc10488)&4294967295
	s_addc_u32 s15, s15, (.LBB1_28145-.Lpost_getpc10488)>>32
	s_setpc_b64 s[14:15]
.LBB1_13809:
	s_or_saveexec_b64 s[6:7], s[6:7]
	v_mov_b32_e32 v2, s10
	s_xor_b64 exec, exec, s[6:7]
	s_cbranch_execz .LBB1_13810
; %bb.49651:
	s_getpc_b64 s[14:15]
.Lpost_getpc10489:
	s_add_u32 s14, s14, (.LBB1_28148-.Lpost_getpc10489)&4294967295
	s_addc_u32 s15, s15, (.LBB1_28148-.Lpost_getpc10489)>>32
	s_setpc_b64 s[14:15]
.LBB1_13810:
	s_or_b64 exec, exec, s[6:7]
	s_and_saveexec_b64 s[6:7], s[4:5]
	s_cbranch_execz .LBB1_13812
.LBB1_13811:
	v_bfe_u32 v2, v9, 16, 3
	v_ffbh_u32_e32 v6, v2
	v_min_u32_e32 v6, 32, v6
	v_lshrrev_b32_e32 v3, 19, v9
	v_subrev_u32_e32 v7, 28, v6
	v_and_b32_e32 v3, 15, v3
	v_lshlrev_b32_sdwa v7, v7, v9 dst_sel:DWORD dst_unused:UNUSED_PAD src0_sel:DWORD src1_sel:WORD_1
	v_bfe_u32 v4, v9, 19, 4
	v_sub_u32_e32 v6, 29, v6
	v_and_b32_e32 v7, 7, v7
	v_cmp_eq_u16_e32 vcc, 0, v3
	v_cndmask_b32_e32 v2, v2, v7, vcc
	v_cndmask_b32_e32 v3, v4, v6, vcc
	v_lshlrev_b32_e32 v4, 8, v9
	v_mov_b32_e32 v6, 0x3b800000
	v_lshlrev_b32_e32 v2, 20, v2
	v_and_b32_e32 v4, 0x80000000, v4
	v_lshl_add_u32 v3, v3, 23, v6
	v_or3_b32 v2, v4, v3, v2
.LBB1_13812:
	s_or_b64 exec, exec, s[6:7]
	s_movk_i32 s4, 0xff
	v_and_b32_sdwa v3, v5, s4 dst_sel:DWORD dst_unused:UNUSED_PAD src0_sel:WORD_1 src1_sel:DWORD
	s_movk_i32 s4, 0x7f
	v_cmp_lt_i16_e32 vcc, s4, v3
	s_mov_b64 s[4:5], 0
                                        ; implicit-def: $sgpr10
	s_and_saveexec_b64 s[6:7], vcc
	s_xor_b64 s[6:7], exec, s[6:7]
	s_cbranch_execz .LBB1_13813
; %bb.49653:
	s_getpc_b64 s[14:15]
.Lpost_getpc10490:
	s_add_u32 s14, s14, (.LBB1_28149-.Lpost_getpc10490)&4294967295
	s_addc_u32 s15, s15, (.LBB1_28149-.Lpost_getpc10490)>>32
	s_setpc_b64 s[14:15]
.LBB1_13813:
	s_or_saveexec_b64 s[6:7], s[6:7]
	v_mov_b32_e32 v4, s10
	s_xor_b64 exec, exec, s[6:7]
	s_cbranch_execz .LBB1_13814
; %bb.49655:
	s_getpc_b64 s[14:15]
.Lpost_getpc10491:
	s_add_u32 s14, s14, (.LBB1_28152-.Lpost_getpc10491)&4294967295
	s_addc_u32 s15, s15, (.LBB1_28152-.Lpost_getpc10491)>>32
	s_setpc_b64 s[14:15]
.LBB1_13814:
	s_or_b64 exec, exec, s[6:7]
	s_and_saveexec_b64 s[6:7], s[4:5]
	s_cbranch_execz .LBB1_13816
.LBB1_13815:
	v_bfe_u32 v3, v5, 16, 3
	v_ffbh_u32_e32 v7, v3
	v_min_u32_e32 v7, 32, v7
	v_lshrrev_b32_e32 v4, 19, v5
	v_subrev_u32_e32 v8, 28, v7
	v_and_b32_e32 v4, 15, v4
	v_lshlrev_b32_sdwa v8, v8, v5 dst_sel:DWORD dst_unused:UNUSED_PAD src0_sel:DWORD src1_sel:WORD_1
	v_bfe_u32 v6, v5, 19, 4
	v_sub_u32_e32 v7, 29, v7
	v_and_b32_e32 v8, 7, v8
	v_cmp_eq_u16_e32 vcc, 0, v4
	v_cndmask_b32_e32 v3, v3, v8, vcc
	v_cndmask_b32_e32 v4, v6, v7, vcc
	v_lshlrev_b32_e32 v6, 8, v5
	v_mov_b32_e32 v7, 0x3b800000
	v_lshlrev_b32_e32 v3, 20, v3
	v_and_b32_e32 v6, 0x80000000, v6
	v_lshl_add_u32 v4, v4, 23, v7
	v_or3_b32 v4, v6, v4, v3
.LBB1_13816:
	s_or_b64 exec, exec, s[6:7]
	s_nop 0
	v_mfma_f32_16x16x4f32 a[0:3], v2, v4, a[0:3]
	s_movk_i32 s4, 0x7f
	v_cmp_gt_i16_sdwa s[6:7], v9, s4 src0_sel:BYTE_3 src1_sel:DWORD
	s_mov_b64 s[4:5], 0
                                        ; implicit-def: $sgpr10
	s_and_saveexec_b64 s[8:9], s[6:7]
	s_xor_b64 s[6:7], exec, s[8:9]
	s_cbranch_execz .LBB1_13817
; %bb.49657:
	s_getpc_b64 s[14:15]
.Lpost_getpc10492:
	s_add_u32 s14, s14, (.LBB1_28153-.Lpost_getpc10492)&4294967295
	s_addc_u32 s15, s15, (.LBB1_28153-.Lpost_getpc10492)>>32
	s_setpc_b64 s[14:15]
.LBB1_13817:
	s_or_saveexec_b64 s[6:7], s[6:7]
	v_mov_b32_e32 v2, s10
	s_xor_b64 exec, exec, s[6:7]
	s_cbranch_execz .LBB1_13818
; %bb.49659:
	s_getpc_b64 s[14:15]
.Lpost_getpc10493:
	s_add_u32 s14, s14, (.LBB1_28156-.Lpost_getpc10493)&4294967295
	s_addc_u32 s15, s15, (.LBB1_28156-.Lpost_getpc10493)>>32
	s_setpc_b64 s[14:15]
.LBB1_13818:
	s_or_b64 exec, exec, s[6:7]
	s_and_saveexec_b64 s[6:7], s[4:5]
	s_cbranch_execz .LBB1_13820
.LBB1_13819:
	v_bfe_u32 v2, v9, 24, 3
	v_ffbh_u32_e32 v7, v2
	v_min_u32_e32 v7, 32, v7
	v_lshrrev_b32_e32 v4, 27, v9
	v_subrev_u32_e32 v8, 28, v7
	v_and_b32_e32 v4, 15, v4
	v_lshlrev_b32_sdwa v8, v8, v9 dst_sel:DWORD dst_unused:UNUSED_PAD src0_sel:DWORD src1_sel:BYTE_3
	v_bfe_u32 v6, v9, 27, 4
	v_sub_u32_e32 v7, 29, v7
	v_and_b32_e32 v8, 7, v8
	v_cmp_eq_u16_e32 vcc, 0, v4
	v_cndmask_b32_e32 v2, v2, v8, vcc
	v_cndmask_b32_e32 v4, v6, v7, vcc
	v_mov_b32_e32 v6, 0x3b800000
	v_and_b32_e32 v3, 0x80000000, v9
	v_lshlrev_b32_e32 v2, 20, v2
	v_lshl_add_u32 v4, v4, 23, v6
	v_or3_b32 v2, v3, v4, v2
.LBB1_13820:
	s_or_b64 exec, exec, s[6:7]
	s_movk_i32 s4, 0x7f
	v_cmp_gt_i16_sdwa s[6:7], v5, s4 src0_sel:BYTE_3 src1_sel:DWORD
	s_mov_b64 s[4:5], 0
                                        ; implicit-def: $sgpr10
	s_and_saveexec_b64 s[8:9], s[6:7]
	s_xor_b64 s[6:7], exec, s[8:9]
	s_cbranch_execz .LBB1_13821
; %bb.49661:
	s_getpc_b64 s[14:15]
.Lpost_getpc10494:
	s_add_u32 s14, s14, (.LBB1_28157-.Lpost_getpc10494)&4294967295
	s_addc_u32 s15, s15, (.LBB1_28157-.Lpost_getpc10494)>>32
	s_setpc_b64 s[14:15]
.LBB1_13821:
	s_or_saveexec_b64 s[6:7], s[6:7]
	v_mov_b32_e32 v3, s10
	s_xor_b64 exec, exec, s[6:7]
	s_cbranch_execz .LBB1_13822
; %bb.49663:
	s_getpc_b64 s[14:15]
.Lpost_getpc10495:
	s_add_u32 s14, s14, (.LBB1_28160-.Lpost_getpc10495)&4294967295
	s_addc_u32 s15, s15, (.LBB1_28160-.Lpost_getpc10495)>>32
	s_setpc_b64 s[14:15]
.LBB1_13822:
	s_or_b64 exec, exec, s[6:7]
	s_and_saveexec_b64 s[6:7], s[4:5]
	s_cbranch_execz .LBB1_13824
.LBB1_13823:
	v_bfe_u32 v3, v5, 24, 3
	v_ffbh_u32_e32 v8, v3
	v_min_u32_e32 v8, 32, v8
	v_lshrrev_b32_e32 v6, 27, v5
	v_subrev_u32_e32 v9, 28, v8
	v_and_b32_e32 v4, 0x80000000, v5
	v_and_b32_e32 v6, 15, v6
	v_bfe_u32 v7, v5, 27, 4
	v_lshlrev_b32_sdwa v5, v9, v5 dst_sel:DWORD dst_unused:UNUSED_PAD src0_sel:DWORD src1_sel:BYTE_3
	v_sub_u32_e32 v8, 29, v8
	v_and_b32_e32 v5, 7, v5
	v_cmp_eq_u16_e32 vcc, 0, v6
	v_cndmask_b32_e32 v3, v3, v5, vcc
	v_cndmask_b32_e32 v5, v7, v8, vcc
	v_mov_b32_e32 v6, 0x3b800000
	v_lshlrev_b32_e32 v3, 20, v3
	v_lshl_add_u32 v5, v5, 23, v6
	v_or3_b32 v3, v4, v5, v3
.LBB1_13824:
	s_or_b64 exec, exec, s[6:7]
	s_nop 0
	v_mfma_f32_16x16x4f32 a[0:3], v2, v3, a[0:3]
	s_movk_i32 s4, 0x7f
                                        ; implicit-def: $sgpr10
	s_nop 7
	s_nop 1
	flat_store_dwordx4 v[10:11], a[0:3] offset:816
	flat_load_dwordx4 v[12:15], v[0:1]
	s_nop 0
	flat_load_dwordx2 v[10:11], v[0:1] offset:16
	s_waitcnt vmcnt(0) lgkmcnt(0)
	flat_load_dwordx4 v[6:9], v[12:13] offset:208
	flat_load_dwordx4 v[2:5], v[14:15] offset:192
	s_waitcnt vmcnt(0) lgkmcnt(0)
	v_cmp_gt_i16_sdwa s[6:7], v6, s4 src0_sel:BYTE_0 src1_sel:DWORD
	s_mov_b64 s[4:5], 0
	s_and_saveexec_b64 s[8:9], s[6:7]
	s_xor_b64 s[6:7], exec, s[8:9]
	s_cbranch_execz .LBB1_13825
; %bb.49665:
	s_getpc_b64 s[14:15]
.Lpost_getpc10496:
	s_add_u32 s14, s14, (.LBB1_28161-.Lpost_getpc10496)&4294967295
	s_addc_u32 s15, s15, (.LBB1_28161-.Lpost_getpc10496)>>32
	s_setpc_b64 s[14:15]
.LBB1_13825:
	s_or_saveexec_b64 s[6:7], s[6:7]
	v_mov_b32_e32 v12, s10
	s_xor_b64 exec, exec, s[6:7]
	s_cbranch_execz .LBB1_13826
; %bb.49667:
	s_getpc_b64 s[14:15]
.Lpost_getpc10497:
	s_add_u32 s14, s14, (.LBB1_28164-.Lpost_getpc10497)&4294967295
	s_addc_u32 s15, s15, (.LBB1_28164-.Lpost_getpc10497)>>32
	s_setpc_b64 s[14:15]
.LBB1_13826:
	s_or_b64 exec, exec, s[6:7]
	s_and_saveexec_b64 s[6:7], s[4:5]
	s_cbranch_execz .LBB1_13828
.LBB1_13827:
	v_and_b32_e32 v12, 7, v6
	v_ffbh_u32_e32 v14, v12
	v_min_u32_e32 v14, 32, v14
	v_lshrrev_b16_e32 v13, 3, v6
	v_subrev_u32_e32 v15, 28, v14
	v_and_b32_e32 v13, 15, v13
	v_lshlrev_b32_e32 v15, v15, v6
	v_sub_u32_e32 v14, 29, v14
	v_and_b32_e32 v15, 7, v15
	v_cmp_eq_u16_e32 vcc, 0, v13
	v_cndmask_b32_e32 v12, v12, v15, vcc
	v_cndmask_b32_e32 v13, v13, v14, vcc
	v_lshlrev_b32_e32 v14, 24, v6
	v_mov_b32_e32 v15, 0x3b800000
	v_lshlrev_b32_e32 v12, 20, v12
	v_and_b32_e32 v14, 0x80000000, v14
	v_lshl_add_u32 v13, v13, 23, v15
	v_or3_b32 v12, v14, v13, v12
.LBB1_13828:
	s_or_b64 exec, exec, s[6:7]
	s_movk_i32 s4, 0x7f
	v_cmp_gt_i16_sdwa s[6:7], v2, s4 src0_sel:BYTE_0 src1_sel:DWORD
	s_mov_b64 s[4:5], 0
                                        ; implicit-def: $sgpr10
	s_and_saveexec_b64 s[8:9], s[6:7]
	s_xor_b64 s[6:7], exec, s[8:9]
	s_cbranch_execz .LBB1_13829
; %bb.49669:
	s_getpc_b64 s[14:15]
.Lpost_getpc10498:
	s_add_u32 s14, s14, (.LBB1_28165-.Lpost_getpc10498)&4294967295
	s_addc_u32 s15, s15, (.LBB1_28165-.Lpost_getpc10498)>>32
	s_setpc_b64 s[14:15]
.LBB1_13829:
	s_or_saveexec_b64 s[6:7], s[6:7]
	v_mov_b32_e32 v13, s10
	s_xor_b64 exec, exec, s[6:7]
	s_cbranch_execz .LBB1_13830
; %bb.49671:
	s_getpc_b64 s[14:15]
.Lpost_getpc10499:
	s_add_u32 s14, s14, (.LBB1_28168-.Lpost_getpc10499)&4294967295
	s_addc_u32 s15, s15, (.LBB1_28168-.Lpost_getpc10499)>>32
	s_setpc_b64 s[14:15]
.LBB1_13830:
	s_or_b64 exec, exec, s[6:7]
	s_and_saveexec_b64 s[6:7], s[4:5]
	s_cbranch_execz .LBB1_13832
.LBB1_13831:
	v_and_b32_e32 v13, 7, v2
	v_ffbh_u32_e32 v15, v13
	v_min_u32_e32 v15, 32, v15
	v_lshrrev_b16_e32 v14, 3, v2
	v_subrev_u32_e32 v16, 28, v15
	v_and_b32_e32 v14, 15, v14
	v_lshlrev_b32_e32 v16, v16, v2
	v_sub_u32_e32 v15, 29, v15
	v_and_b32_e32 v16, 7, v16
	v_cmp_eq_u16_e32 vcc, 0, v14
	v_cndmask_b32_e32 v13, v13, v16, vcc
	v_cndmask_b32_e32 v14, v14, v15, vcc
	v_lshlrev_b32_e32 v15, 24, v2
	v_mov_b32_e32 v16, 0x3b800000
	v_lshlrev_b32_e32 v13, 20, v13
	v_and_b32_e32 v15, 0x80000000, v15
	v_lshl_add_u32 v14, v14, 23, v16
	v_or3_b32 v13, v15, v14, v13
.LBB1_13832:
	s_or_b64 exec, exec, s[6:7]
	flat_load_dwordx4 a[0:3], v[10:11] offset:832
	s_movk_i32 s4, 0x7f
                                        ; implicit-def: $sgpr10
	s_waitcnt vmcnt(0) lgkmcnt(0)
	v_mfma_f32_16x16x4f32 a[0:3], v12, v13, a[0:3]
	v_lshrrev_b32_e32 v13, 8, v6
	v_cmp_gt_i16_sdwa s[6:7], v13, s4 src0_sel:BYTE_0 src1_sel:DWORD
	s_mov_b64 s[4:5], 0
	s_and_saveexec_b64 s[8:9], s[6:7]
	s_xor_b64 s[6:7], exec, s[8:9]
	s_cbranch_execz .LBB1_13833
; %bb.49673:
	s_getpc_b64 s[14:15]
.Lpost_getpc10500:
	s_add_u32 s14, s14, (.LBB1_28169-.Lpost_getpc10500)&4294967295
	s_addc_u32 s15, s15, (.LBB1_28169-.Lpost_getpc10500)>>32
	s_setpc_b64 s[14:15]
.LBB1_13833:
	s_or_saveexec_b64 s[6:7], s[6:7]
	v_mov_b32_e32 v12, s10
	s_xor_b64 exec, exec, s[6:7]
	s_cbranch_execz .LBB1_13834
; %bb.49675:
	s_getpc_b64 s[14:15]
.Lpost_getpc10501:
	s_add_u32 s14, s14, (.LBB1_28172-.Lpost_getpc10501)&4294967295
	s_addc_u32 s15, s15, (.LBB1_28172-.Lpost_getpc10501)>>32
	s_setpc_b64 s[14:15]
.LBB1_13834:
	s_or_b64 exec, exec, s[6:7]
	s_and_saveexec_b64 s[6:7], s[4:5]
	s_cbranch_execz .LBB1_13836
.LBB1_13835:
	v_bfe_u32 v12, v6, 8, 3
	v_ffbh_u32_e32 v15, v12
	v_min_u32_e32 v15, 32, v15
	v_lshrrev_b16_e32 v14, 3, v13
	v_subrev_u32_e32 v16, 28, v15
	v_and_b32_e32 v14, 15, v14
	v_lshlrev_b32_e32 v13, v16, v13
	v_sub_u32_e32 v15, 29, v15
	v_and_b32_e32 v13, 7, v13
	v_cmp_eq_u16_e32 vcc, 0, v14
	v_cndmask_b32_e32 v12, v12, v13, vcc
	v_cndmask_b32_e32 v13, v14, v15, vcc
	v_lshlrev_b32_e32 v14, 16, v6
	v_mov_b32_e32 v15, 0x3b800000
	v_lshlrev_b32_e32 v12, 20, v12
	v_and_b32_e32 v14, 0x80000000, v14
	v_lshl_add_u32 v13, v13, 23, v15
	v_or3_b32 v12, v14, v13, v12
.LBB1_13836:
	s_or_b64 exec, exec, s[6:7]
	v_lshrrev_b32_e32 v13, 8, v2
	s_movk_i32 s4, 0x7f
	v_cmp_gt_i16_sdwa s[6:7], v13, s4 src0_sel:BYTE_0 src1_sel:DWORD
	s_mov_b64 s[4:5], 0
                                        ; implicit-def: $sgpr10
	s_and_saveexec_b64 s[8:9], s[6:7]
	s_xor_b64 s[6:7], exec, s[8:9]
	s_cbranch_execz .LBB1_13837
; %bb.49677:
	s_getpc_b64 s[14:15]
.Lpost_getpc10502:
	s_add_u32 s14, s14, (.LBB1_28173-.Lpost_getpc10502)&4294967295
	s_addc_u32 s15, s15, (.LBB1_28173-.Lpost_getpc10502)>>32
	s_setpc_b64 s[14:15]
.LBB1_13837:
	s_or_saveexec_b64 s[6:7], s[6:7]
	v_mov_b32_e32 v14, s10
	s_xor_b64 exec, exec, s[6:7]
	s_cbranch_execz .LBB1_13838
; %bb.49679:
	s_getpc_b64 s[14:15]
.Lpost_getpc10503:
	s_add_u32 s14, s14, (.LBB1_28176-.Lpost_getpc10503)&4294967295
	s_addc_u32 s15, s15, (.LBB1_28176-.Lpost_getpc10503)>>32
	s_setpc_b64 s[14:15]
.LBB1_13838:
	s_or_b64 exec, exec, s[6:7]
	s_and_saveexec_b64 s[6:7], s[4:5]
	s_cbranch_execz .LBB1_13840
.LBB1_13839:
	v_bfe_u32 v14, v2, 8, 3
	v_ffbh_u32_e32 v16, v14
	v_min_u32_e32 v16, 32, v16
	v_lshrrev_b16_e32 v15, 3, v13
	v_subrev_u32_e32 v17, 28, v16
	v_and_b32_e32 v15, 15, v15
	v_lshlrev_b32_e32 v13, v17, v13
	v_sub_u32_e32 v16, 29, v16
	v_and_b32_e32 v13, 7, v13
	v_cmp_eq_u16_e32 vcc, 0, v15
	v_cndmask_b32_e32 v13, v14, v13, vcc
	v_cndmask_b32_e32 v14, v15, v16, vcc
	v_lshlrev_b32_e32 v15, 16, v2
	v_mov_b32_e32 v16, 0x3b800000
	v_lshlrev_b32_e32 v13, 20, v13
	v_and_b32_e32 v15, 0x80000000, v15
	v_lshl_add_u32 v14, v14, 23, v16
	v_or3_b32 v14, v15, v14, v13
.LBB1_13840:
	s_or_b64 exec, exec, s[6:7]
	s_nop 0
	v_mfma_f32_16x16x4f32 a[0:3], v12, v14, a[0:3]
	s_movk_i32 s4, 0xff
	v_and_b32_sdwa v13, v6, s4 dst_sel:DWORD dst_unused:UNUSED_PAD src0_sel:WORD_1 src1_sel:DWORD
	s_movk_i32 s4, 0x7f
	v_cmp_lt_i16_e32 vcc, s4, v13
	s_mov_b64 s[4:5], 0
                                        ; implicit-def: $sgpr10
	s_and_saveexec_b64 s[6:7], vcc
	s_xor_b64 s[6:7], exec, s[6:7]
	s_cbranch_execz .LBB1_13841
; %bb.49681:
	s_getpc_b64 s[14:15]
.Lpost_getpc10504:
	s_add_u32 s14, s14, (.LBB1_28177-.Lpost_getpc10504)&4294967295
	s_addc_u32 s15, s15, (.LBB1_28177-.Lpost_getpc10504)>>32
	s_setpc_b64 s[14:15]
.LBB1_13841:
	s_or_saveexec_b64 s[6:7], s[6:7]
	v_mov_b32_e32 v12, s10
	s_xor_b64 exec, exec, s[6:7]
	s_cbranch_execz .LBB1_13842
; %bb.49683:
	s_getpc_b64 s[14:15]
.Lpost_getpc10505:
	s_add_u32 s14, s14, (.LBB1_28180-.Lpost_getpc10505)&4294967295
	s_addc_u32 s15, s15, (.LBB1_28180-.Lpost_getpc10505)>>32
	s_setpc_b64 s[14:15]
.LBB1_13842:
	s_or_b64 exec, exec, s[6:7]
	s_and_saveexec_b64 s[6:7], s[4:5]
	s_cbranch_execz .LBB1_13844
.LBB1_13843:
	v_bfe_u32 v12, v6, 16, 3
	v_ffbh_u32_e32 v15, v12
	v_min_u32_e32 v15, 32, v15
	v_lshrrev_b32_e32 v13, 19, v6
	v_subrev_u32_e32 v16, 28, v15
	v_and_b32_e32 v13, 15, v13
	v_lshlrev_b32_sdwa v16, v16, v6 dst_sel:DWORD dst_unused:UNUSED_PAD src0_sel:DWORD src1_sel:WORD_1
	v_bfe_u32 v14, v6, 19, 4
	v_sub_u32_e32 v15, 29, v15
	v_and_b32_e32 v16, 7, v16
	v_cmp_eq_u16_e32 vcc, 0, v13
	v_cndmask_b32_e32 v12, v12, v16, vcc
	v_cndmask_b32_e32 v13, v14, v15, vcc
	v_lshlrev_b32_e32 v14, 8, v6
	v_mov_b32_e32 v15, 0x3b800000
	v_lshlrev_b32_e32 v12, 20, v12
	v_and_b32_e32 v14, 0x80000000, v14
	v_lshl_add_u32 v13, v13, 23, v15
	v_or3_b32 v12, v14, v13, v12
.LBB1_13844:
	s_or_b64 exec, exec, s[6:7]
	s_movk_i32 s4, 0xff
	v_and_b32_sdwa v13, v2, s4 dst_sel:DWORD dst_unused:UNUSED_PAD src0_sel:WORD_1 src1_sel:DWORD
	s_movk_i32 s4, 0x7f
	v_cmp_lt_i16_e32 vcc, s4, v13
	s_mov_b64 s[4:5], 0
                                        ; implicit-def: $sgpr10
	s_and_saveexec_b64 s[6:7], vcc
	s_xor_b64 s[6:7], exec, s[6:7]
	s_cbranch_execz .LBB1_13845
; %bb.49685:
	s_getpc_b64 s[14:15]
.Lpost_getpc10506:
	s_add_u32 s14, s14, (.LBB1_28181-.Lpost_getpc10506)&4294967295
	s_addc_u32 s15, s15, (.LBB1_28181-.Lpost_getpc10506)>>32
	s_setpc_b64 s[14:15]
.LBB1_13845:
	s_or_saveexec_b64 s[6:7], s[6:7]
	v_mov_b32_e32 v14, s10
	s_xor_b64 exec, exec, s[6:7]
	s_cbranch_execz .LBB1_13846
; %bb.49687:
	s_getpc_b64 s[14:15]
.Lpost_getpc10507:
	s_add_u32 s14, s14, (.LBB1_28184-.Lpost_getpc10507)&4294967295
	s_addc_u32 s15, s15, (.LBB1_28184-.Lpost_getpc10507)>>32
	s_setpc_b64 s[14:15]
.LBB1_13846:
	s_or_b64 exec, exec, s[6:7]
	s_and_saveexec_b64 s[6:7], s[4:5]
	s_cbranch_execz .LBB1_13848
.LBB1_13847:
	v_bfe_u32 v13, v2, 16, 3
	v_ffbh_u32_e32 v16, v13
	v_min_u32_e32 v16, 32, v16
	v_lshrrev_b32_e32 v14, 19, v2
	v_subrev_u32_e32 v17, 28, v16
	v_and_b32_e32 v14, 15, v14
	v_lshlrev_b32_sdwa v17, v17, v2 dst_sel:DWORD dst_unused:UNUSED_PAD src0_sel:DWORD src1_sel:WORD_1
	v_bfe_u32 v15, v2, 19, 4
	v_sub_u32_e32 v16, 29, v16
	v_and_b32_e32 v17, 7, v17
	v_cmp_eq_u16_e32 vcc, 0, v14
	v_cndmask_b32_e32 v13, v13, v17, vcc
	v_cndmask_b32_e32 v14, v15, v16, vcc
	v_lshlrev_b32_e32 v15, 8, v2
	v_mov_b32_e32 v16, 0x3b800000
	v_lshlrev_b32_e32 v13, 20, v13
	v_and_b32_e32 v15, 0x80000000, v15
	v_lshl_add_u32 v14, v14, 23, v16
	v_or3_b32 v14, v15, v14, v13
.LBB1_13848:
	s_or_b64 exec, exec, s[6:7]
	s_nop 0
	v_mfma_f32_16x16x4f32 a[0:3], v12, v14, a[0:3]
	s_movk_i32 s4, 0x7f
	v_cmp_gt_i16_sdwa s[6:7], v6, s4 src0_sel:BYTE_3 src1_sel:DWORD
	s_mov_b64 s[4:5], 0
                                        ; implicit-def: $sgpr10
	s_and_saveexec_b64 s[8:9], s[6:7]
	s_xor_b64 s[6:7], exec, s[8:9]
	s_cbranch_execz .LBB1_13849
; %bb.49689:
	s_getpc_b64 s[14:15]
.Lpost_getpc10508:
	s_add_u32 s14, s14, (.LBB1_28185-.Lpost_getpc10508)&4294967295
	s_addc_u32 s15, s15, (.LBB1_28185-.Lpost_getpc10508)>>32
	s_setpc_b64 s[14:15]
.LBB1_13849:
	s_or_saveexec_b64 s[6:7], s[6:7]
	v_mov_b32_e32 v12, s10
	s_xor_b64 exec, exec, s[6:7]
	s_cbranch_execz .LBB1_13850
; %bb.49691:
	s_getpc_b64 s[14:15]
.Lpost_getpc10509:
	s_add_u32 s14, s14, (.LBB1_28188-.Lpost_getpc10509)&4294967295
	s_addc_u32 s15, s15, (.LBB1_28188-.Lpost_getpc10509)>>32
	s_setpc_b64 s[14:15]
.LBB1_13850:
	s_or_b64 exec, exec, s[6:7]
	s_and_saveexec_b64 s[6:7], s[4:5]
	s_cbranch_execz .LBB1_13852
.LBB1_13851:
	v_bfe_u32 v12, v6, 24, 3
	v_ffbh_u32_e32 v16, v12
	v_min_u32_e32 v16, 32, v16
	v_lshrrev_b32_e32 v14, 27, v6
	v_subrev_u32_e32 v17, 28, v16
	v_and_b32_e32 v13, 0x80000000, v6
	v_and_b32_e32 v14, 15, v14
	v_bfe_u32 v15, v6, 27, 4
	v_lshlrev_b32_sdwa v6, v17, v6 dst_sel:DWORD dst_unused:UNUSED_PAD src0_sel:DWORD src1_sel:BYTE_3
	v_sub_u32_e32 v16, 29, v16
	v_and_b32_e32 v6, 7, v6
	v_cmp_eq_u16_e32 vcc, 0, v14
	v_cndmask_b32_e32 v6, v12, v6, vcc
	v_cndmask_b32_e32 v12, v15, v16, vcc
	v_mov_b32_e32 v14, 0x3b800000
	v_lshlrev_b32_e32 v6, 20, v6
	v_lshl_add_u32 v12, v12, 23, v14
	v_or3_b32 v12, v13, v12, v6
.LBB1_13852:
	s_or_b64 exec, exec, s[6:7]
	s_movk_i32 s4, 0x7f
	v_cmp_gt_i16_sdwa s[6:7], v2, s4 src0_sel:BYTE_3 src1_sel:DWORD
	s_mov_b64 s[4:5], 0
                                        ; implicit-def: $sgpr10
	s_and_saveexec_b64 s[8:9], s[6:7]
	s_xor_b64 s[6:7], exec, s[8:9]
	s_cbranch_execz .LBB1_13853
; %bb.49693:
	s_getpc_b64 s[14:15]
.Lpost_getpc10510:
	s_add_u32 s14, s14, (.LBB1_28189-.Lpost_getpc10510)&4294967295
	s_addc_u32 s15, s15, (.LBB1_28189-.Lpost_getpc10510)>>32
	s_setpc_b64 s[14:15]
.LBB1_13853:
	s_or_saveexec_b64 s[6:7], s[6:7]
	v_mov_b32_e32 v6, s10
	s_xor_b64 exec, exec, s[6:7]
	s_cbranch_execz .LBB1_13854
; %bb.49695:
	s_getpc_b64 s[14:15]
.Lpost_getpc10511:
	s_add_u32 s14, s14, (.LBB1_28192-.Lpost_getpc10511)&4294967295
	s_addc_u32 s15, s15, (.LBB1_28192-.Lpost_getpc10511)>>32
	s_setpc_b64 s[14:15]
.LBB1_13854:
	s_or_b64 exec, exec, s[6:7]
	s_and_saveexec_b64 s[6:7], s[4:5]
	s_cbranch_execz .LBB1_13856
.LBB1_13855:
	v_bfe_u32 v6, v2, 24, 3
	v_ffbh_u32_e32 v16, v6
	v_min_u32_e32 v16, 32, v16
	v_lshrrev_b32_e32 v14, 27, v2
	v_subrev_u32_e32 v17, 28, v16
	v_and_b32_e32 v13, 0x80000000, v2
	v_and_b32_e32 v14, 15, v14
	v_bfe_u32 v15, v2, 27, 4
	v_lshlrev_b32_sdwa v2, v17, v2 dst_sel:DWORD dst_unused:UNUSED_PAD src0_sel:DWORD src1_sel:BYTE_3
	v_sub_u32_e32 v16, 29, v16
	v_and_b32_e32 v2, 7, v2
	v_cmp_eq_u16_e32 vcc, 0, v14
	v_cndmask_b32_e32 v2, v6, v2, vcc
	v_cndmask_b32_e32 v6, v15, v16, vcc
	v_mov_b32_e32 v14, 0x3b800000
	v_lshlrev_b32_e32 v2, 20, v2
	v_lshl_add_u32 v6, v6, 23, v14
	v_or3_b32 v6, v13, v6, v2
.LBB1_13856:
	s_or_b64 exec, exec, s[6:7]
	s_nop 0
	v_mfma_f32_16x16x4f32 a[0:3], v12, v6, a[0:3]
	s_movk_i32 s4, 0x7f
	v_cmp_gt_i16_sdwa s[6:7], v7, s4 src0_sel:BYTE_0 src1_sel:DWORD
	s_mov_b64 s[4:5], 0
                                        ; implicit-def: $sgpr10
	s_and_saveexec_b64 s[8:9], s[6:7]
	s_xor_b64 s[6:7], exec, s[8:9]
	s_cbranch_execz .LBB1_13857
; %bb.49697:
	s_getpc_b64 s[14:15]
.Lpost_getpc10512:
	s_add_u32 s14, s14, (.LBB1_28193-.Lpost_getpc10512)&4294967295
	s_addc_u32 s15, s15, (.LBB1_28193-.Lpost_getpc10512)>>32
	s_setpc_b64 s[14:15]
.LBB1_13857:
	s_or_saveexec_b64 s[6:7], s[6:7]
	v_mov_b32_e32 v2, s10
	s_xor_b64 exec, exec, s[6:7]
	s_cbranch_execz .LBB1_13858
; %bb.49699:
	s_getpc_b64 s[14:15]
.Lpost_getpc10513:
	s_add_u32 s14, s14, (.LBB1_28196-.Lpost_getpc10513)&4294967295
	s_addc_u32 s15, s15, (.LBB1_28196-.Lpost_getpc10513)>>32
	s_setpc_b64 s[14:15]
.LBB1_13858:
	s_or_b64 exec, exec, s[6:7]
	s_and_saveexec_b64 s[6:7], s[4:5]
	s_cbranch_execz .LBB1_13860
.LBB1_13859:
	v_and_b32_e32 v2, 7, v7
	v_ffbh_u32_e32 v12, v2
	v_min_u32_e32 v12, 32, v12
	v_lshrrev_b16_e32 v6, 3, v7
	v_subrev_u32_e32 v13, 28, v12
	v_and_b32_e32 v6, 15, v6
	v_lshlrev_b32_e32 v13, v13, v7
	v_sub_u32_e32 v12, 29, v12
	v_and_b32_e32 v13, 7, v13
	v_cmp_eq_u16_e32 vcc, 0, v6
	v_cndmask_b32_e32 v2, v2, v13, vcc
	v_cndmask_b32_e32 v6, v6, v12, vcc
	v_lshlrev_b32_e32 v12, 24, v7
	v_mov_b32_e32 v13, 0x3b800000
	v_lshlrev_b32_e32 v2, 20, v2
	v_and_b32_e32 v12, 0x80000000, v12
	v_lshl_add_u32 v6, v6, 23, v13
	v_or3_b32 v2, v12, v6, v2
.LBB1_13860:
	s_or_b64 exec, exec, s[6:7]
	s_movk_i32 s4, 0x7f
	v_cmp_gt_i16_sdwa s[6:7], v3, s4 src0_sel:BYTE_0 src1_sel:DWORD
	s_mov_b64 s[4:5], 0
                                        ; implicit-def: $sgpr10
	s_and_saveexec_b64 s[8:9], s[6:7]
	s_xor_b64 s[6:7], exec, s[8:9]
	s_cbranch_execz .LBB1_13861
; %bb.49701:
	s_getpc_b64 s[14:15]
.Lpost_getpc10514:
	s_add_u32 s14, s14, (.LBB1_28197-.Lpost_getpc10514)&4294967295
	s_addc_u32 s15, s15, (.LBB1_28197-.Lpost_getpc10514)>>32
	s_setpc_b64 s[14:15]
.LBB1_13861:
	s_or_saveexec_b64 s[6:7], s[6:7]
	v_mov_b32_e32 v6, s10
	s_xor_b64 exec, exec, s[6:7]
	s_cbranch_execz .LBB1_13862
; %bb.49703:
	s_getpc_b64 s[14:15]
.Lpost_getpc10515:
	s_add_u32 s14, s14, (.LBB1_28200-.Lpost_getpc10515)&4294967295
	s_addc_u32 s15, s15, (.LBB1_28200-.Lpost_getpc10515)>>32
	s_setpc_b64 s[14:15]
.LBB1_13862:
	s_or_b64 exec, exec, s[6:7]
	s_and_saveexec_b64 s[6:7], s[4:5]
	s_cbranch_execz .LBB1_13864
.LBB1_13863:
	v_and_b32_e32 v6, 7, v3
	v_ffbh_u32_e32 v13, v6
	v_min_u32_e32 v13, 32, v13
	v_lshrrev_b16_e32 v12, 3, v3
	v_subrev_u32_e32 v14, 28, v13
	v_and_b32_e32 v12, 15, v12
	v_lshlrev_b32_e32 v14, v14, v3
	v_sub_u32_e32 v13, 29, v13
	v_and_b32_e32 v14, 7, v14
	v_cmp_eq_u16_e32 vcc, 0, v12
	v_cndmask_b32_e32 v6, v6, v14, vcc
	v_cndmask_b32_e32 v12, v12, v13, vcc
	v_lshlrev_b32_e32 v13, 24, v3
	v_mov_b32_e32 v14, 0x3b800000
	v_lshlrev_b32_e32 v6, 20, v6
	v_and_b32_e32 v13, 0x80000000, v13
	v_lshl_add_u32 v12, v12, 23, v14
	v_or3_b32 v6, v13, v12, v6
.LBB1_13864:
	s_or_b64 exec, exec, s[6:7]
	s_nop 0
	v_mfma_f32_16x16x4f32 a[0:3], v2, v6, a[0:3]
	v_lshrrev_b32_e32 v6, 8, v7
	s_movk_i32 s4, 0x7f
	v_cmp_gt_i16_sdwa s[6:7], v6, s4 src0_sel:BYTE_0 src1_sel:DWORD
	s_mov_b64 s[4:5], 0
                                        ; implicit-def: $sgpr10
	s_and_saveexec_b64 s[8:9], s[6:7]
	s_xor_b64 s[6:7], exec, s[8:9]
	s_cbranch_execz .LBB1_13865
; %bb.49705:
	s_getpc_b64 s[14:15]
.Lpost_getpc10516:
	s_add_u32 s14, s14, (.LBB1_28201-.Lpost_getpc10516)&4294967295
	s_addc_u32 s15, s15, (.LBB1_28201-.Lpost_getpc10516)>>32
	s_setpc_b64 s[14:15]
.LBB1_13865:
	s_or_saveexec_b64 s[6:7], s[6:7]
	v_mov_b32_e32 v2, s10
	s_xor_b64 exec, exec, s[6:7]
	s_cbranch_execz .LBB1_13866
; %bb.49707:
	s_getpc_b64 s[14:15]
.Lpost_getpc10517:
	s_add_u32 s14, s14, (.LBB1_28204-.Lpost_getpc10517)&4294967295
	s_addc_u32 s15, s15, (.LBB1_28204-.Lpost_getpc10517)>>32
	s_setpc_b64 s[14:15]
.LBB1_13866:
	s_or_b64 exec, exec, s[6:7]
	s_and_saveexec_b64 s[6:7], s[4:5]
	s_cbranch_execz .LBB1_13868
.LBB1_13867:
	v_bfe_u32 v2, v7, 8, 3
	v_ffbh_u32_e32 v13, v2
	v_min_u32_e32 v13, 32, v13
	v_lshrrev_b16_e32 v12, 3, v6
	v_subrev_u32_e32 v14, 28, v13
	v_and_b32_e32 v12, 15, v12
	v_lshlrev_b32_e32 v6, v14, v6
	v_sub_u32_e32 v13, 29, v13
	v_and_b32_e32 v6, 7, v6
	v_cmp_eq_u16_e32 vcc, 0, v12
	v_cndmask_b32_e32 v2, v2, v6, vcc
	v_cndmask_b32_e32 v6, v12, v13, vcc
	v_lshlrev_b32_e32 v12, 16, v7
	v_mov_b32_e32 v13, 0x3b800000
	v_lshlrev_b32_e32 v2, 20, v2
	v_and_b32_e32 v12, 0x80000000, v12
	v_lshl_add_u32 v6, v6, 23, v13
	v_or3_b32 v2, v12, v6, v2
.LBB1_13868:
	s_or_b64 exec, exec, s[6:7]
	v_lshrrev_b32_e32 v6, 8, v3
	s_movk_i32 s4, 0x7f
	v_cmp_gt_i16_sdwa s[6:7], v6, s4 src0_sel:BYTE_0 src1_sel:DWORD
	s_mov_b64 s[4:5], 0
                                        ; implicit-def: $sgpr10
	s_and_saveexec_b64 s[8:9], s[6:7]
	s_xor_b64 s[6:7], exec, s[8:9]
	s_cbranch_execz .LBB1_13869
; %bb.49709:
	s_getpc_b64 s[14:15]
.Lpost_getpc10518:
	s_add_u32 s14, s14, (.LBB1_28205-.Lpost_getpc10518)&4294967295
	s_addc_u32 s15, s15, (.LBB1_28205-.Lpost_getpc10518)>>32
	s_setpc_b64 s[14:15]
.LBB1_13869:
	s_or_saveexec_b64 s[6:7], s[6:7]
	v_mov_b32_e32 v12, s10
	s_xor_b64 exec, exec, s[6:7]
	s_cbranch_execz .LBB1_13870
; %bb.49711:
	s_getpc_b64 s[14:15]
.Lpost_getpc10519:
	s_add_u32 s14, s14, (.LBB1_28208-.Lpost_getpc10519)&4294967295
	s_addc_u32 s15, s15, (.LBB1_28208-.Lpost_getpc10519)>>32
	s_setpc_b64 s[14:15]
.LBB1_13870:
	s_or_b64 exec, exec, s[6:7]
	s_and_saveexec_b64 s[6:7], s[4:5]
	s_cbranch_execz .LBB1_13872
.LBB1_13871:
	v_bfe_u32 v12, v3, 8, 3
	v_ffbh_u32_e32 v14, v12
	v_min_u32_e32 v14, 32, v14
	v_lshrrev_b16_e32 v13, 3, v6
	v_subrev_u32_e32 v15, 28, v14
	v_and_b32_e32 v13, 15, v13
	v_lshlrev_b32_e32 v6, v15, v6
	v_sub_u32_e32 v14, 29, v14
	v_and_b32_e32 v6, 7, v6
	v_cmp_eq_u16_e32 vcc, 0, v13
	v_cndmask_b32_e32 v6, v12, v6, vcc
	v_cndmask_b32_e32 v12, v13, v14, vcc
	v_lshlrev_b32_e32 v13, 16, v3
	v_mov_b32_e32 v14, 0x3b800000
	v_lshlrev_b32_e32 v6, 20, v6
	v_and_b32_e32 v13, 0x80000000, v13
	v_lshl_add_u32 v12, v12, 23, v14
	v_or3_b32 v12, v13, v12, v6
.LBB1_13872:
	s_or_b64 exec, exec, s[6:7]
	s_nop 0
	v_mfma_f32_16x16x4f32 a[0:3], v2, v12, a[0:3]
	s_movk_i32 s4, 0xff
	v_and_b32_sdwa v6, v7, s4 dst_sel:DWORD dst_unused:UNUSED_PAD src0_sel:WORD_1 src1_sel:DWORD
	s_movk_i32 s4, 0x7f
	v_cmp_lt_i16_e32 vcc, s4, v6
	s_mov_b64 s[4:5], 0
                                        ; implicit-def: $sgpr10
	s_and_saveexec_b64 s[6:7], vcc
	s_xor_b64 s[6:7], exec, s[6:7]
	s_cbranch_execz .LBB1_13873
; %bb.49713:
	s_getpc_b64 s[14:15]
.Lpost_getpc10520:
	s_add_u32 s14, s14, (.LBB1_28209-.Lpost_getpc10520)&4294967295
	s_addc_u32 s15, s15, (.LBB1_28209-.Lpost_getpc10520)>>32
	s_setpc_b64 s[14:15]
.LBB1_13873:
	s_or_saveexec_b64 s[6:7], s[6:7]
	v_mov_b32_e32 v2, s10
	s_xor_b64 exec, exec, s[6:7]
	s_cbranch_execz .LBB1_13874
; %bb.49715:
	s_getpc_b64 s[14:15]
.Lpost_getpc10521:
	s_add_u32 s14, s14, (.LBB1_28212-.Lpost_getpc10521)&4294967295
	s_addc_u32 s15, s15, (.LBB1_28212-.Lpost_getpc10521)>>32
	s_setpc_b64 s[14:15]
.LBB1_13874:
	s_or_b64 exec, exec, s[6:7]
	s_and_saveexec_b64 s[6:7], s[4:5]
	s_cbranch_execz .LBB1_13876
.LBB1_13875:
	v_bfe_u32 v2, v7, 16, 3
	v_ffbh_u32_e32 v13, v2
	v_min_u32_e32 v13, 32, v13
	v_lshrrev_b32_e32 v6, 19, v7
	v_subrev_u32_e32 v14, 28, v13
	v_and_b32_e32 v6, 15, v6
	v_lshlrev_b32_sdwa v14, v14, v7 dst_sel:DWORD dst_unused:UNUSED_PAD src0_sel:DWORD src1_sel:WORD_1
	v_bfe_u32 v12, v7, 19, 4
	v_sub_u32_e32 v13, 29, v13
	v_and_b32_e32 v14, 7, v14
	v_cmp_eq_u16_e32 vcc, 0, v6
	v_cndmask_b32_e32 v2, v2, v14, vcc
	v_cndmask_b32_e32 v6, v12, v13, vcc
	v_lshlrev_b32_e32 v12, 8, v7
	v_mov_b32_e32 v13, 0x3b800000
	v_lshlrev_b32_e32 v2, 20, v2
	v_and_b32_e32 v12, 0x80000000, v12
	v_lshl_add_u32 v6, v6, 23, v13
	v_or3_b32 v2, v12, v6, v2
.LBB1_13876:
	s_or_b64 exec, exec, s[6:7]
	s_movk_i32 s4, 0xff
	v_and_b32_sdwa v6, v3, s4 dst_sel:DWORD dst_unused:UNUSED_PAD src0_sel:WORD_1 src1_sel:DWORD
	s_movk_i32 s4, 0x7f
	v_cmp_lt_i16_e32 vcc, s4, v6
	s_mov_b64 s[4:5], 0
                                        ; implicit-def: $sgpr10
	s_and_saveexec_b64 s[6:7], vcc
	s_xor_b64 s[6:7], exec, s[6:7]
	s_cbranch_execz .LBB1_13877
; %bb.49717:
	s_getpc_b64 s[14:15]
.Lpost_getpc10522:
	s_add_u32 s14, s14, (.LBB1_28213-.Lpost_getpc10522)&4294967295
	s_addc_u32 s15, s15, (.LBB1_28213-.Lpost_getpc10522)>>32
	s_setpc_b64 s[14:15]
.LBB1_13877:
	s_or_saveexec_b64 s[6:7], s[6:7]
	v_mov_b32_e32 v12, s10
	s_xor_b64 exec, exec, s[6:7]
	s_cbranch_execz .LBB1_13878
; %bb.49719:
	s_getpc_b64 s[14:15]
.Lpost_getpc10523:
	s_add_u32 s14, s14, (.LBB1_28216-.Lpost_getpc10523)&4294967295
	s_addc_u32 s15, s15, (.LBB1_28216-.Lpost_getpc10523)>>32
	s_setpc_b64 s[14:15]
.LBB1_13878:
	s_or_b64 exec, exec, s[6:7]
	s_and_saveexec_b64 s[6:7], s[4:5]
	s_cbranch_execz .LBB1_13880
.LBB1_13879:
	v_bfe_u32 v6, v3, 16, 3
	v_ffbh_u32_e32 v14, v6
	v_min_u32_e32 v14, 32, v14
	v_lshrrev_b32_e32 v12, 19, v3
	v_subrev_u32_e32 v15, 28, v14
	v_and_b32_e32 v12, 15, v12
	v_lshlrev_b32_sdwa v15, v15, v3 dst_sel:DWORD dst_unused:UNUSED_PAD src0_sel:DWORD src1_sel:WORD_1
	v_bfe_u32 v13, v3, 19, 4
	v_sub_u32_e32 v14, 29, v14
	v_and_b32_e32 v15, 7, v15
	v_cmp_eq_u16_e32 vcc, 0, v12
	v_cndmask_b32_e32 v6, v6, v15, vcc
	v_cndmask_b32_e32 v12, v13, v14, vcc
	v_lshlrev_b32_e32 v13, 8, v3
	v_mov_b32_e32 v14, 0x3b800000
	v_lshlrev_b32_e32 v6, 20, v6
	v_and_b32_e32 v13, 0x80000000, v13
	v_lshl_add_u32 v12, v12, 23, v14
	v_or3_b32 v12, v13, v12, v6
.LBB1_13880:
	s_or_b64 exec, exec, s[6:7]
	s_nop 0
	v_mfma_f32_16x16x4f32 a[0:3], v2, v12, a[0:3]
	s_movk_i32 s4, 0x7f
	v_cmp_gt_i16_sdwa s[6:7], v7, s4 src0_sel:BYTE_3 src1_sel:DWORD
	s_mov_b64 s[4:5], 0
                                        ; implicit-def: $sgpr10
	s_and_saveexec_b64 s[8:9], s[6:7]
	s_xor_b64 s[6:7], exec, s[8:9]
	s_cbranch_execz .LBB1_13881
; %bb.49721:
	s_getpc_b64 s[14:15]
.Lpost_getpc10524:
	s_add_u32 s14, s14, (.LBB1_28217-.Lpost_getpc10524)&4294967295
	s_addc_u32 s15, s15, (.LBB1_28217-.Lpost_getpc10524)>>32
	s_setpc_b64 s[14:15]
.LBB1_13881:
	s_or_saveexec_b64 s[6:7], s[6:7]
	v_mov_b32_e32 v2, s10
	s_xor_b64 exec, exec, s[6:7]
	s_cbranch_execz .LBB1_13882
; %bb.49723:
	s_getpc_b64 s[14:15]
.Lpost_getpc10525:
	s_add_u32 s14, s14, (.LBB1_28220-.Lpost_getpc10525)&4294967295
	s_addc_u32 s15, s15, (.LBB1_28220-.Lpost_getpc10525)>>32
	s_setpc_b64 s[14:15]
.LBB1_13882:
	s_or_b64 exec, exec, s[6:7]
	s_and_saveexec_b64 s[6:7], s[4:5]
	s_cbranch_execz .LBB1_13884
.LBB1_13883:
	v_bfe_u32 v2, v7, 24, 3
	v_ffbh_u32_e32 v14, v2
	v_min_u32_e32 v14, 32, v14
	v_lshrrev_b32_e32 v12, 27, v7
	v_subrev_u32_e32 v15, 28, v14
	v_and_b32_e32 v6, 0x80000000, v7
	v_and_b32_e32 v12, 15, v12
	v_bfe_u32 v13, v7, 27, 4
	v_lshlrev_b32_sdwa v7, v15, v7 dst_sel:DWORD dst_unused:UNUSED_PAD src0_sel:DWORD src1_sel:BYTE_3
	v_sub_u32_e32 v14, 29, v14
	v_and_b32_e32 v7, 7, v7
	v_cmp_eq_u16_e32 vcc, 0, v12
	v_cndmask_b32_e32 v2, v2, v7, vcc
	v_cndmask_b32_e32 v7, v13, v14, vcc
	v_mov_b32_e32 v12, 0x3b800000
	v_lshlrev_b32_e32 v2, 20, v2
	v_lshl_add_u32 v7, v7, 23, v12
	v_or3_b32 v2, v6, v7, v2
.LBB1_13884:
	s_or_b64 exec, exec, s[6:7]
	s_movk_i32 s4, 0x7f
	v_cmp_gt_i16_sdwa s[6:7], v3, s4 src0_sel:BYTE_3 src1_sel:DWORD
	s_mov_b64 s[4:5], 0
                                        ; implicit-def: $sgpr10
	s_and_saveexec_b64 s[8:9], s[6:7]
	s_xor_b64 s[6:7], exec, s[8:9]
	s_cbranch_execz .LBB1_13885
; %bb.49725:
	s_getpc_b64 s[14:15]
.Lpost_getpc10526:
	s_add_u32 s14, s14, (.LBB1_28221-.Lpost_getpc10526)&4294967295
	s_addc_u32 s15, s15, (.LBB1_28221-.Lpost_getpc10526)>>32
	s_setpc_b64 s[14:15]
.LBB1_13885:
	s_or_saveexec_b64 s[6:7], s[6:7]
	v_mov_b32_e32 v6, s10
	s_xor_b64 exec, exec, s[6:7]
	s_cbranch_execz .LBB1_13886
; %bb.49727:
	s_getpc_b64 s[14:15]
.Lpost_getpc10527:
	s_add_u32 s14, s14, (.LBB1_28224-.Lpost_getpc10527)&4294967295
	s_addc_u32 s15, s15, (.LBB1_28224-.Lpost_getpc10527)>>32
	s_setpc_b64 s[14:15]
.LBB1_13886:
	s_or_b64 exec, exec, s[6:7]
	s_and_saveexec_b64 s[6:7], s[4:5]
	s_cbranch_execz .LBB1_13888
.LBB1_13887:
	v_bfe_u32 v6, v3, 24, 3
	v_ffbh_u32_e32 v14, v6
	v_min_u32_e32 v14, 32, v14
	v_lshrrev_b32_e32 v12, 27, v3
	v_subrev_u32_e32 v15, 28, v14
	v_and_b32_e32 v7, 0x80000000, v3
	v_and_b32_e32 v12, 15, v12
	v_bfe_u32 v13, v3, 27, 4
	v_lshlrev_b32_sdwa v3, v15, v3 dst_sel:DWORD dst_unused:UNUSED_PAD src0_sel:DWORD src1_sel:BYTE_3
	v_sub_u32_e32 v14, 29, v14
	v_and_b32_e32 v3, 7, v3
	v_cmp_eq_u16_e32 vcc, 0, v12
	v_cndmask_b32_e32 v3, v6, v3, vcc
	v_cndmask_b32_e32 v6, v13, v14, vcc
	v_mov_b32_e32 v12, 0x3b800000
	v_lshlrev_b32_e32 v3, 20, v3
	v_lshl_add_u32 v6, v6, 23, v12
	v_or3_b32 v6, v7, v6, v3
.LBB1_13888:
	s_or_b64 exec, exec, s[6:7]
	s_nop 0
	v_mfma_f32_16x16x4f32 a[0:3], v2, v6, a[0:3]
	s_movk_i32 s4, 0x7f
	v_cmp_gt_i16_sdwa s[6:7], v8, s4 src0_sel:BYTE_0 src1_sel:DWORD
	s_mov_b64 s[4:5], 0
                                        ; implicit-def: $sgpr10
	s_and_saveexec_b64 s[8:9], s[6:7]
	s_xor_b64 s[6:7], exec, s[8:9]
	s_cbranch_execz .LBB1_13889
; %bb.49729:
	s_getpc_b64 s[14:15]
.Lpost_getpc10528:
	s_add_u32 s14, s14, (.LBB1_28225-.Lpost_getpc10528)&4294967295
	s_addc_u32 s15, s15, (.LBB1_28225-.Lpost_getpc10528)>>32
	s_setpc_b64 s[14:15]
.LBB1_13889:
	s_or_saveexec_b64 s[6:7], s[6:7]
	v_mov_b32_e32 v2, s10
	s_xor_b64 exec, exec, s[6:7]
	s_cbranch_execz .LBB1_13890
; %bb.49731:
	s_getpc_b64 s[14:15]
.Lpost_getpc10529:
	s_add_u32 s14, s14, (.LBB1_28228-.Lpost_getpc10529)&4294967295
	s_addc_u32 s15, s15, (.LBB1_28228-.Lpost_getpc10529)>>32
	s_setpc_b64 s[14:15]
.LBB1_13890:
	s_or_b64 exec, exec, s[6:7]
	s_and_saveexec_b64 s[6:7], s[4:5]
	s_cbranch_execz .LBB1_13892
.LBB1_13891:
	v_and_b32_e32 v2, 7, v8
	v_ffbh_u32_e32 v6, v2
	v_min_u32_e32 v6, 32, v6
	v_lshrrev_b16_e32 v3, 3, v8
	v_subrev_u32_e32 v7, 28, v6
	v_and_b32_e32 v3, 15, v3
	v_lshlrev_b32_e32 v7, v7, v8
	v_sub_u32_e32 v6, 29, v6
	v_and_b32_e32 v7, 7, v7
	v_cmp_eq_u16_e32 vcc, 0, v3
	v_cndmask_b32_e32 v2, v2, v7, vcc
	v_cndmask_b32_e32 v3, v3, v6, vcc
	v_lshlrev_b32_e32 v6, 24, v8
	v_mov_b32_e32 v7, 0x3b800000
	v_lshlrev_b32_e32 v2, 20, v2
	v_and_b32_e32 v6, 0x80000000, v6
	v_lshl_add_u32 v3, v3, 23, v7
	v_or3_b32 v2, v6, v3, v2
.LBB1_13892:
	s_or_b64 exec, exec, s[6:7]
	s_movk_i32 s4, 0x7f
	v_cmp_gt_i16_sdwa s[6:7], v4, s4 src0_sel:BYTE_0 src1_sel:DWORD
	s_mov_b64 s[4:5], 0
                                        ; implicit-def: $sgpr10
	s_and_saveexec_b64 s[8:9], s[6:7]
	s_xor_b64 s[6:7], exec, s[8:9]
	s_cbranch_execz .LBB1_13893
; %bb.49733:
	s_getpc_b64 s[14:15]
.Lpost_getpc10530:
	s_add_u32 s14, s14, (.LBB1_28229-.Lpost_getpc10530)&4294967295
	s_addc_u32 s15, s15, (.LBB1_28229-.Lpost_getpc10530)>>32
	s_setpc_b64 s[14:15]
.LBB1_13893:
	s_or_saveexec_b64 s[6:7], s[6:7]
	v_mov_b32_e32 v3, s10
	s_xor_b64 exec, exec, s[6:7]
	s_cbranch_execz .LBB1_13894
; %bb.49735:
	s_getpc_b64 s[14:15]
.Lpost_getpc10531:
	s_add_u32 s14, s14, (.LBB1_28232-.Lpost_getpc10531)&4294967295
	s_addc_u32 s15, s15, (.LBB1_28232-.Lpost_getpc10531)>>32
	s_setpc_b64 s[14:15]
.LBB1_13894:
	s_or_b64 exec, exec, s[6:7]
	s_and_saveexec_b64 s[6:7], s[4:5]
	s_cbranch_execz .LBB1_13896
.LBB1_13895:
	v_and_b32_e32 v3, 7, v4
	v_ffbh_u32_e32 v7, v3
	v_min_u32_e32 v7, 32, v7
	v_lshrrev_b16_e32 v6, 3, v4
	v_subrev_u32_e32 v12, 28, v7
	v_and_b32_e32 v6, 15, v6
	v_lshlrev_b32_e32 v12, v12, v4
	v_sub_u32_e32 v7, 29, v7
	v_and_b32_e32 v12, 7, v12
	v_cmp_eq_u16_e32 vcc, 0, v6
	v_cndmask_b32_e32 v3, v3, v12, vcc
	v_cndmask_b32_e32 v6, v6, v7, vcc
	v_lshlrev_b32_e32 v7, 24, v4
	v_mov_b32_e32 v12, 0x3b800000
	v_lshlrev_b32_e32 v3, 20, v3
	v_and_b32_e32 v7, 0x80000000, v7
	v_lshl_add_u32 v6, v6, 23, v12
	v_or3_b32 v3, v7, v6, v3
.LBB1_13896:
	s_or_b64 exec, exec, s[6:7]
	s_nop 0
	v_mfma_f32_16x16x4f32 a[0:3], v2, v3, a[0:3]
	v_lshrrev_b32_e32 v3, 8, v8
	s_movk_i32 s4, 0x7f
	v_cmp_gt_i16_sdwa s[6:7], v3, s4 src0_sel:BYTE_0 src1_sel:DWORD
	s_mov_b64 s[4:5], 0
                                        ; implicit-def: $sgpr10
	s_and_saveexec_b64 s[8:9], s[6:7]
	s_xor_b64 s[6:7], exec, s[8:9]
	s_cbranch_execz .LBB1_13897
; %bb.49737:
	s_getpc_b64 s[14:15]
.Lpost_getpc10532:
	s_add_u32 s14, s14, (.LBB1_28233-.Lpost_getpc10532)&4294967295
	s_addc_u32 s15, s15, (.LBB1_28233-.Lpost_getpc10532)>>32
	s_setpc_b64 s[14:15]
.LBB1_13897:
	s_or_saveexec_b64 s[6:7], s[6:7]
	v_mov_b32_e32 v2, s10
	s_xor_b64 exec, exec, s[6:7]
	s_cbranch_execz .LBB1_13898
; %bb.49739:
	s_getpc_b64 s[14:15]
.Lpost_getpc10533:
	s_add_u32 s14, s14, (.LBB1_28236-.Lpost_getpc10533)&4294967295
	s_addc_u32 s15, s15, (.LBB1_28236-.Lpost_getpc10533)>>32
	s_setpc_b64 s[14:15]
.LBB1_13898:
	s_or_b64 exec, exec, s[6:7]
	s_and_saveexec_b64 s[6:7], s[4:5]
	s_cbranch_execz .LBB1_13900
.LBB1_13899:
	v_bfe_u32 v2, v8, 8, 3
	v_ffbh_u32_e32 v7, v2
	v_min_u32_e32 v7, 32, v7
	v_lshrrev_b16_e32 v6, 3, v3
	v_subrev_u32_e32 v12, 28, v7
	v_and_b32_e32 v6, 15, v6
	v_lshlrev_b32_e32 v3, v12, v3
	v_sub_u32_e32 v7, 29, v7
	v_and_b32_e32 v3, 7, v3
	v_cmp_eq_u16_e32 vcc, 0, v6
	v_cndmask_b32_e32 v2, v2, v3, vcc
	v_cndmask_b32_e32 v3, v6, v7, vcc
	v_lshlrev_b32_e32 v6, 16, v8
	v_mov_b32_e32 v7, 0x3b800000
	v_lshlrev_b32_e32 v2, 20, v2
	v_and_b32_e32 v6, 0x80000000, v6
	v_lshl_add_u32 v3, v3, 23, v7
	v_or3_b32 v2, v6, v3, v2
.LBB1_13900:
	s_or_b64 exec, exec, s[6:7]
	v_lshrrev_b32_e32 v3, 8, v4
	s_movk_i32 s4, 0x7f
	v_cmp_gt_i16_sdwa s[6:7], v3, s4 src0_sel:BYTE_0 src1_sel:DWORD
	s_mov_b64 s[4:5], 0
                                        ; implicit-def: $sgpr10
	s_and_saveexec_b64 s[8:9], s[6:7]
	s_xor_b64 s[6:7], exec, s[8:9]
	s_cbranch_execz .LBB1_13901
; %bb.49741:
	s_getpc_b64 s[14:15]
.Lpost_getpc10534:
	s_add_u32 s14, s14, (.LBB1_28237-.Lpost_getpc10534)&4294967295
	s_addc_u32 s15, s15, (.LBB1_28237-.Lpost_getpc10534)>>32
	s_setpc_b64 s[14:15]
.LBB1_13901:
	s_or_saveexec_b64 s[6:7], s[6:7]
	v_mov_b32_e32 v6, s10
	s_xor_b64 exec, exec, s[6:7]
	s_cbranch_execz .LBB1_13902
; %bb.49743:
	s_getpc_b64 s[14:15]
.Lpost_getpc10535:
	s_add_u32 s14, s14, (.LBB1_28240-.Lpost_getpc10535)&4294967295
	s_addc_u32 s15, s15, (.LBB1_28240-.Lpost_getpc10535)>>32
	s_setpc_b64 s[14:15]
.LBB1_13902:
	s_or_b64 exec, exec, s[6:7]
	s_and_saveexec_b64 s[6:7], s[4:5]
	s_cbranch_execz .LBB1_13904
.LBB1_13903:
	v_bfe_u32 v6, v4, 8, 3
	v_ffbh_u32_e32 v12, v6
	v_min_u32_e32 v12, 32, v12
	v_lshrrev_b16_e32 v7, 3, v3
	v_subrev_u32_e32 v13, 28, v12
	v_and_b32_e32 v7, 15, v7
	v_lshlrev_b32_e32 v3, v13, v3
	v_sub_u32_e32 v12, 29, v12
	v_and_b32_e32 v3, 7, v3
	v_cmp_eq_u16_e32 vcc, 0, v7
	v_cndmask_b32_e32 v3, v6, v3, vcc
	v_cndmask_b32_e32 v6, v7, v12, vcc
	v_lshlrev_b32_e32 v7, 16, v4
	v_mov_b32_e32 v12, 0x3b800000
	v_lshlrev_b32_e32 v3, 20, v3
	v_and_b32_e32 v7, 0x80000000, v7
	v_lshl_add_u32 v6, v6, 23, v12
	v_or3_b32 v6, v7, v6, v3
.LBB1_13904:
	s_or_b64 exec, exec, s[6:7]
	s_nop 0
	v_mfma_f32_16x16x4f32 a[0:3], v2, v6, a[0:3]
	s_movk_i32 s4, 0xff
	v_and_b32_sdwa v3, v8, s4 dst_sel:DWORD dst_unused:UNUSED_PAD src0_sel:WORD_1 src1_sel:DWORD
	s_movk_i32 s4, 0x7f
	v_cmp_lt_i16_e32 vcc, s4, v3
	s_mov_b64 s[4:5], 0
                                        ; implicit-def: $sgpr10
	s_and_saveexec_b64 s[6:7], vcc
	s_xor_b64 s[6:7], exec, s[6:7]
	s_cbranch_execz .LBB1_13905
; %bb.49745:
	s_getpc_b64 s[14:15]
.Lpost_getpc10536:
	s_add_u32 s14, s14, (.LBB1_28241-.Lpost_getpc10536)&4294967295
	s_addc_u32 s15, s15, (.LBB1_28241-.Lpost_getpc10536)>>32
	s_setpc_b64 s[14:15]
.LBB1_13905:
	s_or_saveexec_b64 s[6:7], s[6:7]
	v_mov_b32_e32 v2, s10
	s_xor_b64 exec, exec, s[6:7]
	s_cbranch_execz .LBB1_13906
; %bb.49747:
	s_getpc_b64 s[14:15]
.Lpost_getpc10537:
	s_add_u32 s14, s14, (.LBB1_28244-.Lpost_getpc10537)&4294967295
	s_addc_u32 s15, s15, (.LBB1_28244-.Lpost_getpc10537)>>32
	s_setpc_b64 s[14:15]
.LBB1_13906:
	s_or_b64 exec, exec, s[6:7]
	s_and_saveexec_b64 s[6:7], s[4:5]
	s_cbranch_execz .LBB1_13908
.LBB1_13907:
	v_bfe_u32 v2, v8, 16, 3
	v_ffbh_u32_e32 v7, v2
	v_min_u32_e32 v7, 32, v7
	v_lshrrev_b32_e32 v3, 19, v8
	v_subrev_u32_e32 v12, 28, v7
	v_and_b32_e32 v3, 15, v3
	v_lshlrev_b32_sdwa v12, v12, v8 dst_sel:DWORD dst_unused:UNUSED_PAD src0_sel:DWORD src1_sel:WORD_1
	v_bfe_u32 v6, v8, 19, 4
	v_sub_u32_e32 v7, 29, v7
	v_and_b32_e32 v12, 7, v12
	v_cmp_eq_u16_e32 vcc, 0, v3
	v_cndmask_b32_e32 v2, v2, v12, vcc
	v_cndmask_b32_e32 v3, v6, v7, vcc
	v_lshlrev_b32_e32 v6, 8, v8
	v_mov_b32_e32 v7, 0x3b800000
	v_lshlrev_b32_e32 v2, 20, v2
	v_and_b32_e32 v6, 0x80000000, v6
	v_lshl_add_u32 v3, v3, 23, v7
	v_or3_b32 v2, v6, v3, v2
.LBB1_13908:
	s_or_b64 exec, exec, s[6:7]
	s_movk_i32 s4, 0xff
	v_and_b32_sdwa v3, v4, s4 dst_sel:DWORD dst_unused:UNUSED_PAD src0_sel:WORD_1 src1_sel:DWORD
	s_movk_i32 s4, 0x7f
	v_cmp_lt_i16_e32 vcc, s4, v3
	s_mov_b64 s[4:5], 0
                                        ; implicit-def: $sgpr10
	s_and_saveexec_b64 s[6:7], vcc
	s_xor_b64 s[6:7], exec, s[6:7]
	s_cbranch_execz .LBB1_13909
; %bb.49749:
	s_getpc_b64 s[14:15]
.Lpost_getpc10538:
	s_add_u32 s14, s14, (.LBB1_28245-.Lpost_getpc10538)&4294967295
	s_addc_u32 s15, s15, (.LBB1_28245-.Lpost_getpc10538)>>32
	s_setpc_b64 s[14:15]
.LBB1_13909:
	s_or_saveexec_b64 s[6:7], s[6:7]
	v_mov_b32_e32 v6, s10
	s_xor_b64 exec, exec, s[6:7]
	s_cbranch_execz .LBB1_13910
; %bb.49751:
	s_getpc_b64 s[14:15]
.Lpost_getpc10539:
	s_add_u32 s14, s14, (.LBB1_28248-.Lpost_getpc10539)&4294967295
	s_addc_u32 s15, s15, (.LBB1_28248-.Lpost_getpc10539)>>32
	s_setpc_b64 s[14:15]
.LBB1_13910:
	s_or_b64 exec, exec, s[6:7]
	s_and_saveexec_b64 s[6:7], s[4:5]
	s_cbranch_execz .LBB1_13912
.LBB1_13911:
	v_bfe_u32 v3, v4, 16, 3
	v_ffbh_u32_e32 v12, v3
	v_min_u32_e32 v12, 32, v12
	v_lshrrev_b32_e32 v6, 19, v4
	v_subrev_u32_e32 v13, 28, v12
	v_and_b32_e32 v6, 15, v6
	v_lshlrev_b32_sdwa v13, v13, v4 dst_sel:DWORD dst_unused:UNUSED_PAD src0_sel:DWORD src1_sel:WORD_1
	v_bfe_u32 v7, v4, 19, 4
	v_sub_u32_e32 v12, 29, v12
	v_and_b32_e32 v13, 7, v13
	v_cmp_eq_u16_e32 vcc, 0, v6
	v_cndmask_b32_e32 v3, v3, v13, vcc
	v_cndmask_b32_e32 v6, v7, v12, vcc
	v_lshlrev_b32_e32 v7, 8, v4
	v_mov_b32_e32 v12, 0x3b800000
	v_lshlrev_b32_e32 v3, 20, v3
	v_and_b32_e32 v7, 0x80000000, v7
	v_lshl_add_u32 v6, v6, 23, v12
	v_or3_b32 v6, v7, v6, v3
.LBB1_13912:
	s_or_b64 exec, exec, s[6:7]
	s_nop 0
	v_mfma_f32_16x16x4f32 a[0:3], v2, v6, a[0:3]
	s_movk_i32 s4, 0x7f
	v_cmp_gt_i16_sdwa s[6:7], v8, s4 src0_sel:BYTE_3 src1_sel:DWORD
	s_mov_b64 s[4:5], 0
                                        ; implicit-def: $sgpr10
	s_and_saveexec_b64 s[8:9], s[6:7]
	s_xor_b64 s[6:7], exec, s[8:9]
	s_cbranch_execz .LBB1_13913
; %bb.49753:
	s_getpc_b64 s[14:15]
.Lpost_getpc10540:
	s_add_u32 s14, s14, (.LBB1_28249-.Lpost_getpc10540)&4294967295
	s_addc_u32 s15, s15, (.LBB1_28249-.Lpost_getpc10540)>>32
	s_setpc_b64 s[14:15]
.LBB1_13913:
	s_or_saveexec_b64 s[6:7], s[6:7]
	v_mov_b32_e32 v2, s10
	s_xor_b64 exec, exec, s[6:7]
	s_cbranch_execz .LBB1_13914
; %bb.49755:
	s_getpc_b64 s[14:15]
.Lpost_getpc10541:
	s_add_u32 s14, s14, (.LBB1_28252-.Lpost_getpc10541)&4294967295
	s_addc_u32 s15, s15, (.LBB1_28252-.Lpost_getpc10541)>>32
	s_setpc_b64 s[14:15]
.LBB1_13914:
	s_or_b64 exec, exec, s[6:7]
	s_and_saveexec_b64 s[6:7], s[4:5]
	s_cbranch_execz .LBB1_13916
.LBB1_13915:
	v_bfe_u32 v2, v8, 24, 3
	v_ffbh_u32_e32 v12, v2
	v_min_u32_e32 v12, 32, v12
	v_lshrrev_b32_e32 v6, 27, v8
	v_subrev_u32_e32 v13, 28, v12
	v_and_b32_e32 v3, 0x80000000, v8
	v_and_b32_e32 v6, 15, v6
	v_bfe_u32 v7, v8, 27, 4
	v_lshlrev_b32_sdwa v8, v13, v8 dst_sel:DWORD dst_unused:UNUSED_PAD src0_sel:DWORD src1_sel:BYTE_3
	v_sub_u32_e32 v12, 29, v12
	v_and_b32_e32 v8, 7, v8
	v_cmp_eq_u16_e32 vcc, 0, v6
	v_cndmask_b32_e32 v2, v2, v8, vcc
	v_cndmask_b32_e32 v6, v7, v12, vcc
	v_mov_b32_e32 v7, 0x3b800000
	v_lshlrev_b32_e32 v2, 20, v2
	v_lshl_add_u32 v6, v6, 23, v7
	v_or3_b32 v2, v3, v6, v2
.LBB1_13916:
	s_or_b64 exec, exec, s[6:7]
	s_movk_i32 s4, 0x7f
	v_cmp_gt_i16_sdwa s[6:7], v4, s4 src0_sel:BYTE_3 src1_sel:DWORD
	s_mov_b64 s[4:5], 0
                                        ; implicit-def: $sgpr10
	s_and_saveexec_b64 s[8:9], s[6:7]
	s_xor_b64 s[6:7], exec, s[8:9]
	s_cbranch_execz .LBB1_13917
; %bb.49757:
	s_getpc_b64 s[14:15]
.Lpost_getpc10542:
	s_add_u32 s14, s14, (.LBB1_28253-.Lpost_getpc10542)&4294967295
	s_addc_u32 s15, s15, (.LBB1_28253-.Lpost_getpc10542)>>32
	s_setpc_b64 s[14:15]
.LBB1_13917:
	s_or_saveexec_b64 s[6:7], s[6:7]
	v_mov_b32_e32 v3, s10
	s_xor_b64 exec, exec, s[6:7]
	s_cbranch_execz .LBB1_13918
; %bb.49759:
	s_getpc_b64 s[14:15]
.Lpost_getpc10543:
	s_add_u32 s14, s14, (.LBB1_28256-.Lpost_getpc10543)&4294967295
	s_addc_u32 s15, s15, (.LBB1_28256-.Lpost_getpc10543)>>32
	s_setpc_b64 s[14:15]
.LBB1_13918:
	s_or_b64 exec, exec, s[6:7]
	s_and_saveexec_b64 s[6:7], s[4:5]
	s_cbranch_execz .LBB1_13920
.LBB1_13919:
	v_bfe_u32 v3, v4, 24, 3
	v_ffbh_u32_e32 v12, v3
	v_min_u32_e32 v12, 32, v12
	v_lshrrev_b32_e32 v7, 27, v4
	v_subrev_u32_e32 v13, 28, v12
	v_and_b32_e32 v6, 0x80000000, v4
	v_and_b32_e32 v7, 15, v7
	v_bfe_u32 v8, v4, 27, 4
	v_lshlrev_b32_sdwa v4, v13, v4 dst_sel:DWORD dst_unused:UNUSED_PAD src0_sel:DWORD src1_sel:BYTE_3
	v_sub_u32_e32 v12, 29, v12
	v_and_b32_e32 v4, 7, v4
	v_cmp_eq_u16_e32 vcc, 0, v7
	v_cndmask_b32_e32 v3, v3, v4, vcc
	v_cndmask_b32_e32 v4, v8, v12, vcc
	v_mov_b32_e32 v7, 0x3b800000
	v_lshlrev_b32_e32 v3, 20, v3
	v_lshl_add_u32 v4, v4, 23, v7
	v_or3_b32 v3, v6, v4, v3
.LBB1_13920:
	s_or_b64 exec, exec, s[6:7]
	s_nop 0
	v_mfma_f32_16x16x4f32 a[0:3], v2, v3, a[0:3]
	s_movk_i32 s4, 0x7f
	v_cmp_gt_i16_sdwa s[6:7], v9, s4 src0_sel:BYTE_0 src1_sel:DWORD
	s_mov_b64 s[4:5], 0
                                        ; implicit-def: $sgpr10
	s_and_saveexec_b64 s[8:9], s[6:7]
	s_xor_b64 s[6:7], exec, s[8:9]
	s_cbranch_execz .LBB1_13921
; %bb.49761:
	s_getpc_b64 s[14:15]
.Lpost_getpc10544:
	s_add_u32 s14, s14, (.LBB1_28257-.Lpost_getpc10544)&4294967295
	s_addc_u32 s15, s15, (.LBB1_28257-.Lpost_getpc10544)>>32
	s_setpc_b64 s[14:15]
.LBB1_13921:
	s_or_saveexec_b64 s[6:7], s[6:7]
	v_mov_b32_e32 v2, s10
	s_xor_b64 exec, exec, s[6:7]
	s_cbranch_execz .LBB1_13922
; %bb.49763:
	s_getpc_b64 s[14:15]
.Lpost_getpc10545:
	s_add_u32 s14, s14, (.LBB1_28260-.Lpost_getpc10545)&4294967295
	s_addc_u32 s15, s15, (.LBB1_28260-.Lpost_getpc10545)>>32
	s_setpc_b64 s[14:15]
.LBB1_13922:
	s_or_b64 exec, exec, s[6:7]
	s_and_saveexec_b64 s[6:7], s[4:5]
	s_cbranch_execz .LBB1_13924
.LBB1_13923:
	v_mov_b32_e32 v2, 8
	v_and_b32_e32 v3, 7, v9
	v_lshrrev_b32_sdwa v2, v2, v9 dst_sel:BYTE_1 dst_unused:UNUSED_PAD src0_sel:DWORD src1_sel:DWORD
	v_ffbh_u32_e32 v4, v3
	v_or_b32_sdwa v2, v9, v2 dst_sel:DWORD dst_unused:UNUSED_PAD src0_sel:BYTE_0 src1_sel:DWORD
	v_min_u32_e32 v4, 32, v4
	v_lshrrev_b16_e32 v2, 3, v2
	v_subrev_u32_e32 v6, 28, v4
	v_and_b32_e32 v2, 15, v2
	v_lshlrev_b32_e32 v6, v6, v9
	v_sub_u32_e32 v4, 29, v4
	v_and_b32_e32 v6, 7, v6
	v_cmp_eq_u16_e32 vcc, 0, v2
	v_cndmask_b32_e32 v3, v3, v6, vcc
	v_cndmask_b32_e32 v2, v2, v4, vcc
	v_lshlrev_b32_e32 v4, 24, v9
	v_mov_b32_e32 v6, 0x3b800000
	v_lshlrev_b32_e32 v3, 20, v3
	v_and_b32_e32 v4, 0x80000000, v4
	v_lshl_add_u32 v2, v2, 23, v6
	v_or3_b32 v2, v4, v2, v3
.LBB1_13924:
	s_or_b64 exec, exec, s[6:7]
	s_movk_i32 s4, 0x7f
	v_cmp_gt_i16_sdwa s[6:7], v5, s4 src0_sel:BYTE_0 src1_sel:DWORD
	s_mov_b64 s[4:5], 0
                                        ; implicit-def: $sgpr10
	s_and_saveexec_b64 s[8:9], s[6:7]
	s_xor_b64 s[6:7], exec, s[8:9]
	s_cbranch_execz .LBB1_13925
; %bb.49765:
	s_getpc_b64 s[14:15]
.Lpost_getpc10546:
	s_add_u32 s14, s14, (.LBB1_28261-.Lpost_getpc10546)&4294967295
	s_addc_u32 s15, s15, (.LBB1_28261-.Lpost_getpc10546)>>32
	s_setpc_b64 s[14:15]
.LBB1_13925:
	s_or_saveexec_b64 s[6:7], s[6:7]
	v_mov_b32_e32 v3, s10
	s_xor_b64 exec, exec, s[6:7]
	s_cbranch_execz .LBB1_13926
; %bb.49767:
	s_getpc_b64 s[14:15]
.Lpost_getpc10547:
	s_add_u32 s14, s14, (.LBB1_28264-.Lpost_getpc10547)&4294967295
	s_addc_u32 s15, s15, (.LBB1_28264-.Lpost_getpc10547)>>32
	s_setpc_b64 s[14:15]
.LBB1_13926:
	s_or_b64 exec, exec, s[6:7]
	s_and_saveexec_b64 s[6:7], s[4:5]
	s_cbranch_execz .LBB1_13928
.LBB1_13927:
	v_mov_b32_e32 v3, 8
	v_and_b32_e32 v4, 7, v5
	v_lshrrev_b32_sdwa v3, v3, v5 dst_sel:BYTE_1 dst_unused:UNUSED_PAD src0_sel:DWORD src1_sel:DWORD
	v_ffbh_u32_e32 v6, v4
	v_or_b32_sdwa v3, v5, v3 dst_sel:DWORD dst_unused:UNUSED_PAD src0_sel:BYTE_0 src1_sel:DWORD
	v_min_u32_e32 v6, 32, v6
	v_lshrrev_b16_e32 v3, 3, v3
	v_subrev_u32_e32 v7, 28, v6
	v_and_b32_e32 v3, 15, v3
	v_lshlrev_b32_e32 v7, v7, v5
	v_sub_u32_e32 v6, 29, v6
	v_and_b32_e32 v7, 7, v7
	v_cmp_eq_u16_e32 vcc, 0, v3
	v_cndmask_b32_e32 v4, v4, v7, vcc
	v_cndmask_b32_e32 v3, v3, v6, vcc
	v_lshlrev_b32_e32 v6, 24, v5
	v_mov_b32_e32 v7, 0x3b800000
	v_lshlrev_b32_e32 v4, 20, v4
	v_and_b32_e32 v6, 0x80000000, v6
	v_lshl_add_u32 v3, v3, 23, v7
	v_or3_b32 v3, v6, v3, v4
.LBB1_13928:
	s_or_b64 exec, exec, s[6:7]
	s_nop 0
	v_mfma_f32_16x16x4f32 a[0:3], v2, v3, a[0:3]
	v_lshrrev_b32_e32 v3, 8, v9
	s_movk_i32 s4, 0x7f
	v_cmp_gt_i16_sdwa s[6:7], v3, s4 src0_sel:BYTE_0 src1_sel:DWORD
	s_mov_b64 s[4:5], 0
                                        ; implicit-def: $sgpr10
	s_and_saveexec_b64 s[8:9], s[6:7]
	s_xor_b64 s[6:7], exec, s[8:9]
	s_cbranch_execz .LBB1_13929
; %bb.49769:
	s_getpc_b64 s[14:15]
.Lpost_getpc10548:
	s_add_u32 s14, s14, (.LBB1_28265-.Lpost_getpc10548)&4294967295
	s_addc_u32 s15, s15, (.LBB1_28265-.Lpost_getpc10548)>>32
	s_setpc_b64 s[14:15]
.LBB1_13929:
	s_or_saveexec_b64 s[6:7], s[6:7]
	v_mov_b32_e32 v2, s10
	s_xor_b64 exec, exec, s[6:7]
	s_cbranch_execz .LBB1_13930
; %bb.49771:
	s_getpc_b64 s[14:15]
.Lpost_getpc10549:
	s_add_u32 s14, s14, (.LBB1_28268-.Lpost_getpc10549)&4294967295
	s_addc_u32 s15, s15, (.LBB1_28268-.Lpost_getpc10549)>>32
	s_setpc_b64 s[14:15]
.LBB1_13930:
	s_or_b64 exec, exec, s[6:7]
	s_and_saveexec_b64 s[6:7], s[4:5]
	s_cbranch_execz .LBB1_13932
.LBB1_13931:
	v_bfe_u32 v2, v9, 8, 3
	v_ffbh_u32_e32 v6, v2
	v_min_u32_e32 v6, 32, v6
	v_lshrrev_b16_e32 v4, 3, v3
	v_subrev_u32_e32 v7, 28, v6
	v_and_b32_e32 v4, 15, v4
	v_lshlrev_b32_e32 v3, v7, v3
	v_sub_u32_e32 v6, 29, v6
	v_and_b32_e32 v3, 7, v3
	v_cmp_eq_u16_e32 vcc, 0, v4
	v_cndmask_b32_e32 v2, v2, v3, vcc
	v_cndmask_b32_e32 v3, v4, v6, vcc
	v_lshlrev_b32_e32 v4, 16, v9
	v_mov_b32_e32 v6, 0x3b800000
	v_lshlrev_b32_e32 v2, 20, v2
	v_and_b32_e32 v4, 0x80000000, v4
	v_lshl_add_u32 v3, v3, 23, v6
	v_or3_b32 v2, v4, v3, v2
.LBB1_13932:
	s_or_b64 exec, exec, s[6:7]
	v_lshrrev_b32_e32 v3, 8, v5
	s_movk_i32 s4, 0x7f
	v_cmp_gt_i16_sdwa s[6:7], v3, s4 src0_sel:BYTE_0 src1_sel:DWORD
	s_mov_b64 s[4:5], 0
                                        ; implicit-def: $sgpr10
	s_and_saveexec_b64 s[8:9], s[6:7]
	s_xor_b64 s[6:7], exec, s[8:9]
	s_cbranch_execz .LBB1_13933
; %bb.49773:
	s_getpc_b64 s[14:15]
.Lpost_getpc10550:
	s_add_u32 s14, s14, (.LBB1_28269-.Lpost_getpc10550)&4294967295
	s_addc_u32 s15, s15, (.LBB1_28269-.Lpost_getpc10550)>>32
	s_setpc_b64 s[14:15]
.LBB1_13933:
	s_or_saveexec_b64 s[6:7], s[6:7]
	v_mov_b32_e32 v4, s10
	s_xor_b64 exec, exec, s[6:7]
	s_cbranch_execz .LBB1_13934
; %bb.49775:
	s_getpc_b64 s[14:15]
.Lpost_getpc10551:
	s_add_u32 s14, s14, (.LBB1_28272-.Lpost_getpc10551)&4294967295
	s_addc_u32 s15, s15, (.LBB1_28272-.Lpost_getpc10551)>>32
	s_setpc_b64 s[14:15]
.LBB1_13934:
	s_or_b64 exec, exec, s[6:7]
	s_and_saveexec_b64 s[6:7], s[4:5]
	s_cbranch_execz .LBB1_13936
.LBB1_13935:
	v_bfe_u32 v4, v5, 8, 3
	v_ffbh_u32_e32 v7, v4
	v_min_u32_e32 v7, 32, v7
	v_lshrrev_b16_e32 v6, 3, v3
	v_subrev_u32_e32 v8, 28, v7
	v_and_b32_e32 v6, 15, v6
	v_lshlrev_b32_e32 v3, v8, v3
	v_sub_u32_e32 v7, 29, v7
	v_and_b32_e32 v3, 7, v3
	v_cmp_eq_u16_e32 vcc, 0, v6
	v_cndmask_b32_e32 v3, v4, v3, vcc
	v_cndmask_b32_e32 v4, v6, v7, vcc
	v_lshlrev_b32_e32 v6, 16, v5
	v_mov_b32_e32 v7, 0x3b800000
	v_lshlrev_b32_e32 v3, 20, v3
	v_and_b32_e32 v6, 0x80000000, v6
	v_lshl_add_u32 v4, v4, 23, v7
	v_or3_b32 v4, v6, v4, v3
.LBB1_13936:
	s_or_b64 exec, exec, s[6:7]
	s_nop 0
	v_mfma_f32_16x16x4f32 a[0:3], v2, v4, a[0:3]
	s_movk_i32 s4, 0xff
	v_and_b32_sdwa v3, v9, s4 dst_sel:DWORD dst_unused:UNUSED_PAD src0_sel:WORD_1 src1_sel:DWORD
	s_movk_i32 s4, 0x7f
	v_cmp_lt_i16_e32 vcc, s4, v3
	s_mov_b64 s[4:5], 0
                                        ; implicit-def: $sgpr10
	s_and_saveexec_b64 s[6:7], vcc
	s_xor_b64 s[6:7], exec, s[6:7]
	s_cbranch_execz .LBB1_13937
; %bb.49777:
	s_getpc_b64 s[14:15]
.Lpost_getpc10552:
	s_add_u32 s14, s14, (.LBB1_28273-.Lpost_getpc10552)&4294967295
	s_addc_u32 s15, s15, (.LBB1_28273-.Lpost_getpc10552)>>32
	s_setpc_b64 s[14:15]
.LBB1_13937:
	s_or_saveexec_b64 s[6:7], s[6:7]
	v_mov_b32_e32 v2, s10
	s_xor_b64 exec, exec, s[6:7]
	s_cbranch_execz .LBB1_13938
; %bb.49779:
	s_getpc_b64 s[14:15]
.Lpost_getpc10553:
	s_add_u32 s14, s14, (.LBB1_28276-.Lpost_getpc10553)&4294967295
	s_addc_u32 s15, s15, (.LBB1_28276-.Lpost_getpc10553)>>32
	s_setpc_b64 s[14:15]
.LBB1_13938:
	s_or_b64 exec, exec, s[6:7]
	s_and_saveexec_b64 s[6:7], s[4:5]
	s_cbranch_execz .LBB1_13940
.LBB1_13939:
	v_bfe_u32 v2, v9, 16, 3
	v_ffbh_u32_e32 v6, v2
	v_min_u32_e32 v6, 32, v6
	v_lshrrev_b32_e32 v3, 19, v9
	v_subrev_u32_e32 v7, 28, v6
	v_and_b32_e32 v3, 15, v3
	v_lshlrev_b32_sdwa v7, v7, v9 dst_sel:DWORD dst_unused:UNUSED_PAD src0_sel:DWORD src1_sel:WORD_1
	v_bfe_u32 v4, v9, 19, 4
	v_sub_u32_e32 v6, 29, v6
	v_and_b32_e32 v7, 7, v7
	v_cmp_eq_u16_e32 vcc, 0, v3
	v_cndmask_b32_e32 v2, v2, v7, vcc
	v_cndmask_b32_e32 v3, v4, v6, vcc
	v_lshlrev_b32_e32 v4, 8, v9
	v_mov_b32_e32 v6, 0x3b800000
	v_lshlrev_b32_e32 v2, 20, v2
	v_and_b32_e32 v4, 0x80000000, v4
	v_lshl_add_u32 v3, v3, 23, v6
	v_or3_b32 v2, v4, v3, v2
.LBB1_13940:
	s_or_b64 exec, exec, s[6:7]
	s_movk_i32 s4, 0xff
	v_and_b32_sdwa v3, v5, s4 dst_sel:DWORD dst_unused:UNUSED_PAD src0_sel:WORD_1 src1_sel:DWORD
	s_movk_i32 s4, 0x7f
	v_cmp_lt_i16_e32 vcc, s4, v3
	s_mov_b64 s[4:5], 0
                                        ; implicit-def: $sgpr10
	s_and_saveexec_b64 s[6:7], vcc
	s_xor_b64 s[6:7], exec, s[6:7]
	s_cbranch_execz .LBB1_13941
; %bb.49781:
	s_getpc_b64 s[14:15]
.Lpost_getpc10554:
	s_add_u32 s14, s14, (.LBB1_28277-.Lpost_getpc10554)&4294967295
	s_addc_u32 s15, s15, (.LBB1_28277-.Lpost_getpc10554)>>32
	s_setpc_b64 s[14:15]
.LBB1_13941:
	s_or_saveexec_b64 s[6:7], s[6:7]
	v_mov_b32_e32 v4, s10
	s_xor_b64 exec, exec, s[6:7]
	s_cbranch_execz .LBB1_13942
; %bb.49783:
	s_getpc_b64 s[14:15]
.Lpost_getpc10555:
	s_add_u32 s14, s14, (.LBB1_28280-.Lpost_getpc10555)&4294967295
	s_addc_u32 s15, s15, (.LBB1_28280-.Lpost_getpc10555)>>32
	s_setpc_b64 s[14:15]
.LBB1_13942:
	s_or_b64 exec, exec, s[6:7]
	s_and_saveexec_b64 s[6:7], s[4:5]
	s_cbranch_execz .LBB1_13944
.LBB1_13943:
	v_bfe_u32 v3, v5, 16, 3
	v_ffbh_u32_e32 v7, v3
	v_min_u32_e32 v7, 32, v7
	v_lshrrev_b32_e32 v4, 19, v5
	v_subrev_u32_e32 v8, 28, v7
	v_and_b32_e32 v4, 15, v4
	v_lshlrev_b32_sdwa v8, v8, v5 dst_sel:DWORD dst_unused:UNUSED_PAD src0_sel:DWORD src1_sel:WORD_1
	v_bfe_u32 v6, v5, 19, 4
	v_sub_u32_e32 v7, 29, v7
	v_and_b32_e32 v8, 7, v8
	v_cmp_eq_u16_e32 vcc, 0, v4
	v_cndmask_b32_e32 v3, v3, v8, vcc
	v_cndmask_b32_e32 v4, v6, v7, vcc
	v_lshlrev_b32_e32 v6, 8, v5
	v_mov_b32_e32 v7, 0x3b800000
	v_lshlrev_b32_e32 v3, 20, v3
	v_and_b32_e32 v6, 0x80000000, v6
	v_lshl_add_u32 v4, v4, 23, v7
	v_or3_b32 v4, v6, v4, v3
.LBB1_13944:
	s_or_b64 exec, exec, s[6:7]
	s_nop 0
	v_mfma_f32_16x16x4f32 a[0:3], v2, v4, a[0:3]
	s_movk_i32 s4, 0x7f
	v_cmp_gt_i16_sdwa s[6:7], v9, s4 src0_sel:BYTE_3 src1_sel:DWORD
	s_mov_b64 s[4:5], 0
                                        ; implicit-def: $sgpr10
	s_and_saveexec_b64 s[8:9], s[6:7]
	s_xor_b64 s[6:7], exec, s[8:9]
	s_cbranch_execz .LBB1_13945
; %bb.49785:
	s_getpc_b64 s[14:15]
.Lpost_getpc10556:
	s_add_u32 s14, s14, (.LBB1_28281-.Lpost_getpc10556)&4294967295
	s_addc_u32 s15, s15, (.LBB1_28281-.Lpost_getpc10556)>>32
	s_setpc_b64 s[14:15]
.LBB1_13945:
	s_or_saveexec_b64 s[6:7], s[6:7]
	v_mov_b32_e32 v2, s10
	s_xor_b64 exec, exec, s[6:7]
	s_cbranch_execz .LBB1_13946
; %bb.49787:
	s_getpc_b64 s[14:15]
.Lpost_getpc10557:
	s_add_u32 s14, s14, (.LBB1_28284-.Lpost_getpc10557)&4294967295
	s_addc_u32 s15, s15, (.LBB1_28284-.Lpost_getpc10557)>>32
	s_setpc_b64 s[14:15]
.LBB1_13946:
	s_or_b64 exec, exec, s[6:7]
	s_and_saveexec_b64 s[6:7], s[4:5]
	s_cbranch_execz .LBB1_13948
.LBB1_13947:
	v_bfe_u32 v2, v9, 24, 3
	v_ffbh_u32_e32 v7, v2
	v_min_u32_e32 v7, 32, v7
	v_lshrrev_b32_e32 v4, 27, v9
	v_subrev_u32_e32 v8, 28, v7
	v_and_b32_e32 v4, 15, v4
	v_lshlrev_b32_sdwa v8, v8, v9 dst_sel:DWORD dst_unused:UNUSED_PAD src0_sel:DWORD src1_sel:BYTE_3
	v_bfe_u32 v6, v9, 27, 4
	v_sub_u32_e32 v7, 29, v7
	v_and_b32_e32 v8, 7, v8
	v_cmp_eq_u16_e32 vcc, 0, v4
	v_cndmask_b32_e32 v2, v2, v8, vcc
	v_cndmask_b32_e32 v4, v6, v7, vcc
	v_mov_b32_e32 v6, 0x3b800000
	v_and_b32_e32 v3, 0x80000000, v9
	v_lshlrev_b32_e32 v2, 20, v2
	v_lshl_add_u32 v4, v4, 23, v6
	v_or3_b32 v2, v3, v4, v2
.LBB1_13948:
	s_or_b64 exec, exec, s[6:7]
	s_movk_i32 s4, 0x7f
	v_cmp_gt_i16_sdwa s[6:7], v5, s4 src0_sel:BYTE_3 src1_sel:DWORD
	s_mov_b64 s[4:5], 0
                                        ; implicit-def: $sgpr10
	s_and_saveexec_b64 s[8:9], s[6:7]
	s_xor_b64 s[6:7], exec, s[8:9]
	s_cbranch_execz .LBB1_13949
; %bb.49789:
	s_getpc_b64 s[14:15]
.Lpost_getpc10558:
	s_add_u32 s14, s14, (.LBB1_28285-.Lpost_getpc10558)&4294967295
	s_addc_u32 s15, s15, (.LBB1_28285-.Lpost_getpc10558)>>32
	s_setpc_b64 s[14:15]
.LBB1_13949:
	s_or_saveexec_b64 s[6:7], s[6:7]
	v_mov_b32_e32 v3, s10
	s_xor_b64 exec, exec, s[6:7]
	s_cbranch_execz .LBB1_13950
; %bb.49791:
	s_getpc_b64 s[14:15]
.Lpost_getpc10559:
	s_add_u32 s14, s14, (.LBB1_28288-.Lpost_getpc10559)&4294967295
	s_addc_u32 s15, s15, (.LBB1_28288-.Lpost_getpc10559)>>32
	s_setpc_b64 s[14:15]
.LBB1_13950:
	s_or_b64 exec, exec, s[6:7]
	s_and_saveexec_b64 s[6:7], s[4:5]
	s_cbranch_execz .LBB1_13952
.LBB1_13951:
	v_bfe_u32 v3, v5, 24, 3
	v_ffbh_u32_e32 v8, v3
	v_min_u32_e32 v8, 32, v8
	v_lshrrev_b32_e32 v6, 27, v5
	v_subrev_u32_e32 v9, 28, v8
	v_and_b32_e32 v4, 0x80000000, v5
	v_and_b32_e32 v6, 15, v6
	v_bfe_u32 v7, v5, 27, 4
	v_lshlrev_b32_sdwa v5, v9, v5 dst_sel:DWORD dst_unused:UNUSED_PAD src0_sel:DWORD src1_sel:BYTE_3
	v_sub_u32_e32 v8, 29, v8
	v_and_b32_e32 v5, 7, v5
	v_cmp_eq_u16_e32 vcc, 0, v6
	v_cndmask_b32_e32 v3, v3, v5, vcc
	v_cndmask_b32_e32 v5, v7, v8, vcc
	v_mov_b32_e32 v6, 0x3b800000
	v_lshlrev_b32_e32 v3, 20, v3
	v_lshl_add_u32 v5, v5, 23, v6
	v_or3_b32 v3, v4, v5, v3
.LBB1_13952:
	s_or_b64 exec, exec, s[6:7]
	s_nop 0
	v_mfma_f32_16x16x4f32 a[0:3], v2, v3, a[0:3]
	s_movk_i32 s4, 0x7f
                                        ; implicit-def: $sgpr10
	s_nop 7
	s_nop 1
	flat_store_dwordx4 v[10:11], a[0:3] offset:832
	flat_load_dwordx4 v[12:15], v[0:1]
	s_nop 0
	flat_load_dwordx2 v[10:11], v[0:1] offset:16
	s_waitcnt vmcnt(0) lgkmcnt(0)
	flat_load_dwordx4 v[6:9], v[12:13] offset:208
	flat_load_dwordx4 v[2:5], v[14:15] offset:208
	s_waitcnt vmcnt(0) lgkmcnt(0)
	v_cmp_gt_i16_sdwa s[6:7], v6, s4 src0_sel:BYTE_0 src1_sel:DWORD
	s_mov_b64 s[4:5], 0
	s_and_saveexec_b64 s[8:9], s[6:7]
	s_xor_b64 s[6:7], exec, s[8:9]
	s_cbranch_execz .LBB1_13953
; %bb.49793:
	s_getpc_b64 s[14:15]
.Lpost_getpc10560:
	s_add_u32 s14, s14, (.LBB1_28289-.Lpost_getpc10560)&4294967295
	s_addc_u32 s15, s15, (.LBB1_28289-.Lpost_getpc10560)>>32
	s_setpc_b64 s[14:15]
.LBB1_13953:
	s_or_saveexec_b64 s[6:7], s[6:7]
	v_mov_b32_e32 v12, s10
	s_xor_b64 exec, exec, s[6:7]
	s_cbranch_execz .LBB1_13954
; %bb.49795:
	s_getpc_b64 s[14:15]
.Lpost_getpc10561:
	s_add_u32 s14, s14, (.LBB1_28292-.Lpost_getpc10561)&4294967295
	s_addc_u32 s15, s15, (.LBB1_28292-.Lpost_getpc10561)>>32
	s_setpc_b64 s[14:15]
.LBB1_13954:
	s_or_b64 exec, exec, s[6:7]
	s_and_saveexec_b64 s[6:7], s[4:5]
	s_cbranch_execz .LBB1_13956
.LBB1_13955:
	v_and_b32_e32 v12, 7, v6
	v_ffbh_u32_e32 v14, v12
	v_min_u32_e32 v14, 32, v14
	v_lshrrev_b16_e32 v13, 3, v6
	v_subrev_u32_e32 v15, 28, v14
	v_and_b32_e32 v13, 15, v13
	v_lshlrev_b32_e32 v15, v15, v6
	v_sub_u32_e32 v14, 29, v14
	v_and_b32_e32 v15, 7, v15
	v_cmp_eq_u16_e32 vcc, 0, v13
	v_cndmask_b32_e32 v12, v12, v15, vcc
	v_cndmask_b32_e32 v13, v13, v14, vcc
	v_lshlrev_b32_e32 v14, 24, v6
	v_mov_b32_e32 v15, 0x3b800000
	v_lshlrev_b32_e32 v12, 20, v12
	v_and_b32_e32 v14, 0x80000000, v14
	v_lshl_add_u32 v13, v13, 23, v15
	v_or3_b32 v12, v14, v13, v12
.LBB1_13956:
	s_or_b64 exec, exec, s[6:7]
	s_movk_i32 s4, 0x7f
	v_cmp_gt_i16_sdwa s[6:7], v2, s4 src0_sel:BYTE_0 src1_sel:DWORD
	s_mov_b64 s[4:5], 0
                                        ; implicit-def: $sgpr10
	s_and_saveexec_b64 s[8:9], s[6:7]
	s_xor_b64 s[6:7], exec, s[8:9]
	s_cbranch_execz .LBB1_13957
; %bb.49797:
	s_getpc_b64 s[14:15]
.Lpost_getpc10562:
	s_add_u32 s14, s14, (.LBB1_28293-.Lpost_getpc10562)&4294967295
	s_addc_u32 s15, s15, (.LBB1_28293-.Lpost_getpc10562)>>32
	s_setpc_b64 s[14:15]
.LBB1_13957:
	s_or_saveexec_b64 s[6:7], s[6:7]
	v_mov_b32_e32 v13, s10
	s_xor_b64 exec, exec, s[6:7]
	s_cbranch_execz .LBB1_13958
; %bb.49799:
	s_getpc_b64 s[14:15]
.Lpost_getpc10563:
	s_add_u32 s14, s14, (.LBB1_28296-.Lpost_getpc10563)&4294967295
	s_addc_u32 s15, s15, (.LBB1_28296-.Lpost_getpc10563)>>32
	s_setpc_b64 s[14:15]
.LBB1_13958:
	s_or_b64 exec, exec, s[6:7]
	s_and_saveexec_b64 s[6:7], s[4:5]
	s_cbranch_execz .LBB1_13960
.LBB1_13959:
	v_and_b32_e32 v13, 7, v2
	v_ffbh_u32_e32 v15, v13
	v_min_u32_e32 v15, 32, v15
	v_lshrrev_b16_e32 v14, 3, v2
	v_subrev_u32_e32 v16, 28, v15
	v_and_b32_e32 v14, 15, v14
	v_lshlrev_b32_e32 v16, v16, v2
	v_sub_u32_e32 v15, 29, v15
	v_and_b32_e32 v16, 7, v16
	v_cmp_eq_u16_e32 vcc, 0, v14
	v_cndmask_b32_e32 v13, v13, v16, vcc
	v_cndmask_b32_e32 v14, v14, v15, vcc
	v_lshlrev_b32_e32 v15, 24, v2
	v_mov_b32_e32 v16, 0x3b800000
	v_lshlrev_b32_e32 v13, 20, v13
	v_and_b32_e32 v15, 0x80000000, v15
	v_lshl_add_u32 v14, v14, 23, v16
	v_or3_b32 v13, v15, v14, v13
.LBB1_13960:
	s_or_b64 exec, exec, s[6:7]
	flat_load_dwordx4 a[0:3], v[10:11] offset:848
	s_movk_i32 s4, 0x7f
                                        ; implicit-def: $sgpr10
	s_waitcnt vmcnt(0) lgkmcnt(0)
	v_mfma_f32_16x16x4f32 a[0:3], v12, v13, a[0:3]
	v_lshrrev_b32_e32 v13, 8, v6
	v_cmp_gt_i16_sdwa s[6:7], v13, s4 src0_sel:BYTE_0 src1_sel:DWORD
	s_mov_b64 s[4:5], 0
	s_and_saveexec_b64 s[8:9], s[6:7]
	s_xor_b64 s[6:7], exec, s[8:9]
	s_cbranch_execz .LBB1_13961
; %bb.49801:
	s_getpc_b64 s[14:15]
.Lpost_getpc10564:
	s_add_u32 s14, s14, (.LBB1_28297-.Lpost_getpc10564)&4294967295
	s_addc_u32 s15, s15, (.LBB1_28297-.Lpost_getpc10564)>>32
	s_setpc_b64 s[14:15]
.LBB1_13961:
	s_or_saveexec_b64 s[6:7], s[6:7]
	v_mov_b32_e32 v12, s10
	s_xor_b64 exec, exec, s[6:7]
	s_cbranch_execz .LBB1_13962
; %bb.49803:
	s_getpc_b64 s[14:15]
.Lpost_getpc10565:
	s_add_u32 s14, s14, (.LBB1_28300-.Lpost_getpc10565)&4294967295
	s_addc_u32 s15, s15, (.LBB1_28300-.Lpost_getpc10565)>>32
	s_setpc_b64 s[14:15]
.LBB1_13962:
	s_or_b64 exec, exec, s[6:7]
	s_and_saveexec_b64 s[6:7], s[4:5]
	s_cbranch_execz .LBB1_13964
.LBB1_13963:
	v_bfe_u32 v12, v6, 8, 3
	v_ffbh_u32_e32 v15, v12
	v_min_u32_e32 v15, 32, v15
	v_lshrrev_b16_e32 v14, 3, v13
	v_subrev_u32_e32 v16, 28, v15
	v_and_b32_e32 v14, 15, v14
	v_lshlrev_b32_e32 v13, v16, v13
	v_sub_u32_e32 v15, 29, v15
	v_and_b32_e32 v13, 7, v13
	v_cmp_eq_u16_e32 vcc, 0, v14
	v_cndmask_b32_e32 v12, v12, v13, vcc
	v_cndmask_b32_e32 v13, v14, v15, vcc
	v_lshlrev_b32_e32 v14, 16, v6
	v_mov_b32_e32 v15, 0x3b800000
	v_lshlrev_b32_e32 v12, 20, v12
	v_and_b32_e32 v14, 0x80000000, v14
	v_lshl_add_u32 v13, v13, 23, v15
	v_or3_b32 v12, v14, v13, v12
.LBB1_13964:
	s_or_b64 exec, exec, s[6:7]
	v_lshrrev_b32_e32 v13, 8, v2
	s_movk_i32 s4, 0x7f
	v_cmp_gt_i16_sdwa s[6:7], v13, s4 src0_sel:BYTE_0 src1_sel:DWORD
	s_mov_b64 s[4:5], 0
                                        ; implicit-def: $sgpr10
	s_and_saveexec_b64 s[8:9], s[6:7]
	s_xor_b64 s[6:7], exec, s[8:9]
	s_cbranch_execz .LBB1_13965
; %bb.49805:
	s_getpc_b64 s[14:15]
.Lpost_getpc10566:
	s_add_u32 s14, s14, (.LBB1_28301-.Lpost_getpc10566)&4294967295
	s_addc_u32 s15, s15, (.LBB1_28301-.Lpost_getpc10566)>>32
	s_setpc_b64 s[14:15]
.LBB1_13965:
	s_or_saveexec_b64 s[6:7], s[6:7]
	v_mov_b32_e32 v14, s10
	s_xor_b64 exec, exec, s[6:7]
	s_cbranch_execz .LBB1_13966
; %bb.49807:
	s_getpc_b64 s[14:15]
.Lpost_getpc10567:
	s_add_u32 s14, s14, (.LBB1_28304-.Lpost_getpc10567)&4294967295
	s_addc_u32 s15, s15, (.LBB1_28304-.Lpost_getpc10567)>>32
	s_setpc_b64 s[14:15]
.LBB1_13966:
	s_or_b64 exec, exec, s[6:7]
	s_and_saveexec_b64 s[6:7], s[4:5]
	s_cbranch_execz .LBB1_13968
.LBB1_13967:
	v_bfe_u32 v14, v2, 8, 3
	v_ffbh_u32_e32 v16, v14
	v_min_u32_e32 v16, 32, v16
	v_lshrrev_b16_e32 v15, 3, v13
	v_subrev_u32_e32 v17, 28, v16
	v_and_b32_e32 v15, 15, v15
	v_lshlrev_b32_e32 v13, v17, v13
	v_sub_u32_e32 v16, 29, v16
	v_and_b32_e32 v13, 7, v13
	v_cmp_eq_u16_e32 vcc, 0, v15
	v_cndmask_b32_e32 v13, v14, v13, vcc
	v_cndmask_b32_e32 v14, v15, v16, vcc
	v_lshlrev_b32_e32 v15, 16, v2
	v_mov_b32_e32 v16, 0x3b800000
	v_lshlrev_b32_e32 v13, 20, v13
	v_and_b32_e32 v15, 0x80000000, v15
	v_lshl_add_u32 v14, v14, 23, v16
	v_or3_b32 v14, v15, v14, v13
.LBB1_13968:
	s_or_b64 exec, exec, s[6:7]
	s_nop 0
	v_mfma_f32_16x16x4f32 a[0:3], v12, v14, a[0:3]
	s_movk_i32 s4, 0xff
	v_and_b32_sdwa v13, v6, s4 dst_sel:DWORD dst_unused:UNUSED_PAD src0_sel:WORD_1 src1_sel:DWORD
	s_movk_i32 s4, 0x7f
	v_cmp_lt_i16_e32 vcc, s4, v13
	s_mov_b64 s[4:5], 0
                                        ; implicit-def: $sgpr10
	s_and_saveexec_b64 s[6:7], vcc
	s_xor_b64 s[6:7], exec, s[6:7]
	s_cbranch_execz .LBB1_13969
; %bb.49809:
	s_getpc_b64 s[14:15]
.Lpost_getpc10568:
	s_add_u32 s14, s14, (.LBB1_28305-.Lpost_getpc10568)&4294967295
	s_addc_u32 s15, s15, (.LBB1_28305-.Lpost_getpc10568)>>32
	s_setpc_b64 s[14:15]
.LBB1_13969:
	s_or_saveexec_b64 s[6:7], s[6:7]
	v_mov_b32_e32 v12, s10
	s_xor_b64 exec, exec, s[6:7]
	s_cbranch_execz .LBB1_13970
; %bb.49811:
	s_getpc_b64 s[14:15]
.Lpost_getpc10569:
	s_add_u32 s14, s14, (.LBB1_28308-.Lpost_getpc10569)&4294967295
	s_addc_u32 s15, s15, (.LBB1_28308-.Lpost_getpc10569)>>32
	s_setpc_b64 s[14:15]
.LBB1_13970:
	s_or_b64 exec, exec, s[6:7]
	s_and_saveexec_b64 s[6:7], s[4:5]
	s_cbranch_execz .LBB1_13972
.LBB1_13971:
	v_bfe_u32 v12, v6, 16, 3
	v_ffbh_u32_e32 v15, v12
	v_min_u32_e32 v15, 32, v15
	v_lshrrev_b32_e32 v13, 19, v6
	v_subrev_u32_e32 v16, 28, v15
	v_and_b32_e32 v13, 15, v13
	v_lshlrev_b32_sdwa v16, v16, v6 dst_sel:DWORD dst_unused:UNUSED_PAD src0_sel:DWORD src1_sel:WORD_1
	v_bfe_u32 v14, v6, 19, 4
	v_sub_u32_e32 v15, 29, v15
	v_and_b32_e32 v16, 7, v16
	v_cmp_eq_u16_e32 vcc, 0, v13
	v_cndmask_b32_e32 v12, v12, v16, vcc
	v_cndmask_b32_e32 v13, v14, v15, vcc
	v_lshlrev_b32_e32 v14, 8, v6
	v_mov_b32_e32 v15, 0x3b800000
	v_lshlrev_b32_e32 v12, 20, v12
	v_and_b32_e32 v14, 0x80000000, v14
	v_lshl_add_u32 v13, v13, 23, v15
	v_or3_b32 v12, v14, v13, v12
.LBB1_13972:
	s_or_b64 exec, exec, s[6:7]
	s_movk_i32 s4, 0xff
	v_and_b32_sdwa v13, v2, s4 dst_sel:DWORD dst_unused:UNUSED_PAD src0_sel:WORD_1 src1_sel:DWORD
	s_movk_i32 s4, 0x7f
	v_cmp_lt_i16_e32 vcc, s4, v13
	s_mov_b64 s[4:5], 0
                                        ; implicit-def: $sgpr10
	s_and_saveexec_b64 s[6:7], vcc
	s_xor_b64 s[6:7], exec, s[6:7]
	s_cbranch_execz .LBB1_13973
; %bb.49813:
	s_getpc_b64 s[14:15]
.Lpost_getpc10570:
	s_add_u32 s14, s14, (.LBB1_28309-.Lpost_getpc10570)&4294967295
	s_addc_u32 s15, s15, (.LBB1_28309-.Lpost_getpc10570)>>32
	s_setpc_b64 s[14:15]
.LBB1_13973:
	s_or_saveexec_b64 s[6:7], s[6:7]
	v_mov_b32_e32 v14, s10
	s_xor_b64 exec, exec, s[6:7]
	s_cbranch_execz .LBB1_13974
; %bb.49815:
	s_getpc_b64 s[14:15]
.Lpost_getpc10571:
	s_add_u32 s14, s14, (.LBB1_28312-.Lpost_getpc10571)&4294967295
	s_addc_u32 s15, s15, (.LBB1_28312-.Lpost_getpc10571)>>32
	s_setpc_b64 s[14:15]
.LBB1_13974:
	s_or_b64 exec, exec, s[6:7]
	s_and_saveexec_b64 s[6:7], s[4:5]
	s_cbranch_execz .LBB1_13976
.LBB1_13975:
	v_bfe_u32 v13, v2, 16, 3
	v_ffbh_u32_e32 v16, v13
	v_min_u32_e32 v16, 32, v16
	v_lshrrev_b32_e32 v14, 19, v2
	v_subrev_u32_e32 v17, 28, v16
	v_and_b32_e32 v14, 15, v14
	v_lshlrev_b32_sdwa v17, v17, v2 dst_sel:DWORD dst_unused:UNUSED_PAD src0_sel:DWORD src1_sel:WORD_1
	v_bfe_u32 v15, v2, 19, 4
	v_sub_u32_e32 v16, 29, v16
	v_and_b32_e32 v17, 7, v17
	v_cmp_eq_u16_e32 vcc, 0, v14
	v_cndmask_b32_e32 v13, v13, v17, vcc
	v_cndmask_b32_e32 v14, v15, v16, vcc
	v_lshlrev_b32_e32 v15, 8, v2
	v_mov_b32_e32 v16, 0x3b800000
	v_lshlrev_b32_e32 v13, 20, v13
	v_and_b32_e32 v15, 0x80000000, v15
	v_lshl_add_u32 v14, v14, 23, v16
	v_or3_b32 v14, v15, v14, v13
.LBB1_13976:
	s_or_b64 exec, exec, s[6:7]
	s_nop 0
	v_mfma_f32_16x16x4f32 a[0:3], v12, v14, a[0:3]
	s_movk_i32 s4, 0x7f
	v_cmp_gt_i16_sdwa s[6:7], v6, s4 src0_sel:BYTE_3 src1_sel:DWORD
	s_mov_b64 s[4:5], 0
                                        ; implicit-def: $sgpr10
	s_and_saveexec_b64 s[8:9], s[6:7]
	s_xor_b64 s[6:7], exec, s[8:9]
	s_cbranch_execz .LBB1_13977
; %bb.49817:
	s_getpc_b64 s[14:15]
.Lpost_getpc10572:
	s_add_u32 s14, s14, (.LBB1_28313-.Lpost_getpc10572)&4294967295
	s_addc_u32 s15, s15, (.LBB1_28313-.Lpost_getpc10572)>>32
	s_setpc_b64 s[14:15]
.LBB1_13977:
	s_or_saveexec_b64 s[6:7], s[6:7]
	v_mov_b32_e32 v12, s10
	s_xor_b64 exec, exec, s[6:7]
	s_cbranch_execz .LBB1_13978
; %bb.49819:
	s_getpc_b64 s[14:15]
.Lpost_getpc10573:
	s_add_u32 s14, s14, (.LBB1_28316-.Lpost_getpc10573)&4294967295
	s_addc_u32 s15, s15, (.LBB1_28316-.Lpost_getpc10573)>>32
	s_setpc_b64 s[14:15]
.LBB1_13978:
	s_or_b64 exec, exec, s[6:7]
	s_and_saveexec_b64 s[6:7], s[4:5]
	s_cbranch_execz .LBB1_13980
.LBB1_13979:
	v_bfe_u32 v12, v6, 24, 3
	v_ffbh_u32_e32 v16, v12
	v_min_u32_e32 v16, 32, v16
	v_lshrrev_b32_e32 v14, 27, v6
	v_subrev_u32_e32 v17, 28, v16
	v_and_b32_e32 v13, 0x80000000, v6
	v_and_b32_e32 v14, 15, v14
	v_bfe_u32 v15, v6, 27, 4
	v_lshlrev_b32_sdwa v6, v17, v6 dst_sel:DWORD dst_unused:UNUSED_PAD src0_sel:DWORD src1_sel:BYTE_3
	v_sub_u32_e32 v16, 29, v16
	v_and_b32_e32 v6, 7, v6
	v_cmp_eq_u16_e32 vcc, 0, v14
	v_cndmask_b32_e32 v6, v12, v6, vcc
	v_cndmask_b32_e32 v12, v15, v16, vcc
	v_mov_b32_e32 v14, 0x3b800000
	v_lshlrev_b32_e32 v6, 20, v6
	v_lshl_add_u32 v12, v12, 23, v14
	v_or3_b32 v12, v13, v12, v6
.LBB1_13980:
	s_or_b64 exec, exec, s[6:7]
	s_movk_i32 s4, 0x7f
	v_cmp_gt_i16_sdwa s[6:7], v2, s4 src0_sel:BYTE_3 src1_sel:DWORD
	s_mov_b64 s[4:5], 0
                                        ; implicit-def: $sgpr10
	s_and_saveexec_b64 s[8:9], s[6:7]
	s_xor_b64 s[6:7], exec, s[8:9]
	s_cbranch_execz .LBB1_13981
; %bb.49821:
	s_getpc_b64 s[14:15]
.Lpost_getpc10574:
	s_add_u32 s14, s14, (.LBB1_28317-.Lpost_getpc10574)&4294967295
	s_addc_u32 s15, s15, (.LBB1_28317-.Lpost_getpc10574)>>32
	s_setpc_b64 s[14:15]
.LBB1_13981:
	s_or_saveexec_b64 s[6:7], s[6:7]
	v_mov_b32_e32 v6, s10
	s_xor_b64 exec, exec, s[6:7]
	s_cbranch_execz .LBB1_13982
; %bb.49823:
	s_getpc_b64 s[14:15]
.Lpost_getpc10575:
	s_add_u32 s14, s14, (.LBB1_28320-.Lpost_getpc10575)&4294967295
	s_addc_u32 s15, s15, (.LBB1_28320-.Lpost_getpc10575)>>32
	s_setpc_b64 s[14:15]
.LBB1_13982:
	s_or_b64 exec, exec, s[6:7]
	s_and_saveexec_b64 s[6:7], s[4:5]
	s_cbranch_execz .LBB1_13984
.LBB1_13983:
	v_bfe_u32 v6, v2, 24, 3
	v_ffbh_u32_e32 v16, v6
	v_min_u32_e32 v16, 32, v16
	v_lshrrev_b32_e32 v14, 27, v2
	v_subrev_u32_e32 v17, 28, v16
	v_and_b32_e32 v13, 0x80000000, v2
	v_and_b32_e32 v14, 15, v14
	v_bfe_u32 v15, v2, 27, 4
	v_lshlrev_b32_sdwa v2, v17, v2 dst_sel:DWORD dst_unused:UNUSED_PAD src0_sel:DWORD src1_sel:BYTE_3
	v_sub_u32_e32 v16, 29, v16
	v_and_b32_e32 v2, 7, v2
	v_cmp_eq_u16_e32 vcc, 0, v14
	v_cndmask_b32_e32 v2, v6, v2, vcc
	v_cndmask_b32_e32 v6, v15, v16, vcc
	v_mov_b32_e32 v14, 0x3b800000
	v_lshlrev_b32_e32 v2, 20, v2
	v_lshl_add_u32 v6, v6, 23, v14
	v_or3_b32 v6, v13, v6, v2
.LBB1_13984:
	s_or_b64 exec, exec, s[6:7]
	s_nop 0
	v_mfma_f32_16x16x4f32 a[0:3], v12, v6, a[0:3]
	s_movk_i32 s4, 0x7f
	v_cmp_gt_i16_sdwa s[6:7], v7, s4 src0_sel:BYTE_0 src1_sel:DWORD
	s_mov_b64 s[4:5], 0
                                        ; implicit-def: $sgpr10
	s_and_saveexec_b64 s[8:9], s[6:7]
	s_xor_b64 s[6:7], exec, s[8:9]
	s_cbranch_execz .LBB1_13985
; %bb.49825:
	s_getpc_b64 s[14:15]
.Lpost_getpc10576:
	s_add_u32 s14, s14, (.LBB1_28321-.Lpost_getpc10576)&4294967295
	s_addc_u32 s15, s15, (.LBB1_28321-.Lpost_getpc10576)>>32
	s_setpc_b64 s[14:15]
.LBB1_13985:
	s_or_saveexec_b64 s[6:7], s[6:7]
	v_mov_b32_e32 v2, s10
	s_xor_b64 exec, exec, s[6:7]
	s_cbranch_execz .LBB1_13986
; %bb.49827:
	s_getpc_b64 s[14:15]
.Lpost_getpc10577:
	s_add_u32 s14, s14, (.LBB1_28324-.Lpost_getpc10577)&4294967295
	s_addc_u32 s15, s15, (.LBB1_28324-.Lpost_getpc10577)>>32
	s_setpc_b64 s[14:15]
.LBB1_13986:
	s_or_b64 exec, exec, s[6:7]
	s_and_saveexec_b64 s[6:7], s[4:5]
	s_cbranch_execz .LBB1_13988
.LBB1_13987:
	v_and_b32_e32 v2, 7, v7
	v_ffbh_u32_e32 v12, v2
	v_min_u32_e32 v12, 32, v12
	v_lshrrev_b16_e32 v6, 3, v7
	v_subrev_u32_e32 v13, 28, v12
	v_and_b32_e32 v6, 15, v6
	v_lshlrev_b32_e32 v13, v13, v7
	v_sub_u32_e32 v12, 29, v12
	v_and_b32_e32 v13, 7, v13
	v_cmp_eq_u16_e32 vcc, 0, v6
	v_cndmask_b32_e32 v2, v2, v13, vcc
	v_cndmask_b32_e32 v6, v6, v12, vcc
	v_lshlrev_b32_e32 v12, 24, v7
	v_mov_b32_e32 v13, 0x3b800000
	v_lshlrev_b32_e32 v2, 20, v2
	v_and_b32_e32 v12, 0x80000000, v12
	v_lshl_add_u32 v6, v6, 23, v13
	v_or3_b32 v2, v12, v6, v2
.LBB1_13988:
	s_or_b64 exec, exec, s[6:7]
	s_movk_i32 s4, 0x7f
	v_cmp_gt_i16_sdwa s[6:7], v3, s4 src0_sel:BYTE_0 src1_sel:DWORD
	s_mov_b64 s[4:5], 0
                                        ; implicit-def: $sgpr10
	s_and_saveexec_b64 s[8:9], s[6:7]
	s_xor_b64 s[6:7], exec, s[8:9]
	s_cbranch_execz .LBB1_13989
; %bb.49829:
	s_getpc_b64 s[14:15]
.Lpost_getpc10578:
	s_add_u32 s14, s14, (.LBB1_28325-.Lpost_getpc10578)&4294967295
	s_addc_u32 s15, s15, (.LBB1_28325-.Lpost_getpc10578)>>32
	s_setpc_b64 s[14:15]
.LBB1_13989:
	s_or_saveexec_b64 s[6:7], s[6:7]
	v_mov_b32_e32 v6, s10
	s_xor_b64 exec, exec, s[6:7]
	s_cbranch_execz .LBB1_13990
; %bb.49831:
	s_getpc_b64 s[14:15]
.Lpost_getpc10579:
	s_add_u32 s14, s14, (.LBB1_28328-.Lpost_getpc10579)&4294967295
	s_addc_u32 s15, s15, (.LBB1_28328-.Lpost_getpc10579)>>32
	s_setpc_b64 s[14:15]
.LBB1_13990:
	s_or_b64 exec, exec, s[6:7]
	s_and_saveexec_b64 s[6:7], s[4:5]
	s_cbranch_execz .LBB1_13992
.LBB1_13991:
	v_and_b32_e32 v6, 7, v3
	v_ffbh_u32_e32 v13, v6
	v_min_u32_e32 v13, 32, v13
	v_lshrrev_b16_e32 v12, 3, v3
	v_subrev_u32_e32 v14, 28, v13
	v_and_b32_e32 v12, 15, v12
	v_lshlrev_b32_e32 v14, v14, v3
	v_sub_u32_e32 v13, 29, v13
	v_and_b32_e32 v14, 7, v14
	v_cmp_eq_u16_e32 vcc, 0, v12
	v_cndmask_b32_e32 v6, v6, v14, vcc
	v_cndmask_b32_e32 v12, v12, v13, vcc
	v_lshlrev_b32_e32 v13, 24, v3
	v_mov_b32_e32 v14, 0x3b800000
	v_lshlrev_b32_e32 v6, 20, v6
	v_and_b32_e32 v13, 0x80000000, v13
	v_lshl_add_u32 v12, v12, 23, v14
	v_or3_b32 v6, v13, v12, v6
.LBB1_13992:
	s_or_b64 exec, exec, s[6:7]
	s_nop 0
	v_mfma_f32_16x16x4f32 a[0:3], v2, v6, a[0:3]
	v_lshrrev_b32_e32 v6, 8, v7
	s_movk_i32 s4, 0x7f
	v_cmp_gt_i16_sdwa s[6:7], v6, s4 src0_sel:BYTE_0 src1_sel:DWORD
	s_mov_b64 s[4:5], 0
                                        ; implicit-def: $sgpr10
	s_and_saveexec_b64 s[8:9], s[6:7]
	s_xor_b64 s[6:7], exec, s[8:9]
	s_cbranch_execz .LBB1_13993
; %bb.49833:
	s_getpc_b64 s[14:15]
.Lpost_getpc10580:
	s_add_u32 s14, s14, (.LBB1_28329-.Lpost_getpc10580)&4294967295
	s_addc_u32 s15, s15, (.LBB1_28329-.Lpost_getpc10580)>>32
	s_setpc_b64 s[14:15]
.LBB1_13993:
	s_or_saveexec_b64 s[6:7], s[6:7]
	v_mov_b32_e32 v2, s10
	s_xor_b64 exec, exec, s[6:7]
	s_cbranch_execz .LBB1_13994
; %bb.49835:
	s_getpc_b64 s[14:15]
.Lpost_getpc10581:
	s_add_u32 s14, s14, (.LBB1_28332-.Lpost_getpc10581)&4294967295
	s_addc_u32 s15, s15, (.LBB1_28332-.Lpost_getpc10581)>>32
	s_setpc_b64 s[14:15]
.LBB1_13994:
	s_or_b64 exec, exec, s[6:7]
	s_and_saveexec_b64 s[6:7], s[4:5]
	s_cbranch_execz .LBB1_13996
.LBB1_13995:
	v_bfe_u32 v2, v7, 8, 3
	v_ffbh_u32_e32 v13, v2
	v_min_u32_e32 v13, 32, v13
	v_lshrrev_b16_e32 v12, 3, v6
	v_subrev_u32_e32 v14, 28, v13
	v_and_b32_e32 v12, 15, v12
	v_lshlrev_b32_e32 v6, v14, v6
	v_sub_u32_e32 v13, 29, v13
	v_and_b32_e32 v6, 7, v6
	v_cmp_eq_u16_e32 vcc, 0, v12
	v_cndmask_b32_e32 v2, v2, v6, vcc
	v_cndmask_b32_e32 v6, v12, v13, vcc
	v_lshlrev_b32_e32 v12, 16, v7
	v_mov_b32_e32 v13, 0x3b800000
	v_lshlrev_b32_e32 v2, 20, v2
	v_and_b32_e32 v12, 0x80000000, v12
	v_lshl_add_u32 v6, v6, 23, v13
	v_or3_b32 v2, v12, v6, v2
.LBB1_13996:
	s_or_b64 exec, exec, s[6:7]
	v_lshrrev_b32_e32 v6, 8, v3
	s_movk_i32 s4, 0x7f
	v_cmp_gt_i16_sdwa s[6:7], v6, s4 src0_sel:BYTE_0 src1_sel:DWORD
	s_mov_b64 s[4:5], 0
                                        ; implicit-def: $sgpr10
	s_and_saveexec_b64 s[8:9], s[6:7]
	s_xor_b64 s[6:7], exec, s[8:9]
	s_cbranch_execz .LBB1_13997
; %bb.49837:
	s_getpc_b64 s[14:15]
.Lpost_getpc10582:
	s_add_u32 s14, s14, (.LBB1_28333-.Lpost_getpc10582)&4294967295
	s_addc_u32 s15, s15, (.LBB1_28333-.Lpost_getpc10582)>>32
	s_setpc_b64 s[14:15]
.LBB1_13997:
	s_or_saveexec_b64 s[6:7], s[6:7]
	v_mov_b32_e32 v12, s10
	s_xor_b64 exec, exec, s[6:7]
	s_cbranch_execz .LBB1_13998
; %bb.49839:
	s_getpc_b64 s[14:15]
.Lpost_getpc10583:
	s_add_u32 s14, s14, (.LBB1_28336-.Lpost_getpc10583)&4294967295
	s_addc_u32 s15, s15, (.LBB1_28336-.Lpost_getpc10583)>>32
	s_setpc_b64 s[14:15]
.LBB1_13998:
	s_or_b64 exec, exec, s[6:7]
	s_and_saveexec_b64 s[6:7], s[4:5]
	s_cbranch_execz .LBB1_14000
.LBB1_13999:
	v_bfe_u32 v12, v3, 8, 3
	v_ffbh_u32_e32 v14, v12
	v_min_u32_e32 v14, 32, v14
	v_lshrrev_b16_e32 v13, 3, v6
	v_subrev_u32_e32 v15, 28, v14
	v_and_b32_e32 v13, 15, v13
	v_lshlrev_b32_e32 v6, v15, v6
	v_sub_u32_e32 v14, 29, v14
	v_and_b32_e32 v6, 7, v6
	v_cmp_eq_u16_e32 vcc, 0, v13
	v_cndmask_b32_e32 v6, v12, v6, vcc
	v_cndmask_b32_e32 v12, v13, v14, vcc
	v_lshlrev_b32_e32 v13, 16, v3
	v_mov_b32_e32 v14, 0x3b800000
	v_lshlrev_b32_e32 v6, 20, v6
	v_and_b32_e32 v13, 0x80000000, v13
	v_lshl_add_u32 v12, v12, 23, v14
	v_or3_b32 v12, v13, v12, v6
.LBB1_14000:
	s_or_b64 exec, exec, s[6:7]
	s_nop 0
	v_mfma_f32_16x16x4f32 a[0:3], v2, v12, a[0:3]
	s_movk_i32 s4, 0xff
	v_and_b32_sdwa v6, v7, s4 dst_sel:DWORD dst_unused:UNUSED_PAD src0_sel:WORD_1 src1_sel:DWORD
	s_movk_i32 s4, 0x7f
	v_cmp_lt_i16_e32 vcc, s4, v6
	s_mov_b64 s[4:5], 0
                                        ; implicit-def: $sgpr10
	s_and_saveexec_b64 s[6:7], vcc
	s_xor_b64 s[6:7], exec, s[6:7]
	s_cbranch_execz .LBB1_14001
; %bb.49841:
	s_getpc_b64 s[14:15]
.Lpost_getpc10584:
	s_add_u32 s14, s14, (.LBB1_28337-.Lpost_getpc10584)&4294967295
	s_addc_u32 s15, s15, (.LBB1_28337-.Lpost_getpc10584)>>32
	s_setpc_b64 s[14:15]
.LBB1_14001:
	s_or_saveexec_b64 s[6:7], s[6:7]
	v_mov_b32_e32 v2, s10
	s_xor_b64 exec, exec, s[6:7]
	s_cbranch_execz .LBB1_14002
; %bb.49843:
	s_getpc_b64 s[14:15]
.Lpost_getpc10585:
	s_add_u32 s14, s14, (.LBB1_28340-.Lpost_getpc10585)&4294967295
	s_addc_u32 s15, s15, (.LBB1_28340-.Lpost_getpc10585)>>32
	s_setpc_b64 s[14:15]
.LBB1_14002:
	s_or_b64 exec, exec, s[6:7]
	s_and_saveexec_b64 s[6:7], s[4:5]
	s_cbranch_execz .LBB1_14004
.LBB1_14003:
	v_bfe_u32 v2, v7, 16, 3
	v_ffbh_u32_e32 v13, v2
	v_min_u32_e32 v13, 32, v13
	v_lshrrev_b32_e32 v6, 19, v7
	v_subrev_u32_e32 v14, 28, v13
	v_and_b32_e32 v6, 15, v6
	v_lshlrev_b32_sdwa v14, v14, v7 dst_sel:DWORD dst_unused:UNUSED_PAD src0_sel:DWORD src1_sel:WORD_1
	v_bfe_u32 v12, v7, 19, 4
	v_sub_u32_e32 v13, 29, v13
	v_and_b32_e32 v14, 7, v14
	v_cmp_eq_u16_e32 vcc, 0, v6
	v_cndmask_b32_e32 v2, v2, v14, vcc
	v_cndmask_b32_e32 v6, v12, v13, vcc
	v_lshlrev_b32_e32 v12, 8, v7
	v_mov_b32_e32 v13, 0x3b800000
	v_lshlrev_b32_e32 v2, 20, v2
	v_and_b32_e32 v12, 0x80000000, v12
	v_lshl_add_u32 v6, v6, 23, v13
	v_or3_b32 v2, v12, v6, v2
.LBB1_14004:
	s_or_b64 exec, exec, s[6:7]
	s_movk_i32 s4, 0xff
	v_and_b32_sdwa v6, v3, s4 dst_sel:DWORD dst_unused:UNUSED_PAD src0_sel:WORD_1 src1_sel:DWORD
	s_movk_i32 s4, 0x7f
	v_cmp_lt_i16_e32 vcc, s4, v6
	s_mov_b64 s[4:5], 0
                                        ; implicit-def: $sgpr10
	s_and_saveexec_b64 s[6:7], vcc
	s_xor_b64 s[6:7], exec, s[6:7]
	s_cbranch_execz .LBB1_14005
; %bb.49845:
	s_getpc_b64 s[14:15]
.Lpost_getpc10586:
	s_add_u32 s14, s14, (.LBB1_28341-.Lpost_getpc10586)&4294967295
	s_addc_u32 s15, s15, (.LBB1_28341-.Lpost_getpc10586)>>32
	s_setpc_b64 s[14:15]
.LBB1_14005:
	s_or_saveexec_b64 s[6:7], s[6:7]
	v_mov_b32_e32 v12, s10
	s_xor_b64 exec, exec, s[6:7]
	s_cbranch_execz .LBB1_14006
; %bb.49847:
	s_getpc_b64 s[14:15]
.Lpost_getpc10587:
	s_add_u32 s14, s14, (.LBB1_28344-.Lpost_getpc10587)&4294967295
	s_addc_u32 s15, s15, (.LBB1_28344-.Lpost_getpc10587)>>32
	s_setpc_b64 s[14:15]
.LBB1_14006:
	s_or_b64 exec, exec, s[6:7]
	s_and_saveexec_b64 s[6:7], s[4:5]
	s_cbranch_execz .LBB1_14008
.LBB1_14007:
	v_bfe_u32 v6, v3, 16, 3
	v_ffbh_u32_e32 v14, v6
	v_min_u32_e32 v14, 32, v14
	v_lshrrev_b32_e32 v12, 19, v3
	v_subrev_u32_e32 v15, 28, v14
	v_and_b32_e32 v12, 15, v12
	v_lshlrev_b32_sdwa v15, v15, v3 dst_sel:DWORD dst_unused:UNUSED_PAD src0_sel:DWORD src1_sel:WORD_1
	v_bfe_u32 v13, v3, 19, 4
	v_sub_u32_e32 v14, 29, v14
	v_and_b32_e32 v15, 7, v15
	v_cmp_eq_u16_e32 vcc, 0, v12
	v_cndmask_b32_e32 v6, v6, v15, vcc
	v_cndmask_b32_e32 v12, v13, v14, vcc
	v_lshlrev_b32_e32 v13, 8, v3
	v_mov_b32_e32 v14, 0x3b800000
	v_lshlrev_b32_e32 v6, 20, v6
	v_and_b32_e32 v13, 0x80000000, v13
	v_lshl_add_u32 v12, v12, 23, v14
	v_or3_b32 v12, v13, v12, v6
.LBB1_14008:
	s_or_b64 exec, exec, s[6:7]
	s_nop 0
	v_mfma_f32_16x16x4f32 a[0:3], v2, v12, a[0:3]
	s_movk_i32 s4, 0x7f
	v_cmp_gt_i16_sdwa s[6:7], v7, s4 src0_sel:BYTE_3 src1_sel:DWORD
	s_mov_b64 s[4:5], 0
                                        ; implicit-def: $sgpr10
	s_and_saveexec_b64 s[8:9], s[6:7]
	s_xor_b64 s[6:7], exec, s[8:9]
	s_cbranch_execz .LBB1_14009
; %bb.49849:
	s_getpc_b64 s[14:15]
.Lpost_getpc10588:
	s_add_u32 s14, s14, (.LBB1_28345-.Lpost_getpc10588)&4294967295
	s_addc_u32 s15, s15, (.LBB1_28345-.Lpost_getpc10588)>>32
	s_setpc_b64 s[14:15]
.LBB1_14009:
	s_or_saveexec_b64 s[6:7], s[6:7]
	v_mov_b32_e32 v2, s10
	s_xor_b64 exec, exec, s[6:7]
	s_cbranch_execz .LBB1_14010
; %bb.49851:
	s_getpc_b64 s[14:15]
.Lpost_getpc10589:
	s_add_u32 s14, s14, (.LBB1_28348-.Lpost_getpc10589)&4294967295
	s_addc_u32 s15, s15, (.LBB1_28348-.Lpost_getpc10589)>>32
	s_setpc_b64 s[14:15]
.LBB1_14010:
	s_or_b64 exec, exec, s[6:7]
	s_and_saveexec_b64 s[6:7], s[4:5]
	s_cbranch_execz .LBB1_14012
.LBB1_14011:
	v_bfe_u32 v2, v7, 24, 3
	v_ffbh_u32_e32 v14, v2
	v_min_u32_e32 v14, 32, v14
	v_lshrrev_b32_e32 v12, 27, v7
	v_subrev_u32_e32 v15, 28, v14
	v_and_b32_e32 v6, 0x80000000, v7
	v_and_b32_e32 v12, 15, v12
	v_bfe_u32 v13, v7, 27, 4
	v_lshlrev_b32_sdwa v7, v15, v7 dst_sel:DWORD dst_unused:UNUSED_PAD src0_sel:DWORD src1_sel:BYTE_3
	v_sub_u32_e32 v14, 29, v14
	v_and_b32_e32 v7, 7, v7
	v_cmp_eq_u16_e32 vcc, 0, v12
	v_cndmask_b32_e32 v2, v2, v7, vcc
	v_cndmask_b32_e32 v7, v13, v14, vcc
	v_mov_b32_e32 v12, 0x3b800000
	v_lshlrev_b32_e32 v2, 20, v2
	v_lshl_add_u32 v7, v7, 23, v12
	v_or3_b32 v2, v6, v7, v2
.LBB1_14012:
	s_or_b64 exec, exec, s[6:7]
	s_movk_i32 s4, 0x7f
	v_cmp_gt_i16_sdwa s[6:7], v3, s4 src0_sel:BYTE_3 src1_sel:DWORD
	s_mov_b64 s[4:5], 0
                                        ; implicit-def: $sgpr10
	s_and_saveexec_b64 s[8:9], s[6:7]
	s_xor_b64 s[6:7], exec, s[8:9]
	s_cbranch_execz .LBB1_14013
; %bb.49853:
	s_getpc_b64 s[14:15]
.Lpost_getpc10590:
	s_add_u32 s14, s14, (.LBB1_28349-.Lpost_getpc10590)&4294967295
	s_addc_u32 s15, s15, (.LBB1_28349-.Lpost_getpc10590)>>32
	s_setpc_b64 s[14:15]
.LBB1_14013:
	s_or_saveexec_b64 s[6:7], s[6:7]
	v_mov_b32_e32 v6, s10
	s_xor_b64 exec, exec, s[6:7]
	s_cbranch_execz .LBB1_14014
; %bb.49855:
	s_getpc_b64 s[14:15]
.Lpost_getpc10591:
	s_add_u32 s14, s14, (.LBB1_28352-.Lpost_getpc10591)&4294967295
	s_addc_u32 s15, s15, (.LBB1_28352-.Lpost_getpc10591)>>32
	s_setpc_b64 s[14:15]
.LBB1_14014:
	s_or_b64 exec, exec, s[6:7]
	s_and_saveexec_b64 s[6:7], s[4:5]
	s_cbranch_execz .LBB1_14016
.LBB1_14015:
	v_bfe_u32 v6, v3, 24, 3
	v_ffbh_u32_e32 v14, v6
	v_min_u32_e32 v14, 32, v14
	v_lshrrev_b32_e32 v12, 27, v3
	v_subrev_u32_e32 v15, 28, v14
	v_and_b32_e32 v7, 0x80000000, v3
	v_and_b32_e32 v12, 15, v12
	v_bfe_u32 v13, v3, 27, 4
	v_lshlrev_b32_sdwa v3, v15, v3 dst_sel:DWORD dst_unused:UNUSED_PAD src0_sel:DWORD src1_sel:BYTE_3
	v_sub_u32_e32 v14, 29, v14
	v_and_b32_e32 v3, 7, v3
	v_cmp_eq_u16_e32 vcc, 0, v12
	v_cndmask_b32_e32 v3, v6, v3, vcc
	v_cndmask_b32_e32 v6, v13, v14, vcc
	v_mov_b32_e32 v12, 0x3b800000
	v_lshlrev_b32_e32 v3, 20, v3
	v_lshl_add_u32 v6, v6, 23, v12
	v_or3_b32 v6, v7, v6, v3
.LBB1_14016:
	s_or_b64 exec, exec, s[6:7]
	s_nop 0
	v_mfma_f32_16x16x4f32 a[0:3], v2, v6, a[0:3]
	s_movk_i32 s4, 0x7f
	v_cmp_gt_i16_sdwa s[6:7], v8, s4 src0_sel:BYTE_0 src1_sel:DWORD
	s_mov_b64 s[4:5], 0
                                        ; implicit-def: $sgpr10
	s_and_saveexec_b64 s[8:9], s[6:7]
	s_xor_b64 s[6:7], exec, s[8:9]
	s_cbranch_execz .LBB1_14017
; %bb.49857:
	s_getpc_b64 s[14:15]
.Lpost_getpc10592:
	s_add_u32 s14, s14, (.LBB1_28353-.Lpost_getpc10592)&4294967295
	s_addc_u32 s15, s15, (.LBB1_28353-.Lpost_getpc10592)>>32
	s_setpc_b64 s[14:15]
.LBB1_14017:
	s_or_saveexec_b64 s[6:7], s[6:7]
	v_mov_b32_e32 v2, s10
	s_xor_b64 exec, exec, s[6:7]
	s_cbranch_execz .LBB1_14018
; %bb.49859:
	s_getpc_b64 s[14:15]
.Lpost_getpc10593:
	s_add_u32 s14, s14, (.LBB1_28356-.Lpost_getpc10593)&4294967295
	s_addc_u32 s15, s15, (.LBB1_28356-.Lpost_getpc10593)>>32
	s_setpc_b64 s[14:15]
.LBB1_14018:
	s_or_b64 exec, exec, s[6:7]
	s_and_saveexec_b64 s[6:7], s[4:5]
	s_cbranch_execz .LBB1_14020
.LBB1_14019:
	v_and_b32_e32 v2, 7, v8
	v_ffbh_u32_e32 v6, v2
	v_min_u32_e32 v6, 32, v6
	v_lshrrev_b16_e32 v3, 3, v8
	v_subrev_u32_e32 v7, 28, v6
	v_and_b32_e32 v3, 15, v3
	v_lshlrev_b32_e32 v7, v7, v8
	v_sub_u32_e32 v6, 29, v6
	v_and_b32_e32 v7, 7, v7
	v_cmp_eq_u16_e32 vcc, 0, v3
	v_cndmask_b32_e32 v2, v2, v7, vcc
	v_cndmask_b32_e32 v3, v3, v6, vcc
	v_lshlrev_b32_e32 v6, 24, v8
	v_mov_b32_e32 v7, 0x3b800000
	v_lshlrev_b32_e32 v2, 20, v2
	v_and_b32_e32 v6, 0x80000000, v6
	v_lshl_add_u32 v3, v3, 23, v7
	v_or3_b32 v2, v6, v3, v2
.LBB1_14020:
	s_or_b64 exec, exec, s[6:7]
	s_movk_i32 s4, 0x7f
	v_cmp_gt_i16_sdwa s[6:7], v4, s4 src0_sel:BYTE_0 src1_sel:DWORD
	s_mov_b64 s[4:5], 0
                                        ; implicit-def: $sgpr10
	s_and_saveexec_b64 s[8:9], s[6:7]
	s_xor_b64 s[6:7], exec, s[8:9]
	s_cbranch_execz .LBB1_14021
; %bb.49861:
	s_getpc_b64 s[14:15]
.Lpost_getpc10594:
	s_add_u32 s14, s14, (.LBB1_28357-.Lpost_getpc10594)&4294967295
	s_addc_u32 s15, s15, (.LBB1_28357-.Lpost_getpc10594)>>32
	s_setpc_b64 s[14:15]
.LBB1_14021:
	s_or_saveexec_b64 s[6:7], s[6:7]
	v_mov_b32_e32 v3, s10
	s_xor_b64 exec, exec, s[6:7]
	s_cbranch_execz .LBB1_14022
; %bb.49863:
	s_getpc_b64 s[14:15]
.Lpost_getpc10595:
	s_add_u32 s14, s14, (.LBB1_28360-.Lpost_getpc10595)&4294967295
	s_addc_u32 s15, s15, (.LBB1_28360-.Lpost_getpc10595)>>32
	s_setpc_b64 s[14:15]
.LBB1_14022:
	s_or_b64 exec, exec, s[6:7]
	s_and_saveexec_b64 s[6:7], s[4:5]
	s_cbranch_execz .LBB1_14024
.LBB1_14023:
	v_and_b32_e32 v3, 7, v4
	v_ffbh_u32_e32 v7, v3
	v_min_u32_e32 v7, 32, v7
	v_lshrrev_b16_e32 v6, 3, v4
	v_subrev_u32_e32 v12, 28, v7
	v_and_b32_e32 v6, 15, v6
	v_lshlrev_b32_e32 v12, v12, v4
	v_sub_u32_e32 v7, 29, v7
	v_and_b32_e32 v12, 7, v12
	v_cmp_eq_u16_e32 vcc, 0, v6
	v_cndmask_b32_e32 v3, v3, v12, vcc
	v_cndmask_b32_e32 v6, v6, v7, vcc
	v_lshlrev_b32_e32 v7, 24, v4
	v_mov_b32_e32 v12, 0x3b800000
	v_lshlrev_b32_e32 v3, 20, v3
	v_and_b32_e32 v7, 0x80000000, v7
	v_lshl_add_u32 v6, v6, 23, v12
	v_or3_b32 v3, v7, v6, v3
.LBB1_14024:
	s_or_b64 exec, exec, s[6:7]
	s_nop 0
	v_mfma_f32_16x16x4f32 a[0:3], v2, v3, a[0:3]
	v_lshrrev_b32_e32 v3, 8, v8
	s_movk_i32 s4, 0x7f
	v_cmp_gt_i16_sdwa s[6:7], v3, s4 src0_sel:BYTE_0 src1_sel:DWORD
	s_mov_b64 s[4:5], 0
                                        ; implicit-def: $sgpr10
	s_and_saveexec_b64 s[8:9], s[6:7]
	s_xor_b64 s[6:7], exec, s[8:9]
	s_cbranch_execz .LBB1_14025
; %bb.49865:
	s_getpc_b64 s[14:15]
.Lpost_getpc10596:
	s_add_u32 s14, s14, (.LBB1_28361-.Lpost_getpc10596)&4294967295
	s_addc_u32 s15, s15, (.LBB1_28361-.Lpost_getpc10596)>>32
	s_setpc_b64 s[14:15]
.LBB1_14025:
	s_or_saveexec_b64 s[6:7], s[6:7]
	v_mov_b32_e32 v2, s10
	s_xor_b64 exec, exec, s[6:7]
	s_cbranch_execz .LBB1_14026
; %bb.49867:
	s_getpc_b64 s[14:15]
.Lpost_getpc10597:
	s_add_u32 s14, s14, (.LBB1_28364-.Lpost_getpc10597)&4294967295
	s_addc_u32 s15, s15, (.LBB1_28364-.Lpost_getpc10597)>>32
	s_setpc_b64 s[14:15]
.LBB1_14026:
	s_or_b64 exec, exec, s[6:7]
	s_and_saveexec_b64 s[6:7], s[4:5]
	s_cbranch_execz .LBB1_14028
.LBB1_14027:
	v_bfe_u32 v2, v8, 8, 3
	v_ffbh_u32_e32 v7, v2
	v_min_u32_e32 v7, 32, v7
	v_lshrrev_b16_e32 v6, 3, v3
	v_subrev_u32_e32 v12, 28, v7
	v_and_b32_e32 v6, 15, v6
	v_lshlrev_b32_e32 v3, v12, v3
	v_sub_u32_e32 v7, 29, v7
	v_and_b32_e32 v3, 7, v3
	v_cmp_eq_u16_e32 vcc, 0, v6
	v_cndmask_b32_e32 v2, v2, v3, vcc
	v_cndmask_b32_e32 v3, v6, v7, vcc
	v_lshlrev_b32_e32 v6, 16, v8
	v_mov_b32_e32 v7, 0x3b800000
	v_lshlrev_b32_e32 v2, 20, v2
	v_and_b32_e32 v6, 0x80000000, v6
	v_lshl_add_u32 v3, v3, 23, v7
	v_or3_b32 v2, v6, v3, v2
.LBB1_14028:
	s_or_b64 exec, exec, s[6:7]
	v_lshrrev_b32_e32 v3, 8, v4
	s_movk_i32 s4, 0x7f
	v_cmp_gt_i16_sdwa s[6:7], v3, s4 src0_sel:BYTE_0 src1_sel:DWORD
	s_mov_b64 s[4:5], 0
                                        ; implicit-def: $sgpr10
	s_and_saveexec_b64 s[8:9], s[6:7]
	s_xor_b64 s[6:7], exec, s[8:9]
	s_cbranch_execz .LBB1_14029
; %bb.49869:
	s_getpc_b64 s[14:15]
.Lpost_getpc10598:
	s_add_u32 s14, s14, (.LBB1_28365-.Lpost_getpc10598)&4294967295
	s_addc_u32 s15, s15, (.LBB1_28365-.Lpost_getpc10598)>>32
	s_setpc_b64 s[14:15]
.LBB1_14029:
	s_or_saveexec_b64 s[6:7], s[6:7]
	v_mov_b32_e32 v6, s10
	s_xor_b64 exec, exec, s[6:7]
	s_cbranch_execz .LBB1_14030
; %bb.49871:
	s_getpc_b64 s[14:15]
.Lpost_getpc10599:
	s_add_u32 s14, s14, (.LBB1_28368-.Lpost_getpc10599)&4294967295
	s_addc_u32 s15, s15, (.LBB1_28368-.Lpost_getpc10599)>>32
	s_setpc_b64 s[14:15]
.LBB1_14030:
	s_or_b64 exec, exec, s[6:7]
	s_and_saveexec_b64 s[6:7], s[4:5]
	s_cbranch_execz .LBB1_14032
.LBB1_14031:
	v_bfe_u32 v6, v4, 8, 3
	v_ffbh_u32_e32 v12, v6
	v_min_u32_e32 v12, 32, v12
	v_lshrrev_b16_e32 v7, 3, v3
	v_subrev_u32_e32 v13, 28, v12
	v_and_b32_e32 v7, 15, v7
	v_lshlrev_b32_e32 v3, v13, v3
	v_sub_u32_e32 v12, 29, v12
	v_and_b32_e32 v3, 7, v3
	v_cmp_eq_u16_e32 vcc, 0, v7
	v_cndmask_b32_e32 v3, v6, v3, vcc
	v_cndmask_b32_e32 v6, v7, v12, vcc
	v_lshlrev_b32_e32 v7, 16, v4
	v_mov_b32_e32 v12, 0x3b800000
	v_lshlrev_b32_e32 v3, 20, v3
	v_and_b32_e32 v7, 0x80000000, v7
	v_lshl_add_u32 v6, v6, 23, v12
	v_or3_b32 v6, v7, v6, v3
.LBB1_14032:
	s_or_b64 exec, exec, s[6:7]
	s_nop 0
	v_mfma_f32_16x16x4f32 a[0:3], v2, v6, a[0:3]
	s_movk_i32 s4, 0xff
	v_and_b32_sdwa v3, v8, s4 dst_sel:DWORD dst_unused:UNUSED_PAD src0_sel:WORD_1 src1_sel:DWORD
	s_movk_i32 s4, 0x7f
	v_cmp_lt_i16_e32 vcc, s4, v3
	s_mov_b64 s[4:5], 0
                                        ; implicit-def: $sgpr10
	s_and_saveexec_b64 s[6:7], vcc
	s_xor_b64 s[6:7], exec, s[6:7]
	s_cbranch_execz .LBB1_14033
; %bb.49873:
	s_getpc_b64 s[14:15]
.Lpost_getpc10600:
	s_add_u32 s14, s14, (.LBB1_28369-.Lpost_getpc10600)&4294967295
	s_addc_u32 s15, s15, (.LBB1_28369-.Lpost_getpc10600)>>32
	s_setpc_b64 s[14:15]
.LBB1_14033:
	s_or_saveexec_b64 s[6:7], s[6:7]
	v_mov_b32_e32 v2, s10
	s_xor_b64 exec, exec, s[6:7]
	s_cbranch_execz .LBB1_14034
; %bb.49875:
	s_getpc_b64 s[14:15]
.Lpost_getpc10601:
	s_add_u32 s14, s14, (.LBB1_28372-.Lpost_getpc10601)&4294967295
	s_addc_u32 s15, s15, (.LBB1_28372-.Lpost_getpc10601)>>32
	s_setpc_b64 s[14:15]
.LBB1_14034:
	s_or_b64 exec, exec, s[6:7]
	s_and_saveexec_b64 s[6:7], s[4:5]
	s_cbranch_execz .LBB1_14036
.LBB1_14035:
	v_bfe_u32 v2, v8, 16, 3
	v_ffbh_u32_e32 v7, v2
	v_min_u32_e32 v7, 32, v7
	v_lshrrev_b32_e32 v3, 19, v8
	v_subrev_u32_e32 v12, 28, v7
	v_and_b32_e32 v3, 15, v3
	v_lshlrev_b32_sdwa v12, v12, v8 dst_sel:DWORD dst_unused:UNUSED_PAD src0_sel:DWORD src1_sel:WORD_1
	v_bfe_u32 v6, v8, 19, 4
	v_sub_u32_e32 v7, 29, v7
	v_and_b32_e32 v12, 7, v12
	v_cmp_eq_u16_e32 vcc, 0, v3
	v_cndmask_b32_e32 v2, v2, v12, vcc
	v_cndmask_b32_e32 v3, v6, v7, vcc
	v_lshlrev_b32_e32 v6, 8, v8
	v_mov_b32_e32 v7, 0x3b800000
	v_lshlrev_b32_e32 v2, 20, v2
	v_and_b32_e32 v6, 0x80000000, v6
	v_lshl_add_u32 v3, v3, 23, v7
	v_or3_b32 v2, v6, v3, v2
.LBB1_14036:
	s_or_b64 exec, exec, s[6:7]
	s_movk_i32 s4, 0xff
	v_and_b32_sdwa v3, v4, s4 dst_sel:DWORD dst_unused:UNUSED_PAD src0_sel:WORD_1 src1_sel:DWORD
	s_movk_i32 s4, 0x7f
	v_cmp_lt_i16_e32 vcc, s4, v3
	s_mov_b64 s[4:5], 0
                                        ; implicit-def: $sgpr10
	s_and_saveexec_b64 s[6:7], vcc
	s_xor_b64 s[6:7], exec, s[6:7]
	s_cbranch_execz .LBB1_14037
; %bb.49877:
	s_getpc_b64 s[14:15]
.Lpost_getpc10602:
	s_add_u32 s14, s14, (.LBB1_28373-.Lpost_getpc10602)&4294967295
	s_addc_u32 s15, s15, (.LBB1_28373-.Lpost_getpc10602)>>32
	s_setpc_b64 s[14:15]
.LBB1_14037:
	s_or_saveexec_b64 s[6:7], s[6:7]
	v_mov_b32_e32 v6, s10
	s_xor_b64 exec, exec, s[6:7]
	s_cbranch_execz .LBB1_14038
; %bb.49879:
	s_getpc_b64 s[14:15]
.Lpost_getpc10603:
	s_add_u32 s14, s14, (.LBB1_28376-.Lpost_getpc10603)&4294967295
	s_addc_u32 s15, s15, (.LBB1_28376-.Lpost_getpc10603)>>32
	s_setpc_b64 s[14:15]
.LBB1_14038:
	s_or_b64 exec, exec, s[6:7]
	s_and_saveexec_b64 s[6:7], s[4:5]
	s_cbranch_execz .LBB1_14040
.LBB1_14039:
	v_bfe_u32 v3, v4, 16, 3
	v_ffbh_u32_e32 v12, v3
	v_min_u32_e32 v12, 32, v12
	v_lshrrev_b32_e32 v6, 19, v4
	v_subrev_u32_e32 v13, 28, v12
	v_and_b32_e32 v6, 15, v6
	v_lshlrev_b32_sdwa v13, v13, v4 dst_sel:DWORD dst_unused:UNUSED_PAD src0_sel:DWORD src1_sel:WORD_1
	v_bfe_u32 v7, v4, 19, 4
	v_sub_u32_e32 v12, 29, v12
	v_and_b32_e32 v13, 7, v13
	v_cmp_eq_u16_e32 vcc, 0, v6
	v_cndmask_b32_e32 v3, v3, v13, vcc
	v_cndmask_b32_e32 v6, v7, v12, vcc
	v_lshlrev_b32_e32 v7, 8, v4
	v_mov_b32_e32 v12, 0x3b800000
	v_lshlrev_b32_e32 v3, 20, v3
	v_and_b32_e32 v7, 0x80000000, v7
	v_lshl_add_u32 v6, v6, 23, v12
	v_or3_b32 v6, v7, v6, v3
.LBB1_14040:
	s_or_b64 exec, exec, s[6:7]
	s_nop 0
	v_mfma_f32_16x16x4f32 a[0:3], v2, v6, a[0:3]
	s_movk_i32 s4, 0x7f
	v_cmp_gt_i16_sdwa s[6:7], v8, s4 src0_sel:BYTE_3 src1_sel:DWORD
	s_mov_b64 s[4:5], 0
                                        ; implicit-def: $sgpr10
	s_and_saveexec_b64 s[8:9], s[6:7]
	s_xor_b64 s[6:7], exec, s[8:9]
	s_cbranch_execz .LBB1_14041
; %bb.49881:
	s_getpc_b64 s[14:15]
.Lpost_getpc10604:
	s_add_u32 s14, s14, (.LBB1_28377-.Lpost_getpc10604)&4294967295
	s_addc_u32 s15, s15, (.LBB1_28377-.Lpost_getpc10604)>>32
	s_setpc_b64 s[14:15]
.LBB1_14041:
	s_or_saveexec_b64 s[6:7], s[6:7]
	v_mov_b32_e32 v2, s10
	s_xor_b64 exec, exec, s[6:7]
	s_cbranch_execz .LBB1_14042
; %bb.49883:
	s_getpc_b64 s[14:15]
.Lpost_getpc10605:
	s_add_u32 s14, s14, (.LBB1_28380-.Lpost_getpc10605)&4294967295
	s_addc_u32 s15, s15, (.LBB1_28380-.Lpost_getpc10605)>>32
	s_setpc_b64 s[14:15]
.LBB1_14042:
	s_or_b64 exec, exec, s[6:7]
	s_and_saveexec_b64 s[6:7], s[4:5]
	s_cbranch_execz .LBB1_14044
.LBB1_14043:
	v_bfe_u32 v2, v8, 24, 3
	v_ffbh_u32_e32 v12, v2
	v_min_u32_e32 v12, 32, v12
	v_lshrrev_b32_e32 v6, 27, v8
	v_subrev_u32_e32 v13, 28, v12
	v_and_b32_e32 v3, 0x80000000, v8
	v_and_b32_e32 v6, 15, v6
	v_bfe_u32 v7, v8, 27, 4
	v_lshlrev_b32_sdwa v8, v13, v8 dst_sel:DWORD dst_unused:UNUSED_PAD src0_sel:DWORD src1_sel:BYTE_3
	v_sub_u32_e32 v12, 29, v12
	v_and_b32_e32 v8, 7, v8
	v_cmp_eq_u16_e32 vcc, 0, v6
	v_cndmask_b32_e32 v2, v2, v8, vcc
	v_cndmask_b32_e32 v6, v7, v12, vcc
	v_mov_b32_e32 v7, 0x3b800000
	v_lshlrev_b32_e32 v2, 20, v2
	v_lshl_add_u32 v6, v6, 23, v7
	v_or3_b32 v2, v3, v6, v2
.LBB1_14044:
	s_or_b64 exec, exec, s[6:7]
	s_movk_i32 s4, 0x7f
	v_cmp_gt_i16_sdwa s[6:7], v4, s4 src0_sel:BYTE_3 src1_sel:DWORD
	s_mov_b64 s[4:5], 0
                                        ; implicit-def: $sgpr10
	s_and_saveexec_b64 s[8:9], s[6:7]
	s_xor_b64 s[6:7], exec, s[8:9]
	s_cbranch_execz .LBB1_14045
; %bb.49885:
	s_getpc_b64 s[14:15]
.Lpost_getpc10606:
	s_add_u32 s14, s14, (.LBB1_28381-.Lpost_getpc10606)&4294967295
	s_addc_u32 s15, s15, (.LBB1_28381-.Lpost_getpc10606)>>32
	s_setpc_b64 s[14:15]
.LBB1_14045:
	s_or_saveexec_b64 s[6:7], s[6:7]
	v_mov_b32_e32 v3, s10
	s_xor_b64 exec, exec, s[6:7]
	s_cbranch_execz .LBB1_14046
; %bb.49887:
	s_getpc_b64 s[14:15]
.Lpost_getpc10607:
	s_add_u32 s14, s14, (.LBB1_28384-.Lpost_getpc10607)&4294967295
	s_addc_u32 s15, s15, (.LBB1_28384-.Lpost_getpc10607)>>32
	s_setpc_b64 s[14:15]
.LBB1_14046:
	s_or_b64 exec, exec, s[6:7]
	s_and_saveexec_b64 s[6:7], s[4:5]
	s_cbranch_execz .LBB1_14048
.LBB1_14047:
	v_bfe_u32 v3, v4, 24, 3
	v_ffbh_u32_e32 v12, v3
	v_min_u32_e32 v12, 32, v12
	v_lshrrev_b32_e32 v7, 27, v4
	v_subrev_u32_e32 v13, 28, v12
	v_and_b32_e32 v6, 0x80000000, v4
	v_and_b32_e32 v7, 15, v7
	v_bfe_u32 v8, v4, 27, 4
	v_lshlrev_b32_sdwa v4, v13, v4 dst_sel:DWORD dst_unused:UNUSED_PAD src0_sel:DWORD src1_sel:BYTE_3
	v_sub_u32_e32 v12, 29, v12
	v_and_b32_e32 v4, 7, v4
	v_cmp_eq_u16_e32 vcc, 0, v7
	v_cndmask_b32_e32 v3, v3, v4, vcc
	v_cndmask_b32_e32 v4, v8, v12, vcc
	v_mov_b32_e32 v7, 0x3b800000
	v_lshlrev_b32_e32 v3, 20, v3
	v_lshl_add_u32 v4, v4, 23, v7
	v_or3_b32 v3, v6, v4, v3
.LBB1_14048:
	s_or_b64 exec, exec, s[6:7]
	s_nop 0
	v_mfma_f32_16x16x4f32 a[0:3], v2, v3, a[0:3]
	s_movk_i32 s4, 0x7f
	v_cmp_gt_i16_sdwa s[6:7], v9, s4 src0_sel:BYTE_0 src1_sel:DWORD
	s_mov_b64 s[4:5], 0
                                        ; implicit-def: $sgpr10
	s_and_saveexec_b64 s[8:9], s[6:7]
	s_xor_b64 s[6:7], exec, s[8:9]
	s_cbranch_execz .LBB1_14049
; %bb.49889:
	s_getpc_b64 s[14:15]
.Lpost_getpc10608:
	s_add_u32 s14, s14, (.LBB1_28385-.Lpost_getpc10608)&4294967295
	s_addc_u32 s15, s15, (.LBB1_28385-.Lpost_getpc10608)>>32
	s_setpc_b64 s[14:15]
.LBB1_14049:
	s_or_saveexec_b64 s[6:7], s[6:7]
	v_mov_b32_e32 v2, s10
	s_xor_b64 exec, exec, s[6:7]
	s_cbranch_execz .LBB1_14050
; %bb.49891:
	s_getpc_b64 s[14:15]
.Lpost_getpc10609:
	s_add_u32 s14, s14, (.LBB1_28388-.Lpost_getpc10609)&4294967295
	s_addc_u32 s15, s15, (.LBB1_28388-.Lpost_getpc10609)>>32
	s_setpc_b64 s[14:15]
.LBB1_14050:
	s_or_b64 exec, exec, s[6:7]
	s_and_saveexec_b64 s[6:7], s[4:5]
	s_cbranch_execz .LBB1_14052
.LBB1_14051:
	v_mov_b32_e32 v2, 8
	v_and_b32_e32 v3, 7, v9
	v_lshrrev_b32_sdwa v2, v2, v9 dst_sel:BYTE_1 dst_unused:UNUSED_PAD src0_sel:DWORD src1_sel:DWORD
	v_ffbh_u32_e32 v4, v3
	v_or_b32_sdwa v2, v9, v2 dst_sel:DWORD dst_unused:UNUSED_PAD src0_sel:BYTE_0 src1_sel:DWORD
	v_min_u32_e32 v4, 32, v4
	v_lshrrev_b16_e32 v2, 3, v2
	v_subrev_u32_e32 v6, 28, v4
	v_and_b32_e32 v2, 15, v2
	v_lshlrev_b32_e32 v6, v6, v9
	v_sub_u32_e32 v4, 29, v4
	v_and_b32_e32 v6, 7, v6
	v_cmp_eq_u16_e32 vcc, 0, v2
	v_cndmask_b32_e32 v3, v3, v6, vcc
	v_cndmask_b32_e32 v2, v2, v4, vcc
	v_lshlrev_b32_e32 v4, 24, v9
	v_mov_b32_e32 v6, 0x3b800000
	v_lshlrev_b32_e32 v3, 20, v3
	v_and_b32_e32 v4, 0x80000000, v4
	v_lshl_add_u32 v2, v2, 23, v6
	v_or3_b32 v2, v4, v2, v3
.LBB1_14052:
	s_or_b64 exec, exec, s[6:7]
	s_movk_i32 s4, 0x7f
	v_cmp_gt_i16_sdwa s[6:7], v5, s4 src0_sel:BYTE_0 src1_sel:DWORD
	s_mov_b64 s[4:5], 0
                                        ; implicit-def: $sgpr10
	s_and_saveexec_b64 s[8:9], s[6:7]
	s_xor_b64 s[6:7], exec, s[8:9]
	s_cbranch_execz .LBB1_14053
; %bb.49893:
	s_getpc_b64 s[14:15]
.Lpost_getpc10610:
	s_add_u32 s14, s14, (.LBB1_28389-.Lpost_getpc10610)&4294967295
	s_addc_u32 s15, s15, (.LBB1_28389-.Lpost_getpc10610)>>32
	s_setpc_b64 s[14:15]
.LBB1_14053:
	s_or_saveexec_b64 s[6:7], s[6:7]
	v_mov_b32_e32 v3, s10
	s_xor_b64 exec, exec, s[6:7]
	s_cbranch_execz .LBB1_14054
; %bb.49895:
	s_getpc_b64 s[14:15]
.Lpost_getpc10611:
	s_add_u32 s14, s14, (.LBB1_28392-.Lpost_getpc10611)&4294967295
	s_addc_u32 s15, s15, (.LBB1_28392-.Lpost_getpc10611)>>32
	s_setpc_b64 s[14:15]
.LBB1_14054:
	s_or_b64 exec, exec, s[6:7]
	s_and_saveexec_b64 s[6:7], s[4:5]
	s_cbranch_execz .LBB1_14056
.LBB1_14055:
	v_mov_b32_e32 v3, 8
	v_and_b32_e32 v4, 7, v5
	v_lshrrev_b32_sdwa v3, v3, v5 dst_sel:BYTE_1 dst_unused:UNUSED_PAD src0_sel:DWORD src1_sel:DWORD
	v_ffbh_u32_e32 v6, v4
	v_or_b32_sdwa v3, v5, v3 dst_sel:DWORD dst_unused:UNUSED_PAD src0_sel:BYTE_0 src1_sel:DWORD
	v_min_u32_e32 v6, 32, v6
	v_lshrrev_b16_e32 v3, 3, v3
	v_subrev_u32_e32 v7, 28, v6
	v_and_b32_e32 v3, 15, v3
	v_lshlrev_b32_e32 v7, v7, v5
	v_sub_u32_e32 v6, 29, v6
	v_and_b32_e32 v7, 7, v7
	v_cmp_eq_u16_e32 vcc, 0, v3
	v_cndmask_b32_e32 v4, v4, v7, vcc
	v_cndmask_b32_e32 v3, v3, v6, vcc
	v_lshlrev_b32_e32 v6, 24, v5
	v_mov_b32_e32 v7, 0x3b800000
	v_lshlrev_b32_e32 v4, 20, v4
	v_and_b32_e32 v6, 0x80000000, v6
	v_lshl_add_u32 v3, v3, 23, v7
	v_or3_b32 v3, v6, v3, v4
.LBB1_14056:
	s_or_b64 exec, exec, s[6:7]
	s_nop 0
	v_mfma_f32_16x16x4f32 a[0:3], v2, v3, a[0:3]
	v_lshrrev_b32_e32 v3, 8, v9
	s_movk_i32 s4, 0x7f
	v_cmp_gt_i16_sdwa s[6:7], v3, s4 src0_sel:BYTE_0 src1_sel:DWORD
	s_mov_b64 s[4:5], 0
                                        ; implicit-def: $sgpr10
	s_and_saveexec_b64 s[8:9], s[6:7]
	s_xor_b64 s[6:7], exec, s[8:9]
	s_cbranch_execz .LBB1_14057
; %bb.49897:
	s_getpc_b64 s[14:15]
.Lpost_getpc10612:
	s_add_u32 s14, s14, (.LBB1_28393-.Lpost_getpc10612)&4294967295
	s_addc_u32 s15, s15, (.LBB1_28393-.Lpost_getpc10612)>>32
	s_setpc_b64 s[14:15]
.LBB1_14057:
	s_or_saveexec_b64 s[6:7], s[6:7]
	v_mov_b32_e32 v2, s10
	s_xor_b64 exec, exec, s[6:7]
	s_cbranch_execz .LBB1_14058
; %bb.49899:
	s_getpc_b64 s[14:15]
.Lpost_getpc10613:
	s_add_u32 s14, s14, (.LBB1_28396-.Lpost_getpc10613)&4294967295
	s_addc_u32 s15, s15, (.LBB1_28396-.Lpost_getpc10613)>>32
	s_setpc_b64 s[14:15]
.LBB1_14058:
	s_or_b64 exec, exec, s[6:7]
	s_and_saveexec_b64 s[6:7], s[4:5]
	s_cbranch_execz .LBB1_14060
.LBB1_14059:
	v_bfe_u32 v2, v9, 8, 3
	v_ffbh_u32_e32 v6, v2
	v_min_u32_e32 v6, 32, v6
	v_lshrrev_b16_e32 v4, 3, v3
	v_subrev_u32_e32 v7, 28, v6
	v_and_b32_e32 v4, 15, v4
	v_lshlrev_b32_e32 v3, v7, v3
	v_sub_u32_e32 v6, 29, v6
	v_and_b32_e32 v3, 7, v3
	v_cmp_eq_u16_e32 vcc, 0, v4
	v_cndmask_b32_e32 v2, v2, v3, vcc
	v_cndmask_b32_e32 v3, v4, v6, vcc
	v_lshlrev_b32_e32 v4, 16, v9
	v_mov_b32_e32 v6, 0x3b800000
	v_lshlrev_b32_e32 v2, 20, v2
	v_and_b32_e32 v4, 0x80000000, v4
	v_lshl_add_u32 v3, v3, 23, v6
	v_or3_b32 v2, v4, v3, v2
.LBB1_14060:
	s_or_b64 exec, exec, s[6:7]
	v_lshrrev_b32_e32 v3, 8, v5
	s_movk_i32 s4, 0x7f
	v_cmp_gt_i16_sdwa s[6:7], v3, s4 src0_sel:BYTE_0 src1_sel:DWORD
	s_mov_b64 s[4:5], 0
                                        ; implicit-def: $sgpr10
	s_and_saveexec_b64 s[8:9], s[6:7]
	s_xor_b64 s[6:7], exec, s[8:9]
	s_cbranch_execz .LBB1_14061
; %bb.49901:
	s_getpc_b64 s[14:15]
.Lpost_getpc10614:
	s_add_u32 s14, s14, (.LBB1_28397-.Lpost_getpc10614)&4294967295
	s_addc_u32 s15, s15, (.LBB1_28397-.Lpost_getpc10614)>>32
	s_setpc_b64 s[14:15]
.LBB1_14061:
	s_or_saveexec_b64 s[6:7], s[6:7]
	v_mov_b32_e32 v4, s10
	s_xor_b64 exec, exec, s[6:7]
	s_cbranch_execz .LBB1_14062
; %bb.49903:
	s_getpc_b64 s[14:15]
.Lpost_getpc10615:
	s_add_u32 s14, s14, (.LBB1_28400-.Lpost_getpc10615)&4294967295
	s_addc_u32 s15, s15, (.LBB1_28400-.Lpost_getpc10615)>>32
	s_setpc_b64 s[14:15]
.LBB1_14062:
	s_or_b64 exec, exec, s[6:7]
	s_and_saveexec_b64 s[6:7], s[4:5]
	s_cbranch_execz .LBB1_14064
.LBB1_14063:
	v_bfe_u32 v4, v5, 8, 3
	v_ffbh_u32_e32 v7, v4
	v_min_u32_e32 v7, 32, v7
	v_lshrrev_b16_e32 v6, 3, v3
	v_subrev_u32_e32 v8, 28, v7
	v_and_b32_e32 v6, 15, v6
	v_lshlrev_b32_e32 v3, v8, v3
	v_sub_u32_e32 v7, 29, v7
	v_and_b32_e32 v3, 7, v3
	v_cmp_eq_u16_e32 vcc, 0, v6
	v_cndmask_b32_e32 v3, v4, v3, vcc
	v_cndmask_b32_e32 v4, v6, v7, vcc
	v_lshlrev_b32_e32 v6, 16, v5
	v_mov_b32_e32 v7, 0x3b800000
	v_lshlrev_b32_e32 v3, 20, v3
	v_and_b32_e32 v6, 0x80000000, v6
	v_lshl_add_u32 v4, v4, 23, v7
	v_or3_b32 v4, v6, v4, v3
.LBB1_14064:
	s_or_b64 exec, exec, s[6:7]
	s_nop 0
	v_mfma_f32_16x16x4f32 a[0:3], v2, v4, a[0:3]
	s_movk_i32 s4, 0xff
	v_and_b32_sdwa v3, v9, s4 dst_sel:DWORD dst_unused:UNUSED_PAD src0_sel:WORD_1 src1_sel:DWORD
	s_movk_i32 s4, 0x7f
	v_cmp_lt_i16_e32 vcc, s4, v3
	s_mov_b64 s[4:5], 0
                                        ; implicit-def: $sgpr10
	s_and_saveexec_b64 s[6:7], vcc
	s_xor_b64 s[6:7], exec, s[6:7]
	s_cbranch_execz .LBB1_14065
; %bb.49905:
	s_getpc_b64 s[14:15]
.Lpost_getpc10616:
	s_add_u32 s14, s14, (.LBB1_28401-.Lpost_getpc10616)&4294967295
	s_addc_u32 s15, s15, (.LBB1_28401-.Lpost_getpc10616)>>32
	s_setpc_b64 s[14:15]
.LBB1_14065:
	s_or_saveexec_b64 s[6:7], s[6:7]
	v_mov_b32_e32 v2, s10
	s_xor_b64 exec, exec, s[6:7]
	s_cbranch_execz .LBB1_14066
; %bb.49907:
	s_getpc_b64 s[14:15]
.Lpost_getpc10617:
	s_add_u32 s14, s14, (.LBB1_28404-.Lpost_getpc10617)&4294967295
	s_addc_u32 s15, s15, (.LBB1_28404-.Lpost_getpc10617)>>32
	s_setpc_b64 s[14:15]
.LBB1_14066:
	s_or_b64 exec, exec, s[6:7]
	s_and_saveexec_b64 s[6:7], s[4:5]
	s_cbranch_execz .LBB1_14068
.LBB1_14067:
	v_bfe_u32 v2, v9, 16, 3
	v_ffbh_u32_e32 v6, v2
	v_min_u32_e32 v6, 32, v6
	v_lshrrev_b32_e32 v3, 19, v9
	v_subrev_u32_e32 v7, 28, v6
	v_and_b32_e32 v3, 15, v3
	v_lshlrev_b32_sdwa v7, v7, v9 dst_sel:DWORD dst_unused:UNUSED_PAD src0_sel:DWORD src1_sel:WORD_1
	v_bfe_u32 v4, v9, 19, 4
	v_sub_u32_e32 v6, 29, v6
	v_and_b32_e32 v7, 7, v7
	v_cmp_eq_u16_e32 vcc, 0, v3
	v_cndmask_b32_e32 v2, v2, v7, vcc
	v_cndmask_b32_e32 v3, v4, v6, vcc
	v_lshlrev_b32_e32 v4, 8, v9
	v_mov_b32_e32 v6, 0x3b800000
	v_lshlrev_b32_e32 v2, 20, v2
	v_and_b32_e32 v4, 0x80000000, v4
	v_lshl_add_u32 v3, v3, 23, v6
	v_or3_b32 v2, v4, v3, v2
.LBB1_14068:
	s_or_b64 exec, exec, s[6:7]
	s_movk_i32 s4, 0xff
	v_and_b32_sdwa v3, v5, s4 dst_sel:DWORD dst_unused:UNUSED_PAD src0_sel:WORD_1 src1_sel:DWORD
	s_movk_i32 s4, 0x7f
	v_cmp_lt_i16_e32 vcc, s4, v3
	s_mov_b64 s[4:5], 0
                                        ; implicit-def: $sgpr10
	s_and_saveexec_b64 s[6:7], vcc
	s_xor_b64 s[6:7], exec, s[6:7]
	s_cbranch_execz .LBB1_14069
; %bb.49909:
	s_getpc_b64 s[14:15]
.Lpost_getpc10618:
	s_add_u32 s14, s14, (.LBB1_28405-.Lpost_getpc10618)&4294967295
	s_addc_u32 s15, s15, (.LBB1_28405-.Lpost_getpc10618)>>32
	s_setpc_b64 s[14:15]
.LBB1_14069:
	s_or_saveexec_b64 s[6:7], s[6:7]
	v_mov_b32_e32 v4, s10
	s_xor_b64 exec, exec, s[6:7]
	s_cbranch_execz .LBB1_14070
; %bb.49911:
	s_getpc_b64 s[14:15]
.Lpost_getpc10619:
	s_add_u32 s14, s14, (.LBB1_28408-.Lpost_getpc10619)&4294967295
	s_addc_u32 s15, s15, (.LBB1_28408-.Lpost_getpc10619)>>32
	s_setpc_b64 s[14:15]
.LBB1_14070:
	s_or_b64 exec, exec, s[6:7]
	s_and_saveexec_b64 s[6:7], s[4:5]
	s_cbranch_execz .LBB1_14072
.LBB1_14071:
	v_bfe_u32 v3, v5, 16, 3
	v_ffbh_u32_e32 v7, v3
	v_min_u32_e32 v7, 32, v7
	v_lshrrev_b32_e32 v4, 19, v5
	v_subrev_u32_e32 v8, 28, v7
	v_and_b32_e32 v4, 15, v4
	v_lshlrev_b32_sdwa v8, v8, v5 dst_sel:DWORD dst_unused:UNUSED_PAD src0_sel:DWORD src1_sel:WORD_1
	v_bfe_u32 v6, v5, 19, 4
	v_sub_u32_e32 v7, 29, v7
	v_and_b32_e32 v8, 7, v8
	v_cmp_eq_u16_e32 vcc, 0, v4
	v_cndmask_b32_e32 v3, v3, v8, vcc
	v_cndmask_b32_e32 v4, v6, v7, vcc
	v_lshlrev_b32_e32 v6, 8, v5
	v_mov_b32_e32 v7, 0x3b800000
	v_lshlrev_b32_e32 v3, 20, v3
	v_and_b32_e32 v6, 0x80000000, v6
	v_lshl_add_u32 v4, v4, 23, v7
	v_or3_b32 v4, v6, v4, v3
.LBB1_14072:
	s_or_b64 exec, exec, s[6:7]
	s_nop 0
	v_mfma_f32_16x16x4f32 a[0:3], v2, v4, a[0:3]
	s_movk_i32 s4, 0x7f
	v_cmp_gt_i16_sdwa s[6:7], v9, s4 src0_sel:BYTE_3 src1_sel:DWORD
	s_mov_b64 s[4:5], 0
                                        ; implicit-def: $sgpr10
	s_and_saveexec_b64 s[8:9], s[6:7]
	s_xor_b64 s[6:7], exec, s[8:9]
	s_cbranch_execz .LBB1_14073
; %bb.49913:
	s_getpc_b64 s[14:15]
.Lpost_getpc10620:
	s_add_u32 s14, s14, (.LBB1_28409-.Lpost_getpc10620)&4294967295
	s_addc_u32 s15, s15, (.LBB1_28409-.Lpost_getpc10620)>>32
	s_setpc_b64 s[14:15]
.LBB1_14073:
	s_or_saveexec_b64 s[6:7], s[6:7]
	v_mov_b32_e32 v2, s10
	s_xor_b64 exec, exec, s[6:7]
	s_cbranch_execz .LBB1_14074
; %bb.49915:
	s_getpc_b64 s[14:15]
.Lpost_getpc10621:
	s_add_u32 s14, s14, (.LBB1_28412-.Lpost_getpc10621)&4294967295
	s_addc_u32 s15, s15, (.LBB1_28412-.Lpost_getpc10621)>>32
	s_setpc_b64 s[14:15]
.LBB1_14074:
	s_or_b64 exec, exec, s[6:7]
	s_and_saveexec_b64 s[6:7], s[4:5]
	s_cbranch_execz .LBB1_14076
.LBB1_14075:
	v_bfe_u32 v2, v9, 24, 3
	v_ffbh_u32_e32 v7, v2
	v_min_u32_e32 v7, 32, v7
	v_lshrrev_b32_e32 v4, 27, v9
	v_subrev_u32_e32 v8, 28, v7
	v_and_b32_e32 v4, 15, v4
	v_lshlrev_b32_sdwa v8, v8, v9 dst_sel:DWORD dst_unused:UNUSED_PAD src0_sel:DWORD src1_sel:BYTE_3
	v_bfe_u32 v6, v9, 27, 4
	v_sub_u32_e32 v7, 29, v7
	v_and_b32_e32 v8, 7, v8
	v_cmp_eq_u16_e32 vcc, 0, v4
	v_cndmask_b32_e32 v2, v2, v8, vcc
	v_cndmask_b32_e32 v4, v6, v7, vcc
	v_mov_b32_e32 v6, 0x3b800000
	v_and_b32_e32 v3, 0x80000000, v9
	v_lshlrev_b32_e32 v2, 20, v2
	v_lshl_add_u32 v4, v4, 23, v6
	v_or3_b32 v2, v3, v4, v2
.LBB1_14076:
	s_or_b64 exec, exec, s[6:7]
	s_movk_i32 s4, 0x7f
	v_cmp_gt_i16_sdwa s[6:7], v5, s4 src0_sel:BYTE_3 src1_sel:DWORD
	s_mov_b64 s[4:5], 0
                                        ; implicit-def: $sgpr10
	s_and_saveexec_b64 s[8:9], s[6:7]
	s_xor_b64 s[6:7], exec, s[8:9]
	s_cbranch_execz .LBB1_14077
; %bb.49917:
	s_getpc_b64 s[14:15]
.Lpost_getpc10622:
	s_add_u32 s14, s14, (.LBB1_28413-.Lpost_getpc10622)&4294967295
	s_addc_u32 s15, s15, (.LBB1_28413-.Lpost_getpc10622)>>32
	s_setpc_b64 s[14:15]
.LBB1_14077:
	s_or_saveexec_b64 s[6:7], s[6:7]
	v_mov_b32_e32 v3, s10
	s_xor_b64 exec, exec, s[6:7]
	s_cbranch_execz .LBB1_14078
; %bb.49919:
	s_getpc_b64 s[14:15]
.Lpost_getpc10623:
	s_add_u32 s14, s14, (.LBB1_28416-.Lpost_getpc10623)&4294967295
	s_addc_u32 s15, s15, (.LBB1_28416-.Lpost_getpc10623)>>32
	s_setpc_b64 s[14:15]
.LBB1_14078:
	s_or_b64 exec, exec, s[6:7]
	s_and_saveexec_b64 s[6:7], s[4:5]
	s_cbranch_execz .LBB1_14080
.LBB1_14079:
	v_bfe_u32 v3, v5, 24, 3
	v_ffbh_u32_e32 v8, v3
	v_min_u32_e32 v8, 32, v8
	v_lshrrev_b32_e32 v6, 27, v5
	v_subrev_u32_e32 v9, 28, v8
	v_and_b32_e32 v4, 0x80000000, v5
	v_and_b32_e32 v6, 15, v6
	v_bfe_u32 v7, v5, 27, 4
	v_lshlrev_b32_sdwa v5, v9, v5 dst_sel:DWORD dst_unused:UNUSED_PAD src0_sel:DWORD src1_sel:BYTE_3
	v_sub_u32_e32 v8, 29, v8
	v_and_b32_e32 v5, 7, v5
	v_cmp_eq_u16_e32 vcc, 0, v6
	v_cndmask_b32_e32 v3, v3, v5, vcc
	v_cndmask_b32_e32 v5, v7, v8, vcc
	v_mov_b32_e32 v6, 0x3b800000
	v_lshlrev_b32_e32 v3, 20, v3
	v_lshl_add_u32 v5, v5, 23, v6
	v_or3_b32 v3, v4, v5, v3
.LBB1_14080:
	s_or_b64 exec, exec, s[6:7]
	s_nop 0
	v_mfma_f32_16x16x4f32 a[0:3], v2, v3, a[0:3]
	s_movk_i32 s4, 0x7f
                                        ; implicit-def: $sgpr10
	s_nop 7
	s_nop 1
	flat_store_dwordx4 v[10:11], a[0:3] offset:848
	flat_load_dwordx4 v[12:15], v[0:1]
	s_nop 0
	flat_load_dwordx2 v[10:11], v[0:1] offset:16
	s_waitcnt vmcnt(0) lgkmcnt(0)
	flat_load_dwordx4 v[6:9], v[12:13] offset:208
	flat_load_dwordx4 v[2:5], v[14:15] offset:224
	s_waitcnt vmcnt(0) lgkmcnt(0)
	v_cmp_gt_i16_sdwa s[6:7], v6, s4 src0_sel:BYTE_0 src1_sel:DWORD
	s_mov_b64 s[4:5], 0
	s_and_saveexec_b64 s[8:9], s[6:7]
	s_xor_b64 s[6:7], exec, s[8:9]
	s_cbranch_execz .LBB1_14081
; %bb.49921:
	s_getpc_b64 s[14:15]
.Lpost_getpc10624:
	s_add_u32 s14, s14, (.LBB1_28417-.Lpost_getpc10624)&4294967295
	s_addc_u32 s15, s15, (.LBB1_28417-.Lpost_getpc10624)>>32
	s_setpc_b64 s[14:15]
.LBB1_14081:
	s_or_saveexec_b64 s[6:7], s[6:7]
	v_mov_b32_e32 v12, s10
	s_xor_b64 exec, exec, s[6:7]
	s_cbranch_execz .LBB1_14082
; %bb.49923:
	s_getpc_b64 s[14:15]
.Lpost_getpc10625:
	s_add_u32 s14, s14, (.LBB1_28420-.Lpost_getpc10625)&4294967295
	s_addc_u32 s15, s15, (.LBB1_28420-.Lpost_getpc10625)>>32
	s_setpc_b64 s[14:15]
.LBB1_14082:
	s_or_b64 exec, exec, s[6:7]
	s_and_saveexec_b64 s[6:7], s[4:5]
	s_cbranch_execz .LBB1_14084
.LBB1_14083:
	v_and_b32_e32 v12, 7, v6
	v_ffbh_u32_e32 v14, v12
	v_min_u32_e32 v14, 32, v14
	v_lshrrev_b16_e32 v13, 3, v6
	v_subrev_u32_e32 v15, 28, v14
	v_and_b32_e32 v13, 15, v13
	v_lshlrev_b32_e32 v15, v15, v6
	v_sub_u32_e32 v14, 29, v14
	v_and_b32_e32 v15, 7, v15
	v_cmp_eq_u16_e32 vcc, 0, v13
	v_cndmask_b32_e32 v12, v12, v15, vcc
	v_cndmask_b32_e32 v13, v13, v14, vcc
	v_lshlrev_b32_e32 v14, 24, v6
	v_mov_b32_e32 v15, 0x3b800000
	v_lshlrev_b32_e32 v12, 20, v12
	v_and_b32_e32 v14, 0x80000000, v14
	v_lshl_add_u32 v13, v13, 23, v15
	v_or3_b32 v12, v14, v13, v12
.LBB1_14084:
	s_or_b64 exec, exec, s[6:7]
	s_movk_i32 s4, 0x7f
	v_cmp_gt_i16_sdwa s[6:7], v2, s4 src0_sel:BYTE_0 src1_sel:DWORD
	s_mov_b64 s[4:5], 0
                                        ; implicit-def: $sgpr10
	s_and_saveexec_b64 s[8:9], s[6:7]
	s_xor_b64 s[6:7], exec, s[8:9]
	s_cbranch_execz .LBB1_14085
; %bb.49925:
	s_getpc_b64 s[14:15]
.Lpost_getpc10626:
	s_add_u32 s14, s14, (.LBB1_28421-.Lpost_getpc10626)&4294967295
	s_addc_u32 s15, s15, (.LBB1_28421-.Lpost_getpc10626)>>32
	s_setpc_b64 s[14:15]
.LBB1_14085:
	s_or_saveexec_b64 s[6:7], s[6:7]
	v_mov_b32_e32 v13, s10
	s_xor_b64 exec, exec, s[6:7]
	s_cbranch_execz .LBB1_14086
; %bb.49927:
	s_getpc_b64 s[14:15]
.Lpost_getpc10627:
	s_add_u32 s14, s14, (.LBB1_28424-.Lpost_getpc10627)&4294967295
	s_addc_u32 s15, s15, (.LBB1_28424-.Lpost_getpc10627)>>32
	s_setpc_b64 s[14:15]
.LBB1_14086:
	s_or_b64 exec, exec, s[6:7]
	s_and_saveexec_b64 s[6:7], s[4:5]
	s_cbranch_execz .LBB1_14088
.LBB1_14087:
	v_and_b32_e32 v13, 7, v2
	v_ffbh_u32_e32 v15, v13
	v_min_u32_e32 v15, 32, v15
	v_lshrrev_b16_e32 v14, 3, v2
	v_subrev_u32_e32 v16, 28, v15
	v_and_b32_e32 v14, 15, v14
	v_lshlrev_b32_e32 v16, v16, v2
	v_sub_u32_e32 v15, 29, v15
	v_and_b32_e32 v16, 7, v16
	v_cmp_eq_u16_e32 vcc, 0, v14
	v_cndmask_b32_e32 v13, v13, v16, vcc
	v_cndmask_b32_e32 v14, v14, v15, vcc
	v_lshlrev_b32_e32 v15, 24, v2
	v_mov_b32_e32 v16, 0x3b800000
	v_lshlrev_b32_e32 v13, 20, v13
	v_and_b32_e32 v15, 0x80000000, v15
	v_lshl_add_u32 v14, v14, 23, v16
	v_or3_b32 v13, v15, v14, v13
.LBB1_14088:
	s_or_b64 exec, exec, s[6:7]
	flat_load_dwordx4 a[0:3], v[10:11] offset:864
	s_movk_i32 s4, 0x7f
                                        ; implicit-def: $sgpr10
	s_waitcnt vmcnt(0) lgkmcnt(0)
	v_mfma_f32_16x16x4f32 a[0:3], v12, v13, a[0:3]
	v_lshrrev_b32_e32 v13, 8, v6
	v_cmp_gt_i16_sdwa s[6:7], v13, s4 src0_sel:BYTE_0 src1_sel:DWORD
	s_mov_b64 s[4:5], 0
	s_and_saveexec_b64 s[8:9], s[6:7]
	s_xor_b64 s[6:7], exec, s[8:9]
	s_cbranch_execz .LBB1_14089
; %bb.49929:
	s_getpc_b64 s[14:15]
.Lpost_getpc10628:
	s_add_u32 s14, s14, (.LBB1_28425-.Lpost_getpc10628)&4294967295
	s_addc_u32 s15, s15, (.LBB1_28425-.Lpost_getpc10628)>>32
	s_setpc_b64 s[14:15]
.LBB1_14089:
	s_or_saveexec_b64 s[6:7], s[6:7]
	v_mov_b32_e32 v12, s10
	s_xor_b64 exec, exec, s[6:7]
	s_cbranch_execz .LBB1_14090
; %bb.49931:
	s_getpc_b64 s[14:15]
.Lpost_getpc10629:
	s_add_u32 s14, s14, (.LBB1_28428-.Lpost_getpc10629)&4294967295
	s_addc_u32 s15, s15, (.LBB1_28428-.Lpost_getpc10629)>>32
	s_setpc_b64 s[14:15]
.LBB1_14090:
	s_or_b64 exec, exec, s[6:7]
	s_and_saveexec_b64 s[6:7], s[4:5]
	s_cbranch_execz .LBB1_14092
.LBB1_14091:
	v_bfe_u32 v12, v6, 8, 3
	v_ffbh_u32_e32 v15, v12
	v_min_u32_e32 v15, 32, v15
	v_lshrrev_b16_e32 v14, 3, v13
	v_subrev_u32_e32 v16, 28, v15
	v_and_b32_e32 v14, 15, v14
	v_lshlrev_b32_e32 v13, v16, v13
	v_sub_u32_e32 v15, 29, v15
	v_and_b32_e32 v13, 7, v13
	v_cmp_eq_u16_e32 vcc, 0, v14
	v_cndmask_b32_e32 v12, v12, v13, vcc
	v_cndmask_b32_e32 v13, v14, v15, vcc
	v_lshlrev_b32_e32 v14, 16, v6
	v_mov_b32_e32 v15, 0x3b800000
	v_lshlrev_b32_e32 v12, 20, v12
	v_and_b32_e32 v14, 0x80000000, v14
	v_lshl_add_u32 v13, v13, 23, v15
	v_or3_b32 v12, v14, v13, v12
.LBB1_14092:
	s_or_b64 exec, exec, s[6:7]
	v_lshrrev_b32_e32 v13, 8, v2
	s_movk_i32 s4, 0x7f
	v_cmp_gt_i16_sdwa s[6:7], v13, s4 src0_sel:BYTE_0 src1_sel:DWORD
	s_mov_b64 s[4:5], 0
                                        ; implicit-def: $sgpr10
	s_and_saveexec_b64 s[8:9], s[6:7]
	s_xor_b64 s[6:7], exec, s[8:9]
	s_cbranch_execz .LBB1_14093
; %bb.49933:
	s_getpc_b64 s[14:15]
.Lpost_getpc10630:
	s_add_u32 s14, s14, (.LBB1_28429-.Lpost_getpc10630)&4294967295
	s_addc_u32 s15, s15, (.LBB1_28429-.Lpost_getpc10630)>>32
	s_setpc_b64 s[14:15]
.LBB1_14093:
	s_or_saveexec_b64 s[6:7], s[6:7]
	v_mov_b32_e32 v14, s10
	s_xor_b64 exec, exec, s[6:7]
	s_cbranch_execz .LBB1_14094
; %bb.49935:
	s_getpc_b64 s[14:15]
.Lpost_getpc10631:
	s_add_u32 s14, s14, (.LBB1_28432-.Lpost_getpc10631)&4294967295
	s_addc_u32 s15, s15, (.LBB1_28432-.Lpost_getpc10631)>>32
	s_setpc_b64 s[14:15]
.LBB1_14094:
	s_or_b64 exec, exec, s[6:7]
	s_and_saveexec_b64 s[6:7], s[4:5]
	s_cbranch_execz .LBB1_14096
.LBB1_14095:
	v_bfe_u32 v14, v2, 8, 3
	v_ffbh_u32_e32 v16, v14
	v_min_u32_e32 v16, 32, v16
	v_lshrrev_b16_e32 v15, 3, v13
	v_subrev_u32_e32 v17, 28, v16
	v_and_b32_e32 v15, 15, v15
	v_lshlrev_b32_e32 v13, v17, v13
	v_sub_u32_e32 v16, 29, v16
	v_and_b32_e32 v13, 7, v13
	v_cmp_eq_u16_e32 vcc, 0, v15
	v_cndmask_b32_e32 v13, v14, v13, vcc
	v_cndmask_b32_e32 v14, v15, v16, vcc
	v_lshlrev_b32_e32 v15, 16, v2
	v_mov_b32_e32 v16, 0x3b800000
	v_lshlrev_b32_e32 v13, 20, v13
	v_and_b32_e32 v15, 0x80000000, v15
	v_lshl_add_u32 v14, v14, 23, v16
	v_or3_b32 v14, v15, v14, v13
.LBB1_14096:
	s_or_b64 exec, exec, s[6:7]
	s_nop 0
	v_mfma_f32_16x16x4f32 a[0:3], v12, v14, a[0:3]
	s_movk_i32 s4, 0xff
	v_and_b32_sdwa v13, v6, s4 dst_sel:DWORD dst_unused:UNUSED_PAD src0_sel:WORD_1 src1_sel:DWORD
	s_movk_i32 s4, 0x7f
	v_cmp_lt_i16_e32 vcc, s4, v13
	s_mov_b64 s[4:5], 0
                                        ; implicit-def: $sgpr10
	s_and_saveexec_b64 s[6:7], vcc
	s_xor_b64 s[6:7], exec, s[6:7]
	s_cbranch_execz .LBB1_14097
; %bb.49937:
	s_getpc_b64 s[14:15]
.Lpost_getpc10632:
	s_add_u32 s14, s14, (.LBB1_28433-.Lpost_getpc10632)&4294967295
	s_addc_u32 s15, s15, (.LBB1_28433-.Lpost_getpc10632)>>32
	s_setpc_b64 s[14:15]
.LBB1_14097:
	s_or_saveexec_b64 s[6:7], s[6:7]
	v_mov_b32_e32 v12, s10
	s_xor_b64 exec, exec, s[6:7]
	s_cbranch_execz .LBB1_14098
; %bb.49939:
	s_getpc_b64 s[14:15]
.Lpost_getpc10633:
	s_add_u32 s14, s14, (.LBB1_28436-.Lpost_getpc10633)&4294967295
	s_addc_u32 s15, s15, (.LBB1_28436-.Lpost_getpc10633)>>32
	s_setpc_b64 s[14:15]
.LBB1_14098:
	s_or_b64 exec, exec, s[6:7]
	s_and_saveexec_b64 s[6:7], s[4:5]
	s_cbranch_execz .LBB1_14100
.LBB1_14099:
	v_bfe_u32 v12, v6, 16, 3
	v_ffbh_u32_e32 v15, v12
	v_min_u32_e32 v15, 32, v15
	v_lshrrev_b32_e32 v13, 19, v6
	v_subrev_u32_e32 v16, 28, v15
	v_and_b32_e32 v13, 15, v13
	v_lshlrev_b32_sdwa v16, v16, v6 dst_sel:DWORD dst_unused:UNUSED_PAD src0_sel:DWORD src1_sel:WORD_1
	v_bfe_u32 v14, v6, 19, 4
	v_sub_u32_e32 v15, 29, v15
	v_and_b32_e32 v16, 7, v16
	v_cmp_eq_u16_e32 vcc, 0, v13
	v_cndmask_b32_e32 v12, v12, v16, vcc
	v_cndmask_b32_e32 v13, v14, v15, vcc
	v_lshlrev_b32_e32 v14, 8, v6
	v_mov_b32_e32 v15, 0x3b800000
	v_lshlrev_b32_e32 v12, 20, v12
	v_and_b32_e32 v14, 0x80000000, v14
	v_lshl_add_u32 v13, v13, 23, v15
	v_or3_b32 v12, v14, v13, v12
.LBB1_14100:
	s_or_b64 exec, exec, s[6:7]
	s_movk_i32 s4, 0xff
	v_and_b32_sdwa v13, v2, s4 dst_sel:DWORD dst_unused:UNUSED_PAD src0_sel:WORD_1 src1_sel:DWORD
	s_movk_i32 s4, 0x7f
	v_cmp_lt_i16_e32 vcc, s4, v13
	s_mov_b64 s[4:5], 0
                                        ; implicit-def: $sgpr10
	s_and_saveexec_b64 s[6:7], vcc
	s_xor_b64 s[6:7], exec, s[6:7]
	s_cbranch_execz .LBB1_14101
; %bb.49941:
	s_getpc_b64 s[14:15]
.Lpost_getpc10634:
	s_add_u32 s14, s14, (.LBB1_28437-.Lpost_getpc10634)&4294967295
	s_addc_u32 s15, s15, (.LBB1_28437-.Lpost_getpc10634)>>32
	s_setpc_b64 s[14:15]
.LBB1_14101:
	s_or_saveexec_b64 s[6:7], s[6:7]
	v_mov_b32_e32 v14, s10
	s_xor_b64 exec, exec, s[6:7]
	s_cbranch_execz .LBB1_14102
; %bb.49943:
	s_getpc_b64 s[14:15]
.Lpost_getpc10635:
	s_add_u32 s14, s14, (.LBB1_28440-.Lpost_getpc10635)&4294967295
	s_addc_u32 s15, s15, (.LBB1_28440-.Lpost_getpc10635)>>32
	s_setpc_b64 s[14:15]
.LBB1_14102:
	s_or_b64 exec, exec, s[6:7]
	s_and_saveexec_b64 s[6:7], s[4:5]
	s_cbranch_execz .LBB1_14104
.LBB1_14103:
	v_bfe_u32 v13, v2, 16, 3
	v_ffbh_u32_e32 v16, v13
	v_min_u32_e32 v16, 32, v16
	v_lshrrev_b32_e32 v14, 19, v2
	v_subrev_u32_e32 v17, 28, v16
	v_and_b32_e32 v14, 15, v14
	v_lshlrev_b32_sdwa v17, v17, v2 dst_sel:DWORD dst_unused:UNUSED_PAD src0_sel:DWORD src1_sel:WORD_1
	v_bfe_u32 v15, v2, 19, 4
	v_sub_u32_e32 v16, 29, v16
	v_and_b32_e32 v17, 7, v17
	v_cmp_eq_u16_e32 vcc, 0, v14
	v_cndmask_b32_e32 v13, v13, v17, vcc
	v_cndmask_b32_e32 v14, v15, v16, vcc
	v_lshlrev_b32_e32 v15, 8, v2
	v_mov_b32_e32 v16, 0x3b800000
	v_lshlrev_b32_e32 v13, 20, v13
	v_and_b32_e32 v15, 0x80000000, v15
	v_lshl_add_u32 v14, v14, 23, v16
	v_or3_b32 v14, v15, v14, v13
.LBB1_14104:
	s_or_b64 exec, exec, s[6:7]
	s_nop 0
	v_mfma_f32_16x16x4f32 a[0:3], v12, v14, a[0:3]
	s_movk_i32 s4, 0x7f
	v_cmp_gt_i16_sdwa s[6:7], v6, s4 src0_sel:BYTE_3 src1_sel:DWORD
	s_mov_b64 s[4:5], 0
                                        ; implicit-def: $sgpr10
	s_and_saveexec_b64 s[8:9], s[6:7]
	s_xor_b64 s[6:7], exec, s[8:9]
	s_cbranch_execz .LBB1_14105
; %bb.49945:
	s_getpc_b64 s[14:15]
.Lpost_getpc10636:
	s_add_u32 s14, s14, (.LBB1_28441-.Lpost_getpc10636)&4294967295
	s_addc_u32 s15, s15, (.LBB1_28441-.Lpost_getpc10636)>>32
	s_setpc_b64 s[14:15]
.LBB1_14105:
	s_or_saveexec_b64 s[6:7], s[6:7]
	v_mov_b32_e32 v12, s10
	s_xor_b64 exec, exec, s[6:7]
	s_cbranch_execz .LBB1_14106
; %bb.49947:
	s_getpc_b64 s[14:15]
.Lpost_getpc10637:
	s_add_u32 s14, s14, (.LBB1_28444-.Lpost_getpc10637)&4294967295
	s_addc_u32 s15, s15, (.LBB1_28444-.Lpost_getpc10637)>>32
	s_setpc_b64 s[14:15]
.LBB1_14106:
	s_or_b64 exec, exec, s[6:7]
	s_and_saveexec_b64 s[6:7], s[4:5]
	s_cbranch_execz .LBB1_14108
.LBB1_14107:
	v_bfe_u32 v12, v6, 24, 3
	v_ffbh_u32_e32 v16, v12
	v_min_u32_e32 v16, 32, v16
	v_lshrrev_b32_e32 v14, 27, v6
	v_subrev_u32_e32 v17, 28, v16
	v_and_b32_e32 v13, 0x80000000, v6
	v_and_b32_e32 v14, 15, v14
	v_bfe_u32 v15, v6, 27, 4
	v_lshlrev_b32_sdwa v6, v17, v6 dst_sel:DWORD dst_unused:UNUSED_PAD src0_sel:DWORD src1_sel:BYTE_3
	v_sub_u32_e32 v16, 29, v16
	v_and_b32_e32 v6, 7, v6
	v_cmp_eq_u16_e32 vcc, 0, v14
	v_cndmask_b32_e32 v6, v12, v6, vcc
	v_cndmask_b32_e32 v12, v15, v16, vcc
	v_mov_b32_e32 v14, 0x3b800000
	v_lshlrev_b32_e32 v6, 20, v6
	v_lshl_add_u32 v12, v12, 23, v14
	v_or3_b32 v12, v13, v12, v6
.LBB1_14108:
	s_or_b64 exec, exec, s[6:7]
	s_movk_i32 s4, 0x7f
	v_cmp_gt_i16_sdwa s[6:7], v2, s4 src0_sel:BYTE_3 src1_sel:DWORD
	s_mov_b64 s[4:5], 0
                                        ; implicit-def: $sgpr10
	s_and_saveexec_b64 s[8:9], s[6:7]
	s_xor_b64 s[6:7], exec, s[8:9]
	s_cbranch_execz .LBB1_14109
; %bb.49949:
	s_getpc_b64 s[14:15]
.Lpost_getpc10638:
	s_add_u32 s14, s14, (.LBB1_28445-.Lpost_getpc10638)&4294967295
	s_addc_u32 s15, s15, (.LBB1_28445-.Lpost_getpc10638)>>32
	s_setpc_b64 s[14:15]
.LBB1_14109:
	s_or_saveexec_b64 s[6:7], s[6:7]
	v_mov_b32_e32 v6, s10
	s_xor_b64 exec, exec, s[6:7]
	s_cbranch_execz .LBB1_14110
; %bb.49951:
	s_getpc_b64 s[14:15]
.Lpost_getpc10639:
	s_add_u32 s14, s14, (.LBB1_28448-.Lpost_getpc10639)&4294967295
	s_addc_u32 s15, s15, (.LBB1_28448-.Lpost_getpc10639)>>32
	s_setpc_b64 s[14:15]
.LBB1_14110:
	s_or_b64 exec, exec, s[6:7]
	s_and_saveexec_b64 s[6:7], s[4:5]
	s_cbranch_execz .LBB1_14112
.LBB1_14111:
	v_bfe_u32 v6, v2, 24, 3
	v_ffbh_u32_e32 v16, v6
	v_min_u32_e32 v16, 32, v16
	v_lshrrev_b32_e32 v14, 27, v2
	v_subrev_u32_e32 v17, 28, v16
	v_and_b32_e32 v13, 0x80000000, v2
	v_and_b32_e32 v14, 15, v14
	v_bfe_u32 v15, v2, 27, 4
	v_lshlrev_b32_sdwa v2, v17, v2 dst_sel:DWORD dst_unused:UNUSED_PAD src0_sel:DWORD src1_sel:BYTE_3
	v_sub_u32_e32 v16, 29, v16
	v_and_b32_e32 v2, 7, v2
	v_cmp_eq_u16_e32 vcc, 0, v14
	v_cndmask_b32_e32 v2, v6, v2, vcc
	v_cndmask_b32_e32 v6, v15, v16, vcc
	v_mov_b32_e32 v14, 0x3b800000
	v_lshlrev_b32_e32 v2, 20, v2
	v_lshl_add_u32 v6, v6, 23, v14
	v_or3_b32 v6, v13, v6, v2
.LBB1_14112:
	s_or_b64 exec, exec, s[6:7]
	s_nop 0
	v_mfma_f32_16x16x4f32 a[0:3], v12, v6, a[0:3]
	s_movk_i32 s4, 0x7f
	v_cmp_gt_i16_sdwa s[6:7], v7, s4 src0_sel:BYTE_0 src1_sel:DWORD
	s_mov_b64 s[4:5], 0
                                        ; implicit-def: $sgpr10
	s_and_saveexec_b64 s[8:9], s[6:7]
	s_xor_b64 s[6:7], exec, s[8:9]
	s_cbranch_execz .LBB1_14113
; %bb.49953:
	s_getpc_b64 s[14:15]
.Lpost_getpc10640:
	s_add_u32 s14, s14, (.LBB1_28449-.Lpost_getpc10640)&4294967295
	s_addc_u32 s15, s15, (.LBB1_28449-.Lpost_getpc10640)>>32
	s_setpc_b64 s[14:15]
.LBB1_14113:
	s_or_saveexec_b64 s[6:7], s[6:7]
	v_mov_b32_e32 v2, s10
	s_xor_b64 exec, exec, s[6:7]
	s_cbranch_execz .LBB1_14114
; %bb.49955:
	s_getpc_b64 s[14:15]
.Lpost_getpc10641:
	s_add_u32 s14, s14, (.LBB1_28452-.Lpost_getpc10641)&4294967295
	s_addc_u32 s15, s15, (.LBB1_28452-.Lpost_getpc10641)>>32
	s_setpc_b64 s[14:15]
.LBB1_14114:
	s_or_b64 exec, exec, s[6:7]
	s_and_saveexec_b64 s[6:7], s[4:5]
	s_cbranch_execz .LBB1_14116
.LBB1_14115:
	v_and_b32_e32 v2, 7, v7
	v_ffbh_u32_e32 v12, v2
	v_min_u32_e32 v12, 32, v12
	v_lshrrev_b16_e32 v6, 3, v7
	v_subrev_u32_e32 v13, 28, v12
	v_and_b32_e32 v6, 15, v6
	v_lshlrev_b32_e32 v13, v13, v7
	v_sub_u32_e32 v12, 29, v12
	v_and_b32_e32 v13, 7, v13
	v_cmp_eq_u16_e32 vcc, 0, v6
	v_cndmask_b32_e32 v2, v2, v13, vcc
	v_cndmask_b32_e32 v6, v6, v12, vcc
	v_lshlrev_b32_e32 v12, 24, v7
	v_mov_b32_e32 v13, 0x3b800000
	v_lshlrev_b32_e32 v2, 20, v2
	v_and_b32_e32 v12, 0x80000000, v12
	v_lshl_add_u32 v6, v6, 23, v13
	v_or3_b32 v2, v12, v6, v2
.LBB1_14116:
	s_or_b64 exec, exec, s[6:7]
	s_movk_i32 s4, 0x7f
	v_cmp_gt_i16_sdwa s[6:7], v3, s4 src0_sel:BYTE_0 src1_sel:DWORD
	s_mov_b64 s[4:5], 0
                                        ; implicit-def: $sgpr10
	s_and_saveexec_b64 s[8:9], s[6:7]
	s_xor_b64 s[6:7], exec, s[8:9]
	s_cbranch_execz .LBB1_14117
; %bb.49957:
	s_getpc_b64 s[14:15]
.Lpost_getpc10642:
	s_add_u32 s14, s14, (.LBB1_28453-.Lpost_getpc10642)&4294967295
	s_addc_u32 s15, s15, (.LBB1_28453-.Lpost_getpc10642)>>32
	s_setpc_b64 s[14:15]
.LBB1_14117:
	s_or_saveexec_b64 s[6:7], s[6:7]
	v_mov_b32_e32 v6, s10
	s_xor_b64 exec, exec, s[6:7]
	s_cbranch_execz .LBB1_14118
; %bb.49959:
	s_getpc_b64 s[14:15]
.Lpost_getpc10643:
	s_add_u32 s14, s14, (.LBB1_28456-.Lpost_getpc10643)&4294967295
	s_addc_u32 s15, s15, (.LBB1_28456-.Lpost_getpc10643)>>32
	s_setpc_b64 s[14:15]
.LBB1_14118:
	s_or_b64 exec, exec, s[6:7]
	s_and_saveexec_b64 s[6:7], s[4:5]
	s_cbranch_execz .LBB1_14120
.LBB1_14119:
	v_and_b32_e32 v6, 7, v3
	v_ffbh_u32_e32 v13, v6
	v_min_u32_e32 v13, 32, v13
	v_lshrrev_b16_e32 v12, 3, v3
	v_subrev_u32_e32 v14, 28, v13
	v_and_b32_e32 v12, 15, v12
	v_lshlrev_b32_e32 v14, v14, v3
	v_sub_u32_e32 v13, 29, v13
	v_and_b32_e32 v14, 7, v14
	v_cmp_eq_u16_e32 vcc, 0, v12
	v_cndmask_b32_e32 v6, v6, v14, vcc
	v_cndmask_b32_e32 v12, v12, v13, vcc
	v_lshlrev_b32_e32 v13, 24, v3
	v_mov_b32_e32 v14, 0x3b800000
	v_lshlrev_b32_e32 v6, 20, v6
	v_and_b32_e32 v13, 0x80000000, v13
	v_lshl_add_u32 v12, v12, 23, v14
	v_or3_b32 v6, v13, v12, v6
.LBB1_14120:
	s_or_b64 exec, exec, s[6:7]
	s_nop 0
	v_mfma_f32_16x16x4f32 a[0:3], v2, v6, a[0:3]
	v_lshrrev_b32_e32 v6, 8, v7
	s_movk_i32 s4, 0x7f
	v_cmp_gt_i16_sdwa s[6:7], v6, s4 src0_sel:BYTE_0 src1_sel:DWORD
	s_mov_b64 s[4:5], 0
                                        ; implicit-def: $sgpr10
	s_and_saveexec_b64 s[8:9], s[6:7]
	s_xor_b64 s[6:7], exec, s[8:9]
	s_cbranch_execz .LBB1_14121
; %bb.49961:
	s_getpc_b64 s[14:15]
.Lpost_getpc10644:
	s_add_u32 s14, s14, (.LBB1_28457-.Lpost_getpc10644)&4294967295
	s_addc_u32 s15, s15, (.LBB1_28457-.Lpost_getpc10644)>>32
	s_setpc_b64 s[14:15]
.LBB1_14121:
	s_or_saveexec_b64 s[6:7], s[6:7]
	v_mov_b32_e32 v2, s10
	s_xor_b64 exec, exec, s[6:7]
	s_cbranch_execz .LBB1_14122
; %bb.49963:
	s_getpc_b64 s[14:15]
.Lpost_getpc10645:
	s_add_u32 s14, s14, (.LBB1_28460-.Lpost_getpc10645)&4294967295
	s_addc_u32 s15, s15, (.LBB1_28460-.Lpost_getpc10645)>>32
	s_setpc_b64 s[14:15]
.LBB1_14122:
	s_or_b64 exec, exec, s[6:7]
	s_and_saveexec_b64 s[6:7], s[4:5]
	s_cbranch_execz .LBB1_14124
.LBB1_14123:
	v_bfe_u32 v2, v7, 8, 3
	v_ffbh_u32_e32 v13, v2
	v_min_u32_e32 v13, 32, v13
	v_lshrrev_b16_e32 v12, 3, v6
	v_subrev_u32_e32 v14, 28, v13
	v_and_b32_e32 v12, 15, v12
	v_lshlrev_b32_e32 v6, v14, v6
	v_sub_u32_e32 v13, 29, v13
	v_and_b32_e32 v6, 7, v6
	v_cmp_eq_u16_e32 vcc, 0, v12
	v_cndmask_b32_e32 v2, v2, v6, vcc
	v_cndmask_b32_e32 v6, v12, v13, vcc
	v_lshlrev_b32_e32 v12, 16, v7
	v_mov_b32_e32 v13, 0x3b800000
	v_lshlrev_b32_e32 v2, 20, v2
	v_and_b32_e32 v12, 0x80000000, v12
	v_lshl_add_u32 v6, v6, 23, v13
	v_or3_b32 v2, v12, v6, v2
.LBB1_14124:
	s_or_b64 exec, exec, s[6:7]
	v_lshrrev_b32_e32 v6, 8, v3
	s_movk_i32 s4, 0x7f
	v_cmp_gt_i16_sdwa s[6:7], v6, s4 src0_sel:BYTE_0 src1_sel:DWORD
	s_mov_b64 s[4:5], 0
                                        ; implicit-def: $sgpr10
	s_and_saveexec_b64 s[8:9], s[6:7]
	s_xor_b64 s[6:7], exec, s[8:9]
	s_cbranch_execz .LBB1_14125
; %bb.49965:
	s_getpc_b64 s[14:15]
.Lpost_getpc10646:
	s_add_u32 s14, s14, (.LBB1_28461-.Lpost_getpc10646)&4294967295
	s_addc_u32 s15, s15, (.LBB1_28461-.Lpost_getpc10646)>>32
	s_setpc_b64 s[14:15]
.LBB1_14125:
	s_or_saveexec_b64 s[6:7], s[6:7]
	v_mov_b32_e32 v12, s10
	s_xor_b64 exec, exec, s[6:7]
	s_cbranch_execz .LBB1_14126
; %bb.49967:
	s_getpc_b64 s[14:15]
.Lpost_getpc10647:
	s_add_u32 s14, s14, (.LBB1_28464-.Lpost_getpc10647)&4294967295
	s_addc_u32 s15, s15, (.LBB1_28464-.Lpost_getpc10647)>>32
	s_setpc_b64 s[14:15]
.LBB1_14126:
	s_or_b64 exec, exec, s[6:7]
	s_and_saveexec_b64 s[6:7], s[4:5]
	s_cbranch_execz .LBB1_14128
.LBB1_14127:
	v_bfe_u32 v12, v3, 8, 3
	v_ffbh_u32_e32 v14, v12
	v_min_u32_e32 v14, 32, v14
	v_lshrrev_b16_e32 v13, 3, v6
	v_subrev_u32_e32 v15, 28, v14
	v_and_b32_e32 v13, 15, v13
	v_lshlrev_b32_e32 v6, v15, v6
	v_sub_u32_e32 v14, 29, v14
	v_and_b32_e32 v6, 7, v6
	v_cmp_eq_u16_e32 vcc, 0, v13
	v_cndmask_b32_e32 v6, v12, v6, vcc
	v_cndmask_b32_e32 v12, v13, v14, vcc
	v_lshlrev_b32_e32 v13, 16, v3
	v_mov_b32_e32 v14, 0x3b800000
	v_lshlrev_b32_e32 v6, 20, v6
	v_and_b32_e32 v13, 0x80000000, v13
	v_lshl_add_u32 v12, v12, 23, v14
	v_or3_b32 v12, v13, v12, v6
.LBB1_14128:
	s_or_b64 exec, exec, s[6:7]
	s_nop 0
	v_mfma_f32_16x16x4f32 a[0:3], v2, v12, a[0:3]
	s_movk_i32 s4, 0xff
	v_and_b32_sdwa v6, v7, s4 dst_sel:DWORD dst_unused:UNUSED_PAD src0_sel:WORD_1 src1_sel:DWORD
	s_movk_i32 s4, 0x7f
	v_cmp_lt_i16_e32 vcc, s4, v6
	s_mov_b64 s[4:5], 0
                                        ; implicit-def: $sgpr10
	s_and_saveexec_b64 s[6:7], vcc
	s_xor_b64 s[6:7], exec, s[6:7]
	s_cbranch_execz .LBB1_14129
; %bb.49969:
	s_getpc_b64 s[14:15]
.Lpost_getpc10648:
	s_add_u32 s14, s14, (.LBB1_28465-.Lpost_getpc10648)&4294967295
	s_addc_u32 s15, s15, (.LBB1_28465-.Lpost_getpc10648)>>32
	s_setpc_b64 s[14:15]
.LBB1_14129:
	s_or_saveexec_b64 s[6:7], s[6:7]
	v_mov_b32_e32 v2, s10
	s_xor_b64 exec, exec, s[6:7]
	s_cbranch_execz .LBB1_14130
; %bb.49971:
	s_getpc_b64 s[14:15]
.Lpost_getpc10649:
	s_add_u32 s14, s14, (.LBB1_28468-.Lpost_getpc10649)&4294967295
	s_addc_u32 s15, s15, (.LBB1_28468-.Lpost_getpc10649)>>32
	s_setpc_b64 s[14:15]
.LBB1_14130:
	s_or_b64 exec, exec, s[6:7]
	s_and_saveexec_b64 s[6:7], s[4:5]
	s_cbranch_execz .LBB1_14132
.LBB1_14131:
	v_bfe_u32 v2, v7, 16, 3
	v_ffbh_u32_e32 v13, v2
	v_min_u32_e32 v13, 32, v13
	v_lshrrev_b32_e32 v6, 19, v7
	v_subrev_u32_e32 v14, 28, v13
	v_and_b32_e32 v6, 15, v6
	v_lshlrev_b32_sdwa v14, v14, v7 dst_sel:DWORD dst_unused:UNUSED_PAD src0_sel:DWORD src1_sel:WORD_1
	v_bfe_u32 v12, v7, 19, 4
	v_sub_u32_e32 v13, 29, v13
	v_and_b32_e32 v14, 7, v14
	v_cmp_eq_u16_e32 vcc, 0, v6
	v_cndmask_b32_e32 v2, v2, v14, vcc
	v_cndmask_b32_e32 v6, v12, v13, vcc
	v_lshlrev_b32_e32 v12, 8, v7
	v_mov_b32_e32 v13, 0x3b800000
	v_lshlrev_b32_e32 v2, 20, v2
	v_and_b32_e32 v12, 0x80000000, v12
	v_lshl_add_u32 v6, v6, 23, v13
	v_or3_b32 v2, v12, v6, v2
.LBB1_14132:
	s_or_b64 exec, exec, s[6:7]
	s_movk_i32 s4, 0xff
	v_and_b32_sdwa v6, v3, s4 dst_sel:DWORD dst_unused:UNUSED_PAD src0_sel:WORD_1 src1_sel:DWORD
	s_movk_i32 s4, 0x7f
	v_cmp_lt_i16_e32 vcc, s4, v6
	s_mov_b64 s[4:5], 0
                                        ; implicit-def: $sgpr10
	s_and_saveexec_b64 s[6:7], vcc
	s_xor_b64 s[6:7], exec, s[6:7]
	s_cbranch_execz .LBB1_14133
; %bb.49973:
	s_getpc_b64 s[14:15]
.Lpost_getpc10650:
	s_add_u32 s14, s14, (.LBB1_28469-.Lpost_getpc10650)&4294967295
	s_addc_u32 s15, s15, (.LBB1_28469-.Lpost_getpc10650)>>32
	s_setpc_b64 s[14:15]
.LBB1_14133:
	s_or_saveexec_b64 s[6:7], s[6:7]
	v_mov_b32_e32 v12, s10
	s_xor_b64 exec, exec, s[6:7]
	s_cbranch_execz .LBB1_14134
; %bb.49975:
	s_getpc_b64 s[14:15]
.Lpost_getpc10651:
	s_add_u32 s14, s14, (.LBB1_28472-.Lpost_getpc10651)&4294967295
	s_addc_u32 s15, s15, (.LBB1_28472-.Lpost_getpc10651)>>32
	s_setpc_b64 s[14:15]
.LBB1_14134:
	s_or_b64 exec, exec, s[6:7]
	s_and_saveexec_b64 s[6:7], s[4:5]
	s_cbranch_execz .LBB1_14136
.LBB1_14135:
	v_bfe_u32 v6, v3, 16, 3
	v_ffbh_u32_e32 v14, v6
	v_min_u32_e32 v14, 32, v14
	v_lshrrev_b32_e32 v12, 19, v3
	v_subrev_u32_e32 v15, 28, v14
	v_and_b32_e32 v12, 15, v12
	v_lshlrev_b32_sdwa v15, v15, v3 dst_sel:DWORD dst_unused:UNUSED_PAD src0_sel:DWORD src1_sel:WORD_1
	v_bfe_u32 v13, v3, 19, 4
	v_sub_u32_e32 v14, 29, v14
	v_and_b32_e32 v15, 7, v15
	v_cmp_eq_u16_e32 vcc, 0, v12
	v_cndmask_b32_e32 v6, v6, v15, vcc
	v_cndmask_b32_e32 v12, v13, v14, vcc
	v_lshlrev_b32_e32 v13, 8, v3
	v_mov_b32_e32 v14, 0x3b800000
	v_lshlrev_b32_e32 v6, 20, v6
	v_and_b32_e32 v13, 0x80000000, v13
	v_lshl_add_u32 v12, v12, 23, v14
	v_or3_b32 v12, v13, v12, v6
.LBB1_14136:
	s_or_b64 exec, exec, s[6:7]
	s_nop 0
	v_mfma_f32_16x16x4f32 a[0:3], v2, v12, a[0:3]
	s_movk_i32 s4, 0x7f
	v_cmp_gt_i16_sdwa s[6:7], v7, s4 src0_sel:BYTE_3 src1_sel:DWORD
	s_mov_b64 s[4:5], 0
                                        ; implicit-def: $sgpr10
	s_and_saveexec_b64 s[8:9], s[6:7]
	s_xor_b64 s[6:7], exec, s[8:9]
	s_cbranch_execz .LBB1_14137
; %bb.49977:
	s_getpc_b64 s[14:15]
.Lpost_getpc10652:
	s_add_u32 s14, s14, (.LBB1_28473-.Lpost_getpc10652)&4294967295
	s_addc_u32 s15, s15, (.LBB1_28473-.Lpost_getpc10652)>>32
	s_setpc_b64 s[14:15]
.LBB1_14137:
	s_or_saveexec_b64 s[6:7], s[6:7]
	v_mov_b32_e32 v2, s10
	s_xor_b64 exec, exec, s[6:7]
	s_cbranch_execz .LBB1_14138
; %bb.49979:
	s_getpc_b64 s[14:15]
.Lpost_getpc10653:
	s_add_u32 s14, s14, (.LBB1_28476-.Lpost_getpc10653)&4294967295
	s_addc_u32 s15, s15, (.LBB1_28476-.Lpost_getpc10653)>>32
	s_setpc_b64 s[14:15]
.LBB1_14138:
	s_or_b64 exec, exec, s[6:7]
	s_and_saveexec_b64 s[6:7], s[4:5]
	s_cbranch_execz .LBB1_14140
.LBB1_14139:
	v_bfe_u32 v2, v7, 24, 3
	v_ffbh_u32_e32 v14, v2
	v_min_u32_e32 v14, 32, v14
	v_lshrrev_b32_e32 v12, 27, v7
	v_subrev_u32_e32 v15, 28, v14
	v_and_b32_e32 v6, 0x80000000, v7
	v_and_b32_e32 v12, 15, v12
	v_bfe_u32 v13, v7, 27, 4
	v_lshlrev_b32_sdwa v7, v15, v7 dst_sel:DWORD dst_unused:UNUSED_PAD src0_sel:DWORD src1_sel:BYTE_3
	v_sub_u32_e32 v14, 29, v14
	v_and_b32_e32 v7, 7, v7
	v_cmp_eq_u16_e32 vcc, 0, v12
	v_cndmask_b32_e32 v2, v2, v7, vcc
	v_cndmask_b32_e32 v7, v13, v14, vcc
	v_mov_b32_e32 v12, 0x3b800000
	v_lshlrev_b32_e32 v2, 20, v2
	v_lshl_add_u32 v7, v7, 23, v12
	v_or3_b32 v2, v6, v7, v2
.LBB1_14140:
	s_or_b64 exec, exec, s[6:7]
	s_movk_i32 s4, 0x7f
	v_cmp_gt_i16_sdwa s[6:7], v3, s4 src0_sel:BYTE_3 src1_sel:DWORD
	s_mov_b64 s[4:5], 0
                                        ; implicit-def: $sgpr10
	s_and_saveexec_b64 s[8:9], s[6:7]
	s_xor_b64 s[6:7], exec, s[8:9]
	s_cbranch_execz .LBB1_14141
; %bb.49981:
	s_getpc_b64 s[14:15]
.Lpost_getpc10654:
	s_add_u32 s14, s14, (.LBB1_28477-.Lpost_getpc10654)&4294967295
	s_addc_u32 s15, s15, (.LBB1_28477-.Lpost_getpc10654)>>32
	s_setpc_b64 s[14:15]
.LBB1_14141:
	s_or_saveexec_b64 s[6:7], s[6:7]
	v_mov_b32_e32 v6, s10
	s_xor_b64 exec, exec, s[6:7]
	s_cbranch_execz .LBB1_14142
; %bb.49983:
	s_getpc_b64 s[14:15]
.Lpost_getpc10655:
	s_add_u32 s14, s14, (.LBB1_28480-.Lpost_getpc10655)&4294967295
	s_addc_u32 s15, s15, (.LBB1_28480-.Lpost_getpc10655)>>32
	s_setpc_b64 s[14:15]
.LBB1_14142:
	s_or_b64 exec, exec, s[6:7]
	s_and_saveexec_b64 s[6:7], s[4:5]
	s_cbranch_execz .LBB1_14144
.LBB1_14143:
	v_bfe_u32 v6, v3, 24, 3
	v_ffbh_u32_e32 v14, v6
	v_min_u32_e32 v14, 32, v14
	v_lshrrev_b32_e32 v12, 27, v3
	v_subrev_u32_e32 v15, 28, v14
	v_and_b32_e32 v7, 0x80000000, v3
	v_and_b32_e32 v12, 15, v12
	v_bfe_u32 v13, v3, 27, 4
	v_lshlrev_b32_sdwa v3, v15, v3 dst_sel:DWORD dst_unused:UNUSED_PAD src0_sel:DWORD src1_sel:BYTE_3
	v_sub_u32_e32 v14, 29, v14
	v_and_b32_e32 v3, 7, v3
	v_cmp_eq_u16_e32 vcc, 0, v12
	v_cndmask_b32_e32 v3, v6, v3, vcc
	v_cndmask_b32_e32 v6, v13, v14, vcc
	v_mov_b32_e32 v12, 0x3b800000
	v_lshlrev_b32_e32 v3, 20, v3
	v_lshl_add_u32 v6, v6, 23, v12
	v_or3_b32 v6, v7, v6, v3
.LBB1_14144:
	s_or_b64 exec, exec, s[6:7]
	s_nop 0
	v_mfma_f32_16x16x4f32 a[0:3], v2, v6, a[0:3]
	s_movk_i32 s4, 0x7f
	v_cmp_gt_i16_sdwa s[6:7], v8, s4 src0_sel:BYTE_0 src1_sel:DWORD
	s_mov_b64 s[4:5], 0
                                        ; implicit-def: $sgpr10
	s_and_saveexec_b64 s[8:9], s[6:7]
	s_xor_b64 s[6:7], exec, s[8:9]
	s_cbranch_execz .LBB1_14145
; %bb.49985:
	s_getpc_b64 s[14:15]
.Lpost_getpc10656:
	s_add_u32 s14, s14, (.LBB1_28481-.Lpost_getpc10656)&4294967295
	s_addc_u32 s15, s15, (.LBB1_28481-.Lpost_getpc10656)>>32
	s_setpc_b64 s[14:15]
.LBB1_14145:
	s_or_saveexec_b64 s[6:7], s[6:7]
	v_mov_b32_e32 v2, s10
	s_xor_b64 exec, exec, s[6:7]
	s_cbranch_execz .LBB1_14146
; %bb.49987:
	s_getpc_b64 s[14:15]
.Lpost_getpc10657:
	s_add_u32 s14, s14, (.LBB1_28484-.Lpost_getpc10657)&4294967295
	s_addc_u32 s15, s15, (.LBB1_28484-.Lpost_getpc10657)>>32
	s_setpc_b64 s[14:15]
.LBB1_14146:
	s_or_b64 exec, exec, s[6:7]
	s_and_saveexec_b64 s[6:7], s[4:5]
	s_cbranch_execz .LBB1_14148
.LBB1_14147:
	v_and_b32_e32 v2, 7, v8
	v_ffbh_u32_e32 v6, v2
	v_min_u32_e32 v6, 32, v6
	v_lshrrev_b16_e32 v3, 3, v8
	v_subrev_u32_e32 v7, 28, v6
	v_and_b32_e32 v3, 15, v3
	v_lshlrev_b32_e32 v7, v7, v8
	v_sub_u32_e32 v6, 29, v6
	v_and_b32_e32 v7, 7, v7
	v_cmp_eq_u16_e32 vcc, 0, v3
	v_cndmask_b32_e32 v2, v2, v7, vcc
	v_cndmask_b32_e32 v3, v3, v6, vcc
	v_lshlrev_b32_e32 v6, 24, v8
	v_mov_b32_e32 v7, 0x3b800000
	v_lshlrev_b32_e32 v2, 20, v2
	v_and_b32_e32 v6, 0x80000000, v6
	v_lshl_add_u32 v3, v3, 23, v7
	v_or3_b32 v2, v6, v3, v2
.LBB1_14148:
	s_or_b64 exec, exec, s[6:7]
	s_movk_i32 s4, 0x7f
	v_cmp_gt_i16_sdwa s[6:7], v4, s4 src0_sel:BYTE_0 src1_sel:DWORD
	s_mov_b64 s[4:5], 0
                                        ; implicit-def: $sgpr10
	s_and_saveexec_b64 s[8:9], s[6:7]
	s_xor_b64 s[6:7], exec, s[8:9]
	s_cbranch_execz .LBB1_14149
; %bb.49989:
	s_getpc_b64 s[14:15]
.Lpost_getpc10658:
	s_add_u32 s14, s14, (.LBB1_28485-.Lpost_getpc10658)&4294967295
	s_addc_u32 s15, s15, (.LBB1_28485-.Lpost_getpc10658)>>32
	s_setpc_b64 s[14:15]
.LBB1_14149:
	s_or_saveexec_b64 s[6:7], s[6:7]
	v_mov_b32_e32 v3, s10
	s_xor_b64 exec, exec, s[6:7]
	s_cbranch_execz .LBB1_14150
; %bb.49991:
	s_getpc_b64 s[14:15]
.Lpost_getpc10659:
	s_add_u32 s14, s14, (.LBB1_28488-.Lpost_getpc10659)&4294967295
	s_addc_u32 s15, s15, (.LBB1_28488-.Lpost_getpc10659)>>32
	s_setpc_b64 s[14:15]
.LBB1_14150:
	s_or_b64 exec, exec, s[6:7]
	s_and_saveexec_b64 s[6:7], s[4:5]
	s_cbranch_execz .LBB1_14152
.LBB1_14151:
	v_and_b32_e32 v3, 7, v4
	v_ffbh_u32_e32 v7, v3
	v_min_u32_e32 v7, 32, v7
	v_lshrrev_b16_e32 v6, 3, v4
	v_subrev_u32_e32 v12, 28, v7
	v_and_b32_e32 v6, 15, v6
	v_lshlrev_b32_e32 v12, v12, v4
	v_sub_u32_e32 v7, 29, v7
	v_and_b32_e32 v12, 7, v12
	v_cmp_eq_u16_e32 vcc, 0, v6
	v_cndmask_b32_e32 v3, v3, v12, vcc
	v_cndmask_b32_e32 v6, v6, v7, vcc
	v_lshlrev_b32_e32 v7, 24, v4
	v_mov_b32_e32 v12, 0x3b800000
	v_lshlrev_b32_e32 v3, 20, v3
	v_and_b32_e32 v7, 0x80000000, v7
	v_lshl_add_u32 v6, v6, 23, v12
	v_or3_b32 v3, v7, v6, v3
.LBB1_14152:
	s_or_b64 exec, exec, s[6:7]
	s_nop 0
	v_mfma_f32_16x16x4f32 a[0:3], v2, v3, a[0:3]
	v_lshrrev_b32_e32 v3, 8, v8
	s_movk_i32 s4, 0x7f
	v_cmp_gt_i16_sdwa s[6:7], v3, s4 src0_sel:BYTE_0 src1_sel:DWORD
	s_mov_b64 s[4:5], 0
                                        ; implicit-def: $sgpr10
	s_and_saveexec_b64 s[8:9], s[6:7]
	s_xor_b64 s[6:7], exec, s[8:9]
	s_cbranch_execz .LBB1_14153
; %bb.49993:
	s_getpc_b64 s[14:15]
.Lpost_getpc10660:
	s_add_u32 s14, s14, (.LBB1_28489-.Lpost_getpc10660)&4294967295
	s_addc_u32 s15, s15, (.LBB1_28489-.Lpost_getpc10660)>>32
	s_setpc_b64 s[14:15]
.LBB1_14153:
	s_or_saveexec_b64 s[6:7], s[6:7]
	v_mov_b32_e32 v2, s10
	s_xor_b64 exec, exec, s[6:7]
	s_cbranch_execz .LBB1_14154
; %bb.49995:
	s_getpc_b64 s[14:15]
.Lpost_getpc10661:
	s_add_u32 s14, s14, (.LBB1_28492-.Lpost_getpc10661)&4294967295
	s_addc_u32 s15, s15, (.LBB1_28492-.Lpost_getpc10661)>>32
	s_setpc_b64 s[14:15]
.LBB1_14154:
	s_or_b64 exec, exec, s[6:7]
	s_and_saveexec_b64 s[6:7], s[4:5]
	s_cbranch_execz .LBB1_14156
.LBB1_14155:
	v_bfe_u32 v2, v8, 8, 3
	v_ffbh_u32_e32 v7, v2
	v_min_u32_e32 v7, 32, v7
	v_lshrrev_b16_e32 v6, 3, v3
	v_subrev_u32_e32 v12, 28, v7
	v_and_b32_e32 v6, 15, v6
	v_lshlrev_b32_e32 v3, v12, v3
	v_sub_u32_e32 v7, 29, v7
	v_and_b32_e32 v3, 7, v3
	v_cmp_eq_u16_e32 vcc, 0, v6
	v_cndmask_b32_e32 v2, v2, v3, vcc
	v_cndmask_b32_e32 v3, v6, v7, vcc
	v_lshlrev_b32_e32 v6, 16, v8
	v_mov_b32_e32 v7, 0x3b800000
	v_lshlrev_b32_e32 v2, 20, v2
	v_and_b32_e32 v6, 0x80000000, v6
	v_lshl_add_u32 v3, v3, 23, v7
	v_or3_b32 v2, v6, v3, v2
.LBB1_14156:
	s_or_b64 exec, exec, s[6:7]
	v_lshrrev_b32_e32 v3, 8, v4
	s_movk_i32 s4, 0x7f
	v_cmp_gt_i16_sdwa s[6:7], v3, s4 src0_sel:BYTE_0 src1_sel:DWORD
	s_mov_b64 s[4:5], 0
                                        ; implicit-def: $sgpr10
	s_and_saveexec_b64 s[8:9], s[6:7]
	s_xor_b64 s[6:7], exec, s[8:9]
	s_cbranch_execz .LBB1_14157
; %bb.49997:
	s_getpc_b64 s[14:15]
.Lpost_getpc10662:
	s_add_u32 s14, s14, (.LBB1_28493-.Lpost_getpc10662)&4294967295
	s_addc_u32 s15, s15, (.LBB1_28493-.Lpost_getpc10662)>>32
	s_setpc_b64 s[14:15]
.LBB1_14157:
	s_or_saveexec_b64 s[6:7], s[6:7]
	v_mov_b32_e32 v6, s10
	s_xor_b64 exec, exec, s[6:7]
	s_cbranch_execz .LBB1_14158
; %bb.49999:
	s_getpc_b64 s[14:15]
.Lpost_getpc10663:
	s_add_u32 s14, s14, (.LBB1_28496-.Lpost_getpc10663)&4294967295
	s_addc_u32 s15, s15, (.LBB1_28496-.Lpost_getpc10663)>>32
	s_setpc_b64 s[14:15]
.LBB1_14158:
	s_or_b64 exec, exec, s[6:7]
	s_and_saveexec_b64 s[6:7], s[4:5]
	s_cbranch_execz .LBB1_14160
.LBB1_14159:
	v_bfe_u32 v6, v4, 8, 3
	v_ffbh_u32_e32 v12, v6
	v_min_u32_e32 v12, 32, v12
	v_lshrrev_b16_e32 v7, 3, v3
	v_subrev_u32_e32 v13, 28, v12
	v_and_b32_e32 v7, 15, v7
	v_lshlrev_b32_e32 v3, v13, v3
	v_sub_u32_e32 v12, 29, v12
	v_and_b32_e32 v3, 7, v3
	v_cmp_eq_u16_e32 vcc, 0, v7
	v_cndmask_b32_e32 v3, v6, v3, vcc
	v_cndmask_b32_e32 v6, v7, v12, vcc
	v_lshlrev_b32_e32 v7, 16, v4
	v_mov_b32_e32 v12, 0x3b800000
	v_lshlrev_b32_e32 v3, 20, v3
	v_and_b32_e32 v7, 0x80000000, v7
	v_lshl_add_u32 v6, v6, 23, v12
	v_or3_b32 v6, v7, v6, v3
.LBB1_14160:
	s_or_b64 exec, exec, s[6:7]
	s_nop 0
	v_mfma_f32_16x16x4f32 a[0:3], v2, v6, a[0:3]
	s_movk_i32 s4, 0xff
	v_and_b32_sdwa v3, v8, s4 dst_sel:DWORD dst_unused:UNUSED_PAD src0_sel:WORD_1 src1_sel:DWORD
	s_movk_i32 s4, 0x7f
	v_cmp_lt_i16_e32 vcc, s4, v3
	s_mov_b64 s[4:5], 0
                                        ; implicit-def: $sgpr10
	s_and_saveexec_b64 s[6:7], vcc
	s_xor_b64 s[6:7], exec, s[6:7]
	s_cbranch_execz .LBB1_14161
; %bb.50001:
	s_getpc_b64 s[14:15]
.Lpost_getpc10664:
	s_add_u32 s14, s14, (.LBB1_28497-.Lpost_getpc10664)&4294967295
	s_addc_u32 s15, s15, (.LBB1_28497-.Lpost_getpc10664)>>32
	s_setpc_b64 s[14:15]
.LBB1_14161:
	s_or_saveexec_b64 s[6:7], s[6:7]
	v_mov_b32_e32 v2, s10
	s_xor_b64 exec, exec, s[6:7]
	s_cbranch_execz .LBB1_14162
; %bb.50003:
	s_getpc_b64 s[14:15]
.Lpost_getpc10665:
	s_add_u32 s14, s14, (.LBB1_28500-.Lpost_getpc10665)&4294967295
	s_addc_u32 s15, s15, (.LBB1_28500-.Lpost_getpc10665)>>32
	s_setpc_b64 s[14:15]
.LBB1_14162:
	s_or_b64 exec, exec, s[6:7]
	s_and_saveexec_b64 s[6:7], s[4:5]
	s_cbranch_execz .LBB1_14164
.LBB1_14163:
	v_bfe_u32 v2, v8, 16, 3
	v_ffbh_u32_e32 v7, v2
	v_min_u32_e32 v7, 32, v7
	v_lshrrev_b32_e32 v3, 19, v8
	v_subrev_u32_e32 v12, 28, v7
	v_and_b32_e32 v3, 15, v3
	v_lshlrev_b32_sdwa v12, v12, v8 dst_sel:DWORD dst_unused:UNUSED_PAD src0_sel:DWORD src1_sel:WORD_1
	v_bfe_u32 v6, v8, 19, 4
	v_sub_u32_e32 v7, 29, v7
	v_and_b32_e32 v12, 7, v12
	v_cmp_eq_u16_e32 vcc, 0, v3
	v_cndmask_b32_e32 v2, v2, v12, vcc
	v_cndmask_b32_e32 v3, v6, v7, vcc
	v_lshlrev_b32_e32 v6, 8, v8
	v_mov_b32_e32 v7, 0x3b800000
	v_lshlrev_b32_e32 v2, 20, v2
	v_and_b32_e32 v6, 0x80000000, v6
	v_lshl_add_u32 v3, v3, 23, v7
	v_or3_b32 v2, v6, v3, v2
.LBB1_14164:
	s_or_b64 exec, exec, s[6:7]
	s_movk_i32 s4, 0xff
	v_and_b32_sdwa v3, v4, s4 dst_sel:DWORD dst_unused:UNUSED_PAD src0_sel:WORD_1 src1_sel:DWORD
	s_movk_i32 s4, 0x7f
	v_cmp_lt_i16_e32 vcc, s4, v3
	s_mov_b64 s[4:5], 0
                                        ; implicit-def: $sgpr10
	s_and_saveexec_b64 s[6:7], vcc
	s_xor_b64 s[6:7], exec, s[6:7]
	s_cbranch_execz .LBB1_14165
; %bb.50005:
	s_getpc_b64 s[14:15]
.Lpost_getpc10666:
	s_add_u32 s14, s14, (.LBB1_28501-.Lpost_getpc10666)&4294967295
	s_addc_u32 s15, s15, (.LBB1_28501-.Lpost_getpc10666)>>32
	s_setpc_b64 s[14:15]
.LBB1_14165:
	s_or_saveexec_b64 s[6:7], s[6:7]
	v_mov_b32_e32 v6, s10
	s_xor_b64 exec, exec, s[6:7]
	s_cbranch_execz .LBB1_14166
; %bb.50007:
	s_getpc_b64 s[14:15]
.Lpost_getpc10667:
	s_add_u32 s14, s14, (.LBB1_28504-.Lpost_getpc10667)&4294967295
	s_addc_u32 s15, s15, (.LBB1_28504-.Lpost_getpc10667)>>32
	s_setpc_b64 s[14:15]
.LBB1_14166:
	s_or_b64 exec, exec, s[6:7]
	s_and_saveexec_b64 s[6:7], s[4:5]
	s_cbranch_execz .LBB1_14168
.LBB1_14167:
	v_bfe_u32 v3, v4, 16, 3
	v_ffbh_u32_e32 v12, v3
	v_min_u32_e32 v12, 32, v12
	v_lshrrev_b32_e32 v6, 19, v4
	v_subrev_u32_e32 v13, 28, v12
	v_and_b32_e32 v6, 15, v6
	v_lshlrev_b32_sdwa v13, v13, v4 dst_sel:DWORD dst_unused:UNUSED_PAD src0_sel:DWORD src1_sel:WORD_1
	v_bfe_u32 v7, v4, 19, 4
	v_sub_u32_e32 v12, 29, v12
	v_and_b32_e32 v13, 7, v13
	v_cmp_eq_u16_e32 vcc, 0, v6
	v_cndmask_b32_e32 v3, v3, v13, vcc
	v_cndmask_b32_e32 v6, v7, v12, vcc
	v_lshlrev_b32_e32 v7, 8, v4
	v_mov_b32_e32 v12, 0x3b800000
	v_lshlrev_b32_e32 v3, 20, v3
	v_and_b32_e32 v7, 0x80000000, v7
	v_lshl_add_u32 v6, v6, 23, v12
	v_or3_b32 v6, v7, v6, v3
.LBB1_14168:
	s_or_b64 exec, exec, s[6:7]
	s_nop 0
	v_mfma_f32_16x16x4f32 a[0:3], v2, v6, a[0:3]
	s_movk_i32 s4, 0x7f
	v_cmp_gt_i16_sdwa s[6:7], v8, s4 src0_sel:BYTE_3 src1_sel:DWORD
	s_mov_b64 s[4:5], 0
                                        ; implicit-def: $sgpr10
	s_and_saveexec_b64 s[8:9], s[6:7]
	s_xor_b64 s[6:7], exec, s[8:9]
	s_cbranch_execz .LBB1_14169
; %bb.50009:
	s_getpc_b64 s[14:15]
.Lpost_getpc10668:
	s_add_u32 s14, s14, (.LBB1_28505-.Lpost_getpc10668)&4294967295
	s_addc_u32 s15, s15, (.LBB1_28505-.Lpost_getpc10668)>>32
	s_setpc_b64 s[14:15]
.LBB1_14169:
	s_or_saveexec_b64 s[6:7], s[6:7]
	v_mov_b32_e32 v2, s10
	s_xor_b64 exec, exec, s[6:7]
	s_cbranch_execz .LBB1_14170
; %bb.50011:
	s_getpc_b64 s[14:15]
.Lpost_getpc10669:
	s_add_u32 s14, s14, (.LBB1_28508-.Lpost_getpc10669)&4294967295
	s_addc_u32 s15, s15, (.LBB1_28508-.Lpost_getpc10669)>>32
	s_setpc_b64 s[14:15]
.LBB1_14170:
	s_or_b64 exec, exec, s[6:7]
	s_and_saveexec_b64 s[6:7], s[4:5]
	s_cbranch_execz .LBB1_14172
.LBB1_14171:
	v_bfe_u32 v2, v8, 24, 3
	v_ffbh_u32_e32 v12, v2
	v_min_u32_e32 v12, 32, v12
	v_lshrrev_b32_e32 v6, 27, v8
	v_subrev_u32_e32 v13, 28, v12
	v_and_b32_e32 v3, 0x80000000, v8
	v_and_b32_e32 v6, 15, v6
	v_bfe_u32 v7, v8, 27, 4
	v_lshlrev_b32_sdwa v8, v13, v8 dst_sel:DWORD dst_unused:UNUSED_PAD src0_sel:DWORD src1_sel:BYTE_3
	v_sub_u32_e32 v12, 29, v12
	v_and_b32_e32 v8, 7, v8
	v_cmp_eq_u16_e32 vcc, 0, v6
	v_cndmask_b32_e32 v2, v2, v8, vcc
	v_cndmask_b32_e32 v6, v7, v12, vcc
	v_mov_b32_e32 v7, 0x3b800000
	v_lshlrev_b32_e32 v2, 20, v2
	v_lshl_add_u32 v6, v6, 23, v7
	v_or3_b32 v2, v3, v6, v2
.LBB1_14172:
	s_or_b64 exec, exec, s[6:7]
	s_movk_i32 s4, 0x7f
	v_cmp_gt_i16_sdwa s[6:7], v4, s4 src0_sel:BYTE_3 src1_sel:DWORD
	s_mov_b64 s[4:5], 0
                                        ; implicit-def: $sgpr10
	s_and_saveexec_b64 s[8:9], s[6:7]
	s_xor_b64 s[6:7], exec, s[8:9]
	s_cbranch_execz .LBB1_14173
; %bb.50013:
	s_getpc_b64 s[14:15]
.Lpost_getpc10670:
	s_add_u32 s14, s14, (.LBB1_28509-.Lpost_getpc10670)&4294967295
	s_addc_u32 s15, s15, (.LBB1_28509-.Lpost_getpc10670)>>32
	s_setpc_b64 s[14:15]
.LBB1_14173:
	s_or_saveexec_b64 s[6:7], s[6:7]
	v_mov_b32_e32 v3, s10
	s_xor_b64 exec, exec, s[6:7]
	s_cbranch_execz .LBB1_14174
; %bb.50015:
	s_getpc_b64 s[14:15]
.Lpost_getpc10671:
	s_add_u32 s14, s14, (.LBB1_28512-.Lpost_getpc10671)&4294967295
	s_addc_u32 s15, s15, (.LBB1_28512-.Lpost_getpc10671)>>32
	s_setpc_b64 s[14:15]
.LBB1_14174:
	s_or_b64 exec, exec, s[6:7]
	s_and_saveexec_b64 s[6:7], s[4:5]
	s_cbranch_execz .LBB1_14176
.LBB1_14175:
	v_bfe_u32 v3, v4, 24, 3
	v_ffbh_u32_e32 v12, v3
	v_min_u32_e32 v12, 32, v12
	v_lshrrev_b32_e32 v7, 27, v4
	v_subrev_u32_e32 v13, 28, v12
	v_and_b32_e32 v6, 0x80000000, v4
	v_and_b32_e32 v7, 15, v7
	v_bfe_u32 v8, v4, 27, 4
	v_lshlrev_b32_sdwa v4, v13, v4 dst_sel:DWORD dst_unused:UNUSED_PAD src0_sel:DWORD src1_sel:BYTE_3
	v_sub_u32_e32 v12, 29, v12
	v_and_b32_e32 v4, 7, v4
	v_cmp_eq_u16_e32 vcc, 0, v7
	v_cndmask_b32_e32 v3, v3, v4, vcc
	v_cndmask_b32_e32 v4, v8, v12, vcc
	v_mov_b32_e32 v7, 0x3b800000
	v_lshlrev_b32_e32 v3, 20, v3
	v_lshl_add_u32 v4, v4, 23, v7
	v_or3_b32 v3, v6, v4, v3
.LBB1_14176:
	s_or_b64 exec, exec, s[6:7]
	s_nop 0
	v_mfma_f32_16x16x4f32 a[0:3], v2, v3, a[0:3]
	s_movk_i32 s4, 0x7f
	v_cmp_gt_i16_sdwa s[6:7], v9, s4 src0_sel:BYTE_0 src1_sel:DWORD
	s_mov_b64 s[4:5], 0
                                        ; implicit-def: $sgpr10
	s_and_saveexec_b64 s[8:9], s[6:7]
	s_xor_b64 s[6:7], exec, s[8:9]
	s_cbranch_execz .LBB1_14177
; %bb.50017:
	s_getpc_b64 s[14:15]
.Lpost_getpc10672:
	s_add_u32 s14, s14, (.LBB1_28513-.Lpost_getpc10672)&4294967295
	s_addc_u32 s15, s15, (.LBB1_28513-.Lpost_getpc10672)>>32
	s_setpc_b64 s[14:15]
.LBB1_14177:
	s_or_saveexec_b64 s[6:7], s[6:7]
	v_mov_b32_e32 v2, s10
	s_xor_b64 exec, exec, s[6:7]
	s_cbranch_execz .LBB1_14178
; %bb.50019:
	s_getpc_b64 s[14:15]
.Lpost_getpc10673:
	s_add_u32 s14, s14, (.LBB1_28516-.Lpost_getpc10673)&4294967295
	s_addc_u32 s15, s15, (.LBB1_28516-.Lpost_getpc10673)>>32
	s_setpc_b64 s[14:15]
.LBB1_14178:
	s_or_b64 exec, exec, s[6:7]
	s_and_saveexec_b64 s[6:7], s[4:5]
	s_cbranch_execz .LBB1_14180
.LBB1_14179:
	v_mov_b32_e32 v2, 8
	v_and_b32_e32 v3, 7, v9
	v_lshrrev_b32_sdwa v2, v2, v9 dst_sel:BYTE_1 dst_unused:UNUSED_PAD src0_sel:DWORD src1_sel:DWORD
	v_ffbh_u32_e32 v4, v3
	v_or_b32_sdwa v2, v9, v2 dst_sel:DWORD dst_unused:UNUSED_PAD src0_sel:BYTE_0 src1_sel:DWORD
	v_min_u32_e32 v4, 32, v4
	v_lshrrev_b16_e32 v2, 3, v2
	v_subrev_u32_e32 v6, 28, v4
	v_and_b32_e32 v2, 15, v2
	v_lshlrev_b32_e32 v6, v6, v9
	v_sub_u32_e32 v4, 29, v4
	v_and_b32_e32 v6, 7, v6
	v_cmp_eq_u16_e32 vcc, 0, v2
	v_cndmask_b32_e32 v3, v3, v6, vcc
	v_cndmask_b32_e32 v2, v2, v4, vcc
	v_lshlrev_b32_e32 v4, 24, v9
	v_mov_b32_e32 v6, 0x3b800000
	v_lshlrev_b32_e32 v3, 20, v3
	v_and_b32_e32 v4, 0x80000000, v4
	v_lshl_add_u32 v2, v2, 23, v6
	v_or3_b32 v2, v4, v2, v3
.LBB1_14180:
	s_or_b64 exec, exec, s[6:7]
	s_movk_i32 s4, 0x7f
	v_cmp_gt_i16_sdwa s[6:7], v5, s4 src0_sel:BYTE_0 src1_sel:DWORD
	s_mov_b64 s[4:5], 0
                                        ; implicit-def: $sgpr10
	s_and_saveexec_b64 s[8:9], s[6:7]
	s_xor_b64 s[6:7], exec, s[8:9]
	s_cbranch_execz .LBB1_14181
; %bb.50021:
	s_getpc_b64 s[14:15]
.Lpost_getpc10674:
	s_add_u32 s14, s14, (.LBB1_28517-.Lpost_getpc10674)&4294967295
	s_addc_u32 s15, s15, (.LBB1_28517-.Lpost_getpc10674)>>32
	s_setpc_b64 s[14:15]
.LBB1_14181:
	s_or_saveexec_b64 s[6:7], s[6:7]
	v_mov_b32_e32 v3, s10
	s_xor_b64 exec, exec, s[6:7]
	s_cbranch_execz .LBB1_14182
; %bb.50023:
	s_getpc_b64 s[14:15]
.Lpost_getpc10675:
	s_add_u32 s14, s14, (.LBB1_28520-.Lpost_getpc10675)&4294967295
	s_addc_u32 s15, s15, (.LBB1_28520-.Lpost_getpc10675)>>32
	s_setpc_b64 s[14:15]
.LBB1_14182:
	s_or_b64 exec, exec, s[6:7]
	s_and_saveexec_b64 s[6:7], s[4:5]
	s_cbranch_execz .LBB1_14184
.LBB1_14183:
	v_mov_b32_e32 v3, 8
	v_and_b32_e32 v4, 7, v5
	v_lshrrev_b32_sdwa v3, v3, v5 dst_sel:BYTE_1 dst_unused:UNUSED_PAD src0_sel:DWORD src1_sel:DWORD
	v_ffbh_u32_e32 v6, v4
	v_or_b32_sdwa v3, v5, v3 dst_sel:DWORD dst_unused:UNUSED_PAD src0_sel:BYTE_0 src1_sel:DWORD
	v_min_u32_e32 v6, 32, v6
	v_lshrrev_b16_e32 v3, 3, v3
	v_subrev_u32_e32 v7, 28, v6
	v_and_b32_e32 v3, 15, v3
	v_lshlrev_b32_e32 v7, v7, v5
	v_sub_u32_e32 v6, 29, v6
	v_and_b32_e32 v7, 7, v7
	v_cmp_eq_u16_e32 vcc, 0, v3
	v_cndmask_b32_e32 v4, v4, v7, vcc
	v_cndmask_b32_e32 v3, v3, v6, vcc
	v_lshlrev_b32_e32 v6, 24, v5
	v_mov_b32_e32 v7, 0x3b800000
	v_lshlrev_b32_e32 v4, 20, v4
	v_and_b32_e32 v6, 0x80000000, v6
	v_lshl_add_u32 v3, v3, 23, v7
	v_or3_b32 v3, v6, v3, v4
.LBB1_14184:
	s_or_b64 exec, exec, s[6:7]
	s_nop 0
	v_mfma_f32_16x16x4f32 a[0:3], v2, v3, a[0:3]
	v_lshrrev_b32_e32 v3, 8, v9
	s_movk_i32 s4, 0x7f
	v_cmp_gt_i16_sdwa s[6:7], v3, s4 src0_sel:BYTE_0 src1_sel:DWORD
	s_mov_b64 s[4:5], 0
                                        ; implicit-def: $sgpr10
	s_and_saveexec_b64 s[8:9], s[6:7]
	s_xor_b64 s[6:7], exec, s[8:9]
	s_cbranch_execz .LBB1_14185
; %bb.50025:
	s_getpc_b64 s[14:15]
.Lpost_getpc10676:
	s_add_u32 s14, s14, (.LBB1_28521-.Lpost_getpc10676)&4294967295
	s_addc_u32 s15, s15, (.LBB1_28521-.Lpost_getpc10676)>>32
	s_setpc_b64 s[14:15]
.LBB1_14185:
	s_or_saveexec_b64 s[6:7], s[6:7]
	v_mov_b32_e32 v2, s10
	s_xor_b64 exec, exec, s[6:7]
	s_cbranch_execz .LBB1_14186
; %bb.50027:
	s_getpc_b64 s[14:15]
.Lpost_getpc10677:
	s_add_u32 s14, s14, (.LBB1_28524-.Lpost_getpc10677)&4294967295
	s_addc_u32 s15, s15, (.LBB1_28524-.Lpost_getpc10677)>>32
	s_setpc_b64 s[14:15]
.LBB1_14186:
	s_or_b64 exec, exec, s[6:7]
	s_and_saveexec_b64 s[6:7], s[4:5]
	s_cbranch_execz .LBB1_14188
.LBB1_14187:
	v_bfe_u32 v2, v9, 8, 3
	v_ffbh_u32_e32 v6, v2
	v_min_u32_e32 v6, 32, v6
	v_lshrrev_b16_e32 v4, 3, v3
	v_subrev_u32_e32 v7, 28, v6
	v_and_b32_e32 v4, 15, v4
	v_lshlrev_b32_e32 v3, v7, v3
	v_sub_u32_e32 v6, 29, v6
	v_and_b32_e32 v3, 7, v3
	v_cmp_eq_u16_e32 vcc, 0, v4
	v_cndmask_b32_e32 v2, v2, v3, vcc
	v_cndmask_b32_e32 v3, v4, v6, vcc
	v_lshlrev_b32_e32 v4, 16, v9
	v_mov_b32_e32 v6, 0x3b800000
	v_lshlrev_b32_e32 v2, 20, v2
	v_and_b32_e32 v4, 0x80000000, v4
	v_lshl_add_u32 v3, v3, 23, v6
	v_or3_b32 v2, v4, v3, v2
.LBB1_14188:
	s_or_b64 exec, exec, s[6:7]
	v_lshrrev_b32_e32 v3, 8, v5
	s_movk_i32 s4, 0x7f
	v_cmp_gt_i16_sdwa s[6:7], v3, s4 src0_sel:BYTE_0 src1_sel:DWORD
	s_mov_b64 s[4:5], 0
                                        ; implicit-def: $sgpr10
	s_and_saveexec_b64 s[8:9], s[6:7]
	s_xor_b64 s[6:7], exec, s[8:9]
	s_cbranch_execz .LBB1_14189
; %bb.50029:
	s_getpc_b64 s[14:15]
.Lpost_getpc10678:
	s_add_u32 s14, s14, (.LBB1_28525-.Lpost_getpc10678)&4294967295
	s_addc_u32 s15, s15, (.LBB1_28525-.Lpost_getpc10678)>>32
	s_setpc_b64 s[14:15]
.LBB1_14189:
	s_or_saveexec_b64 s[6:7], s[6:7]
	v_mov_b32_e32 v4, s10
	s_xor_b64 exec, exec, s[6:7]
	s_cbranch_execz .LBB1_14190
; %bb.50031:
	s_getpc_b64 s[14:15]
.Lpost_getpc10679:
	s_add_u32 s14, s14, (.LBB1_28528-.Lpost_getpc10679)&4294967295
	s_addc_u32 s15, s15, (.LBB1_28528-.Lpost_getpc10679)>>32
	s_setpc_b64 s[14:15]
.LBB1_14190:
	s_or_b64 exec, exec, s[6:7]
	s_and_saveexec_b64 s[6:7], s[4:5]
	s_cbranch_execz .LBB1_14192
.LBB1_14191:
	v_bfe_u32 v4, v5, 8, 3
	v_ffbh_u32_e32 v7, v4
	v_min_u32_e32 v7, 32, v7
	v_lshrrev_b16_e32 v6, 3, v3
	v_subrev_u32_e32 v8, 28, v7
	v_and_b32_e32 v6, 15, v6
	v_lshlrev_b32_e32 v3, v8, v3
	v_sub_u32_e32 v7, 29, v7
	v_and_b32_e32 v3, 7, v3
	v_cmp_eq_u16_e32 vcc, 0, v6
	v_cndmask_b32_e32 v3, v4, v3, vcc
	v_cndmask_b32_e32 v4, v6, v7, vcc
	v_lshlrev_b32_e32 v6, 16, v5
	v_mov_b32_e32 v7, 0x3b800000
	v_lshlrev_b32_e32 v3, 20, v3
	v_and_b32_e32 v6, 0x80000000, v6
	v_lshl_add_u32 v4, v4, 23, v7
	v_or3_b32 v4, v6, v4, v3
.LBB1_14192:
	s_or_b64 exec, exec, s[6:7]
	s_nop 0
	v_mfma_f32_16x16x4f32 a[0:3], v2, v4, a[0:3]
	s_movk_i32 s4, 0xff
	v_and_b32_sdwa v3, v9, s4 dst_sel:DWORD dst_unused:UNUSED_PAD src0_sel:WORD_1 src1_sel:DWORD
	s_movk_i32 s4, 0x7f
	v_cmp_lt_i16_e32 vcc, s4, v3
	s_mov_b64 s[4:5], 0
                                        ; implicit-def: $sgpr10
	s_and_saveexec_b64 s[6:7], vcc
	s_xor_b64 s[6:7], exec, s[6:7]
	s_cbranch_execz .LBB1_14193
; %bb.50033:
	s_getpc_b64 s[14:15]
.Lpost_getpc10680:
	s_add_u32 s14, s14, (.LBB1_28529-.Lpost_getpc10680)&4294967295
	s_addc_u32 s15, s15, (.LBB1_28529-.Lpost_getpc10680)>>32
	s_setpc_b64 s[14:15]
.LBB1_14193:
	s_or_saveexec_b64 s[6:7], s[6:7]
	v_mov_b32_e32 v2, s10
	s_xor_b64 exec, exec, s[6:7]
	s_cbranch_execz .LBB1_14194
; %bb.50035:
	s_getpc_b64 s[14:15]
.Lpost_getpc10681:
	s_add_u32 s14, s14, (.LBB1_28532-.Lpost_getpc10681)&4294967295
	s_addc_u32 s15, s15, (.LBB1_28532-.Lpost_getpc10681)>>32
	s_setpc_b64 s[14:15]
.LBB1_14194:
	s_or_b64 exec, exec, s[6:7]
	s_and_saveexec_b64 s[6:7], s[4:5]
	s_cbranch_execz .LBB1_14196
.LBB1_14195:
	v_bfe_u32 v2, v9, 16, 3
	v_ffbh_u32_e32 v6, v2
	v_min_u32_e32 v6, 32, v6
	v_lshrrev_b32_e32 v3, 19, v9
	v_subrev_u32_e32 v7, 28, v6
	v_and_b32_e32 v3, 15, v3
	v_lshlrev_b32_sdwa v7, v7, v9 dst_sel:DWORD dst_unused:UNUSED_PAD src0_sel:DWORD src1_sel:WORD_1
	v_bfe_u32 v4, v9, 19, 4
	v_sub_u32_e32 v6, 29, v6
	v_and_b32_e32 v7, 7, v7
	v_cmp_eq_u16_e32 vcc, 0, v3
	v_cndmask_b32_e32 v2, v2, v7, vcc
	v_cndmask_b32_e32 v3, v4, v6, vcc
	v_lshlrev_b32_e32 v4, 8, v9
	v_mov_b32_e32 v6, 0x3b800000
	v_lshlrev_b32_e32 v2, 20, v2
	v_and_b32_e32 v4, 0x80000000, v4
	v_lshl_add_u32 v3, v3, 23, v6
	v_or3_b32 v2, v4, v3, v2
.LBB1_14196:
	s_or_b64 exec, exec, s[6:7]
	s_movk_i32 s4, 0xff
	v_and_b32_sdwa v3, v5, s4 dst_sel:DWORD dst_unused:UNUSED_PAD src0_sel:WORD_1 src1_sel:DWORD
	s_movk_i32 s4, 0x7f
	v_cmp_lt_i16_e32 vcc, s4, v3
	s_mov_b64 s[4:5], 0
                                        ; implicit-def: $sgpr10
	s_and_saveexec_b64 s[6:7], vcc
	s_xor_b64 s[6:7], exec, s[6:7]
	s_cbranch_execz .LBB1_14197
; %bb.50037:
	s_getpc_b64 s[14:15]
.Lpost_getpc10682:
	s_add_u32 s14, s14, (.LBB1_28533-.Lpost_getpc10682)&4294967295
	s_addc_u32 s15, s15, (.LBB1_28533-.Lpost_getpc10682)>>32
	s_setpc_b64 s[14:15]
.LBB1_14197:
	s_or_saveexec_b64 s[6:7], s[6:7]
	v_mov_b32_e32 v4, s10
	s_xor_b64 exec, exec, s[6:7]
	s_cbranch_execz .LBB1_14198
; %bb.50039:
	s_getpc_b64 s[14:15]
.Lpost_getpc10683:
	s_add_u32 s14, s14, (.LBB1_28536-.Lpost_getpc10683)&4294967295
	s_addc_u32 s15, s15, (.LBB1_28536-.Lpost_getpc10683)>>32
	s_setpc_b64 s[14:15]
.LBB1_14198:
	s_or_b64 exec, exec, s[6:7]
	s_and_saveexec_b64 s[6:7], s[4:5]
	s_cbranch_execz .LBB1_14200
.LBB1_14199:
	v_bfe_u32 v3, v5, 16, 3
	v_ffbh_u32_e32 v7, v3
	v_min_u32_e32 v7, 32, v7
	v_lshrrev_b32_e32 v4, 19, v5
	v_subrev_u32_e32 v8, 28, v7
	v_and_b32_e32 v4, 15, v4
	v_lshlrev_b32_sdwa v8, v8, v5 dst_sel:DWORD dst_unused:UNUSED_PAD src0_sel:DWORD src1_sel:WORD_1
	v_bfe_u32 v6, v5, 19, 4
	v_sub_u32_e32 v7, 29, v7
	v_and_b32_e32 v8, 7, v8
	v_cmp_eq_u16_e32 vcc, 0, v4
	v_cndmask_b32_e32 v3, v3, v8, vcc
	v_cndmask_b32_e32 v4, v6, v7, vcc
	v_lshlrev_b32_e32 v6, 8, v5
	v_mov_b32_e32 v7, 0x3b800000
	v_lshlrev_b32_e32 v3, 20, v3
	v_and_b32_e32 v6, 0x80000000, v6
	v_lshl_add_u32 v4, v4, 23, v7
	v_or3_b32 v4, v6, v4, v3
.LBB1_14200:
	s_or_b64 exec, exec, s[6:7]
	s_nop 0
	v_mfma_f32_16x16x4f32 a[0:3], v2, v4, a[0:3]
	s_movk_i32 s4, 0x7f
	v_cmp_gt_i16_sdwa s[6:7], v9, s4 src0_sel:BYTE_3 src1_sel:DWORD
	s_mov_b64 s[4:5], 0
                                        ; implicit-def: $sgpr10
	s_and_saveexec_b64 s[8:9], s[6:7]
	s_xor_b64 s[6:7], exec, s[8:9]
	s_cbranch_execz .LBB1_14201
; %bb.50041:
	s_getpc_b64 s[14:15]
.Lpost_getpc10684:
	s_add_u32 s14, s14, (.LBB1_28537-.Lpost_getpc10684)&4294967295
	s_addc_u32 s15, s15, (.LBB1_28537-.Lpost_getpc10684)>>32
	s_setpc_b64 s[14:15]
.LBB1_14201:
	s_or_saveexec_b64 s[6:7], s[6:7]
	v_mov_b32_e32 v2, s10
	s_xor_b64 exec, exec, s[6:7]
	s_cbranch_execz .LBB1_14202
; %bb.50043:
	s_getpc_b64 s[14:15]
.Lpost_getpc10685:
	s_add_u32 s14, s14, (.LBB1_28540-.Lpost_getpc10685)&4294967295
	s_addc_u32 s15, s15, (.LBB1_28540-.Lpost_getpc10685)>>32
	s_setpc_b64 s[14:15]
.LBB1_14202:
	s_or_b64 exec, exec, s[6:7]
	s_and_saveexec_b64 s[6:7], s[4:5]
	s_cbranch_execz .LBB1_14204
.LBB1_14203:
	v_bfe_u32 v2, v9, 24, 3
	v_ffbh_u32_e32 v7, v2
	v_min_u32_e32 v7, 32, v7
	v_lshrrev_b32_e32 v4, 27, v9
	v_subrev_u32_e32 v8, 28, v7
	v_and_b32_e32 v4, 15, v4
	v_lshlrev_b32_sdwa v8, v8, v9 dst_sel:DWORD dst_unused:UNUSED_PAD src0_sel:DWORD src1_sel:BYTE_3
	v_bfe_u32 v6, v9, 27, 4
	v_sub_u32_e32 v7, 29, v7
	v_and_b32_e32 v8, 7, v8
	v_cmp_eq_u16_e32 vcc, 0, v4
	v_cndmask_b32_e32 v2, v2, v8, vcc
	v_cndmask_b32_e32 v4, v6, v7, vcc
	v_mov_b32_e32 v6, 0x3b800000
	v_and_b32_e32 v3, 0x80000000, v9
	v_lshlrev_b32_e32 v2, 20, v2
	v_lshl_add_u32 v4, v4, 23, v6
	v_or3_b32 v2, v3, v4, v2
.LBB1_14204:
	s_or_b64 exec, exec, s[6:7]
	s_movk_i32 s4, 0x7f
	v_cmp_gt_i16_sdwa s[6:7], v5, s4 src0_sel:BYTE_3 src1_sel:DWORD
	s_mov_b64 s[4:5], 0
                                        ; implicit-def: $sgpr10
	s_and_saveexec_b64 s[8:9], s[6:7]
	s_xor_b64 s[6:7], exec, s[8:9]
	s_cbranch_execz .LBB1_14205
; %bb.50045:
	s_getpc_b64 s[14:15]
.Lpost_getpc10686:
	s_add_u32 s14, s14, (.LBB1_28541-.Lpost_getpc10686)&4294967295
	s_addc_u32 s15, s15, (.LBB1_28541-.Lpost_getpc10686)>>32
	s_setpc_b64 s[14:15]
.LBB1_14205:
	s_or_saveexec_b64 s[6:7], s[6:7]
	v_mov_b32_e32 v3, s10
	s_xor_b64 exec, exec, s[6:7]
	s_cbranch_execz .LBB1_14206
; %bb.50047:
	s_getpc_b64 s[14:15]
.Lpost_getpc10687:
	s_add_u32 s14, s14, (.LBB1_28544-.Lpost_getpc10687)&4294967295
	s_addc_u32 s15, s15, (.LBB1_28544-.Lpost_getpc10687)>>32
	s_setpc_b64 s[14:15]
.LBB1_14206:
	s_or_b64 exec, exec, s[6:7]
	s_and_saveexec_b64 s[6:7], s[4:5]
	s_cbranch_execz .LBB1_14208
.LBB1_14207:
	v_bfe_u32 v3, v5, 24, 3
	v_ffbh_u32_e32 v8, v3
	v_min_u32_e32 v8, 32, v8
	v_lshrrev_b32_e32 v6, 27, v5
	v_subrev_u32_e32 v9, 28, v8
	v_and_b32_e32 v4, 0x80000000, v5
	v_and_b32_e32 v6, 15, v6
	v_bfe_u32 v7, v5, 27, 4
	v_lshlrev_b32_sdwa v5, v9, v5 dst_sel:DWORD dst_unused:UNUSED_PAD src0_sel:DWORD src1_sel:BYTE_3
	v_sub_u32_e32 v8, 29, v8
	v_and_b32_e32 v5, 7, v5
	v_cmp_eq_u16_e32 vcc, 0, v6
	v_cndmask_b32_e32 v3, v3, v5, vcc
	v_cndmask_b32_e32 v5, v7, v8, vcc
	v_mov_b32_e32 v6, 0x3b800000
	v_lshlrev_b32_e32 v3, 20, v3
	v_lshl_add_u32 v5, v5, 23, v6
	v_or3_b32 v3, v4, v5, v3
.LBB1_14208:
	s_or_b64 exec, exec, s[6:7]
	s_nop 0
	v_mfma_f32_16x16x4f32 a[0:3], v2, v3, a[0:3]
	s_movk_i32 s4, 0x7f
                                        ; implicit-def: $sgpr10
	s_nop 7
	s_nop 1
	flat_store_dwordx4 v[10:11], a[0:3] offset:864
	flat_load_dwordx4 v[10:13], v[0:1]
	s_nop 0
	flat_load_dwordx2 v[8:9], v[0:1] offset:16
	s_waitcnt vmcnt(0) lgkmcnt(0)
	flat_load_dwordx4 v[4:7], v[10:11] offset:208
	flat_load_dwordx4 v[0:3], v[12:13] offset:240
	s_waitcnt vmcnt(0) lgkmcnt(0)
	v_cmp_gt_i16_sdwa s[6:7], v4, s4 src0_sel:BYTE_0 src1_sel:DWORD
	s_mov_b64 s[4:5], 0
	s_and_saveexec_b64 s[8:9], s[6:7]
	s_xor_b64 s[6:7], exec, s[8:9]
	s_cbranch_execz .LBB1_14209
; %bb.50049:
	s_getpc_b64 s[14:15]
.Lpost_getpc10688:
	s_add_u32 s14, s14, (.LBB1_28545-.Lpost_getpc10688)&4294967295
	s_addc_u32 s15, s15, (.LBB1_28545-.Lpost_getpc10688)>>32
	s_setpc_b64 s[14:15]
.LBB1_14209:
	s_or_saveexec_b64 s[6:7], s[6:7]
	v_mov_b32_e32 v10, s10
	s_xor_b64 exec, exec, s[6:7]
	s_cbranch_execz .LBB1_14210
; %bb.50051:
	s_getpc_b64 s[14:15]
.Lpost_getpc10689:
	s_add_u32 s14, s14, (.LBB1_28548-.Lpost_getpc10689)&4294967295
	s_addc_u32 s15, s15, (.LBB1_28548-.Lpost_getpc10689)>>32
	s_setpc_b64 s[14:15]
.LBB1_14210:
	s_or_b64 exec, exec, s[6:7]
	s_and_saveexec_b64 s[6:7], s[4:5]
	s_cbranch_execz .LBB1_14212
.LBB1_14211:
	v_and_b32_e32 v10, 7, v4
	v_ffbh_u32_e32 v12, v10
	v_min_u32_e32 v12, 32, v12
	v_lshrrev_b16_e32 v11, 3, v4
	v_subrev_u32_e32 v13, 28, v12
	v_and_b32_e32 v11, 15, v11
	v_lshlrev_b32_e32 v13, v13, v4
	v_sub_u32_e32 v12, 29, v12
	v_and_b32_e32 v13, 7, v13
	v_cmp_eq_u16_e32 vcc, 0, v11
	v_cndmask_b32_e32 v10, v10, v13, vcc
	v_cndmask_b32_e32 v11, v11, v12, vcc
	v_lshlrev_b32_e32 v12, 24, v4
	v_mov_b32_e32 v13, 0x3b800000
	v_lshlrev_b32_e32 v10, 20, v10
	v_and_b32_e32 v12, 0x80000000, v12
	v_lshl_add_u32 v11, v11, 23, v13
	v_or3_b32 v10, v12, v11, v10
.LBB1_14212:
	s_or_b64 exec, exec, s[6:7]
	s_movk_i32 s4, 0x7f
	v_cmp_gt_i16_sdwa s[6:7], v0, s4 src0_sel:BYTE_0 src1_sel:DWORD
	s_mov_b64 s[4:5], 0
                                        ; implicit-def: $sgpr10
	s_and_saveexec_b64 s[8:9], s[6:7]
	s_xor_b64 s[6:7], exec, s[8:9]
	s_cbranch_execz .LBB1_14213
; %bb.50053:
	s_getpc_b64 s[14:15]
.Lpost_getpc10690:
	s_add_u32 s14, s14, (.LBB1_28549-.Lpost_getpc10690)&4294967295
	s_addc_u32 s15, s15, (.LBB1_28549-.Lpost_getpc10690)>>32
	s_setpc_b64 s[14:15]
.LBB1_14213:
	s_or_saveexec_b64 s[6:7], s[6:7]
	v_mov_b32_e32 v11, s10
	s_xor_b64 exec, exec, s[6:7]
	s_cbranch_execz .LBB1_14214
; %bb.50055:
	s_getpc_b64 s[14:15]
.Lpost_getpc10691:
	s_add_u32 s14, s14, (.LBB1_28552-.Lpost_getpc10691)&4294967295
	s_addc_u32 s15, s15, (.LBB1_28552-.Lpost_getpc10691)>>32
	s_setpc_b64 s[14:15]
.LBB1_14214:
	s_or_b64 exec, exec, s[6:7]
	s_and_saveexec_b64 s[6:7], s[4:5]
	s_cbranch_execz .LBB1_14216
.LBB1_14215:
	v_and_b32_e32 v11, 7, v0
	v_ffbh_u32_e32 v13, v11
	v_min_u32_e32 v13, 32, v13
	v_lshrrev_b16_e32 v12, 3, v0
	v_subrev_u32_e32 v14, 28, v13
	v_and_b32_e32 v12, 15, v12
	v_lshlrev_b32_e32 v14, v14, v0
	v_sub_u32_e32 v13, 29, v13
	v_and_b32_e32 v14, 7, v14
	v_cmp_eq_u16_e32 vcc, 0, v12
	v_cndmask_b32_e32 v11, v11, v14, vcc
	v_cndmask_b32_e32 v12, v12, v13, vcc
	v_lshlrev_b32_e32 v13, 24, v0
	v_mov_b32_e32 v14, 0x3b800000
	v_lshlrev_b32_e32 v11, 20, v11
	v_and_b32_e32 v13, 0x80000000, v13
	v_lshl_add_u32 v12, v12, 23, v14
	v_or3_b32 v11, v13, v12, v11
.LBB1_14216:
	s_or_b64 exec, exec, s[6:7]
	flat_load_dwordx4 a[0:3], v[8:9] offset:880
	s_movk_i32 s4, 0x7f
                                        ; implicit-def: $sgpr10
	s_waitcnt vmcnt(0) lgkmcnt(0)
	v_mfma_f32_16x16x4f32 a[0:3], v10, v11, a[0:3]
	v_lshrrev_b32_e32 v11, 8, v4
	v_cmp_gt_i16_sdwa s[6:7], v11, s4 src0_sel:BYTE_0 src1_sel:DWORD
	s_mov_b64 s[4:5], 0
	s_and_saveexec_b64 s[8:9], s[6:7]
	s_xor_b64 s[6:7], exec, s[8:9]
	s_cbranch_execz .LBB1_14217
; %bb.50057:
	s_getpc_b64 s[14:15]
.Lpost_getpc10692:
	s_add_u32 s14, s14, (.LBB1_28553-.Lpost_getpc10692)&4294967295
	s_addc_u32 s15, s15, (.LBB1_28553-.Lpost_getpc10692)>>32
	s_setpc_b64 s[14:15]
.LBB1_14217:
	s_or_saveexec_b64 s[6:7], s[6:7]
	v_mov_b32_e32 v10, s10
	s_xor_b64 exec, exec, s[6:7]
	s_cbranch_execz .LBB1_14218
; %bb.50059:
	s_getpc_b64 s[14:15]
.Lpost_getpc10693:
	s_add_u32 s14, s14, (.LBB1_28556-.Lpost_getpc10693)&4294967295
	s_addc_u32 s15, s15, (.LBB1_28556-.Lpost_getpc10693)>>32
	s_setpc_b64 s[14:15]
.LBB1_14218:
	s_or_b64 exec, exec, s[6:7]
	s_and_saveexec_b64 s[6:7], s[4:5]
	s_cbranch_execz .LBB1_14220
.LBB1_14219:
	v_bfe_u32 v10, v4, 8, 3
	v_ffbh_u32_e32 v13, v10
	v_min_u32_e32 v13, 32, v13
	v_lshrrev_b16_e32 v12, 3, v11
	v_subrev_u32_e32 v14, 28, v13
	v_and_b32_e32 v12, 15, v12
	v_lshlrev_b32_e32 v11, v14, v11
	v_sub_u32_e32 v13, 29, v13
	v_and_b32_e32 v11, 7, v11
	v_cmp_eq_u16_e32 vcc, 0, v12
	v_cndmask_b32_e32 v10, v10, v11, vcc
	v_cndmask_b32_e32 v11, v12, v13, vcc
	v_lshlrev_b32_e32 v12, 16, v4
	v_mov_b32_e32 v13, 0x3b800000
	v_lshlrev_b32_e32 v10, 20, v10
	v_and_b32_e32 v12, 0x80000000, v12
	v_lshl_add_u32 v11, v11, 23, v13
	v_or3_b32 v10, v12, v11, v10
.LBB1_14220:
	s_or_b64 exec, exec, s[6:7]
	v_lshrrev_b32_e32 v11, 8, v0
	s_movk_i32 s4, 0x7f
	v_cmp_gt_i16_sdwa s[6:7], v11, s4 src0_sel:BYTE_0 src1_sel:DWORD
	s_mov_b64 s[4:5], 0
                                        ; implicit-def: $sgpr10
	s_and_saveexec_b64 s[8:9], s[6:7]
	s_xor_b64 s[6:7], exec, s[8:9]
	s_cbranch_execz .LBB1_14221
; %bb.50061:
	s_getpc_b64 s[14:15]
.Lpost_getpc10694:
	s_add_u32 s14, s14, (.LBB1_28557-.Lpost_getpc10694)&4294967295
	s_addc_u32 s15, s15, (.LBB1_28557-.Lpost_getpc10694)>>32
	s_setpc_b64 s[14:15]
.LBB1_14221:
	s_or_saveexec_b64 s[6:7], s[6:7]
	v_mov_b32_e32 v12, s10
	s_xor_b64 exec, exec, s[6:7]
	s_cbranch_execz .LBB1_14222
; %bb.50063:
	s_getpc_b64 s[14:15]
.Lpost_getpc10695:
	s_add_u32 s14, s14, (.LBB1_28560-.Lpost_getpc10695)&4294967295
	s_addc_u32 s15, s15, (.LBB1_28560-.Lpost_getpc10695)>>32
	s_setpc_b64 s[14:15]
.LBB1_14222:
	s_or_b64 exec, exec, s[6:7]
	s_and_saveexec_b64 s[6:7], s[4:5]
	s_cbranch_execz .LBB1_14224
.LBB1_14223:
	v_bfe_u32 v12, v0, 8, 3
	v_ffbh_u32_e32 v14, v12
	v_min_u32_e32 v14, 32, v14
	v_lshrrev_b16_e32 v13, 3, v11
	v_subrev_u32_e32 v15, 28, v14
	v_and_b32_e32 v13, 15, v13
	v_lshlrev_b32_e32 v11, v15, v11
	v_sub_u32_e32 v14, 29, v14
	v_and_b32_e32 v11, 7, v11
	v_cmp_eq_u16_e32 vcc, 0, v13
	v_cndmask_b32_e32 v11, v12, v11, vcc
	v_cndmask_b32_e32 v12, v13, v14, vcc
	v_lshlrev_b32_e32 v13, 16, v0
	v_mov_b32_e32 v14, 0x3b800000
	v_lshlrev_b32_e32 v11, 20, v11
	v_and_b32_e32 v13, 0x80000000, v13
	v_lshl_add_u32 v12, v12, 23, v14
	v_or3_b32 v12, v13, v12, v11
.LBB1_14224:
	s_or_b64 exec, exec, s[6:7]
	s_nop 0
	v_mfma_f32_16x16x4f32 a[0:3], v10, v12, a[0:3]
	s_movk_i32 s4, 0xff
	v_and_b32_sdwa v11, v4, s4 dst_sel:DWORD dst_unused:UNUSED_PAD src0_sel:WORD_1 src1_sel:DWORD
	s_movk_i32 s4, 0x7f
	v_cmp_lt_i16_e32 vcc, s4, v11
	s_mov_b64 s[4:5], 0
                                        ; implicit-def: $sgpr10
	s_and_saveexec_b64 s[6:7], vcc
	s_xor_b64 s[6:7], exec, s[6:7]
	s_cbranch_execz .LBB1_14225
; %bb.50065:
	s_getpc_b64 s[14:15]
.Lpost_getpc10696:
	s_add_u32 s14, s14, (.LBB1_28561-.Lpost_getpc10696)&4294967295
	s_addc_u32 s15, s15, (.LBB1_28561-.Lpost_getpc10696)>>32
	s_setpc_b64 s[14:15]
.LBB1_14225:
	s_or_saveexec_b64 s[6:7], s[6:7]
	v_mov_b32_e32 v10, s10
	s_xor_b64 exec, exec, s[6:7]
	s_cbranch_execz .LBB1_14226
; %bb.50067:
	s_getpc_b64 s[14:15]
.Lpost_getpc10697:
	s_add_u32 s14, s14, (.LBB1_28564-.Lpost_getpc10697)&4294967295
	s_addc_u32 s15, s15, (.LBB1_28564-.Lpost_getpc10697)>>32
	s_setpc_b64 s[14:15]
.LBB1_14226:
	s_or_b64 exec, exec, s[6:7]
	s_and_saveexec_b64 s[6:7], s[4:5]
	s_cbranch_execz .LBB1_14228
.LBB1_14227:
	v_bfe_u32 v10, v4, 16, 3
	v_ffbh_u32_e32 v13, v10
	v_min_u32_e32 v13, 32, v13
	v_lshrrev_b32_e32 v11, 19, v4
	v_subrev_u32_e32 v14, 28, v13
	v_and_b32_e32 v11, 15, v11
	v_lshlrev_b32_sdwa v14, v14, v4 dst_sel:DWORD dst_unused:UNUSED_PAD src0_sel:DWORD src1_sel:WORD_1
	v_bfe_u32 v12, v4, 19, 4
	v_sub_u32_e32 v13, 29, v13
	v_and_b32_e32 v14, 7, v14
	v_cmp_eq_u16_e32 vcc, 0, v11
	v_cndmask_b32_e32 v10, v10, v14, vcc
	v_cndmask_b32_e32 v11, v12, v13, vcc
	v_lshlrev_b32_e32 v12, 8, v4
	v_mov_b32_e32 v13, 0x3b800000
	v_lshlrev_b32_e32 v10, 20, v10
	v_and_b32_e32 v12, 0x80000000, v12
	v_lshl_add_u32 v11, v11, 23, v13
	v_or3_b32 v10, v12, v11, v10
.LBB1_14228:
	s_or_b64 exec, exec, s[6:7]
	s_movk_i32 s4, 0xff
	v_and_b32_sdwa v11, v0, s4 dst_sel:DWORD dst_unused:UNUSED_PAD src0_sel:WORD_1 src1_sel:DWORD
	s_movk_i32 s4, 0x7f
	v_cmp_lt_i16_e32 vcc, s4, v11
	s_mov_b64 s[4:5], 0
                                        ; implicit-def: $sgpr10
	s_and_saveexec_b64 s[6:7], vcc
	s_xor_b64 s[6:7], exec, s[6:7]
	s_cbranch_execz .LBB1_14229
; %bb.50069:
	s_getpc_b64 s[14:15]
.Lpost_getpc10698:
	s_add_u32 s14, s14, (.LBB1_28565-.Lpost_getpc10698)&4294967295
	s_addc_u32 s15, s15, (.LBB1_28565-.Lpost_getpc10698)>>32
	s_setpc_b64 s[14:15]
.LBB1_14229:
	s_or_saveexec_b64 s[6:7], s[6:7]
	v_mov_b32_e32 v12, s10
	s_xor_b64 exec, exec, s[6:7]
	s_cbranch_execz .LBB1_14230
; %bb.50071:
	s_getpc_b64 s[14:15]
.Lpost_getpc10699:
	s_add_u32 s14, s14, (.LBB1_28568-.Lpost_getpc10699)&4294967295
	s_addc_u32 s15, s15, (.LBB1_28568-.Lpost_getpc10699)>>32
	s_setpc_b64 s[14:15]
.LBB1_14230:
	s_or_b64 exec, exec, s[6:7]
	s_and_saveexec_b64 s[6:7], s[4:5]
	s_cbranch_execz .LBB1_14232
.LBB1_14231:
	v_bfe_u32 v11, v0, 16, 3
	v_ffbh_u32_e32 v14, v11
	v_min_u32_e32 v14, 32, v14
	v_lshrrev_b32_e32 v12, 19, v0
	v_subrev_u32_e32 v15, 28, v14
	v_and_b32_e32 v12, 15, v12
	v_lshlrev_b32_sdwa v15, v15, v0 dst_sel:DWORD dst_unused:UNUSED_PAD src0_sel:DWORD src1_sel:WORD_1
	v_bfe_u32 v13, v0, 19, 4
	v_sub_u32_e32 v14, 29, v14
	v_and_b32_e32 v15, 7, v15
	v_cmp_eq_u16_e32 vcc, 0, v12
	v_cndmask_b32_e32 v11, v11, v15, vcc
	v_cndmask_b32_e32 v12, v13, v14, vcc
	v_lshlrev_b32_e32 v13, 8, v0
	v_mov_b32_e32 v14, 0x3b800000
	v_lshlrev_b32_e32 v11, 20, v11
	v_and_b32_e32 v13, 0x80000000, v13
	v_lshl_add_u32 v12, v12, 23, v14
	v_or3_b32 v12, v13, v12, v11
.LBB1_14232:
	s_or_b64 exec, exec, s[6:7]
	s_nop 0
	v_mfma_f32_16x16x4f32 a[0:3], v10, v12, a[0:3]
	s_movk_i32 s4, 0x7f
	v_cmp_gt_i16_sdwa s[6:7], v4, s4 src0_sel:BYTE_3 src1_sel:DWORD
	s_mov_b64 s[4:5], 0
                                        ; implicit-def: $sgpr10
	s_and_saveexec_b64 s[8:9], s[6:7]
	s_xor_b64 s[6:7], exec, s[8:9]
	s_cbranch_execz .LBB1_14233
; %bb.50073:
	s_getpc_b64 s[14:15]
.Lpost_getpc10700:
	s_add_u32 s14, s14, (.LBB1_28569-.Lpost_getpc10700)&4294967295
	s_addc_u32 s15, s15, (.LBB1_28569-.Lpost_getpc10700)>>32
	s_setpc_b64 s[14:15]
.LBB1_14233:
	s_or_saveexec_b64 s[6:7], s[6:7]
	v_mov_b32_e32 v10, s10
	s_xor_b64 exec, exec, s[6:7]
	s_cbranch_execz .LBB1_14234
; %bb.50075:
	s_getpc_b64 s[14:15]
.Lpost_getpc10701:
	s_add_u32 s14, s14, (.LBB1_28572-.Lpost_getpc10701)&4294967295
	s_addc_u32 s15, s15, (.LBB1_28572-.Lpost_getpc10701)>>32
	s_setpc_b64 s[14:15]
.LBB1_14234:
	s_or_b64 exec, exec, s[6:7]
	s_and_saveexec_b64 s[6:7], s[4:5]
	s_cbranch_execz .LBB1_14236
.LBB1_14235:
	v_bfe_u32 v10, v4, 24, 3
	v_ffbh_u32_e32 v14, v10
	v_min_u32_e32 v14, 32, v14
	v_lshrrev_b32_e32 v12, 27, v4
	v_subrev_u32_e32 v15, 28, v14
	v_and_b32_e32 v11, 0x80000000, v4
	v_and_b32_e32 v12, 15, v12
	v_bfe_u32 v13, v4, 27, 4
	v_lshlrev_b32_sdwa v4, v15, v4 dst_sel:DWORD dst_unused:UNUSED_PAD src0_sel:DWORD src1_sel:BYTE_3
	v_sub_u32_e32 v14, 29, v14
	v_and_b32_e32 v4, 7, v4
	v_cmp_eq_u16_e32 vcc, 0, v12
	v_cndmask_b32_e32 v4, v10, v4, vcc
	v_cndmask_b32_e32 v10, v13, v14, vcc
	v_mov_b32_e32 v12, 0x3b800000
	v_lshlrev_b32_e32 v4, 20, v4
	v_lshl_add_u32 v10, v10, 23, v12
	v_or3_b32 v10, v11, v10, v4
.LBB1_14236:
	s_or_b64 exec, exec, s[6:7]
	s_movk_i32 s4, 0x7f
	v_cmp_gt_i16_sdwa s[6:7], v0, s4 src0_sel:BYTE_3 src1_sel:DWORD
	s_mov_b64 s[4:5], 0
                                        ; implicit-def: $sgpr10
	s_and_saveexec_b64 s[8:9], s[6:7]
	s_xor_b64 s[6:7], exec, s[8:9]
	s_cbranch_execz .LBB1_14237
; %bb.50077:
	s_getpc_b64 s[14:15]
.Lpost_getpc10702:
	s_add_u32 s14, s14, (.LBB1_28573-.Lpost_getpc10702)&4294967295
	s_addc_u32 s15, s15, (.LBB1_28573-.Lpost_getpc10702)>>32
	s_setpc_b64 s[14:15]
.LBB1_14237:
	s_or_saveexec_b64 s[6:7], s[6:7]
	v_mov_b32_e32 v4, s10
	s_xor_b64 exec, exec, s[6:7]
	s_cbranch_execz .LBB1_14238
; %bb.50079:
	s_getpc_b64 s[14:15]
.Lpost_getpc10703:
	s_add_u32 s14, s14, (.LBB1_28576-.Lpost_getpc10703)&4294967295
	s_addc_u32 s15, s15, (.LBB1_28576-.Lpost_getpc10703)>>32
	s_setpc_b64 s[14:15]
.LBB1_14238:
	s_or_b64 exec, exec, s[6:7]
	s_and_saveexec_b64 s[6:7], s[4:5]
	s_cbranch_execz .LBB1_14240
.LBB1_14239:
	v_bfe_u32 v4, v0, 24, 3
	v_ffbh_u32_e32 v14, v4
	v_min_u32_e32 v14, 32, v14
	v_lshrrev_b32_e32 v12, 27, v0
	v_subrev_u32_e32 v15, 28, v14
	v_and_b32_e32 v11, 0x80000000, v0
	v_and_b32_e32 v12, 15, v12
	v_bfe_u32 v13, v0, 27, 4
	v_lshlrev_b32_sdwa v0, v15, v0 dst_sel:DWORD dst_unused:UNUSED_PAD src0_sel:DWORD src1_sel:BYTE_3
	v_sub_u32_e32 v14, 29, v14
	v_and_b32_e32 v0, 7, v0
	v_cmp_eq_u16_e32 vcc, 0, v12
	v_cndmask_b32_e32 v0, v4, v0, vcc
	v_cndmask_b32_e32 v4, v13, v14, vcc
	v_mov_b32_e32 v12, 0x3b800000
	v_lshlrev_b32_e32 v0, 20, v0
	v_lshl_add_u32 v4, v4, 23, v12
	v_or3_b32 v4, v11, v4, v0
.LBB1_14240:
	s_or_b64 exec, exec, s[6:7]
	s_nop 0
	v_mfma_f32_16x16x4f32 a[0:3], v10, v4, a[0:3]
	s_movk_i32 s4, 0x7f
	v_cmp_gt_i16_sdwa s[6:7], v5, s4 src0_sel:BYTE_0 src1_sel:DWORD
	s_mov_b64 s[4:5], 0
                                        ; implicit-def: $sgpr10
	s_and_saveexec_b64 s[8:9], s[6:7]
	s_xor_b64 s[6:7], exec, s[8:9]
	s_cbranch_execz .LBB1_14241
; %bb.50081:
	s_getpc_b64 s[14:15]
.Lpost_getpc10704:
	s_add_u32 s14, s14, (.LBB1_28577-.Lpost_getpc10704)&4294967295
	s_addc_u32 s15, s15, (.LBB1_28577-.Lpost_getpc10704)>>32
	s_setpc_b64 s[14:15]
.LBB1_14241:
	s_or_saveexec_b64 s[6:7], s[6:7]
	v_mov_b32_e32 v0, s10
	s_xor_b64 exec, exec, s[6:7]
	s_cbranch_execz .LBB1_14242
; %bb.50083:
	s_getpc_b64 s[14:15]
.Lpost_getpc10705:
	s_add_u32 s14, s14, (.LBB1_28580-.Lpost_getpc10705)&4294967295
	s_addc_u32 s15, s15, (.LBB1_28580-.Lpost_getpc10705)>>32
	s_setpc_b64 s[14:15]
.LBB1_14242:
	s_or_b64 exec, exec, s[6:7]
	s_and_saveexec_b64 s[6:7], s[4:5]
	s_cbranch_execz .LBB1_14244
.LBB1_14243:
	v_and_b32_e32 v0, 7, v5
	v_ffbh_u32_e32 v10, v0
	v_min_u32_e32 v10, 32, v10
	v_lshrrev_b16_e32 v4, 3, v5
	v_subrev_u32_e32 v11, 28, v10
	v_and_b32_e32 v4, 15, v4
	v_lshlrev_b32_e32 v11, v11, v5
	v_sub_u32_e32 v10, 29, v10
	v_and_b32_e32 v11, 7, v11
	v_cmp_eq_u16_e32 vcc, 0, v4
	v_cndmask_b32_e32 v0, v0, v11, vcc
	v_cndmask_b32_e32 v4, v4, v10, vcc
	v_lshlrev_b32_e32 v10, 24, v5
	v_mov_b32_e32 v11, 0x3b800000
	v_lshlrev_b32_e32 v0, 20, v0
	v_and_b32_e32 v10, 0x80000000, v10
	v_lshl_add_u32 v4, v4, 23, v11
	v_or3_b32 v0, v10, v4, v0
.LBB1_14244:
	s_or_b64 exec, exec, s[6:7]
	s_movk_i32 s4, 0x7f
	v_cmp_gt_i16_sdwa s[6:7], v1, s4 src0_sel:BYTE_0 src1_sel:DWORD
	s_mov_b64 s[4:5], 0
                                        ; implicit-def: $sgpr10
	s_and_saveexec_b64 s[8:9], s[6:7]
	s_xor_b64 s[6:7], exec, s[8:9]
	s_cbranch_execz .LBB1_14245
; %bb.50085:
	s_getpc_b64 s[14:15]
.Lpost_getpc10706:
	s_add_u32 s14, s14, (.LBB1_28581-.Lpost_getpc10706)&4294967295
	s_addc_u32 s15, s15, (.LBB1_28581-.Lpost_getpc10706)>>32
	s_setpc_b64 s[14:15]
.LBB1_14245:
	s_or_saveexec_b64 s[6:7], s[6:7]
	v_mov_b32_e32 v4, s10
	s_xor_b64 exec, exec, s[6:7]
	s_cbranch_execz .LBB1_14246
; %bb.50087:
	s_getpc_b64 s[14:15]
.Lpost_getpc10707:
	s_add_u32 s14, s14, (.LBB1_28584-.Lpost_getpc10707)&4294967295
	s_addc_u32 s15, s15, (.LBB1_28584-.Lpost_getpc10707)>>32
	s_setpc_b64 s[14:15]
.LBB1_14246:
	s_or_b64 exec, exec, s[6:7]
	s_and_saveexec_b64 s[6:7], s[4:5]
	s_cbranch_execz .LBB1_14248
.LBB1_14247:
	v_and_b32_e32 v4, 7, v1
	v_ffbh_u32_e32 v11, v4
	v_min_u32_e32 v11, 32, v11
	v_lshrrev_b16_e32 v10, 3, v1
	v_subrev_u32_e32 v12, 28, v11
	v_and_b32_e32 v10, 15, v10
	v_lshlrev_b32_e32 v12, v12, v1
	v_sub_u32_e32 v11, 29, v11
	v_and_b32_e32 v12, 7, v12
	v_cmp_eq_u16_e32 vcc, 0, v10
	v_cndmask_b32_e32 v4, v4, v12, vcc
	v_cndmask_b32_e32 v10, v10, v11, vcc
	v_lshlrev_b32_e32 v11, 24, v1
	v_mov_b32_e32 v12, 0x3b800000
	v_lshlrev_b32_e32 v4, 20, v4
	v_and_b32_e32 v11, 0x80000000, v11
	v_lshl_add_u32 v10, v10, 23, v12
	v_or3_b32 v4, v11, v10, v4
.LBB1_14248:
	s_or_b64 exec, exec, s[6:7]
	s_nop 0
	v_mfma_f32_16x16x4f32 a[0:3], v0, v4, a[0:3]
	v_lshrrev_b32_e32 v4, 8, v5
	s_movk_i32 s4, 0x7f
	v_cmp_gt_i16_sdwa s[6:7], v4, s4 src0_sel:BYTE_0 src1_sel:DWORD
	s_mov_b64 s[4:5], 0
                                        ; implicit-def: $sgpr10
	s_and_saveexec_b64 s[8:9], s[6:7]
	s_xor_b64 s[6:7], exec, s[8:9]
	s_cbranch_execz .LBB1_14249
; %bb.50089:
	s_getpc_b64 s[14:15]
.Lpost_getpc10708:
	s_add_u32 s14, s14, (.LBB1_28585-.Lpost_getpc10708)&4294967295
	s_addc_u32 s15, s15, (.LBB1_28585-.Lpost_getpc10708)>>32
	s_setpc_b64 s[14:15]
.LBB1_14249:
	s_or_saveexec_b64 s[6:7], s[6:7]
	v_mov_b32_e32 v0, s10
	s_xor_b64 exec, exec, s[6:7]
	s_cbranch_execz .LBB1_14250
; %bb.50091:
	s_getpc_b64 s[14:15]
.Lpost_getpc10709:
	s_add_u32 s14, s14, (.LBB1_28588-.Lpost_getpc10709)&4294967295
	s_addc_u32 s15, s15, (.LBB1_28588-.Lpost_getpc10709)>>32
	s_setpc_b64 s[14:15]
.LBB1_14250:
	s_or_b64 exec, exec, s[6:7]
	s_and_saveexec_b64 s[6:7], s[4:5]
	s_cbranch_execz .LBB1_14252
.LBB1_14251:
	v_bfe_u32 v0, v5, 8, 3
	v_ffbh_u32_e32 v11, v0
	v_min_u32_e32 v11, 32, v11
	v_lshrrev_b16_e32 v10, 3, v4
	v_subrev_u32_e32 v12, 28, v11
	v_and_b32_e32 v10, 15, v10
	v_lshlrev_b32_e32 v4, v12, v4
	v_sub_u32_e32 v11, 29, v11
	v_and_b32_e32 v4, 7, v4
	v_cmp_eq_u16_e32 vcc, 0, v10
	v_cndmask_b32_e32 v0, v0, v4, vcc
	v_cndmask_b32_e32 v4, v10, v11, vcc
	v_lshlrev_b32_e32 v10, 16, v5
	v_mov_b32_e32 v11, 0x3b800000
	v_lshlrev_b32_e32 v0, 20, v0
	v_and_b32_e32 v10, 0x80000000, v10
	v_lshl_add_u32 v4, v4, 23, v11
	v_or3_b32 v0, v10, v4, v0
.LBB1_14252:
	s_or_b64 exec, exec, s[6:7]
	v_lshrrev_b32_e32 v4, 8, v1
	s_movk_i32 s4, 0x7f
	v_cmp_gt_i16_sdwa s[6:7], v4, s4 src0_sel:BYTE_0 src1_sel:DWORD
	s_mov_b64 s[4:5], 0
                                        ; implicit-def: $sgpr10
	s_and_saveexec_b64 s[8:9], s[6:7]
	s_xor_b64 s[6:7], exec, s[8:9]
	s_cbranch_execz .LBB1_14253
; %bb.50093:
	s_getpc_b64 s[14:15]
.Lpost_getpc10710:
	s_add_u32 s14, s14, (.LBB1_28589-.Lpost_getpc10710)&4294967295
	s_addc_u32 s15, s15, (.LBB1_28589-.Lpost_getpc10710)>>32
	s_setpc_b64 s[14:15]
.LBB1_14253:
	s_or_saveexec_b64 s[6:7], s[6:7]
	v_mov_b32_e32 v10, s10
	s_xor_b64 exec, exec, s[6:7]
	s_cbranch_execz .LBB1_14254
; %bb.50095:
	s_getpc_b64 s[14:15]
.Lpost_getpc10711:
	s_add_u32 s14, s14, (.LBB1_28592-.Lpost_getpc10711)&4294967295
	s_addc_u32 s15, s15, (.LBB1_28592-.Lpost_getpc10711)>>32
	s_setpc_b64 s[14:15]
.LBB1_14254:
	s_or_b64 exec, exec, s[6:7]
	s_and_saveexec_b64 s[6:7], s[4:5]
	s_cbranch_execz .LBB1_14256
.LBB1_14255:
	v_bfe_u32 v10, v1, 8, 3
	v_ffbh_u32_e32 v12, v10
	v_min_u32_e32 v12, 32, v12
	v_lshrrev_b16_e32 v11, 3, v4
	v_subrev_u32_e32 v13, 28, v12
	v_and_b32_e32 v11, 15, v11
	v_lshlrev_b32_e32 v4, v13, v4
	v_sub_u32_e32 v12, 29, v12
	v_and_b32_e32 v4, 7, v4
	v_cmp_eq_u16_e32 vcc, 0, v11
	v_cndmask_b32_e32 v4, v10, v4, vcc
	v_cndmask_b32_e32 v10, v11, v12, vcc
	v_lshlrev_b32_e32 v11, 16, v1
	v_mov_b32_e32 v12, 0x3b800000
	v_lshlrev_b32_e32 v4, 20, v4
	v_and_b32_e32 v11, 0x80000000, v11
	v_lshl_add_u32 v10, v10, 23, v12
	v_or3_b32 v10, v11, v10, v4
.LBB1_14256:
	s_or_b64 exec, exec, s[6:7]
	s_nop 0
	v_mfma_f32_16x16x4f32 a[0:3], v0, v10, a[0:3]
	s_movk_i32 s4, 0xff
	v_and_b32_sdwa v4, v5, s4 dst_sel:DWORD dst_unused:UNUSED_PAD src0_sel:WORD_1 src1_sel:DWORD
	s_movk_i32 s4, 0x7f
	v_cmp_lt_i16_e32 vcc, s4, v4
	s_mov_b64 s[4:5], 0
                                        ; implicit-def: $sgpr10
	s_and_saveexec_b64 s[6:7], vcc
	s_xor_b64 s[6:7], exec, s[6:7]
	s_cbranch_execz .LBB1_14257
; %bb.50097:
	s_getpc_b64 s[14:15]
.Lpost_getpc10712:
	s_add_u32 s14, s14, (.LBB1_28593-.Lpost_getpc10712)&4294967295
	s_addc_u32 s15, s15, (.LBB1_28593-.Lpost_getpc10712)>>32
	s_setpc_b64 s[14:15]
.LBB1_14257:
	s_or_saveexec_b64 s[6:7], s[6:7]
	v_mov_b32_e32 v0, s10
	s_xor_b64 exec, exec, s[6:7]
	s_cbranch_execz .LBB1_14258
; %bb.50099:
	s_getpc_b64 s[14:15]
.Lpost_getpc10713:
	s_add_u32 s14, s14, (.LBB1_28596-.Lpost_getpc10713)&4294967295
	s_addc_u32 s15, s15, (.LBB1_28596-.Lpost_getpc10713)>>32
	s_setpc_b64 s[14:15]
.LBB1_14258:
	s_or_b64 exec, exec, s[6:7]
	s_and_saveexec_b64 s[6:7], s[4:5]
	s_cbranch_execz .LBB1_14260
.LBB1_14259:
	v_bfe_u32 v0, v5, 16, 3
	v_ffbh_u32_e32 v11, v0
	v_min_u32_e32 v11, 32, v11
	v_lshrrev_b32_e32 v4, 19, v5
	v_subrev_u32_e32 v12, 28, v11
	v_and_b32_e32 v4, 15, v4
	v_lshlrev_b32_sdwa v12, v12, v5 dst_sel:DWORD dst_unused:UNUSED_PAD src0_sel:DWORD src1_sel:WORD_1
	v_bfe_u32 v10, v5, 19, 4
	v_sub_u32_e32 v11, 29, v11
	v_and_b32_e32 v12, 7, v12
	v_cmp_eq_u16_e32 vcc, 0, v4
	v_cndmask_b32_e32 v0, v0, v12, vcc
	v_cndmask_b32_e32 v4, v10, v11, vcc
	v_lshlrev_b32_e32 v10, 8, v5
	v_mov_b32_e32 v11, 0x3b800000
	v_lshlrev_b32_e32 v0, 20, v0
	v_and_b32_e32 v10, 0x80000000, v10
	v_lshl_add_u32 v4, v4, 23, v11
	v_or3_b32 v0, v10, v4, v0
.LBB1_14260:
	s_or_b64 exec, exec, s[6:7]
	s_movk_i32 s4, 0xff
	v_and_b32_sdwa v4, v1, s4 dst_sel:DWORD dst_unused:UNUSED_PAD src0_sel:WORD_1 src1_sel:DWORD
	s_movk_i32 s4, 0x7f
	v_cmp_lt_i16_e32 vcc, s4, v4
	s_mov_b64 s[4:5], 0
                                        ; implicit-def: $sgpr10
	s_and_saveexec_b64 s[6:7], vcc
	s_xor_b64 s[6:7], exec, s[6:7]
	s_cbranch_execz .LBB1_14261
; %bb.50101:
	s_getpc_b64 s[14:15]
.Lpost_getpc10714:
	s_add_u32 s14, s14, (.LBB1_28597-.Lpost_getpc10714)&4294967295
	s_addc_u32 s15, s15, (.LBB1_28597-.Lpost_getpc10714)>>32
	s_setpc_b64 s[14:15]
.LBB1_14261:
	s_or_saveexec_b64 s[6:7], s[6:7]
	v_mov_b32_e32 v10, s10
	s_xor_b64 exec, exec, s[6:7]
	s_cbranch_execz .LBB1_14262
; %bb.50103:
	s_getpc_b64 s[14:15]
.Lpost_getpc10715:
	s_add_u32 s14, s14, (.LBB1_28600-.Lpost_getpc10715)&4294967295
	s_addc_u32 s15, s15, (.LBB1_28600-.Lpost_getpc10715)>>32
	s_setpc_b64 s[14:15]
.LBB1_14262:
	s_or_b64 exec, exec, s[6:7]
	s_and_saveexec_b64 s[6:7], s[4:5]
	s_cbranch_execz .LBB1_14264
.LBB1_14263:
	v_bfe_u32 v4, v1, 16, 3
	v_ffbh_u32_e32 v12, v4
	v_min_u32_e32 v12, 32, v12
	v_lshrrev_b32_e32 v10, 19, v1
	v_subrev_u32_e32 v13, 28, v12
	v_and_b32_e32 v10, 15, v10
	v_lshlrev_b32_sdwa v13, v13, v1 dst_sel:DWORD dst_unused:UNUSED_PAD src0_sel:DWORD src1_sel:WORD_1
	v_bfe_u32 v11, v1, 19, 4
	v_sub_u32_e32 v12, 29, v12
	v_and_b32_e32 v13, 7, v13
	v_cmp_eq_u16_e32 vcc, 0, v10
	v_cndmask_b32_e32 v4, v4, v13, vcc
	v_cndmask_b32_e32 v10, v11, v12, vcc
	v_lshlrev_b32_e32 v11, 8, v1
	v_mov_b32_e32 v12, 0x3b800000
	v_lshlrev_b32_e32 v4, 20, v4
	v_and_b32_e32 v11, 0x80000000, v11
	v_lshl_add_u32 v10, v10, 23, v12
	v_or3_b32 v10, v11, v10, v4
.LBB1_14264:
	s_or_b64 exec, exec, s[6:7]
	s_nop 0
	v_mfma_f32_16x16x4f32 a[0:3], v0, v10, a[0:3]
	s_movk_i32 s4, 0x7f
	v_cmp_gt_i16_sdwa s[6:7], v5, s4 src0_sel:BYTE_3 src1_sel:DWORD
	s_mov_b64 s[4:5], 0
                                        ; implicit-def: $sgpr10
	s_and_saveexec_b64 s[8:9], s[6:7]
	s_xor_b64 s[6:7], exec, s[8:9]
	s_cbranch_execz .LBB1_14265
; %bb.50105:
	s_getpc_b64 s[14:15]
.Lpost_getpc10716:
	s_add_u32 s14, s14, (.LBB1_28601-.Lpost_getpc10716)&4294967295
	s_addc_u32 s15, s15, (.LBB1_28601-.Lpost_getpc10716)>>32
	s_setpc_b64 s[14:15]
.LBB1_14265:
	s_or_saveexec_b64 s[6:7], s[6:7]
	v_mov_b32_e32 v0, s10
	s_xor_b64 exec, exec, s[6:7]
	s_cbranch_execz .LBB1_14266
; %bb.50107:
	s_getpc_b64 s[14:15]
.Lpost_getpc10717:
	s_add_u32 s14, s14, (.LBB1_28604-.Lpost_getpc10717)&4294967295
	s_addc_u32 s15, s15, (.LBB1_28604-.Lpost_getpc10717)>>32
	s_setpc_b64 s[14:15]
.LBB1_14266:
	s_or_b64 exec, exec, s[6:7]
	s_and_saveexec_b64 s[6:7], s[4:5]
	s_cbranch_execz .LBB1_14268
.LBB1_14267:
	v_bfe_u32 v0, v5, 24, 3
	v_ffbh_u32_e32 v12, v0
	v_min_u32_e32 v12, 32, v12
	v_lshrrev_b32_e32 v10, 27, v5
	v_subrev_u32_e32 v13, 28, v12
	v_and_b32_e32 v4, 0x80000000, v5
	v_and_b32_e32 v10, 15, v10
	v_bfe_u32 v11, v5, 27, 4
	v_lshlrev_b32_sdwa v5, v13, v5 dst_sel:DWORD dst_unused:UNUSED_PAD src0_sel:DWORD src1_sel:BYTE_3
	v_sub_u32_e32 v12, 29, v12
	v_and_b32_e32 v5, 7, v5
	v_cmp_eq_u16_e32 vcc, 0, v10
	v_cndmask_b32_e32 v0, v0, v5, vcc
	v_cndmask_b32_e32 v5, v11, v12, vcc
	v_mov_b32_e32 v10, 0x3b800000
	v_lshlrev_b32_e32 v0, 20, v0
	v_lshl_add_u32 v5, v5, 23, v10
	v_or3_b32 v0, v4, v5, v0
.LBB1_14268:
	s_or_b64 exec, exec, s[6:7]
	s_movk_i32 s4, 0x7f
	v_cmp_gt_i16_sdwa s[6:7], v1, s4 src0_sel:BYTE_3 src1_sel:DWORD
	s_mov_b64 s[4:5], 0
                                        ; implicit-def: $sgpr10
	s_and_saveexec_b64 s[8:9], s[6:7]
	s_xor_b64 s[6:7], exec, s[8:9]
	s_cbranch_execz .LBB1_14269
; %bb.50109:
	s_getpc_b64 s[14:15]
.Lpost_getpc10718:
	s_add_u32 s14, s14, (.LBB1_28605-.Lpost_getpc10718)&4294967295
	s_addc_u32 s15, s15, (.LBB1_28605-.Lpost_getpc10718)>>32
	s_setpc_b64 s[14:15]
.LBB1_14269:
	s_or_saveexec_b64 s[6:7], s[6:7]
	v_mov_b32_e32 v4, s10
	s_xor_b64 exec, exec, s[6:7]
	s_cbranch_execz .LBB1_14270
; %bb.50111:
	s_getpc_b64 s[14:15]
.Lpost_getpc10719:
	s_add_u32 s14, s14, (.LBB1_28608-.Lpost_getpc10719)&4294967295
	s_addc_u32 s15, s15, (.LBB1_28608-.Lpost_getpc10719)>>32
	s_setpc_b64 s[14:15]
.LBB1_14270:
	s_or_b64 exec, exec, s[6:7]
	s_and_saveexec_b64 s[6:7], s[4:5]
	s_cbranch_execz .LBB1_14272
.LBB1_14271:
	v_bfe_u32 v4, v1, 24, 3
	v_ffbh_u32_e32 v12, v4
	v_min_u32_e32 v12, 32, v12
	v_lshrrev_b32_e32 v10, 27, v1
	v_subrev_u32_e32 v13, 28, v12
	v_and_b32_e32 v5, 0x80000000, v1
	v_and_b32_e32 v10, 15, v10
	v_bfe_u32 v11, v1, 27, 4
	v_lshlrev_b32_sdwa v1, v13, v1 dst_sel:DWORD dst_unused:UNUSED_PAD src0_sel:DWORD src1_sel:BYTE_3
	v_sub_u32_e32 v12, 29, v12
	v_and_b32_e32 v1, 7, v1
	v_cmp_eq_u16_e32 vcc, 0, v10
	v_cndmask_b32_e32 v1, v4, v1, vcc
	v_cndmask_b32_e32 v4, v11, v12, vcc
	v_mov_b32_e32 v10, 0x3b800000
	v_lshlrev_b32_e32 v1, 20, v1
	v_lshl_add_u32 v4, v4, 23, v10
	v_or3_b32 v4, v5, v4, v1
.LBB1_14272:
	s_or_b64 exec, exec, s[6:7]
	s_nop 0
	v_mfma_f32_16x16x4f32 a[0:3], v0, v4, a[0:3]
	s_movk_i32 s4, 0x7f
	v_cmp_gt_i16_sdwa s[6:7], v6, s4 src0_sel:BYTE_0 src1_sel:DWORD
	s_mov_b64 s[4:5], 0
                                        ; implicit-def: $sgpr10
	s_and_saveexec_b64 s[8:9], s[6:7]
	s_xor_b64 s[6:7], exec, s[8:9]
	s_cbranch_execz .LBB1_14273
; %bb.50113:
	s_getpc_b64 s[14:15]
.Lpost_getpc10720:
	s_add_u32 s14, s14, (.LBB1_28609-.Lpost_getpc10720)&4294967295
	s_addc_u32 s15, s15, (.LBB1_28609-.Lpost_getpc10720)>>32
	s_setpc_b64 s[14:15]
.LBB1_14273:
	s_or_saveexec_b64 s[6:7], s[6:7]
	v_mov_b32_e32 v0, s10
	s_xor_b64 exec, exec, s[6:7]
	s_cbranch_execz .LBB1_14274
; %bb.50115:
	s_getpc_b64 s[14:15]
.Lpost_getpc10721:
	s_add_u32 s14, s14, (.LBB1_28612-.Lpost_getpc10721)&4294967295
	s_addc_u32 s15, s15, (.LBB1_28612-.Lpost_getpc10721)>>32
	s_setpc_b64 s[14:15]
.LBB1_14274:
	s_or_b64 exec, exec, s[6:7]
	s_and_saveexec_b64 s[6:7], s[4:5]
	s_cbranch_execz .LBB1_14276
.LBB1_14275:
	v_and_b32_e32 v0, 7, v6
	v_ffbh_u32_e32 v4, v0
	v_min_u32_e32 v4, 32, v4
	v_lshrrev_b16_e32 v1, 3, v6
	v_subrev_u32_e32 v5, 28, v4
	v_and_b32_e32 v1, 15, v1
	v_lshlrev_b32_e32 v5, v5, v6
	v_sub_u32_e32 v4, 29, v4
	v_and_b32_e32 v5, 7, v5
	v_cmp_eq_u16_e32 vcc, 0, v1
	v_cndmask_b32_e32 v0, v0, v5, vcc
	v_cndmask_b32_e32 v1, v1, v4, vcc
	v_lshlrev_b32_e32 v4, 24, v6
	v_mov_b32_e32 v5, 0x3b800000
	v_lshlrev_b32_e32 v0, 20, v0
	v_and_b32_e32 v4, 0x80000000, v4
	v_lshl_add_u32 v1, v1, 23, v5
	v_or3_b32 v0, v4, v1, v0
.LBB1_14276:
	s_or_b64 exec, exec, s[6:7]
	s_movk_i32 s4, 0x7f
	v_cmp_gt_i16_sdwa s[6:7], v2, s4 src0_sel:BYTE_0 src1_sel:DWORD
	s_mov_b64 s[4:5], 0
                                        ; implicit-def: $sgpr10
	s_and_saveexec_b64 s[8:9], s[6:7]
	s_xor_b64 s[6:7], exec, s[8:9]
	s_cbranch_execz .LBB1_14277
; %bb.50117:
	s_getpc_b64 s[14:15]
.Lpost_getpc10722:
	s_add_u32 s14, s14, (.LBB1_28613-.Lpost_getpc10722)&4294967295
	s_addc_u32 s15, s15, (.LBB1_28613-.Lpost_getpc10722)>>32
	s_setpc_b64 s[14:15]
.LBB1_14277:
	s_or_saveexec_b64 s[6:7], s[6:7]
	v_mov_b32_e32 v1, s10
	s_xor_b64 exec, exec, s[6:7]
	s_cbranch_execz .LBB1_14278
; %bb.50119:
	s_getpc_b64 s[14:15]
.Lpost_getpc10723:
	s_add_u32 s14, s14, (.LBB1_28616-.Lpost_getpc10723)&4294967295
	s_addc_u32 s15, s15, (.LBB1_28616-.Lpost_getpc10723)>>32
	s_setpc_b64 s[14:15]
.LBB1_14278:
	s_or_b64 exec, exec, s[6:7]
	s_and_saveexec_b64 s[6:7], s[4:5]
	s_cbranch_execz .LBB1_14280
.LBB1_14279:
	v_and_b32_e32 v1, 7, v2
	v_ffbh_u32_e32 v5, v1
	v_min_u32_e32 v5, 32, v5
	v_lshrrev_b16_e32 v4, 3, v2
	v_subrev_u32_e32 v10, 28, v5
	v_and_b32_e32 v4, 15, v4
	v_lshlrev_b32_e32 v10, v10, v2
	v_sub_u32_e32 v5, 29, v5
	v_and_b32_e32 v10, 7, v10
	v_cmp_eq_u16_e32 vcc, 0, v4
	v_cndmask_b32_e32 v1, v1, v10, vcc
	v_cndmask_b32_e32 v4, v4, v5, vcc
	v_lshlrev_b32_e32 v5, 24, v2
	v_mov_b32_e32 v10, 0x3b800000
	v_lshlrev_b32_e32 v1, 20, v1
	v_and_b32_e32 v5, 0x80000000, v5
	v_lshl_add_u32 v4, v4, 23, v10
	v_or3_b32 v1, v5, v4, v1
.LBB1_14280:
	s_or_b64 exec, exec, s[6:7]
	s_nop 0
	v_mfma_f32_16x16x4f32 a[0:3], v0, v1, a[0:3]
	v_lshrrev_b32_e32 v1, 8, v6
	s_movk_i32 s4, 0x7f
	v_cmp_gt_i16_sdwa s[6:7], v1, s4 src0_sel:BYTE_0 src1_sel:DWORD
	s_mov_b64 s[4:5], 0
                                        ; implicit-def: $sgpr10
	s_and_saveexec_b64 s[8:9], s[6:7]
	s_xor_b64 s[6:7], exec, s[8:9]
	s_cbranch_execz .LBB1_14281
; %bb.50121:
	s_getpc_b64 s[14:15]
.Lpost_getpc10724:
	s_add_u32 s14, s14, (.LBB1_28617-.Lpost_getpc10724)&4294967295
	s_addc_u32 s15, s15, (.LBB1_28617-.Lpost_getpc10724)>>32
	s_setpc_b64 s[14:15]
.LBB1_14281:
	s_or_saveexec_b64 s[6:7], s[6:7]
	v_mov_b32_e32 v0, s10
	s_xor_b64 exec, exec, s[6:7]
	s_cbranch_execz .LBB1_14282
; %bb.50123:
	s_getpc_b64 s[14:15]
.Lpost_getpc10725:
	s_add_u32 s14, s14, (.LBB1_28620-.Lpost_getpc10725)&4294967295
	s_addc_u32 s15, s15, (.LBB1_28620-.Lpost_getpc10725)>>32
	s_setpc_b64 s[14:15]
.LBB1_14282:
	s_or_b64 exec, exec, s[6:7]
	s_and_saveexec_b64 s[6:7], s[4:5]
	s_cbranch_execz .LBB1_14284
.LBB1_14283:
	v_bfe_u32 v0, v6, 8, 3
	v_ffbh_u32_e32 v5, v0
	v_min_u32_e32 v5, 32, v5
	v_lshrrev_b16_e32 v4, 3, v1
	v_subrev_u32_e32 v10, 28, v5
	v_and_b32_e32 v4, 15, v4
	v_lshlrev_b32_e32 v1, v10, v1
	v_sub_u32_e32 v5, 29, v5
	v_and_b32_e32 v1, 7, v1
	v_cmp_eq_u16_e32 vcc, 0, v4
	v_cndmask_b32_e32 v0, v0, v1, vcc
	v_cndmask_b32_e32 v1, v4, v5, vcc
	v_lshlrev_b32_e32 v4, 16, v6
	v_mov_b32_e32 v5, 0x3b800000
	v_lshlrev_b32_e32 v0, 20, v0
	v_and_b32_e32 v4, 0x80000000, v4
	v_lshl_add_u32 v1, v1, 23, v5
	v_or3_b32 v0, v4, v1, v0
.LBB1_14284:
	s_or_b64 exec, exec, s[6:7]
	v_lshrrev_b32_e32 v1, 8, v2
	s_movk_i32 s4, 0x7f
	v_cmp_gt_i16_sdwa s[6:7], v1, s4 src0_sel:BYTE_0 src1_sel:DWORD
	s_mov_b64 s[4:5], 0
                                        ; implicit-def: $sgpr10
	s_and_saveexec_b64 s[8:9], s[6:7]
	s_xor_b64 s[6:7], exec, s[8:9]
	s_cbranch_execz .LBB1_14285
; %bb.50125:
	s_getpc_b64 s[14:15]
.Lpost_getpc10726:
	s_add_u32 s14, s14, (.LBB1_28621-.Lpost_getpc10726)&4294967295
	s_addc_u32 s15, s15, (.LBB1_28621-.Lpost_getpc10726)>>32
	s_setpc_b64 s[14:15]
.LBB1_14285:
	s_or_saveexec_b64 s[6:7], s[6:7]
	v_mov_b32_e32 v4, s10
	s_xor_b64 exec, exec, s[6:7]
	s_cbranch_execz .LBB1_14286
; %bb.50127:
	s_getpc_b64 s[14:15]
.Lpost_getpc10727:
	s_add_u32 s14, s14, (.LBB1_28624-.Lpost_getpc10727)&4294967295
	s_addc_u32 s15, s15, (.LBB1_28624-.Lpost_getpc10727)>>32
	s_setpc_b64 s[14:15]
.LBB1_14286:
	s_or_b64 exec, exec, s[6:7]
	s_and_saveexec_b64 s[6:7], s[4:5]
	s_cbranch_execz .LBB1_14288
.LBB1_14287:
	v_bfe_u32 v4, v2, 8, 3
	v_ffbh_u32_e32 v10, v4
	v_min_u32_e32 v10, 32, v10
	v_lshrrev_b16_e32 v5, 3, v1
	v_subrev_u32_e32 v11, 28, v10
	v_and_b32_e32 v5, 15, v5
	v_lshlrev_b32_e32 v1, v11, v1
	v_sub_u32_e32 v10, 29, v10
	v_and_b32_e32 v1, 7, v1
	v_cmp_eq_u16_e32 vcc, 0, v5
	v_cndmask_b32_e32 v1, v4, v1, vcc
	v_cndmask_b32_e32 v4, v5, v10, vcc
	v_lshlrev_b32_e32 v5, 16, v2
	v_mov_b32_e32 v10, 0x3b800000
	v_lshlrev_b32_e32 v1, 20, v1
	v_and_b32_e32 v5, 0x80000000, v5
	v_lshl_add_u32 v4, v4, 23, v10
	v_or3_b32 v4, v5, v4, v1
.LBB1_14288:
	s_or_b64 exec, exec, s[6:7]
	s_nop 0
	v_mfma_f32_16x16x4f32 a[0:3], v0, v4, a[0:3]
	s_movk_i32 s4, 0xff
	v_and_b32_sdwa v1, v6, s4 dst_sel:DWORD dst_unused:UNUSED_PAD src0_sel:WORD_1 src1_sel:DWORD
	s_movk_i32 s4, 0x7f
	v_cmp_lt_i16_e32 vcc, s4, v1
	s_mov_b64 s[4:5], 0
                                        ; implicit-def: $sgpr10
	s_and_saveexec_b64 s[6:7], vcc
	s_xor_b64 s[6:7], exec, s[6:7]
	s_cbranch_execz .LBB1_14289
; %bb.50129:
	s_getpc_b64 s[14:15]
.Lpost_getpc10728:
	s_add_u32 s14, s14, (.LBB1_28625-.Lpost_getpc10728)&4294967295
	s_addc_u32 s15, s15, (.LBB1_28625-.Lpost_getpc10728)>>32
	s_setpc_b64 s[14:15]
.LBB1_14289:
	s_or_saveexec_b64 s[6:7], s[6:7]
	v_mov_b32_e32 v0, s10
	s_xor_b64 exec, exec, s[6:7]
	s_cbranch_execz .LBB1_14290
; %bb.50131:
	s_getpc_b64 s[14:15]
.Lpost_getpc10729:
	s_add_u32 s14, s14, (.LBB1_28628-.Lpost_getpc10729)&4294967295
	s_addc_u32 s15, s15, (.LBB1_28628-.Lpost_getpc10729)>>32
	s_setpc_b64 s[14:15]
.LBB1_14290:
	s_or_b64 exec, exec, s[6:7]
	s_and_saveexec_b64 s[6:7], s[4:5]
	s_cbranch_execz .LBB1_14292
.LBB1_14291:
	v_bfe_u32 v0, v6, 16, 3
	v_ffbh_u32_e32 v5, v0
	v_min_u32_e32 v5, 32, v5
	v_lshrrev_b32_e32 v1, 19, v6
	v_subrev_u32_e32 v10, 28, v5
	v_and_b32_e32 v1, 15, v1
	v_lshlrev_b32_sdwa v10, v10, v6 dst_sel:DWORD dst_unused:UNUSED_PAD src0_sel:DWORD src1_sel:WORD_1
	v_bfe_u32 v4, v6, 19, 4
	v_sub_u32_e32 v5, 29, v5
	v_and_b32_e32 v10, 7, v10
	v_cmp_eq_u16_e32 vcc, 0, v1
	v_cndmask_b32_e32 v0, v0, v10, vcc
	v_cndmask_b32_e32 v1, v4, v5, vcc
	v_lshlrev_b32_e32 v4, 8, v6
	v_mov_b32_e32 v5, 0x3b800000
	v_lshlrev_b32_e32 v0, 20, v0
	v_and_b32_e32 v4, 0x80000000, v4
	v_lshl_add_u32 v1, v1, 23, v5
	v_or3_b32 v0, v4, v1, v0
.LBB1_14292:
	s_or_b64 exec, exec, s[6:7]
	s_movk_i32 s4, 0xff
	v_and_b32_sdwa v1, v2, s4 dst_sel:DWORD dst_unused:UNUSED_PAD src0_sel:WORD_1 src1_sel:DWORD
	s_movk_i32 s4, 0x7f
	v_cmp_lt_i16_e32 vcc, s4, v1
	s_mov_b64 s[4:5], 0
                                        ; implicit-def: $sgpr10
	s_and_saveexec_b64 s[6:7], vcc
	s_xor_b64 s[6:7], exec, s[6:7]
	s_cbranch_execz .LBB1_14293
; %bb.50133:
	s_getpc_b64 s[14:15]
.Lpost_getpc10730:
	s_add_u32 s14, s14, (.LBB1_28629-.Lpost_getpc10730)&4294967295
	s_addc_u32 s15, s15, (.LBB1_28629-.Lpost_getpc10730)>>32
	s_setpc_b64 s[14:15]
.LBB1_14293:
	s_or_saveexec_b64 s[6:7], s[6:7]
	v_mov_b32_e32 v4, s10
	s_xor_b64 exec, exec, s[6:7]
	s_cbranch_execz .LBB1_14294
; %bb.50135:
	s_getpc_b64 s[14:15]
.Lpost_getpc10731:
	s_add_u32 s14, s14, (.LBB1_28632-.Lpost_getpc10731)&4294967295
	s_addc_u32 s15, s15, (.LBB1_28632-.Lpost_getpc10731)>>32
	s_setpc_b64 s[14:15]
.LBB1_14294:
	s_or_b64 exec, exec, s[6:7]
	s_and_saveexec_b64 s[6:7], s[4:5]
	s_cbranch_execz .LBB1_14296
.LBB1_14295:
	v_bfe_u32 v1, v2, 16, 3
	v_ffbh_u32_e32 v10, v1
	v_min_u32_e32 v10, 32, v10
	v_lshrrev_b32_e32 v4, 19, v2
	v_subrev_u32_e32 v11, 28, v10
	v_and_b32_e32 v4, 15, v4
	v_lshlrev_b32_sdwa v11, v11, v2 dst_sel:DWORD dst_unused:UNUSED_PAD src0_sel:DWORD src1_sel:WORD_1
	v_bfe_u32 v5, v2, 19, 4
	v_sub_u32_e32 v10, 29, v10
	v_and_b32_e32 v11, 7, v11
	v_cmp_eq_u16_e32 vcc, 0, v4
	v_cndmask_b32_e32 v1, v1, v11, vcc
	v_cndmask_b32_e32 v4, v5, v10, vcc
	v_lshlrev_b32_e32 v5, 8, v2
	v_mov_b32_e32 v10, 0x3b800000
	v_lshlrev_b32_e32 v1, 20, v1
	v_and_b32_e32 v5, 0x80000000, v5
	v_lshl_add_u32 v4, v4, 23, v10
	v_or3_b32 v4, v5, v4, v1
.LBB1_14296:
	s_or_b64 exec, exec, s[6:7]
	s_nop 0
	v_mfma_f32_16x16x4f32 a[0:3], v0, v4, a[0:3]
	s_movk_i32 s4, 0x7f
	v_cmp_gt_i16_sdwa s[6:7], v6, s4 src0_sel:BYTE_3 src1_sel:DWORD
	s_mov_b64 s[4:5], 0
                                        ; implicit-def: $sgpr10
	s_and_saveexec_b64 s[8:9], s[6:7]
	s_xor_b64 s[6:7], exec, s[8:9]
	s_cbranch_execz .LBB1_14297
; %bb.50137:
	s_getpc_b64 s[14:15]
.Lpost_getpc10732:
	s_add_u32 s14, s14, (.LBB1_28633-.Lpost_getpc10732)&4294967295
	s_addc_u32 s15, s15, (.LBB1_28633-.Lpost_getpc10732)>>32
	s_setpc_b64 s[14:15]
.LBB1_14297:
	s_or_saveexec_b64 s[6:7], s[6:7]
	v_mov_b32_e32 v0, s10
	s_xor_b64 exec, exec, s[6:7]
	s_cbranch_execz .LBB1_14298
; %bb.50139:
	s_getpc_b64 s[14:15]
.Lpost_getpc10733:
	s_add_u32 s14, s14, (.LBB1_28636-.Lpost_getpc10733)&4294967295
	s_addc_u32 s15, s15, (.LBB1_28636-.Lpost_getpc10733)>>32
	s_setpc_b64 s[14:15]
.LBB1_14298:
	s_or_b64 exec, exec, s[6:7]
	s_and_saveexec_b64 s[6:7], s[4:5]
	s_cbranch_execz .LBB1_14300
.LBB1_14299:
	v_bfe_u32 v0, v6, 24, 3
	v_ffbh_u32_e32 v10, v0
	v_min_u32_e32 v10, 32, v10
	v_lshrrev_b32_e32 v4, 27, v6
	v_subrev_u32_e32 v11, 28, v10
	v_and_b32_e32 v1, 0x80000000, v6
	v_and_b32_e32 v4, 15, v4
	v_bfe_u32 v5, v6, 27, 4
	v_lshlrev_b32_sdwa v6, v11, v6 dst_sel:DWORD dst_unused:UNUSED_PAD src0_sel:DWORD src1_sel:BYTE_3
	v_sub_u32_e32 v10, 29, v10
	v_and_b32_e32 v6, 7, v6
	v_cmp_eq_u16_e32 vcc, 0, v4
	v_cndmask_b32_e32 v0, v0, v6, vcc
	v_cndmask_b32_e32 v4, v5, v10, vcc
	v_mov_b32_e32 v5, 0x3b800000
	v_lshlrev_b32_e32 v0, 20, v0
	v_lshl_add_u32 v4, v4, 23, v5
	v_or3_b32 v0, v1, v4, v0
.LBB1_14300:
	s_or_b64 exec, exec, s[6:7]
	s_movk_i32 s4, 0x7f
	v_cmp_gt_i16_sdwa s[6:7], v2, s4 src0_sel:BYTE_3 src1_sel:DWORD
	s_mov_b64 s[4:5], 0
                                        ; implicit-def: $sgpr10
	s_and_saveexec_b64 s[8:9], s[6:7]
	s_xor_b64 s[6:7], exec, s[8:9]
	s_cbranch_execz .LBB1_14301
; %bb.50141:
	s_getpc_b64 s[14:15]
.Lpost_getpc10734:
	s_add_u32 s14, s14, (.LBB1_28637-.Lpost_getpc10734)&4294967295
	s_addc_u32 s15, s15, (.LBB1_28637-.Lpost_getpc10734)>>32
	s_setpc_b64 s[14:15]
.LBB1_14301:
	s_or_saveexec_b64 s[6:7], s[6:7]
	v_mov_b32_e32 v1, s10
	s_xor_b64 exec, exec, s[6:7]
	s_cbranch_execz .LBB1_14302
; %bb.50143:
	s_getpc_b64 s[14:15]
.Lpost_getpc10735:
	s_add_u32 s14, s14, (.LBB1_28640-.Lpost_getpc10735)&4294967295
	s_addc_u32 s15, s15, (.LBB1_28640-.Lpost_getpc10735)>>32
	s_setpc_b64 s[14:15]
.LBB1_14302:
	s_or_b64 exec, exec, s[6:7]
	s_and_saveexec_b64 s[6:7], s[4:5]
	s_cbranch_execz .LBB1_14304
.LBB1_14303:
	v_bfe_u32 v1, v2, 24, 3
	v_ffbh_u32_e32 v10, v1
	v_min_u32_e32 v10, 32, v10
	v_lshrrev_b32_e32 v5, 27, v2
	v_subrev_u32_e32 v11, 28, v10
	v_and_b32_e32 v4, 0x80000000, v2
	v_and_b32_e32 v5, 15, v5
	v_bfe_u32 v6, v2, 27, 4
	v_lshlrev_b32_sdwa v2, v11, v2 dst_sel:DWORD dst_unused:UNUSED_PAD src0_sel:DWORD src1_sel:BYTE_3
	v_sub_u32_e32 v10, 29, v10
	v_and_b32_e32 v2, 7, v2
	v_cmp_eq_u16_e32 vcc, 0, v5
	v_cndmask_b32_e32 v1, v1, v2, vcc
	v_cndmask_b32_e32 v2, v6, v10, vcc
	v_mov_b32_e32 v5, 0x3b800000
	v_lshlrev_b32_e32 v1, 20, v1
	v_lshl_add_u32 v2, v2, 23, v5
	v_or3_b32 v1, v4, v2, v1
.LBB1_14304:
	s_or_b64 exec, exec, s[6:7]
	s_nop 0
	v_mfma_f32_16x16x4f32 a[0:3], v0, v1, a[0:3]
	s_movk_i32 s4, 0x7f
	v_cmp_gt_i16_sdwa s[6:7], v7, s4 src0_sel:BYTE_0 src1_sel:DWORD
	s_mov_b64 s[4:5], 0
                                        ; implicit-def: $sgpr10
	s_and_saveexec_b64 s[8:9], s[6:7]
	s_xor_b64 s[6:7], exec, s[8:9]
	s_cbranch_execz .LBB1_14305
; %bb.50145:
	s_getpc_b64 s[14:15]
.Lpost_getpc10736:
	s_add_u32 s14, s14, (.LBB1_28641-.Lpost_getpc10736)&4294967295
	s_addc_u32 s15, s15, (.LBB1_28641-.Lpost_getpc10736)>>32
	s_setpc_b64 s[14:15]
.LBB1_14305:
	s_or_saveexec_b64 s[6:7], s[6:7]
	v_mov_b32_e32 v0, s10
	s_xor_b64 exec, exec, s[6:7]
	s_cbranch_execz .LBB1_14306
; %bb.50147:
	s_getpc_b64 s[14:15]
.Lpost_getpc10737:
	s_add_u32 s14, s14, (.LBB1_28644-.Lpost_getpc10737)&4294967295
	s_addc_u32 s15, s15, (.LBB1_28644-.Lpost_getpc10737)>>32
	s_setpc_b64 s[14:15]
.LBB1_14306:
	s_or_b64 exec, exec, s[6:7]
	s_and_saveexec_b64 s[6:7], s[4:5]
	s_cbranch_execz .LBB1_14308
.LBB1_14307:
	v_mov_b32_e32 v0, 8
	v_and_b32_e32 v1, 7, v7
	v_lshrrev_b32_sdwa v0, v0, v7 dst_sel:BYTE_1 dst_unused:UNUSED_PAD src0_sel:DWORD src1_sel:DWORD
	v_ffbh_u32_e32 v2, v1
	v_or_b32_sdwa v0, v7, v0 dst_sel:DWORD dst_unused:UNUSED_PAD src0_sel:BYTE_0 src1_sel:DWORD
	v_min_u32_e32 v2, 32, v2
	v_lshrrev_b16_e32 v0, 3, v0
	v_subrev_u32_e32 v4, 28, v2
	v_and_b32_e32 v0, 15, v0
	v_lshlrev_b32_e32 v4, v4, v7
	v_sub_u32_e32 v2, 29, v2
	v_and_b32_e32 v4, 7, v4
	v_cmp_eq_u16_e32 vcc, 0, v0
	v_cndmask_b32_e32 v1, v1, v4, vcc
	v_cndmask_b32_e32 v0, v0, v2, vcc
	v_lshlrev_b32_e32 v2, 24, v7
	v_mov_b32_e32 v4, 0x3b800000
	v_lshlrev_b32_e32 v1, 20, v1
	v_and_b32_e32 v2, 0x80000000, v2
	v_lshl_add_u32 v0, v0, 23, v4
	v_or3_b32 v0, v2, v0, v1
.LBB1_14308:
	s_or_b64 exec, exec, s[6:7]
	s_movk_i32 s4, 0x7f
	v_cmp_gt_i16_sdwa s[6:7], v3, s4 src0_sel:BYTE_0 src1_sel:DWORD
	s_mov_b64 s[4:5], 0
                                        ; implicit-def: $sgpr10
	s_and_saveexec_b64 s[8:9], s[6:7]
	s_xor_b64 s[6:7], exec, s[8:9]
	s_cbranch_execz .LBB1_14309
; %bb.50149:
	s_getpc_b64 s[14:15]
.Lpost_getpc10738:
	s_add_u32 s14, s14, (.LBB1_28645-.Lpost_getpc10738)&4294967295
	s_addc_u32 s15, s15, (.LBB1_28645-.Lpost_getpc10738)>>32
	s_setpc_b64 s[14:15]
.LBB1_14309:
	s_or_saveexec_b64 s[6:7], s[6:7]
	v_mov_b32_e32 v1, s10
	s_xor_b64 exec, exec, s[6:7]
	s_cbranch_execz .LBB1_14310
; %bb.50151:
	s_getpc_b64 s[14:15]
.Lpost_getpc10739:
	s_add_u32 s14, s14, (.LBB1_28648-.Lpost_getpc10739)&4294967295
	s_addc_u32 s15, s15, (.LBB1_28648-.Lpost_getpc10739)>>32
	s_setpc_b64 s[14:15]
.LBB1_14310:
	s_or_b64 exec, exec, s[6:7]
	s_and_saveexec_b64 s[6:7], s[4:5]
	s_cbranch_execz .LBB1_14312
.LBB1_14311:
	v_mov_b32_e32 v1, 8
	v_and_b32_e32 v2, 7, v3
	v_lshrrev_b32_sdwa v1, v1, v3 dst_sel:BYTE_1 dst_unused:UNUSED_PAD src0_sel:DWORD src1_sel:DWORD
	v_ffbh_u32_e32 v4, v2
	v_or_b32_sdwa v1, v3, v1 dst_sel:DWORD dst_unused:UNUSED_PAD src0_sel:BYTE_0 src1_sel:DWORD
	v_min_u32_e32 v4, 32, v4
	v_lshrrev_b16_e32 v1, 3, v1
	v_subrev_u32_e32 v5, 28, v4
	v_and_b32_e32 v1, 15, v1
	v_lshlrev_b32_e32 v5, v5, v3
	v_sub_u32_e32 v4, 29, v4
	v_and_b32_e32 v5, 7, v5
	v_cmp_eq_u16_e32 vcc, 0, v1
	v_cndmask_b32_e32 v2, v2, v5, vcc
	v_cndmask_b32_e32 v1, v1, v4, vcc
	v_lshlrev_b32_e32 v4, 24, v3
	v_mov_b32_e32 v5, 0x3b800000
	v_lshlrev_b32_e32 v2, 20, v2
	v_and_b32_e32 v4, 0x80000000, v4
	v_lshl_add_u32 v1, v1, 23, v5
	v_or3_b32 v1, v4, v1, v2
.LBB1_14312:
	s_or_b64 exec, exec, s[6:7]
	s_nop 0
	v_mfma_f32_16x16x4f32 a[0:3], v0, v1, a[0:3]
	v_lshrrev_b32_e32 v1, 8, v7
	s_movk_i32 s4, 0x7f
	v_cmp_gt_i16_sdwa s[6:7], v1, s4 src0_sel:BYTE_0 src1_sel:DWORD
	s_mov_b64 s[4:5], 0
                                        ; implicit-def: $sgpr10
	s_and_saveexec_b64 s[8:9], s[6:7]
	s_xor_b64 s[6:7], exec, s[8:9]
	s_cbranch_execz .LBB1_14313
; %bb.50153:
	s_getpc_b64 s[14:15]
.Lpost_getpc10740:
	s_add_u32 s14, s14, (.LBB1_28649-.Lpost_getpc10740)&4294967295
	s_addc_u32 s15, s15, (.LBB1_28649-.Lpost_getpc10740)>>32
	s_setpc_b64 s[14:15]
.LBB1_14313:
	s_or_saveexec_b64 s[6:7], s[6:7]
	v_mov_b32_e32 v0, s10
	s_xor_b64 exec, exec, s[6:7]
	s_cbranch_execz .LBB1_14314
; %bb.50155:
	s_getpc_b64 s[14:15]
.Lpost_getpc10741:
	s_add_u32 s14, s14, (.LBB1_28652-.Lpost_getpc10741)&4294967295
	s_addc_u32 s15, s15, (.LBB1_28652-.Lpost_getpc10741)>>32
	s_setpc_b64 s[14:15]
.LBB1_14314:
	s_or_b64 exec, exec, s[6:7]
	s_and_saveexec_b64 s[6:7], s[4:5]
	s_cbranch_execz .LBB1_14316
.LBB1_14315:
	v_bfe_u32 v0, v7, 8, 3
	v_ffbh_u32_e32 v4, v0
	v_min_u32_e32 v4, 32, v4
	v_lshrrev_b16_e32 v2, 3, v1
	v_subrev_u32_e32 v5, 28, v4
	v_and_b32_e32 v2, 15, v2
	v_lshlrev_b32_e32 v1, v5, v1
	v_sub_u32_e32 v4, 29, v4
	v_and_b32_e32 v1, 7, v1
	v_cmp_eq_u16_e32 vcc, 0, v2
	v_cndmask_b32_e32 v0, v0, v1, vcc
	v_cndmask_b32_e32 v1, v2, v4, vcc
	v_lshlrev_b32_e32 v2, 16, v7
	v_mov_b32_e32 v4, 0x3b800000
	v_lshlrev_b32_e32 v0, 20, v0
	v_and_b32_e32 v2, 0x80000000, v2
	v_lshl_add_u32 v1, v1, 23, v4
	v_or3_b32 v0, v2, v1, v0
.LBB1_14316:
	s_or_b64 exec, exec, s[6:7]
	v_lshrrev_b32_e32 v1, 8, v3
	s_movk_i32 s4, 0x7f
	v_cmp_gt_i16_sdwa s[6:7], v1, s4 src0_sel:BYTE_0 src1_sel:DWORD
	s_mov_b64 s[4:5], 0
                                        ; implicit-def: $sgpr10
	s_and_saveexec_b64 s[8:9], s[6:7]
	s_xor_b64 s[6:7], exec, s[8:9]
	s_cbranch_execz .LBB1_14317
; %bb.50157:
	s_getpc_b64 s[14:15]
.Lpost_getpc10742:
	s_add_u32 s14, s14, (.LBB1_28653-.Lpost_getpc10742)&4294967295
	s_addc_u32 s15, s15, (.LBB1_28653-.Lpost_getpc10742)>>32
	s_setpc_b64 s[14:15]
.LBB1_14317:
	s_or_saveexec_b64 s[6:7], s[6:7]
	v_mov_b32_e32 v2, s10
	s_xor_b64 exec, exec, s[6:7]
	s_cbranch_execz .LBB1_14318
; %bb.50159:
	s_getpc_b64 s[14:15]
.Lpost_getpc10743:
	s_add_u32 s14, s14, (.LBB1_28656-.Lpost_getpc10743)&4294967295
	s_addc_u32 s15, s15, (.LBB1_28656-.Lpost_getpc10743)>>32
	s_setpc_b64 s[14:15]
.LBB1_14318:
	s_or_b64 exec, exec, s[6:7]
	s_and_saveexec_b64 s[6:7], s[4:5]
	s_cbranch_execz .LBB1_14320
.LBB1_14319:
	v_bfe_u32 v2, v3, 8, 3
	v_ffbh_u32_e32 v5, v2
	v_min_u32_e32 v5, 32, v5
	v_lshrrev_b16_e32 v4, 3, v1
	v_subrev_u32_e32 v6, 28, v5
	v_and_b32_e32 v4, 15, v4
	v_lshlrev_b32_e32 v1, v6, v1
	v_sub_u32_e32 v5, 29, v5
	v_and_b32_e32 v1, 7, v1
	v_cmp_eq_u16_e32 vcc, 0, v4
	v_cndmask_b32_e32 v1, v2, v1, vcc
	v_cndmask_b32_e32 v2, v4, v5, vcc
	v_lshlrev_b32_e32 v4, 16, v3
	v_mov_b32_e32 v5, 0x3b800000
	v_lshlrev_b32_e32 v1, 20, v1
	v_and_b32_e32 v4, 0x80000000, v4
	v_lshl_add_u32 v2, v2, 23, v5
	v_or3_b32 v2, v4, v2, v1
.LBB1_14320:
	s_or_b64 exec, exec, s[6:7]
	s_nop 0
	v_mfma_f32_16x16x4f32 a[0:3], v0, v2, a[0:3]
	s_movk_i32 s4, 0xff
	v_and_b32_sdwa v1, v7, s4 dst_sel:DWORD dst_unused:UNUSED_PAD src0_sel:WORD_1 src1_sel:DWORD
	s_movk_i32 s4, 0x7f
	v_cmp_lt_i16_e32 vcc, s4, v1
	s_mov_b64 s[4:5], 0
                                        ; implicit-def: $sgpr10
	s_and_saveexec_b64 s[6:7], vcc
	s_xor_b64 s[6:7], exec, s[6:7]
	s_cbranch_execz .LBB1_14321
; %bb.50161:
	s_getpc_b64 s[14:15]
.Lpost_getpc10744:
	s_add_u32 s14, s14, (.LBB1_28657-.Lpost_getpc10744)&4294967295
	s_addc_u32 s15, s15, (.LBB1_28657-.Lpost_getpc10744)>>32
	s_setpc_b64 s[14:15]
.LBB1_14321:
	s_or_saveexec_b64 s[6:7], s[6:7]
	v_mov_b32_e32 v0, s10
	s_xor_b64 exec, exec, s[6:7]
	s_cbranch_execz .LBB1_14322
; %bb.50163:
	s_getpc_b64 s[14:15]
.Lpost_getpc10745:
	s_add_u32 s14, s14, (.LBB1_28660-.Lpost_getpc10745)&4294967295
	s_addc_u32 s15, s15, (.LBB1_28660-.Lpost_getpc10745)>>32
	s_setpc_b64 s[14:15]
.LBB1_14322:
	s_or_b64 exec, exec, s[6:7]
	s_and_saveexec_b64 s[6:7], s[4:5]
	s_cbranch_execz .LBB1_14324
.LBB1_14323:
	v_bfe_u32 v0, v7, 16, 3
	v_ffbh_u32_e32 v4, v0
	v_min_u32_e32 v4, 32, v4
	v_lshrrev_b32_e32 v1, 19, v7
	v_subrev_u32_e32 v5, 28, v4
	v_and_b32_e32 v1, 15, v1
	v_lshlrev_b32_sdwa v5, v5, v7 dst_sel:DWORD dst_unused:UNUSED_PAD src0_sel:DWORD src1_sel:WORD_1
	v_bfe_u32 v2, v7, 19, 4
	v_sub_u32_e32 v4, 29, v4
	v_and_b32_e32 v5, 7, v5
	v_cmp_eq_u16_e32 vcc, 0, v1
	v_cndmask_b32_e32 v0, v0, v5, vcc
	v_cndmask_b32_e32 v1, v2, v4, vcc
	v_lshlrev_b32_e32 v2, 8, v7
	v_mov_b32_e32 v4, 0x3b800000
	v_lshlrev_b32_e32 v0, 20, v0
	v_and_b32_e32 v2, 0x80000000, v2
	v_lshl_add_u32 v1, v1, 23, v4
	v_or3_b32 v0, v2, v1, v0
.LBB1_14324:
	s_or_b64 exec, exec, s[6:7]
	s_movk_i32 s4, 0xff
	v_and_b32_sdwa v1, v3, s4 dst_sel:DWORD dst_unused:UNUSED_PAD src0_sel:WORD_1 src1_sel:DWORD
	s_movk_i32 s4, 0x7f
	v_cmp_lt_i16_e32 vcc, s4, v1
	s_mov_b64 s[4:5], 0
                                        ; implicit-def: $sgpr10
	s_and_saveexec_b64 s[6:7], vcc
	s_xor_b64 s[6:7], exec, s[6:7]
	s_cbranch_execz .LBB1_14325
; %bb.50165:
	s_getpc_b64 s[14:15]
.Lpost_getpc10746:
	s_add_u32 s14, s14, (.LBB1_28661-.Lpost_getpc10746)&4294967295
	s_addc_u32 s15, s15, (.LBB1_28661-.Lpost_getpc10746)>>32
	s_setpc_b64 s[14:15]
.LBB1_14325:
	s_or_saveexec_b64 s[6:7], s[6:7]
	v_mov_b32_e32 v2, s10
	s_xor_b64 exec, exec, s[6:7]
	s_cbranch_execz .LBB1_14326
; %bb.50167:
	s_getpc_b64 s[14:15]
.Lpost_getpc10747:
	s_add_u32 s14, s14, (.LBB1_28664-.Lpost_getpc10747)&4294967295
	s_addc_u32 s15, s15, (.LBB1_28664-.Lpost_getpc10747)>>32
	s_setpc_b64 s[14:15]
.LBB1_14326:
	s_or_b64 exec, exec, s[6:7]
	s_and_saveexec_b64 s[6:7], s[4:5]
	s_cbranch_execz .LBB1_14328
.LBB1_14327:
	v_bfe_u32 v1, v3, 16, 3
	v_ffbh_u32_e32 v5, v1
	v_min_u32_e32 v5, 32, v5
	v_lshrrev_b32_e32 v2, 19, v3
	v_subrev_u32_e32 v6, 28, v5
	v_and_b32_e32 v2, 15, v2
	v_lshlrev_b32_sdwa v6, v6, v3 dst_sel:DWORD dst_unused:UNUSED_PAD src0_sel:DWORD src1_sel:WORD_1
	v_bfe_u32 v4, v3, 19, 4
	v_sub_u32_e32 v5, 29, v5
	v_and_b32_e32 v6, 7, v6
	v_cmp_eq_u16_e32 vcc, 0, v2
	v_cndmask_b32_e32 v1, v1, v6, vcc
	v_cndmask_b32_e32 v2, v4, v5, vcc
	v_lshlrev_b32_e32 v4, 8, v3
	v_mov_b32_e32 v5, 0x3b800000
	v_lshlrev_b32_e32 v1, 20, v1
	v_and_b32_e32 v4, 0x80000000, v4
	v_lshl_add_u32 v2, v2, 23, v5
	v_or3_b32 v2, v4, v2, v1
.LBB1_14328:
	s_or_b64 exec, exec, s[6:7]
	s_nop 0
	v_mfma_f32_16x16x4f32 a[0:3], v0, v2, a[0:3]
	s_movk_i32 s4, 0x7f
	v_cmp_gt_i16_sdwa s[6:7], v7, s4 src0_sel:BYTE_3 src1_sel:DWORD
	s_mov_b64 s[4:5], 0
                                        ; implicit-def: $sgpr10
	s_and_saveexec_b64 s[8:9], s[6:7]
	s_xor_b64 s[6:7], exec, s[8:9]
	s_cbranch_execz .LBB1_14329
; %bb.50169:
	s_getpc_b64 s[14:15]
.Lpost_getpc10748:
	s_add_u32 s14, s14, (.LBB1_28665-.Lpost_getpc10748)&4294967295
	s_addc_u32 s15, s15, (.LBB1_28665-.Lpost_getpc10748)>>32
	s_setpc_b64 s[14:15]
.LBB1_14329:
	s_or_saveexec_b64 s[6:7], s[6:7]
	v_mov_b32_e32 v0, s10
	s_xor_b64 exec, exec, s[6:7]
	s_cbranch_execz .LBB1_14330
; %bb.50171:
	s_getpc_b64 s[14:15]
.Lpost_getpc10749:
	s_add_u32 s14, s14, (.LBB1_28668-.Lpost_getpc10749)&4294967295
	s_addc_u32 s15, s15, (.LBB1_28668-.Lpost_getpc10749)>>32
	s_setpc_b64 s[14:15]
.LBB1_14330:
	s_or_b64 exec, exec, s[6:7]
	s_and_saveexec_b64 s[6:7], s[4:5]
	s_cbranch_execz .LBB1_14332
.LBB1_14331:
	v_bfe_u32 v0, v7, 24, 3
	v_ffbh_u32_e32 v5, v0
	v_min_u32_e32 v5, 32, v5
	v_lshrrev_b32_e32 v2, 27, v7
	v_subrev_u32_e32 v6, 28, v5
	v_and_b32_e32 v2, 15, v2
	v_lshlrev_b32_sdwa v6, v6, v7 dst_sel:DWORD dst_unused:UNUSED_PAD src0_sel:DWORD src1_sel:BYTE_3
	v_bfe_u32 v4, v7, 27, 4
	v_sub_u32_e32 v5, 29, v5
	v_and_b32_e32 v6, 7, v6
	v_cmp_eq_u16_e32 vcc, 0, v2
	v_cndmask_b32_e32 v0, v0, v6, vcc
	v_cndmask_b32_e32 v2, v4, v5, vcc
	v_mov_b32_e32 v4, 0x3b800000
	v_and_b32_e32 v1, 0x80000000, v7
	v_lshlrev_b32_e32 v0, 20, v0
	v_lshl_add_u32 v2, v2, 23, v4
	v_or3_b32 v0, v1, v2, v0
.LBB1_14332:
	s_or_b64 exec, exec, s[6:7]
	s_movk_i32 s4, 0x7f
	v_cmp_gt_i16_sdwa s[6:7], v3, s4 src0_sel:BYTE_3 src1_sel:DWORD
	s_mov_b64 s[4:5], 0
                                        ; implicit-def: $sgpr10
	s_and_saveexec_b64 s[8:9], s[6:7]
	s_xor_b64 s[6:7], exec, s[8:9]
	s_cbranch_execz .LBB1_14333
; %bb.50173:
	s_getpc_b64 s[14:15]
.Lpost_getpc10750:
	s_add_u32 s14, s14, (.LBB1_28669-.Lpost_getpc10750)&4294967295
	s_addc_u32 s15, s15, (.LBB1_28669-.Lpost_getpc10750)>>32
	s_setpc_b64 s[14:15]
.LBB1_14333:
	s_or_saveexec_b64 s[6:7], s[6:7]
	v_mov_b32_e32 v1, s10
	s_xor_b64 exec, exec, s[6:7]
	s_cbranch_execz .LBB1_14334
; %bb.50175:
	s_getpc_b64 s[14:15]
.Lpost_getpc10751:
	s_add_u32 s14, s14, (.LBB1_28672-.Lpost_getpc10751)&4294967295
	s_addc_u32 s15, s15, (.LBB1_28672-.Lpost_getpc10751)>>32
	s_setpc_b64 s[14:15]
.LBB1_14334:
	s_or_b64 exec, exec, s[6:7]
	s_and_saveexec_b64 s[6:7], s[4:5]
	s_cbranch_execz .LBB1_14336
.LBB1_14335:
	v_bfe_u32 v1, v3, 24, 3
	v_ffbh_u32_e32 v6, v1
	v_min_u32_e32 v6, 32, v6
	v_lshrrev_b32_e32 v4, 27, v3
	v_subrev_u32_e32 v7, 28, v6
	v_and_b32_e32 v2, 0x80000000, v3
	v_and_b32_e32 v4, 15, v4
	v_bfe_u32 v5, v3, 27, 4
	v_lshlrev_b32_sdwa v3, v7, v3 dst_sel:DWORD dst_unused:UNUSED_PAD src0_sel:DWORD src1_sel:BYTE_3
	v_sub_u32_e32 v6, 29, v6
	v_and_b32_e32 v3, 7, v3
	v_cmp_eq_u16_e32 vcc, 0, v4
	v_cndmask_b32_e32 v1, v1, v3, vcc
	v_cndmask_b32_e32 v3, v5, v6, vcc
	v_mov_b32_e32 v4, 0x3b800000
	v_lshlrev_b32_e32 v1, 20, v1
	v_lshl_add_u32 v3, v3, 23, v4
	v_or3_b32 v1, v2, v3, v1
.LBB1_14336:
	s_or_b64 exec, exec, s[6:7]
	s_nop 0
	v_mfma_f32_16x16x4f32 a[0:3], v0, v1, a[0:3]
	s_nop 7
	s_nop 2
	flat_store_dwordx4 v[8:9], a[0:3] offset:880
	s_waitcnt vmcnt(0) lgkmcnt(0)
	s_setpc_b64 s[30:31]
.LBB1_14337:
	s_movk_i32 s4, 0x80
	v_cmp_eq_u16_sdwa s[12:13], v6, s4 src0_sel:BYTE_0 src1_sel:DWORD
	s_mov_b64 s[4:5], -1
                                        ; implicit-def: $sgpr10
	s_and_saveexec_b64 s[8:9], s[12:13]
; %bb.14338:
	s_mov_b32 s10, 0x7f800001
	s_xor_b64 s[4:5], exec, -1
; %bb.14339:
	s_or_b64 exec, exec, s[8:9]
	s_and_b64 s[4:5], s[4:5], exec
	s_or_saveexec_b64 s[6:7], s[6:7]
	v_mov_b32_e32 v12, s10
	s_xor_b64 exec, exec, s[6:7]
	s_cbranch_execnz .LBB1_14340
; %bb.50177:
	s_getpc_b64 s[14:15]
.Lpost_getpc10752:
	s_add_u32 s14, s14, (.LBB1_2-.Lpost_getpc10752)&4294967295
	s_addc_u32 s15, s15, (.LBB1_2-.Lpost_getpc10752)>>32
	s_setpc_b64 s[14:15]
.LBB1_14340:
	v_mov_b32_e32 v12, 0
	v_cmp_ne_u16_sdwa s[8:9], v6, v12 src0_sel:BYTE_0 src1_sel:DWORD
	s_andn2_b64 s[4:5], s[4:5], exec
	s_and_b64 s[8:9], s[8:9], exec
	s_or_b64 s[4:5], s[4:5], s[8:9]
	s_or_b64 exec, exec, s[6:7]
	s_and_saveexec_b64 s[6:7], s[4:5]
	s_cbranch_execz .LBB1_28673
; %bb.50179:
	s_getpc_b64 s[14:15]
.Lpost_getpc10753:
	s_add_u32 s14, s14, (.LBB1_3-.Lpost_getpc10753)&4294967295
	s_addc_u32 s15, s15, (.LBB1_3-.Lpost_getpc10753)>>32
	s_setpc_b64 s[14:15]
.LBB1_28673:
	s_getpc_b64 s[14:15]
.Lpost_getpc0:
	s_add_u32 s14, s14, (.LBB1_4-.Lpost_getpc0)&4294967295
	s_addc_u32 s15, s15, (.LBB1_4-.Lpost_getpc0)>>32
	s_setpc_b64 s[14:15]
.LBB1_14341:
	s_movk_i32 s4, 0x80
	v_cmp_eq_u16_sdwa s[12:13], v2, s4 src0_sel:BYTE_0 src1_sel:DWORD
	s_mov_b64 s[4:5], -1
                                        ; implicit-def: $sgpr10
	s_and_saveexec_b64 s[8:9], s[12:13]
; %bb.14342:
	s_mov_b32 s10, 0x7f800001
	s_xor_b64 s[4:5], exec, -1
; %bb.14343:
	s_or_b64 exec, exec, s[8:9]
	s_and_b64 s[4:5], s[4:5], exec
	s_or_saveexec_b64 s[6:7], s[6:7]
	v_mov_b32_e32 v13, s10
	s_xor_b64 exec, exec, s[6:7]
	s_cbranch_execnz .LBB1_14344
; %bb.50181:
	s_getpc_b64 s[14:15]
.Lpost_getpc10754:
	s_add_u32 s14, s14, (.LBB1_6-.Lpost_getpc10754)&4294967295
	s_addc_u32 s15, s15, (.LBB1_6-.Lpost_getpc10754)>>32
	s_setpc_b64 s[14:15]
.LBB1_14344:
	v_mov_b32_e32 v13, 0
	v_cmp_ne_u16_sdwa s[8:9], v2, v13 src0_sel:BYTE_0 src1_sel:DWORD
	s_andn2_b64 s[4:5], s[4:5], exec
	s_and_b64 s[8:9], s[8:9], exec
	s_or_b64 s[4:5], s[4:5], s[8:9]
	s_or_b64 exec, exec, s[6:7]
	s_and_saveexec_b64 s[6:7], s[4:5]
	s_cbranch_execz .LBB1_28675
; %bb.50183:
	s_getpc_b64 s[14:15]
.Lpost_getpc10755:
	s_add_u32 s14, s14, (.LBB1_7-.Lpost_getpc10755)&4294967295
	s_addc_u32 s15, s15, (.LBB1_7-.Lpost_getpc10755)>>32
	s_setpc_b64 s[14:15]
.LBB1_28675:
	s_getpc_b64 s[14:15]
.Lpost_getpc1:
	s_add_u32 s14, s14, (.LBB1_8-.Lpost_getpc1)&4294967295
	s_addc_u32 s15, s15, (.LBB1_8-.Lpost_getpc1)>>32
	s_setpc_b64 s[14:15]
.LBB1_14345:
	s_movk_i32 s4, 0x80
	v_cmp_eq_u16_sdwa s[12:13], v13, s4 src0_sel:BYTE_0 src1_sel:DWORD
	s_mov_b64 s[4:5], -1
                                        ; implicit-def: $sgpr10
	s_and_saveexec_b64 s[8:9], s[12:13]
; %bb.14346:
	s_mov_b32 s10, 0x7f800001
	s_xor_b64 s[4:5], exec, -1
; %bb.14347:
	s_or_b64 exec, exec, s[8:9]
	s_and_b64 s[4:5], s[4:5], exec
	s_or_saveexec_b64 s[6:7], s[6:7]
	v_mov_b32_e32 v12, s10
	s_xor_b64 exec, exec, s[6:7]
	s_cbranch_execnz .LBB1_14348
; %bb.50185:
	s_getpc_b64 s[14:15]
.Lpost_getpc10756:
	s_add_u32 s14, s14, (.LBB1_10-.Lpost_getpc10756)&4294967295
	s_addc_u32 s15, s15, (.LBB1_10-.Lpost_getpc10756)>>32
	s_setpc_b64 s[14:15]
.LBB1_14348:
	v_mov_b32_e32 v12, 0
	v_cmp_ne_u16_sdwa s[8:9], v13, v12 src0_sel:BYTE_0 src1_sel:DWORD
	s_andn2_b64 s[4:5], s[4:5], exec
	s_and_b64 s[8:9], s[8:9], exec
	s_or_b64 s[4:5], s[4:5], s[8:9]
	s_or_b64 exec, exec, s[6:7]
	s_and_saveexec_b64 s[6:7], s[4:5]
	s_cbranch_execz .LBB1_28677
; %bb.50187:
	s_getpc_b64 s[14:15]
.Lpost_getpc10757:
	s_add_u32 s14, s14, (.LBB1_11-.Lpost_getpc10757)&4294967295
	s_addc_u32 s15, s15, (.LBB1_11-.Lpost_getpc10757)>>32
	s_setpc_b64 s[14:15]
.LBB1_28677:
	s_getpc_b64 s[14:15]
.Lpost_getpc2:
	s_add_u32 s14, s14, (.LBB1_12-.Lpost_getpc2)&4294967295
	s_addc_u32 s15, s15, (.LBB1_12-.Lpost_getpc2)>>32
	s_setpc_b64 s[14:15]
.LBB1_14349:
	s_movk_i32 s4, 0x80
	v_cmp_eq_u16_sdwa s[12:13], v13, s4 src0_sel:BYTE_0 src1_sel:DWORD
	s_mov_b64 s[4:5], -1
                                        ; implicit-def: $sgpr10
	s_and_saveexec_b64 s[8:9], s[12:13]
; %bb.14350:
	s_mov_b32 s10, 0x7f800001
	s_xor_b64 s[4:5], exec, -1
; %bb.14351:
	s_or_b64 exec, exec, s[8:9]
	s_and_b64 s[4:5], s[4:5], exec
	s_or_saveexec_b64 s[6:7], s[6:7]
	v_mov_b32_e32 v14, s10
	s_xor_b64 exec, exec, s[6:7]
	s_cbranch_execnz .LBB1_14352
; %bb.50189:
	s_getpc_b64 s[14:15]
.Lpost_getpc10758:
	s_add_u32 s14, s14, (.LBB1_14-.Lpost_getpc10758)&4294967295
	s_addc_u32 s15, s15, (.LBB1_14-.Lpost_getpc10758)>>32
	s_setpc_b64 s[14:15]
.LBB1_14352:
	v_mov_b32_e32 v14, 0
	v_cmp_ne_u16_sdwa s[8:9], v13, v14 src0_sel:BYTE_0 src1_sel:DWORD
	s_andn2_b64 s[4:5], s[4:5], exec
	s_and_b64 s[8:9], s[8:9], exec
	s_or_b64 s[4:5], s[4:5], s[8:9]
	s_or_b64 exec, exec, s[6:7]
	s_and_saveexec_b64 s[6:7], s[4:5]
	s_cbranch_execz .LBB1_28679
; %bb.50191:
	s_getpc_b64 s[14:15]
.Lpost_getpc10759:
	s_add_u32 s14, s14, (.LBB1_15-.Lpost_getpc10759)&4294967295
	s_addc_u32 s15, s15, (.LBB1_15-.Lpost_getpc10759)>>32
	s_setpc_b64 s[14:15]
.LBB1_28679:
	s_getpc_b64 s[14:15]
.Lpost_getpc3:
	s_add_u32 s14, s14, (.LBB1_16-.Lpost_getpc3)&4294967295
	s_addc_u32 s15, s15, (.LBB1_16-.Lpost_getpc3)>>32
	s_setpc_b64 s[14:15]
.LBB1_14353:
	s_movk_i32 s4, 0x80
	v_cmp_eq_u16_e32 vcc, s4, v13
	s_mov_b64 s[4:5], -1
                                        ; implicit-def: $sgpr10
	s_and_saveexec_b64 s[8:9], vcc
; %bb.14354:
	s_mov_b32 s10, 0x7f800001
	s_xor_b64 s[4:5], exec, -1
; %bb.14355:
	s_or_b64 exec, exec, s[8:9]
	s_and_b64 s[4:5], s[4:5], exec
                                        ; implicit-def: $vgpr13
	s_or_saveexec_b64 s[6:7], s[6:7]
	v_mov_b32_e32 v12, s10
	s_xor_b64 exec, exec, s[6:7]
	s_cbranch_execnz .LBB1_14356
; %bb.50193:
	s_getpc_b64 s[14:15]
.Lpost_getpc10760:
	s_add_u32 s14, s14, (.LBB1_18-.Lpost_getpc10760)&4294967295
	s_addc_u32 s15, s15, (.LBB1_18-.Lpost_getpc10760)>>32
	s_setpc_b64 s[14:15]
.LBB1_14356:
	v_cmp_ne_u16_e32 vcc, 0, v13
	s_andn2_b64 s[4:5], s[4:5], exec
	s_and_b64 s[8:9], vcc, exec
	v_mov_b32_e32 v12, 0
	s_or_b64 s[4:5], s[4:5], s[8:9]
	s_or_b64 exec, exec, s[6:7]
	s_and_saveexec_b64 s[6:7], s[4:5]
	s_cbranch_execz .LBB1_28681
; %bb.50195:
	s_getpc_b64 s[14:15]
.Lpost_getpc10761:
	s_add_u32 s14, s14, (.LBB1_19-.Lpost_getpc10761)&4294967295
	s_addc_u32 s15, s15, (.LBB1_19-.Lpost_getpc10761)>>32
	s_setpc_b64 s[14:15]
.LBB1_28681:
	s_getpc_b64 s[14:15]
.Lpost_getpc4:
	s_add_u32 s14, s14, (.LBB1_20-.Lpost_getpc4)&4294967295
	s_addc_u32 s15, s15, (.LBB1_20-.Lpost_getpc4)>>32
	s_setpc_b64 s[14:15]
.LBB1_14357:
	s_movk_i32 s4, 0x80
	v_cmp_eq_u16_e32 vcc, s4, v13
	s_mov_b64 s[4:5], -1
                                        ; implicit-def: $sgpr10
	s_and_saveexec_b64 s[8:9], vcc
; %bb.14358:
	s_mov_b32 s10, 0x7f800001
	s_xor_b64 s[4:5], exec, -1
; %bb.14359:
	s_or_b64 exec, exec, s[8:9]
	s_and_b64 s[4:5], s[4:5], exec
                                        ; implicit-def: $vgpr13
	s_or_saveexec_b64 s[6:7], s[6:7]
	v_mov_b32_e32 v14, s10
	s_xor_b64 exec, exec, s[6:7]
	s_cbranch_execnz .LBB1_14360
; %bb.50197:
	s_getpc_b64 s[14:15]
.Lpost_getpc10762:
	s_add_u32 s14, s14, (.LBB1_22-.Lpost_getpc10762)&4294967295
	s_addc_u32 s15, s15, (.LBB1_22-.Lpost_getpc10762)>>32
	s_setpc_b64 s[14:15]
.LBB1_14360:
	v_cmp_ne_u16_e32 vcc, 0, v13
	s_andn2_b64 s[4:5], s[4:5], exec
	s_and_b64 s[8:9], vcc, exec
	v_mov_b32_e32 v14, 0
	s_or_b64 s[4:5], s[4:5], s[8:9]
	s_or_b64 exec, exec, s[6:7]
	s_and_saveexec_b64 s[6:7], s[4:5]
	s_cbranch_execz .LBB1_28683
; %bb.50199:
	s_getpc_b64 s[14:15]
.Lpost_getpc10763:
	s_add_u32 s14, s14, (.LBB1_23-.Lpost_getpc10763)&4294967295
	s_addc_u32 s15, s15, (.LBB1_23-.Lpost_getpc10763)>>32
	s_setpc_b64 s[14:15]
.LBB1_28683:
	s_getpc_b64 s[14:15]
.Lpost_getpc5:
	s_add_u32 s14, s14, (.LBB1_24-.Lpost_getpc5)&4294967295
	s_addc_u32 s15, s15, (.LBB1_24-.Lpost_getpc5)>>32
	s_setpc_b64 s[14:15]
.LBB1_14361:
	s_movk_i32 s4, 0x80
	v_cmp_eq_u16_sdwa s[12:13], v6, s4 src0_sel:BYTE_3 src1_sel:DWORD
	s_mov_b64 s[4:5], -1
                                        ; implicit-def: $sgpr10
	s_and_saveexec_b64 s[8:9], s[12:13]
; %bb.14362:
	s_mov_b32 s10, 0x7f800001
	s_xor_b64 s[4:5], exec, -1
; %bb.14363:
	s_or_b64 exec, exec, s[8:9]
	s_and_b64 s[4:5], s[4:5], exec
	s_or_saveexec_b64 s[6:7], s[6:7]
	v_mov_b32_e32 v12, s10
	s_xor_b64 exec, exec, s[6:7]
	s_cbranch_execnz .LBB1_14364
; %bb.50201:
	s_getpc_b64 s[14:15]
.Lpost_getpc10764:
	s_add_u32 s14, s14, (.LBB1_26-.Lpost_getpc10764)&4294967295
	s_addc_u32 s15, s15, (.LBB1_26-.Lpost_getpc10764)>>32
	s_setpc_b64 s[14:15]
.LBB1_14364:
	v_mov_b32_e32 v12, 0
	v_cmp_ne_u16_sdwa s[8:9], v6, v12 src0_sel:BYTE_3 src1_sel:DWORD
	s_andn2_b64 s[4:5], s[4:5], exec
	s_and_b64 s[8:9], s[8:9], exec
	s_or_b64 s[4:5], s[4:5], s[8:9]
	s_or_b64 exec, exec, s[6:7]
	s_and_saveexec_b64 s[6:7], s[4:5]
	s_cbranch_execz .LBB1_28685
; %bb.50203:
	s_getpc_b64 s[14:15]
.Lpost_getpc10765:
	s_add_u32 s14, s14, (.LBB1_27-.Lpost_getpc10765)&4294967295
	s_addc_u32 s15, s15, (.LBB1_27-.Lpost_getpc10765)>>32
	s_setpc_b64 s[14:15]
.LBB1_28685:
	s_getpc_b64 s[14:15]
.Lpost_getpc6:
	s_add_u32 s14, s14, (.LBB1_28-.Lpost_getpc6)&4294967295
	s_addc_u32 s15, s15, (.LBB1_28-.Lpost_getpc6)>>32
	s_setpc_b64 s[14:15]
.LBB1_14365:
	s_movk_i32 s4, 0x80
	v_cmp_eq_u16_sdwa s[12:13], v2, s4 src0_sel:BYTE_3 src1_sel:DWORD
	s_mov_b64 s[4:5], -1
                                        ; implicit-def: $sgpr10
	s_and_saveexec_b64 s[8:9], s[12:13]
; %bb.14366:
	s_mov_b32 s10, 0x7f800001
	s_xor_b64 s[4:5], exec, -1
; %bb.14367:
	s_or_b64 exec, exec, s[8:9]
	s_and_b64 s[4:5], s[4:5], exec
	s_or_saveexec_b64 s[6:7], s[6:7]
	v_mov_b32_e32 v6, s10
	s_xor_b64 exec, exec, s[6:7]
	s_cbranch_execnz .LBB1_14368
; %bb.50205:
	s_getpc_b64 s[14:15]
.Lpost_getpc10766:
	s_add_u32 s14, s14, (.LBB1_30-.Lpost_getpc10766)&4294967295
	s_addc_u32 s15, s15, (.LBB1_30-.Lpost_getpc10766)>>32
	s_setpc_b64 s[14:15]
.LBB1_14368:
	v_mov_b32_e32 v6, 0
	v_cmp_ne_u16_sdwa s[8:9], v2, v6 src0_sel:BYTE_3 src1_sel:DWORD
	s_andn2_b64 s[4:5], s[4:5], exec
	s_and_b64 s[8:9], s[8:9], exec
	s_or_b64 s[4:5], s[4:5], s[8:9]
	s_or_b64 exec, exec, s[6:7]
	s_and_saveexec_b64 s[6:7], s[4:5]
	s_cbranch_execz .LBB1_28687
; %bb.50207:
	s_getpc_b64 s[14:15]
.Lpost_getpc10767:
	s_add_u32 s14, s14, (.LBB1_31-.Lpost_getpc10767)&4294967295
	s_addc_u32 s15, s15, (.LBB1_31-.Lpost_getpc10767)>>32
	s_setpc_b64 s[14:15]
.LBB1_28687:
	s_getpc_b64 s[14:15]
.Lpost_getpc7:
	s_add_u32 s14, s14, (.LBB1_32-.Lpost_getpc7)&4294967295
	s_addc_u32 s15, s15, (.LBB1_32-.Lpost_getpc7)>>32
	s_setpc_b64 s[14:15]
.LBB1_14369:
	s_movk_i32 s4, 0x80
	v_cmp_eq_u16_sdwa s[12:13], v7, s4 src0_sel:BYTE_0 src1_sel:DWORD
	s_mov_b64 s[4:5], -1
                                        ; implicit-def: $sgpr10
	s_and_saveexec_b64 s[8:9], s[12:13]
; %bb.14370:
	s_mov_b32 s10, 0x7f800001
	s_xor_b64 s[4:5], exec, -1
; %bb.14371:
	s_or_b64 exec, exec, s[8:9]
	s_and_b64 s[4:5], s[4:5], exec
	s_or_saveexec_b64 s[6:7], s[6:7]
	v_mov_b32_e32 v2, s10
	s_xor_b64 exec, exec, s[6:7]
	s_cbranch_execnz .LBB1_14372
; %bb.50209:
	s_getpc_b64 s[14:15]
.Lpost_getpc10768:
	s_add_u32 s14, s14, (.LBB1_34-.Lpost_getpc10768)&4294967295
	s_addc_u32 s15, s15, (.LBB1_34-.Lpost_getpc10768)>>32
	s_setpc_b64 s[14:15]
.LBB1_14372:
	v_mov_b32_e32 v2, 0
	v_cmp_ne_u16_sdwa s[8:9], v7, v2 src0_sel:BYTE_0 src1_sel:DWORD
	s_andn2_b64 s[4:5], s[4:5], exec
	s_and_b64 s[8:9], s[8:9], exec
	s_or_b64 s[4:5], s[4:5], s[8:9]
	s_or_b64 exec, exec, s[6:7]
	s_and_saveexec_b64 s[6:7], s[4:5]
	s_cbranch_execz .LBB1_28689
; %bb.50211:
	s_getpc_b64 s[14:15]
.Lpost_getpc10769:
	s_add_u32 s14, s14, (.LBB1_35-.Lpost_getpc10769)&4294967295
	s_addc_u32 s15, s15, (.LBB1_35-.Lpost_getpc10769)>>32
	s_setpc_b64 s[14:15]
.LBB1_28689:
	s_getpc_b64 s[14:15]
.Lpost_getpc8:
	s_add_u32 s14, s14, (.LBB1_36-.Lpost_getpc8)&4294967295
	s_addc_u32 s15, s15, (.LBB1_36-.Lpost_getpc8)>>32
	s_setpc_b64 s[14:15]
.LBB1_14373:
	s_movk_i32 s4, 0x80
	v_cmp_eq_u16_sdwa s[12:13], v3, s4 src0_sel:BYTE_0 src1_sel:DWORD
	s_mov_b64 s[4:5], -1
                                        ; implicit-def: $sgpr10
	s_and_saveexec_b64 s[8:9], s[12:13]
; %bb.14374:
	s_mov_b32 s10, 0x7f800001
	s_xor_b64 s[4:5], exec, -1
; %bb.14375:
	s_or_b64 exec, exec, s[8:9]
	s_and_b64 s[4:5], s[4:5], exec
	s_or_saveexec_b64 s[6:7], s[6:7]
	v_mov_b32_e32 v6, s10
	s_xor_b64 exec, exec, s[6:7]
	s_cbranch_execnz .LBB1_14376
; %bb.50213:
	s_getpc_b64 s[14:15]
.Lpost_getpc10770:
	s_add_u32 s14, s14, (.LBB1_38-.Lpost_getpc10770)&4294967295
	s_addc_u32 s15, s15, (.LBB1_38-.Lpost_getpc10770)>>32
	s_setpc_b64 s[14:15]
.LBB1_14376:
	v_mov_b32_e32 v6, 0
	v_cmp_ne_u16_sdwa s[8:9], v3, v6 src0_sel:BYTE_0 src1_sel:DWORD
	s_andn2_b64 s[4:5], s[4:5], exec
	s_and_b64 s[8:9], s[8:9], exec
	s_or_b64 s[4:5], s[4:5], s[8:9]
	s_or_b64 exec, exec, s[6:7]
	s_and_saveexec_b64 s[6:7], s[4:5]
	s_cbranch_execz .LBB1_28691
; %bb.50215:
	s_getpc_b64 s[14:15]
.Lpost_getpc10771:
	s_add_u32 s14, s14, (.LBB1_39-.Lpost_getpc10771)&4294967295
	s_addc_u32 s15, s15, (.LBB1_39-.Lpost_getpc10771)>>32
	s_setpc_b64 s[14:15]
.LBB1_28691:
	s_getpc_b64 s[14:15]
.Lpost_getpc9:
	s_add_u32 s14, s14, (.LBB1_40-.Lpost_getpc9)&4294967295
	s_addc_u32 s15, s15, (.LBB1_40-.Lpost_getpc9)>>32
	s_setpc_b64 s[14:15]
.LBB1_14377:
	s_movk_i32 s4, 0x80
	v_cmp_eq_u16_sdwa s[12:13], v6, s4 src0_sel:BYTE_0 src1_sel:DWORD
	s_mov_b64 s[4:5], -1
                                        ; implicit-def: $sgpr10
	s_and_saveexec_b64 s[8:9], s[12:13]
; %bb.14378:
	s_mov_b32 s10, 0x7f800001
	s_xor_b64 s[4:5], exec, -1
; %bb.14379:
	s_or_b64 exec, exec, s[8:9]
	s_and_b64 s[4:5], s[4:5], exec
	s_or_saveexec_b64 s[6:7], s[6:7]
	v_mov_b32_e32 v2, s10
	s_xor_b64 exec, exec, s[6:7]
	s_cbranch_execnz .LBB1_14380
; %bb.50217:
	s_getpc_b64 s[14:15]
.Lpost_getpc10772:
	s_add_u32 s14, s14, (.LBB1_42-.Lpost_getpc10772)&4294967295
	s_addc_u32 s15, s15, (.LBB1_42-.Lpost_getpc10772)>>32
	s_setpc_b64 s[14:15]
.LBB1_14380:
	v_mov_b32_e32 v2, 0
	v_cmp_ne_u16_sdwa s[8:9], v6, v2 src0_sel:BYTE_0 src1_sel:DWORD
	s_andn2_b64 s[4:5], s[4:5], exec
	s_and_b64 s[8:9], s[8:9], exec
	s_or_b64 s[4:5], s[4:5], s[8:9]
	s_or_b64 exec, exec, s[6:7]
	s_and_saveexec_b64 s[6:7], s[4:5]
	s_cbranch_execz .LBB1_28693
; %bb.50219:
	s_getpc_b64 s[14:15]
.Lpost_getpc10773:
	s_add_u32 s14, s14, (.LBB1_43-.Lpost_getpc10773)&4294967295
	s_addc_u32 s15, s15, (.LBB1_43-.Lpost_getpc10773)>>32
	s_setpc_b64 s[14:15]
.LBB1_28693:
	s_getpc_b64 s[14:15]
.Lpost_getpc10:
	s_add_u32 s14, s14, (.LBB1_44-.Lpost_getpc10)&4294967295
	s_addc_u32 s15, s15, (.LBB1_44-.Lpost_getpc10)>>32
	s_setpc_b64 s[14:15]
.LBB1_14381:
	s_movk_i32 s4, 0x80
	v_cmp_eq_u16_sdwa s[12:13], v6, s4 src0_sel:BYTE_0 src1_sel:DWORD
	s_mov_b64 s[4:5], -1
                                        ; implicit-def: $sgpr10
	s_and_saveexec_b64 s[8:9], s[12:13]
; %bb.14382:
	s_mov_b32 s10, 0x7f800001
	s_xor_b64 s[4:5], exec, -1
; %bb.14383:
	s_or_b64 exec, exec, s[8:9]
	s_and_b64 s[4:5], s[4:5], exec
	s_or_saveexec_b64 s[6:7], s[6:7]
	v_mov_b32_e32 v12, s10
	s_xor_b64 exec, exec, s[6:7]
	s_cbranch_execnz .LBB1_14384
; %bb.50221:
	s_getpc_b64 s[14:15]
.Lpost_getpc10774:
	s_add_u32 s14, s14, (.LBB1_46-.Lpost_getpc10774)&4294967295
	s_addc_u32 s15, s15, (.LBB1_46-.Lpost_getpc10774)>>32
	s_setpc_b64 s[14:15]
.LBB1_14384:
	v_mov_b32_e32 v12, 0
	v_cmp_ne_u16_sdwa s[8:9], v6, v12 src0_sel:BYTE_0 src1_sel:DWORD
	s_andn2_b64 s[4:5], s[4:5], exec
	s_and_b64 s[8:9], s[8:9], exec
	s_or_b64 s[4:5], s[4:5], s[8:9]
	s_or_b64 exec, exec, s[6:7]
	s_and_saveexec_b64 s[6:7], s[4:5]
	s_cbranch_execz .LBB1_28695
; %bb.50223:
	s_getpc_b64 s[14:15]
.Lpost_getpc10775:
	s_add_u32 s14, s14, (.LBB1_47-.Lpost_getpc10775)&4294967295
	s_addc_u32 s15, s15, (.LBB1_47-.Lpost_getpc10775)>>32
	s_setpc_b64 s[14:15]
.LBB1_28695:
	s_getpc_b64 s[14:15]
.Lpost_getpc11:
	s_add_u32 s14, s14, (.LBB1_48-.Lpost_getpc11)&4294967295
	s_addc_u32 s15, s15, (.LBB1_48-.Lpost_getpc11)>>32
	s_setpc_b64 s[14:15]
.LBB1_14385:
	s_movk_i32 s4, 0x80
	v_cmp_eq_u16_e32 vcc, s4, v6
	s_mov_b64 s[4:5], -1
                                        ; implicit-def: $sgpr10
	s_and_saveexec_b64 s[8:9], vcc
; %bb.14386:
	s_mov_b32 s10, 0x7f800001
	s_xor_b64 s[4:5], exec, -1
; %bb.14387:
	s_or_b64 exec, exec, s[8:9]
	s_and_b64 s[4:5], s[4:5], exec
                                        ; implicit-def: $vgpr6
	s_or_saveexec_b64 s[6:7], s[6:7]
	v_mov_b32_e32 v2, s10
	s_xor_b64 exec, exec, s[6:7]
	s_cbranch_execnz .LBB1_14388
; %bb.50225:
	s_getpc_b64 s[14:15]
.Lpost_getpc10776:
	s_add_u32 s14, s14, (.LBB1_50-.Lpost_getpc10776)&4294967295
	s_addc_u32 s15, s15, (.LBB1_50-.Lpost_getpc10776)>>32
	s_setpc_b64 s[14:15]
.LBB1_14388:
	v_cmp_ne_u16_e32 vcc, 0, v6
	s_andn2_b64 s[4:5], s[4:5], exec
	s_and_b64 s[8:9], vcc, exec
	v_mov_b32_e32 v2, 0
	s_or_b64 s[4:5], s[4:5], s[8:9]
	s_or_b64 exec, exec, s[6:7]
	s_and_saveexec_b64 s[6:7], s[4:5]
	s_cbranch_execz .LBB1_28697
; %bb.50227:
	s_getpc_b64 s[14:15]
.Lpost_getpc10777:
	s_add_u32 s14, s14, (.LBB1_51-.Lpost_getpc10777)&4294967295
	s_addc_u32 s15, s15, (.LBB1_51-.Lpost_getpc10777)>>32
	s_setpc_b64 s[14:15]
.LBB1_28697:
	s_getpc_b64 s[14:15]
.Lpost_getpc12:
	s_add_u32 s14, s14, (.LBB1_52-.Lpost_getpc12)&4294967295
	s_addc_u32 s15, s15, (.LBB1_52-.Lpost_getpc12)>>32
	s_setpc_b64 s[14:15]
.LBB1_14389:
	s_movk_i32 s4, 0x80
	v_cmp_eq_u16_e32 vcc, s4, v6
	s_mov_b64 s[4:5], -1
                                        ; implicit-def: $sgpr10
	s_and_saveexec_b64 s[8:9], vcc
; %bb.14390:
	s_mov_b32 s10, 0x7f800001
	s_xor_b64 s[4:5], exec, -1
; %bb.14391:
	s_or_b64 exec, exec, s[8:9]
	s_and_b64 s[4:5], s[4:5], exec
                                        ; implicit-def: $vgpr6
	s_or_saveexec_b64 s[6:7], s[6:7]
	v_mov_b32_e32 v12, s10
	s_xor_b64 exec, exec, s[6:7]
	s_cbranch_execnz .LBB1_14392
; %bb.50229:
	s_getpc_b64 s[14:15]
.Lpost_getpc10778:
	s_add_u32 s14, s14, (.LBB1_54-.Lpost_getpc10778)&4294967295
	s_addc_u32 s15, s15, (.LBB1_54-.Lpost_getpc10778)>>32
	s_setpc_b64 s[14:15]
.LBB1_14392:
	v_cmp_ne_u16_e32 vcc, 0, v6
	s_andn2_b64 s[4:5], s[4:5], exec
	s_and_b64 s[8:9], vcc, exec
	v_mov_b32_e32 v12, 0
	s_or_b64 s[4:5], s[4:5], s[8:9]
	s_or_b64 exec, exec, s[6:7]
	s_and_saveexec_b64 s[6:7], s[4:5]
	s_cbranch_execz .LBB1_28699
; %bb.50231:
	s_getpc_b64 s[14:15]
.Lpost_getpc10779:
	s_add_u32 s14, s14, (.LBB1_55-.Lpost_getpc10779)&4294967295
	s_addc_u32 s15, s15, (.LBB1_55-.Lpost_getpc10779)>>32
	s_setpc_b64 s[14:15]
.LBB1_28699:
	s_getpc_b64 s[14:15]
.Lpost_getpc13:
	s_add_u32 s14, s14, (.LBB1_56-.Lpost_getpc13)&4294967295
	s_addc_u32 s15, s15, (.LBB1_56-.Lpost_getpc13)>>32
	s_setpc_b64 s[14:15]
.LBB1_14393:
	s_movk_i32 s4, 0x80
	v_cmp_eq_u16_sdwa s[12:13], v7, s4 src0_sel:BYTE_3 src1_sel:DWORD
	s_mov_b64 s[4:5], -1
                                        ; implicit-def: $sgpr10
	s_and_saveexec_b64 s[8:9], s[12:13]
; %bb.14394:
	s_mov_b32 s10, 0x7f800001
	s_xor_b64 s[4:5], exec, -1
; %bb.14395:
	s_or_b64 exec, exec, s[8:9]
	s_and_b64 s[4:5], s[4:5], exec
	s_or_saveexec_b64 s[6:7], s[6:7]
	v_mov_b32_e32 v2, s10
	s_xor_b64 exec, exec, s[6:7]
	s_cbranch_execnz .LBB1_14396
; %bb.50233:
	s_getpc_b64 s[14:15]
.Lpost_getpc10780:
	s_add_u32 s14, s14, (.LBB1_58-.Lpost_getpc10780)&4294967295
	s_addc_u32 s15, s15, (.LBB1_58-.Lpost_getpc10780)>>32
	s_setpc_b64 s[14:15]
.LBB1_14396:
	v_mov_b32_e32 v2, 0
	v_cmp_ne_u16_sdwa s[8:9], v7, v2 src0_sel:BYTE_3 src1_sel:DWORD
	s_andn2_b64 s[4:5], s[4:5], exec
	s_and_b64 s[8:9], s[8:9], exec
	s_or_b64 s[4:5], s[4:5], s[8:9]
	s_or_b64 exec, exec, s[6:7]
	s_and_saveexec_b64 s[6:7], s[4:5]
	s_cbranch_execz .LBB1_28701
; %bb.50235:
	s_getpc_b64 s[14:15]
.Lpost_getpc10781:
	s_add_u32 s14, s14, (.LBB1_59-.Lpost_getpc10781)&4294967295
	s_addc_u32 s15, s15, (.LBB1_59-.Lpost_getpc10781)>>32
	s_setpc_b64 s[14:15]
.LBB1_28701:
	s_getpc_b64 s[14:15]
.Lpost_getpc14:
	s_add_u32 s14, s14, (.LBB1_60-.Lpost_getpc14)&4294967295
	s_addc_u32 s15, s15, (.LBB1_60-.Lpost_getpc14)>>32
	s_setpc_b64 s[14:15]
.LBB1_14397:
	s_movk_i32 s4, 0x80
	v_cmp_eq_u16_sdwa s[12:13], v3, s4 src0_sel:BYTE_3 src1_sel:DWORD
	s_mov_b64 s[4:5], -1
                                        ; implicit-def: $sgpr10
	s_and_saveexec_b64 s[8:9], s[12:13]
; %bb.14398:
	s_mov_b32 s10, 0x7f800001
	s_xor_b64 s[4:5], exec, -1
; %bb.14399:
	s_or_b64 exec, exec, s[8:9]
	s_and_b64 s[4:5], s[4:5], exec
	s_or_saveexec_b64 s[6:7], s[6:7]
	v_mov_b32_e32 v6, s10
	s_xor_b64 exec, exec, s[6:7]
	s_cbranch_execnz .LBB1_14400
; %bb.50237:
	s_getpc_b64 s[14:15]
.Lpost_getpc10782:
	s_add_u32 s14, s14, (.LBB1_62-.Lpost_getpc10782)&4294967295
	s_addc_u32 s15, s15, (.LBB1_62-.Lpost_getpc10782)>>32
	s_setpc_b64 s[14:15]
.LBB1_14400:
	v_mov_b32_e32 v6, 0
	v_cmp_ne_u16_sdwa s[8:9], v3, v6 src0_sel:BYTE_3 src1_sel:DWORD
	s_andn2_b64 s[4:5], s[4:5], exec
	s_and_b64 s[8:9], s[8:9], exec
	s_or_b64 s[4:5], s[4:5], s[8:9]
	s_or_b64 exec, exec, s[6:7]
	s_and_saveexec_b64 s[6:7], s[4:5]
	s_cbranch_execz .LBB1_28703
; %bb.50239:
	s_getpc_b64 s[14:15]
.Lpost_getpc10783:
	s_add_u32 s14, s14, (.LBB1_63-.Lpost_getpc10783)&4294967295
	s_addc_u32 s15, s15, (.LBB1_63-.Lpost_getpc10783)>>32
	s_setpc_b64 s[14:15]
.LBB1_28703:
	s_getpc_b64 s[14:15]
.Lpost_getpc15:
	s_add_u32 s14, s14, (.LBB1_64-.Lpost_getpc15)&4294967295
	s_addc_u32 s15, s15, (.LBB1_64-.Lpost_getpc15)>>32
	s_setpc_b64 s[14:15]
.LBB1_14401:
	s_movk_i32 s4, 0x80
	v_cmp_eq_u16_sdwa s[12:13], v8, s4 src0_sel:BYTE_0 src1_sel:DWORD
	s_mov_b64 s[4:5], -1
                                        ; implicit-def: $sgpr10
	s_and_saveexec_b64 s[8:9], s[12:13]
; %bb.14402:
	s_mov_b32 s10, 0x7f800001
	s_xor_b64 s[4:5], exec, -1
; %bb.14403:
	s_or_b64 exec, exec, s[8:9]
	s_and_b64 s[4:5], s[4:5], exec
	s_or_saveexec_b64 s[6:7], s[6:7]
	v_mov_b32_e32 v2, s10
	s_xor_b64 exec, exec, s[6:7]
	s_cbranch_execnz .LBB1_14404
; %bb.50241:
	s_getpc_b64 s[14:15]
.Lpost_getpc10784:
	s_add_u32 s14, s14, (.LBB1_66-.Lpost_getpc10784)&4294967295
	s_addc_u32 s15, s15, (.LBB1_66-.Lpost_getpc10784)>>32
	s_setpc_b64 s[14:15]
.LBB1_14404:
	v_mov_b32_e32 v2, 0
	v_cmp_ne_u16_sdwa s[8:9], v8, v2 src0_sel:BYTE_0 src1_sel:DWORD
	s_andn2_b64 s[4:5], s[4:5], exec
	s_and_b64 s[8:9], s[8:9], exec
	s_or_b64 s[4:5], s[4:5], s[8:9]
	s_or_b64 exec, exec, s[6:7]
	s_and_saveexec_b64 s[6:7], s[4:5]
	s_cbranch_execz .LBB1_28705
; %bb.50243:
	s_getpc_b64 s[14:15]
.Lpost_getpc10785:
	s_add_u32 s14, s14, (.LBB1_67-.Lpost_getpc10785)&4294967295
	s_addc_u32 s15, s15, (.LBB1_67-.Lpost_getpc10785)>>32
	s_setpc_b64 s[14:15]
.LBB1_28705:
	s_getpc_b64 s[14:15]
.Lpost_getpc16:
	s_add_u32 s14, s14, (.LBB1_68-.Lpost_getpc16)&4294967295
	s_addc_u32 s15, s15, (.LBB1_68-.Lpost_getpc16)>>32
	s_setpc_b64 s[14:15]
.LBB1_14405:
	s_movk_i32 s4, 0x80
	v_cmp_eq_u16_sdwa s[12:13], v4, s4 src0_sel:BYTE_0 src1_sel:DWORD
	s_mov_b64 s[4:5], -1
                                        ; implicit-def: $sgpr10
	s_and_saveexec_b64 s[8:9], s[12:13]
; %bb.14406:
	s_mov_b32 s10, 0x7f800001
	s_xor_b64 s[4:5], exec, -1
; %bb.14407:
	s_or_b64 exec, exec, s[8:9]
	s_and_b64 s[4:5], s[4:5], exec
	s_or_saveexec_b64 s[6:7], s[6:7]
	v_mov_b32_e32 v3, s10
	s_xor_b64 exec, exec, s[6:7]
	s_cbranch_execnz .LBB1_14408
; %bb.50245:
	s_getpc_b64 s[14:15]
.Lpost_getpc10786:
	s_add_u32 s14, s14, (.LBB1_70-.Lpost_getpc10786)&4294967295
	s_addc_u32 s15, s15, (.LBB1_70-.Lpost_getpc10786)>>32
	s_setpc_b64 s[14:15]
.LBB1_14408:
	v_mov_b32_e32 v3, 0
	v_cmp_ne_u16_sdwa s[8:9], v4, v3 src0_sel:BYTE_0 src1_sel:DWORD
	s_andn2_b64 s[4:5], s[4:5], exec
	s_and_b64 s[8:9], s[8:9], exec
	s_or_b64 s[4:5], s[4:5], s[8:9]
	s_or_b64 exec, exec, s[6:7]
	s_and_saveexec_b64 s[6:7], s[4:5]
	s_cbranch_execz .LBB1_28707
; %bb.50247:
	s_getpc_b64 s[14:15]
.Lpost_getpc10787:
	s_add_u32 s14, s14, (.LBB1_71-.Lpost_getpc10787)&4294967295
	s_addc_u32 s15, s15, (.LBB1_71-.Lpost_getpc10787)>>32
	s_setpc_b64 s[14:15]
.LBB1_28707:
	s_getpc_b64 s[14:15]
.Lpost_getpc17:
	s_add_u32 s14, s14, (.LBB1_72-.Lpost_getpc17)&4294967295
	s_addc_u32 s15, s15, (.LBB1_72-.Lpost_getpc17)>>32
	s_setpc_b64 s[14:15]
.LBB1_14409:
	s_movk_i32 s4, 0x80
	v_cmp_eq_u16_sdwa s[12:13], v3, s4 src0_sel:BYTE_0 src1_sel:DWORD
	s_mov_b64 s[4:5], -1
                                        ; implicit-def: $sgpr10
	s_and_saveexec_b64 s[8:9], s[12:13]
; %bb.14410:
	s_mov_b32 s10, 0x7f800001
	s_xor_b64 s[4:5], exec, -1
; %bb.14411:
	s_or_b64 exec, exec, s[8:9]
	s_and_b64 s[4:5], s[4:5], exec
	s_or_saveexec_b64 s[6:7], s[6:7]
	v_mov_b32_e32 v2, s10
	s_xor_b64 exec, exec, s[6:7]
	s_cbranch_execnz .LBB1_14412
; %bb.50249:
	s_getpc_b64 s[14:15]
.Lpost_getpc10788:
	s_add_u32 s14, s14, (.LBB1_74-.Lpost_getpc10788)&4294967295
	s_addc_u32 s15, s15, (.LBB1_74-.Lpost_getpc10788)>>32
	s_setpc_b64 s[14:15]
.LBB1_14412:
	v_mov_b32_e32 v2, 0
	v_cmp_ne_u16_sdwa s[8:9], v3, v2 src0_sel:BYTE_0 src1_sel:DWORD
	s_andn2_b64 s[4:5], s[4:5], exec
	s_and_b64 s[8:9], s[8:9], exec
	s_or_b64 s[4:5], s[4:5], s[8:9]
	s_or_b64 exec, exec, s[6:7]
	s_and_saveexec_b64 s[6:7], s[4:5]
	s_cbranch_execz .LBB1_28709
; %bb.50251:
	s_getpc_b64 s[14:15]
.Lpost_getpc10789:
	s_add_u32 s14, s14, (.LBB1_75-.Lpost_getpc10789)&4294967295
	s_addc_u32 s15, s15, (.LBB1_75-.Lpost_getpc10789)>>32
	s_setpc_b64 s[14:15]
.LBB1_28709:
	s_getpc_b64 s[14:15]
.Lpost_getpc18:
	s_add_u32 s14, s14, (.LBB1_76-.Lpost_getpc18)&4294967295
	s_addc_u32 s15, s15, (.LBB1_76-.Lpost_getpc18)>>32
	s_setpc_b64 s[14:15]
.LBB1_14413:
	s_movk_i32 s4, 0x80
	v_cmp_eq_u16_sdwa s[12:13], v3, s4 src0_sel:BYTE_0 src1_sel:DWORD
	s_mov_b64 s[4:5], -1
                                        ; implicit-def: $sgpr10
	s_and_saveexec_b64 s[8:9], s[12:13]
; %bb.14414:
	s_mov_b32 s10, 0x7f800001
	s_xor_b64 s[4:5], exec, -1
; %bb.14415:
	s_or_b64 exec, exec, s[8:9]
	s_and_b64 s[4:5], s[4:5], exec
	s_or_saveexec_b64 s[6:7], s[6:7]
	v_mov_b32_e32 v6, s10
	s_xor_b64 exec, exec, s[6:7]
	s_cbranch_execnz .LBB1_14416
; %bb.50253:
	s_getpc_b64 s[14:15]
.Lpost_getpc10790:
	s_add_u32 s14, s14, (.LBB1_78-.Lpost_getpc10790)&4294967295
	s_addc_u32 s15, s15, (.LBB1_78-.Lpost_getpc10790)>>32
	s_setpc_b64 s[14:15]
.LBB1_14416:
	v_mov_b32_e32 v6, 0
	v_cmp_ne_u16_sdwa s[8:9], v3, v6 src0_sel:BYTE_0 src1_sel:DWORD
	s_andn2_b64 s[4:5], s[4:5], exec
	s_and_b64 s[8:9], s[8:9], exec
	s_or_b64 s[4:5], s[4:5], s[8:9]
	s_or_b64 exec, exec, s[6:7]
	s_and_saveexec_b64 s[6:7], s[4:5]
	s_cbranch_execz .LBB1_28711
; %bb.50255:
	s_getpc_b64 s[14:15]
.Lpost_getpc10791:
	s_add_u32 s14, s14, (.LBB1_79-.Lpost_getpc10791)&4294967295
	s_addc_u32 s15, s15, (.LBB1_79-.Lpost_getpc10791)>>32
	s_setpc_b64 s[14:15]
.LBB1_28711:
	s_getpc_b64 s[14:15]
.Lpost_getpc19:
	s_add_u32 s14, s14, (.LBB1_80-.Lpost_getpc19)&4294967295
	s_addc_u32 s15, s15, (.LBB1_80-.Lpost_getpc19)>>32
	s_setpc_b64 s[14:15]
.LBB1_14417:
	s_movk_i32 s4, 0x80
	v_cmp_eq_u16_e32 vcc, s4, v3
	s_mov_b64 s[4:5], -1
                                        ; implicit-def: $sgpr10
	s_and_saveexec_b64 s[8:9], vcc
; %bb.14418:
	s_mov_b32 s10, 0x7f800001
	s_xor_b64 s[4:5], exec, -1
; %bb.14419:
	s_or_b64 exec, exec, s[8:9]
	s_and_b64 s[4:5], s[4:5], exec
                                        ; implicit-def: $vgpr3
	s_or_saveexec_b64 s[6:7], s[6:7]
	v_mov_b32_e32 v2, s10
	s_xor_b64 exec, exec, s[6:7]
	s_cbranch_execnz .LBB1_14420
; %bb.50257:
	s_getpc_b64 s[14:15]
.Lpost_getpc10792:
	s_add_u32 s14, s14, (.LBB1_82-.Lpost_getpc10792)&4294967295
	s_addc_u32 s15, s15, (.LBB1_82-.Lpost_getpc10792)>>32
	s_setpc_b64 s[14:15]
.LBB1_14420:
	v_cmp_ne_u16_e32 vcc, 0, v3
	s_andn2_b64 s[4:5], s[4:5], exec
	s_and_b64 s[8:9], vcc, exec
	v_mov_b32_e32 v2, 0
	s_or_b64 s[4:5], s[4:5], s[8:9]
	s_or_b64 exec, exec, s[6:7]
	s_and_saveexec_b64 s[6:7], s[4:5]
	s_cbranch_execz .LBB1_28713
; %bb.50259:
	s_getpc_b64 s[14:15]
.Lpost_getpc10793:
	s_add_u32 s14, s14, (.LBB1_83-.Lpost_getpc10793)&4294967295
	s_addc_u32 s15, s15, (.LBB1_83-.Lpost_getpc10793)>>32
	s_setpc_b64 s[14:15]
.LBB1_28713:
	s_getpc_b64 s[14:15]
.Lpost_getpc20:
	s_add_u32 s14, s14, (.LBB1_84-.Lpost_getpc20)&4294967295
	s_addc_u32 s15, s15, (.LBB1_84-.Lpost_getpc20)>>32
	s_setpc_b64 s[14:15]
.LBB1_14421:
	s_movk_i32 s4, 0x80
	v_cmp_eq_u16_e32 vcc, s4, v3
	s_mov_b64 s[4:5], -1
                                        ; implicit-def: $sgpr10
	s_and_saveexec_b64 s[8:9], vcc
; %bb.14422:
	s_mov_b32 s10, 0x7f800001
	s_xor_b64 s[4:5], exec, -1
; %bb.14423:
	s_or_b64 exec, exec, s[8:9]
	s_and_b64 s[4:5], s[4:5], exec
                                        ; implicit-def: $vgpr3
	s_or_saveexec_b64 s[6:7], s[6:7]
	v_mov_b32_e32 v6, s10
	s_xor_b64 exec, exec, s[6:7]
	s_cbranch_execnz .LBB1_14424
; %bb.50261:
	s_getpc_b64 s[14:15]
.Lpost_getpc10794:
	s_add_u32 s14, s14, (.LBB1_86-.Lpost_getpc10794)&4294967295
	s_addc_u32 s15, s15, (.LBB1_86-.Lpost_getpc10794)>>32
	s_setpc_b64 s[14:15]
.LBB1_14424:
	v_cmp_ne_u16_e32 vcc, 0, v3
	s_andn2_b64 s[4:5], s[4:5], exec
	s_and_b64 s[8:9], vcc, exec
	v_mov_b32_e32 v6, 0
	s_or_b64 s[4:5], s[4:5], s[8:9]
	s_or_b64 exec, exec, s[6:7]
	s_and_saveexec_b64 s[6:7], s[4:5]
	s_cbranch_execz .LBB1_28715
; %bb.50263:
	s_getpc_b64 s[14:15]
.Lpost_getpc10795:
	s_add_u32 s14, s14, (.LBB1_87-.Lpost_getpc10795)&4294967295
	s_addc_u32 s15, s15, (.LBB1_87-.Lpost_getpc10795)>>32
	s_setpc_b64 s[14:15]
.LBB1_28715:
	s_getpc_b64 s[14:15]
.Lpost_getpc21:
	s_add_u32 s14, s14, (.LBB1_88-.Lpost_getpc21)&4294967295
	s_addc_u32 s15, s15, (.LBB1_88-.Lpost_getpc21)>>32
	s_setpc_b64 s[14:15]
.LBB1_14425:
	s_movk_i32 s4, 0x80
	v_cmp_eq_u16_sdwa s[12:13], v8, s4 src0_sel:BYTE_3 src1_sel:DWORD
	s_mov_b64 s[4:5], -1
                                        ; implicit-def: $sgpr10
	s_and_saveexec_b64 s[8:9], s[12:13]
; %bb.14426:
	s_mov_b32 s10, 0x7f800001
	s_xor_b64 s[4:5], exec, -1
; %bb.14427:
	s_or_b64 exec, exec, s[8:9]
	s_and_b64 s[4:5], s[4:5], exec
	s_or_saveexec_b64 s[6:7], s[6:7]
	v_mov_b32_e32 v2, s10
	s_xor_b64 exec, exec, s[6:7]
	s_cbranch_execnz .LBB1_14428
; %bb.50265:
	s_getpc_b64 s[14:15]
.Lpost_getpc10796:
	s_add_u32 s14, s14, (.LBB1_90-.Lpost_getpc10796)&4294967295
	s_addc_u32 s15, s15, (.LBB1_90-.Lpost_getpc10796)>>32
	s_setpc_b64 s[14:15]
.LBB1_14428:
	v_mov_b32_e32 v2, 0
	v_cmp_ne_u16_sdwa s[8:9], v8, v2 src0_sel:BYTE_3 src1_sel:DWORD
	s_andn2_b64 s[4:5], s[4:5], exec
	s_and_b64 s[8:9], s[8:9], exec
	s_or_b64 s[4:5], s[4:5], s[8:9]
	s_or_b64 exec, exec, s[6:7]
	s_and_saveexec_b64 s[6:7], s[4:5]
	s_cbranch_execz .LBB1_28717
; %bb.50267:
	s_getpc_b64 s[14:15]
.Lpost_getpc10797:
	s_add_u32 s14, s14, (.LBB1_91-.Lpost_getpc10797)&4294967295
	s_addc_u32 s15, s15, (.LBB1_91-.Lpost_getpc10797)>>32
	s_setpc_b64 s[14:15]
.LBB1_28717:
	s_getpc_b64 s[14:15]
.Lpost_getpc22:
	s_add_u32 s14, s14, (.LBB1_92-.Lpost_getpc22)&4294967295
	s_addc_u32 s15, s15, (.LBB1_92-.Lpost_getpc22)>>32
	s_setpc_b64 s[14:15]
.LBB1_14429:
	s_movk_i32 s4, 0x80
	v_cmp_eq_u16_sdwa s[12:13], v4, s4 src0_sel:BYTE_3 src1_sel:DWORD
	s_mov_b64 s[4:5], -1
                                        ; implicit-def: $sgpr10
	s_and_saveexec_b64 s[8:9], s[12:13]
; %bb.14430:
	s_mov_b32 s10, 0x7f800001
	s_xor_b64 s[4:5], exec, -1
; %bb.14431:
	s_or_b64 exec, exec, s[8:9]
	s_and_b64 s[4:5], s[4:5], exec
	s_or_saveexec_b64 s[6:7], s[6:7]
	v_mov_b32_e32 v3, s10
	s_xor_b64 exec, exec, s[6:7]
	s_cbranch_execnz .LBB1_14432
; %bb.50269:
	s_getpc_b64 s[14:15]
.Lpost_getpc10798:
	s_add_u32 s14, s14, (.LBB1_94-.Lpost_getpc10798)&4294967295
	s_addc_u32 s15, s15, (.LBB1_94-.Lpost_getpc10798)>>32
	s_setpc_b64 s[14:15]
.LBB1_14432:
	v_mov_b32_e32 v3, 0
	v_cmp_ne_u16_sdwa s[8:9], v4, v3 src0_sel:BYTE_3 src1_sel:DWORD
	s_andn2_b64 s[4:5], s[4:5], exec
	s_and_b64 s[8:9], s[8:9], exec
	s_or_b64 s[4:5], s[4:5], s[8:9]
	s_or_b64 exec, exec, s[6:7]
	s_and_saveexec_b64 s[6:7], s[4:5]
	s_cbranch_execz .LBB1_28719
; %bb.50271:
	s_getpc_b64 s[14:15]
.Lpost_getpc10799:
	s_add_u32 s14, s14, (.LBB1_95-.Lpost_getpc10799)&4294967295
	s_addc_u32 s15, s15, (.LBB1_95-.Lpost_getpc10799)>>32
	s_setpc_b64 s[14:15]
.LBB1_28719:
	s_getpc_b64 s[14:15]
.Lpost_getpc23:
	s_add_u32 s14, s14, (.LBB1_96-.Lpost_getpc23)&4294967295
	s_addc_u32 s15, s15, (.LBB1_96-.Lpost_getpc23)>>32
	s_setpc_b64 s[14:15]
.LBB1_14433:
	s_movk_i32 s4, 0x80
	v_cmp_eq_u16_sdwa s[12:13], v9, s4 src0_sel:BYTE_0 src1_sel:DWORD
	s_mov_b64 s[4:5], -1
                                        ; implicit-def: $sgpr10
	s_and_saveexec_b64 s[8:9], s[12:13]
; %bb.14434:
	s_mov_b32 s10, 0x7f800001
	s_xor_b64 s[4:5], exec, -1
; %bb.14435:
	s_or_b64 exec, exec, s[8:9]
	s_and_b64 s[4:5], s[4:5], exec
	s_or_saveexec_b64 s[6:7], s[6:7]
	v_mov_b32_e32 v2, s10
	s_xor_b64 exec, exec, s[6:7]
	s_cbranch_execnz .LBB1_14436
; %bb.50273:
	s_getpc_b64 s[14:15]
.Lpost_getpc10800:
	s_add_u32 s14, s14, (.LBB1_98-.Lpost_getpc10800)&4294967295
	s_addc_u32 s15, s15, (.LBB1_98-.Lpost_getpc10800)>>32
	s_setpc_b64 s[14:15]
.LBB1_14436:
	v_mov_b32_e32 v2, 0
	v_cmp_ne_u16_sdwa s[8:9], v9, v2 src0_sel:BYTE_0 src1_sel:DWORD
	s_andn2_b64 s[4:5], s[4:5], exec
	s_and_b64 s[8:9], s[8:9], exec
	s_or_b64 s[4:5], s[4:5], s[8:9]
	s_or_b64 exec, exec, s[6:7]
	s_and_saveexec_b64 s[6:7], s[4:5]
	s_cbranch_execz .LBB1_28721
; %bb.50275:
	s_getpc_b64 s[14:15]
.Lpost_getpc10801:
	s_add_u32 s14, s14, (.LBB1_99-.Lpost_getpc10801)&4294967295
	s_addc_u32 s15, s15, (.LBB1_99-.Lpost_getpc10801)>>32
	s_setpc_b64 s[14:15]
.LBB1_28721:
	s_getpc_b64 s[14:15]
.Lpost_getpc24:
	s_add_u32 s14, s14, (.LBB1_100-.Lpost_getpc24)&4294967295
	s_addc_u32 s15, s15, (.LBB1_100-.Lpost_getpc24)>>32
	s_setpc_b64 s[14:15]
.LBB1_14437:
	s_movk_i32 s4, 0x80
	v_cmp_eq_u16_sdwa s[12:13], v5, s4 src0_sel:BYTE_0 src1_sel:DWORD
	s_mov_b64 s[4:5], -1
                                        ; implicit-def: $sgpr10
	s_and_saveexec_b64 s[8:9], s[12:13]
; %bb.14438:
	s_mov_b32 s10, 0x7f800001
	s_xor_b64 s[4:5], exec, -1
; %bb.14439:
	s_or_b64 exec, exec, s[8:9]
	s_and_b64 s[4:5], s[4:5], exec
	s_or_saveexec_b64 s[6:7], s[6:7]
	v_mov_b32_e32 v3, s10
	s_xor_b64 exec, exec, s[6:7]
	s_cbranch_execnz .LBB1_14440
; %bb.50277:
	s_getpc_b64 s[14:15]
.Lpost_getpc10802:
	s_add_u32 s14, s14, (.LBB1_102-.Lpost_getpc10802)&4294967295
	s_addc_u32 s15, s15, (.LBB1_102-.Lpost_getpc10802)>>32
	s_setpc_b64 s[14:15]
.LBB1_14440:
	v_mov_b32_e32 v3, 0
	v_cmp_ne_u16_sdwa s[8:9], v5, v3 src0_sel:BYTE_0 src1_sel:DWORD
	s_andn2_b64 s[4:5], s[4:5], exec
	s_and_b64 s[8:9], s[8:9], exec
	s_or_b64 s[4:5], s[4:5], s[8:9]
	s_or_b64 exec, exec, s[6:7]
	s_and_saveexec_b64 s[6:7], s[4:5]
	s_cbranch_execz .LBB1_28723
; %bb.50279:
	s_getpc_b64 s[14:15]
.Lpost_getpc10803:
	s_add_u32 s14, s14, (.LBB1_103-.Lpost_getpc10803)&4294967295
	s_addc_u32 s15, s15, (.LBB1_103-.Lpost_getpc10803)>>32
	s_setpc_b64 s[14:15]
.LBB1_28723:
	s_getpc_b64 s[14:15]
.Lpost_getpc25:
	s_add_u32 s14, s14, (.LBB1_104-.Lpost_getpc25)&4294967295
	s_addc_u32 s15, s15, (.LBB1_104-.Lpost_getpc25)>>32
	s_setpc_b64 s[14:15]
.LBB1_14441:
	s_movk_i32 s4, 0x80
	v_cmp_eq_u16_sdwa s[12:13], v3, s4 src0_sel:BYTE_0 src1_sel:DWORD
	s_mov_b64 s[4:5], -1
                                        ; implicit-def: $sgpr10
	s_and_saveexec_b64 s[8:9], s[12:13]
; %bb.14442:
	s_mov_b32 s10, 0x7f800001
	s_xor_b64 s[4:5], exec, -1
; %bb.14443:
	s_or_b64 exec, exec, s[8:9]
	s_and_b64 s[4:5], s[4:5], exec
	s_or_saveexec_b64 s[6:7], s[6:7]
	v_mov_b32_e32 v2, s10
	s_xor_b64 exec, exec, s[6:7]
	s_cbranch_execnz .LBB1_14444
; %bb.50281:
	s_getpc_b64 s[14:15]
.Lpost_getpc10804:
	s_add_u32 s14, s14, (.LBB1_106-.Lpost_getpc10804)&4294967295
	s_addc_u32 s15, s15, (.LBB1_106-.Lpost_getpc10804)>>32
	s_setpc_b64 s[14:15]
.LBB1_14444:
	v_mov_b32_e32 v2, 0
	v_cmp_ne_u16_sdwa s[8:9], v3, v2 src0_sel:BYTE_0 src1_sel:DWORD
	s_andn2_b64 s[4:5], s[4:5], exec
	s_and_b64 s[8:9], s[8:9], exec
	s_or_b64 s[4:5], s[4:5], s[8:9]
	s_or_b64 exec, exec, s[6:7]
	s_and_saveexec_b64 s[6:7], s[4:5]
	s_cbranch_execz .LBB1_28725
; %bb.50283:
	s_getpc_b64 s[14:15]
.Lpost_getpc10805:
	s_add_u32 s14, s14, (.LBB1_107-.Lpost_getpc10805)&4294967295
	s_addc_u32 s15, s15, (.LBB1_107-.Lpost_getpc10805)>>32
	s_setpc_b64 s[14:15]
.LBB1_28725:
	s_getpc_b64 s[14:15]
.Lpost_getpc26:
	s_add_u32 s14, s14, (.LBB1_108-.Lpost_getpc26)&4294967295
	s_addc_u32 s15, s15, (.LBB1_108-.Lpost_getpc26)>>32
	s_setpc_b64 s[14:15]
.LBB1_14445:
	s_movk_i32 s4, 0x80
	v_cmp_eq_u16_sdwa s[12:13], v3, s4 src0_sel:BYTE_0 src1_sel:DWORD
	s_mov_b64 s[4:5], -1
                                        ; implicit-def: $sgpr10
	s_and_saveexec_b64 s[8:9], s[12:13]
; %bb.14446:
	s_mov_b32 s10, 0x7f800001
	s_xor_b64 s[4:5], exec, -1
; %bb.14447:
	s_or_b64 exec, exec, s[8:9]
	s_and_b64 s[4:5], s[4:5], exec
	s_or_saveexec_b64 s[6:7], s[6:7]
	v_mov_b32_e32 v4, s10
	s_xor_b64 exec, exec, s[6:7]
	s_cbranch_execnz .LBB1_14448
; %bb.50285:
	s_getpc_b64 s[14:15]
.Lpost_getpc10806:
	s_add_u32 s14, s14, (.LBB1_110-.Lpost_getpc10806)&4294967295
	s_addc_u32 s15, s15, (.LBB1_110-.Lpost_getpc10806)>>32
	s_setpc_b64 s[14:15]
.LBB1_14448:
	v_mov_b32_e32 v4, 0
	v_cmp_ne_u16_sdwa s[8:9], v3, v4 src0_sel:BYTE_0 src1_sel:DWORD
	s_andn2_b64 s[4:5], s[4:5], exec
	s_and_b64 s[8:9], s[8:9], exec
	s_or_b64 s[4:5], s[4:5], s[8:9]
	s_or_b64 exec, exec, s[6:7]
	s_and_saveexec_b64 s[6:7], s[4:5]
	s_cbranch_execz .LBB1_28727
; %bb.50287:
	s_getpc_b64 s[14:15]
.Lpost_getpc10807:
	s_add_u32 s14, s14, (.LBB1_111-.Lpost_getpc10807)&4294967295
	s_addc_u32 s15, s15, (.LBB1_111-.Lpost_getpc10807)>>32
	s_setpc_b64 s[14:15]
.LBB1_28727:
	s_getpc_b64 s[14:15]
.Lpost_getpc27:
	s_add_u32 s14, s14, (.LBB1_112-.Lpost_getpc27)&4294967295
	s_addc_u32 s15, s15, (.LBB1_112-.Lpost_getpc27)>>32
	s_setpc_b64 s[14:15]
.LBB1_14449:
	s_movk_i32 s4, 0x80
	v_cmp_eq_u16_e32 vcc, s4, v3
	s_mov_b64 s[4:5], -1
                                        ; implicit-def: $sgpr10
	s_and_saveexec_b64 s[8:9], vcc
; %bb.14450:
	s_mov_b32 s10, 0x7f800001
	s_xor_b64 s[4:5], exec, -1
; %bb.14451:
	s_or_b64 exec, exec, s[8:9]
	s_and_b64 s[4:5], s[4:5], exec
                                        ; implicit-def: $vgpr3
	s_or_saveexec_b64 s[6:7], s[6:7]
	v_mov_b32_e32 v2, s10
	s_xor_b64 exec, exec, s[6:7]
	s_cbranch_execnz .LBB1_14452
; %bb.50289:
	s_getpc_b64 s[14:15]
.Lpost_getpc10808:
	s_add_u32 s14, s14, (.LBB1_114-.Lpost_getpc10808)&4294967295
	s_addc_u32 s15, s15, (.LBB1_114-.Lpost_getpc10808)>>32
	s_setpc_b64 s[14:15]
.LBB1_14452:
	v_cmp_ne_u16_e32 vcc, 0, v3
	s_andn2_b64 s[4:5], s[4:5], exec
	s_and_b64 s[8:9], vcc, exec
	v_mov_b32_e32 v2, 0
	s_or_b64 s[4:5], s[4:5], s[8:9]
	s_or_b64 exec, exec, s[6:7]
	s_and_saveexec_b64 s[6:7], s[4:5]
	s_cbranch_execz .LBB1_28729
; %bb.50291:
	s_getpc_b64 s[14:15]
.Lpost_getpc10809:
	s_add_u32 s14, s14, (.LBB1_115-.Lpost_getpc10809)&4294967295
	s_addc_u32 s15, s15, (.LBB1_115-.Lpost_getpc10809)>>32
	s_setpc_b64 s[14:15]
.LBB1_28729:
	s_getpc_b64 s[14:15]
.Lpost_getpc28:
	s_add_u32 s14, s14, (.LBB1_116-.Lpost_getpc28)&4294967295
	s_addc_u32 s15, s15, (.LBB1_116-.Lpost_getpc28)>>32
	s_setpc_b64 s[14:15]
.LBB1_14453:
	s_movk_i32 s4, 0x80
	v_cmp_eq_u16_e32 vcc, s4, v3
	s_mov_b64 s[4:5], -1
                                        ; implicit-def: $sgpr10
	s_and_saveexec_b64 s[8:9], vcc
; %bb.14454:
	s_mov_b32 s10, 0x7f800001
	s_xor_b64 s[4:5], exec, -1
; %bb.14455:
	s_or_b64 exec, exec, s[8:9]
	s_and_b64 s[4:5], s[4:5], exec
                                        ; implicit-def: $vgpr3
	s_or_saveexec_b64 s[6:7], s[6:7]
	v_mov_b32_e32 v4, s10
	s_xor_b64 exec, exec, s[6:7]
	s_cbranch_execnz .LBB1_14456
; %bb.50293:
	s_getpc_b64 s[14:15]
.Lpost_getpc10810:
	s_add_u32 s14, s14, (.LBB1_118-.Lpost_getpc10810)&4294967295
	s_addc_u32 s15, s15, (.LBB1_118-.Lpost_getpc10810)>>32
	s_setpc_b64 s[14:15]
.LBB1_14456:
	v_cmp_ne_u16_e32 vcc, 0, v3
	s_andn2_b64 s[4:5], s[4:5], exec
	s_and_b64 s[8:9], vcc, exec
	v_mov_b32_e32 v4, 0
	s_or_b64 s[4:5], s[4:5], s[8:9]
	s_or_b64 exec, exec, s[6:7]
	s_and_saveexec_b64 s[6:7], s[4:5]
	s_cbranch_execz .LBB1_28731
; %bb.50295:
	s_getpc_b64 s[14:15]
.Lpost_getpc10811:
	s_add_u32 s14, s14, (.LBB1_119-.Lpost_getpc10811)&4294967295
	s_addc_u32 s15, s15, (.LBB1_119-.Lpost_getpc10811)>>32
	s_setpc_b64 s[14:15]
.LBB1_28731:
	s_getpc_b64 s[14:15]
.Lpost_getpc29:
	s_add_u32 s14, s14, (.LBB1_120-.Lpost_getpc29)&4294967295
	s_addc_u32 s15, s15, (.LBB1_120-.Lpost_getpc29)>>32
	s_setpc_b64 s[14:15]
.LBB1_14457:
	s_movk_i32 s4, 0x80
	v_cmp_eq_u16_sdwa s[12:13], v9, s4 src0_sel:BYTE_3 src1_sel:DWORD
	s_mov_b64 s[4:5], -1
                                        ; implicit-def: $sgpr10
	s_and_saveexec_b64 s[8:9], s[12:13]
; %bb.14458:
	s_mov_b32 s10, 0x7f800001
	s_xor_b64 s[4:5], exec, -1
; %bb.14459:
	s_or_b64 exec, exec, s[8:9]
	s_and_b64 s[4:5], s[4:5], exec
	s_or_saveexec_b64 s[6:7], s[6:7]
	v_mov_b32_e32 v2, s10
	s_xor_b64 exec, exec, s[6:7]
	s_cbranch_execnz .LBB1_14460
; %bb.50297:
	s_getpc_b64 s[14:15]
.Lpost_getpc10812:
	s_add_u32 s14, s14, (.LBB1_122-.Lpost_getpc10812)&4294967295
	s_addc_u32 s15, s15, (.LBB1_122-.Lpost_getpc10812)>>32
	s_setpc_b64 s[14:15]
.LBB1_14460:
	v_mov_b32_e32 v2, 0
	v_cmp_ne_u16_sdwa s[8:9], v9, v2 src0_sel:BYTE_3 src1_sel:DWORD
	s_andn2_b64 s[4:5], s[4:5], exec
	s_and_b64 s[8:9], s[8:9], exec
	s_or_b64 s[4:5], s[4:5], s[8:9]
	s_or_b64 exec, exec, s[6:7]
	s_and_saveexec_b64 s[6:7], s[4:5]
	s_cbranch_execz .LBB1_28733
; %bb.50299:
	s_getpc_b64 s[14:15]
.Lpost_getpc10813:
	s_add_u32 s14, s14, (.LBB1_123-.Lpost_getpc10813)&4294967295
	s_addc_u32 s15, s15, (.LBB1_123-.Lpost_getpc10813)>>32
	s_setpc_b64 s[14:15]
.LBB1_28733:
	s_getpc_b64 s[14:15]
.Lpost_getpc30:
	s_add_u32 s14, s14, (.LBB1_124-.Lpost_getpc30)&4294967295
	s_addc_u32 s15, s15, (.LBB1_124-.Lpost_getpc30)>>32
	s_setpc_b64 s[14:15]
.LBB1_14461:
	s_movk_i32 s4, 0x80
	v_cmp_eq_u16_sdwa s[12:13], v5, s4 src0_sel:BYTE_3 src1_sel:DWORD
	s_mov_b64 s[4:5], -1
                                        ; implicit-def: $sgpr10
	s_and_saveexec_b64 s[8:9], s[12:13]
; %bb.14462:
	s_mov_b32 s10, 0x7f800001
	s_xor_b64 s[4:5], exec, -1
; %bb.14463:
	s_or_b64 exec, exec, s[8:9]
	s_and_b64 s[4:5], s[4:5], exec
	s_or_saveexec_b64 s[6:7], s[6:7]
	v_mov_b32_e32 v3, s10
	s_xor_b64 exec, exec, s[6:7]
	s_cbranch_execnz .LBB1_14464
; %bb.50301:
	s_getpc_b64 s[14:15]
.Lpost_getpc10814:
	s_add_u32 s14, s14, (.LBB1_126-.Lpost_getpc10814)&4294967295
	s_addc_u32 s15, s15, (.LBB1_126-.Lpost_getpc10814)>>32
	s_setpc_b64 s[14:15]
.LBB1_14464:
	v_mov_b32_e32 v3, 0
	v_cmp_ne_u16_sdwa s[8:9], v5, v3 src0_sel:BYTE_3 src1_sel:DWORD
	s_andn2_b64 s[4:5], s[4:5], exec
	s_and_b64 s[8:9], s[8:9], exec
	s_or_b64 s[4:5], s[4:5], s[8:9]
	s_or_b64 exec, exec, s[6:7]
	s_and_saveexec_b64 s[6:7], s[4:5]
	s_cbranch_execz .LBB1_28735
; %bb.50303:
	s_getpc_b64 s[14:15]
.Lpost_getpc10815:
	s_add_u32 s14, s14, (.LBB1_127-.Lpost_getpc10815)&4294967295
	s_addc_u32 s15, s15, (.LBB1_127-.Lpost_getpc10815)>>32
	s_setpc_b64 s[14:15]
.LBB1_28735:
	s_getpc_b64 s[14:15]
.Lpost_getpc31:
	s_add_u32 s14, s14, (.LBB1_128-.Lpost_getpc31)&4294967295
	s_addc_u32 s15, s15, (.LBB1_128-.Lpost_getpc31)>>32
	s_setpc_b64 s[14:15]
.LBB1_14465:
	s_movk_i32 s4, 0x80
	v_cmp_eq_u16_sdwa s[12:13], v6, s4 src0_sel:BYTE_0 src1_sel:DWORD
	s_mov_b64 s[4:5], -1
                                        ; implicit-def: $sgpr10
	s_and_saveexec_b64 s[8:9], s[12:13]
; %bb.14466:
	s_mov_b32 s10, 0x7f800001
	s_xor_b64 s[4:5], exec, -1
; %bb.14467:
	s_or_b64 exec, exec, s[8:9]
	s_and_b64 s[4:5], s[4:5], exec
	s_or_saveexec_b64 s[6:7], s[6:7]
	v_mov_b32_e32 v12, s10
	s_xor_b64 exec, exec, s[6:7]
	s_cbranch_execnz .LBB1_14468
; %bb.50305:
	s_getpc_b64 s[14:15]
.Lpost_getpc10816:
	s_add_u32 s14, s14, (.LBB1_130-.Lpost_getpc10816)&4294967295
	s_addc_u32 s15, s15, (.LBB1_130-.Lpost_getpc10816)>>32
	s_setpc_b64 s[14:15]
.LBB1_14468:
	v_mov_b32_e32 v12, 0
	v_cmp_ne_u16_sdwa s[8:9], v6, v12 src0_sel:BYTE_0 src1_sel:DWORD
	s_andn2_b64 s[4:5], s[4:5], exec
	s_and_b64 s[8:9], s[8:9], exec
	s_or_b64 s[4:5], s[4:5], s[8:9]
	s_or_b64 exec, exec, s[6:7]
	s_and_saveexec_b64 s[6:7], s[4:5]
	s_cbranch_execz .LBB1_28737
; %bb.50307:
	s_getpc_b64 s[14:15]
.Lpost_getpc10817:
	s_add_u32 s14, s14, (.LBB1_131-.Lpost_getpc10817)&4294967295
	s_addc_u32 s15, s15, (.LBB1_131-.Lpost_getpc10817)>>32
	s_setpc_b64 s[14:15]
.LBB1_28737:
	s_getpc_b64 s[14:15]
.Lpost_getpc32:
	s_add_u32 s14, s14, (.LBB1_132-.Lpost_getpc32)&4294967295
	s_addc_u32 s15, s15, (.LBB1_132-.Lpost_getpc32)>>32
	s_setpc_b64 s[14:15]
.LBB1_14469:
	s_movk_i32 s4, 0x80
	v_cmp_eq_u16_sdwa s[12:13], v2, s4 src0_sel:BYTE_0 src1_sel:DWORD
	s_mov_b64 s[4:5], -1
                                        ; implicit-def: $sgpr10
	s_and_saveexec_b64 s[8:9], s[12:13]
; %bb.14470:
	s_mov_b32 s10, 0x7f800001
	s_xor_b64 s[4:5], exec, -1
; %bb.14471:
	s_or_b64 exec, exec, s[8:9]
	s_and_b64 s[4:5], s[4:5], exec
	s_or_saveexec_b64 s[6:7], s[6:7]
	v_mov_b32_e32 v13, s10
	s_xor_b64 exec, exec, s[6:7]
	s_cbranch_execnz .LBB1_14472
; %bb.50309:
	s_getpc_b64 s[14:15]
.Lpost_getpc10818:
	s_add_u32 s14, s14, (.LBB1_134-.Lpost_getpc10818)&4294967295
	s_addc_u32 s15, s15, (.LBB1_134-.Lpost_getpc10818)>>32
	s_setpc_b64 s[14:15]
.LBB1_14472:
	v_mov_b32_e32 v13, 0
	v_cmp_ne_u16_sdwa s[8:9], v2, v13 src0_sel:BYTE_0 src1_sel:DWORD
	s_andn2_b64 s[4:5], s[4:5], exec
	s_and_b64 s[8:9], s[8:9], exec
	s_or_b64 s[4:5], s[4:5], s[8:9]
	s_or_b64 exec, exec, s[6:7]
	s_and_saveexec_b64 s[6:7], s[4:5]
	s_cbranch_execz .LBB1_28739
; %bb.50311:
	s_getpc_b64 s[14:15]
.Lpost_getpc10819:
	s_add_u32 s14, s14, (.LBB1_135-.Lpost_getpc10819)&4294967295
	s_addc_u32 s15, s15, (.LBB1_135-.Lpost_getpc10819)>>32
	s_setpc_b64 s[14:15]
.LBB1_28739:
	s_getpc_b64 s[14:15]
.Lpost_getpc33:
	s_add_u32 s14, s14, (.LBB1_136-.Lpost_getpc33)&4294967295
	s_addc_u32 s15, s15, (.LBB1_136-.Lpost_getpc33)>>32
	s_setpc_b64 s[14:15]
.LBB1_14473:
	s_movk_i32 s4, 0x80
	v_cmp_eq_u16_sdwa s[12:13], v13, s4 src0_sel:BYTE_0 src1_sel:DWORD
	s_mov_b64 s[4:5], -1
                                        ; implicit-def: $sgpr10
	s_and_saveexec_b64 s[8:9], s[12:13]
; %bb.14474:
	s_mov_b32 s10, 0x7f800001
	s_xor_b64 s[4:5], exec, -1
; %bb.14475:
	s_or_b64 exec, exec, s[8:9]
	s_and_b64 s[4:5], s[4:5], exec
	s_or_saveexec_b64 s[6:7], s[6:7]
	v_mov_b32_e32 v12, s10
	s_xor_b64 exec, exec, s[6:7]
	s_cbranch_execnz .LBB1_14476
; %bb.50313:
	s_getpc_b64 s[14:15]
.Lpost_getpc10820:
	s_add_u32 s14, s14, (.LBB1_138-.Lpost_getpc10820)&4294967295
	s_addc_u32 s15, s15, (.LBB1_138-.Lpost_getpc10820)>>32
	s_setpc_b64 s[14:15]
.LBB1_14476:
	v_mov_b32_e32 v12, 0
	v_cmp_ne_u16_sdwa s[8:9], v13, v12 src0_sel:BYTE_0 src1_sel:DWORD
	s_andn2_b64 s[4:5], s[4:5], exec
	s_and_b64 s[8:9], s[8:9], exec
	s_or_b64 s[4:5], s[4:5], s[8:9]
	s_or_b64 exec, exec, s[6:7]
	s_and_saveexec_b64 s[6:7], s[4:5]
	s_cbranch_execz .LBB1_28741
; %bb.50315:
	s_getpc_b64 s[14:15]
.Lpost_getpc10821:
	s_add_u32 s14, s14, (.LBB1_139-.Lpost_getpc10821)&4294967295
	s_addc_u32 s15, s15, (.LBB1_139-.Lpost_getpc10821)>>32
	s_setpc_b64 s[14:15]
.LBB1_28741:
	s_getpc_b64 s[14:15]
.Lpost_getpc34:
	s_add_u32 s14, s14, (.LBB1_140-.Lpost_getpc34)&4294967295
	s_addc_u32 s15, s15, (.LBB1_140-.Lpost_getpc34)>>32
	s_setpc_b64 s[14:15]
.LBB1_14477:
	s_movk_i32 s4, 0x80
	v_cmp_eq_u16_sdwa s[12:13], v13, s4 src0_sel:BYTE_0 src1_sel:DWORD
	s_mov_b64 s[4:5], -1
                                        ; implicit-def: $sgpr10
	s_and_saveexec_b64 s[8:9], s[12:13]
; %bb.14478:
	s_mov_b32 s10, 0x7f800001
	s_xor_b64 s[4:5], exec, -1
; %bb.14479:
	s_or_b64 exec, exec, s[8:9]
	s_and_b64 s[4:5], s[4:5], exec
	s_or_saveexec_b64 s[6:7], s[6:7]
	v_mov_b32_e32 v14, s10
	s_xor_b64 exec, exec, s[6:7]
	s_cbranch_execnz .LBB1_14480
; %bb.50317:
	s_getpc_b64 s[14:15]
.Lpost_getpc10822:
	s_add_u32 s14, s14, (.LBB1_142-.Lpost_getpc10822)&4294967295
	s_addc_u32 s15, s15, (.LBB1_142-.Lpost_getpc10822)>>32
	s_setpc_b64 s[14:15]
.LBB1_14480:
	v_mov_b32_e32 v14, 0
	v_cmp_ne_u16_sdwa s[8:9], v13, v14 src0_sel:BYTE_0 src1_sel:DWORD
	s_andn2_b64 s[4:5], s[4:5], exec
	s_and_b64 s[8:9], s[8:9], exec
	s_or_b64 s[4:5], s[4:5], s[8:9]
	s_or_b64 exec, exec, s[6:7]
	s_and_saveexec_b64 s[6:7], s[4:5]
	s_cbranch_execz .LBB1_28743
; %bb.50319:
	s_getpc_b64 s[14:15]
.Lpost_getpc10823:
	s_add_u32 s14, s14, (.LBB1_143-.Lpost_getpc10823)&4294967295
	s_addc_u32 s15, s15, (.LBB1_143-.Lpost_getpc10823)>>32
	s_setpc_b64 s[14:15]
.LBB1_28743:
	s_getpc_b64 s[14:15]
.Lpost_getpc35:
	s_add_u32 s14, s14, (.LBB1_144-.Lpost_getpc35)&4294967295
	s_addc_u32 s15, s15, (.LBB1_144-.Lpost_getpc35)>>32
	s_setpc_b64 s[14:15]
.LBB1_14481:
	s_movk_i32 s4, 0x80
	v_cmp_eq_u16_e32 vcc, s4, v13
	s_mov_b64 s[4:5], -1
                                        ; implicit-def: $sgpr10
	s_and_saveexec_b64 s[8:9], vcc
; %bb.14482:
	s_mov_b32 s10, 0x7f800001
	s_xor_b64 s[4:5], exec, -1
; %bb.14483:
	s_or_b64 exec, exec, s[8:9]
	s_and_b64 s[4:5], s[4:5], exec
                                        ; implicit-def: $vgpr13
	s_or_saveexec_b64 s[6:7], s[6:7]
	v_mov_b32_e32 v12, s10
	s_xor_b64 exec, exec, s[6:7]
	s_cbranch_execnz .LBB1_14484
; %bb.50321:
	s_getpc_b64 s[14:15]
.Lpost_getpc10824:
	s_add_u32 s14, s14, (.LBB1_146-.Lpost_getpc10824)&4294967295
	s_addc_u32 s15, s15, (.LBB1_146-.Lpost_getpc10824)>>32
	s_setpc_b64 s[14:15]
.LBB1_14484:
	v_cmp_ne_u16_e32 vcc, 0, v13
	s_andn2_b64 s[4:5], s[4:5], exec
	s_and_b64 s[8:9], vcc, exec
	v_mov_b32_e32 v12, 0
	s_or_b64 s[4:5], s[4:5], s[8:9]
	s_or_b64 exec, exec, s[6:7]
	s_and_saveexec_b64 s[6:7], s[4:5]
	s_cbranch_execz .LBB1_28745
; %bb.50323:
	s_getpc_b64 s[14:15]
.Lpost_getpc10825:
	s_add_u32 s14, s14, (.LBB1_147-.Lpost_getpc10825)&4294967295
	s_addc_u32 s15, s15, (.LBB1_147-.Lpost_getpc10825)>>32
	s_setpc_b64 s[14:15]
.LBB1_28745:
	s_getpc_b64 s[14:15]
.Lpost_getpc36:
	s_add_u32 s14, s14, (.LBB1_148-.Lpost_getpc36)&4294967295
	s_addc_u32 s15, s15, (.LBB1_148-.Lpost_getpc36)>>32
	s_setpc_b64 s[14:15]
.LBB1_14485:
	s_movk_i32 s4, 0x80
	v_cmp_eq_u16_e32 vcc, s4, v13
	s_mov_b64 s[4:5], -1
                                        ; implicit-def: $sgpr10
	s_and_saveexec_b64 s[8:9], vcc
; %bb.14486:
	s_mov_b32 s10, 0x7f800001
	s_xor_b64 s[4:5], exec, -1
; %bb.14487:
	s_or_b64 exec, exec, s[8:9]
	s_and_b64 s[4:5], s[4:5], exec
                                        ; implicit-def: $vgpr13
	s_or_saveexec_b64 s[6:7], s[6:7]
	v_mov_b32_e32 v14, s10
	s_xor_b64 exec, exec, s[6:7]
	s_cbranch_execnz .LBB1_14488
; %bb.50325:
	s_getpc_b64 s[14:15]
.Lpost_getpc10826:
	s_add_u32 s14, s14, (.LBB1_150-.Lpost_getpc10826)&4294967295
	s_addc_u32 s15, s15, (.LBB1_150-.Lpost_getpc10826)>>32
	s_setpc_b64 s[14:15]
.LBB1_14488:
	v_cmp_ne_u16_e32 vcc, 0, v13
	s_andn2_b64 s[4:5], s[4:5], exec
	s_and_b64 s[8:9], vcc, exec
	v_mov_b32_e32 v14, 0
	s_or_b64 s[4:5], s[4:5], s[8:9]
	s_or_b64 exec, exec, s[6:7]
	s_and_saveexec_b64 s[6:7], s[4:5]
	s_cbranch_execz .LBB1_28747
; %bb.50327:
	s_getpc_b64 s[14:15]
.Lpost_getpc10827:
	s_add_u32 s14, s14, (.LBB1_151-.Lpost_getpc10827)&4294967295
	s_addc_u32 s15, s15, (.LBB1_151-.Lpost_getpc10827)>>32
	s_setpc_b64 s[14:15]
.LBB1_28747:
	s_getpc_b64 s[14:15]
.Lpost_getpc37:
	s_add_u32 s14, s14, (.LBB1_152-.Lpost_getpc37)&4294967295
	s_addc_u32 s15, s15, (.LBB1_152-.Lpost_getpc37)>>32
	s_setpc_b64 s[14:15]
.LBB1_14489:
	s_movk_i32 s4, 0x80
	v_cmp_eq_u16_sdwa s[12:13], v6, s4 src0_sel:BYTE_3 src1_sel:DWORD
	s_mov_b64 s[4:5], -1
                                        ; implicit-def: $sgpr10
	s_and_saveexec_b64 s[8:9], s[12:13]
; %bb.14490:
	s_mov_b32 s10, 0x7f800001
	s_xor_b64 s[4:5], exec, -1
; %bb.14491:
	s_or_b64 exec, exec, s[8:9]
	s_and_b64 s[4:5], s[4:5], exec
	s_or_saveexec_b64 s[6:7], s[6:7]
	v_mov_b32_e32 v12, s10
	s_xor_b64 exec, exec, s[6:7]
	s_cbranch_execnz .LBB1_14492
; %bb.50329:
	s_getpc_b64 s[14:15]
.Lpost_getpc10828:
	s_add_u32 s14, s14, (.LBB1_154-.Lpost_getpc10828)&4294967295
	s_addc_u32 s15, s15, (.LBB1_154-.Lpost_getpc10828)>>32
	s_setpc_b64 s[14:15]
.LBB1_14492:
	v_mov_b32_e32 v12, 0
	v_cmp_ne_u16_sdwa s[8:9], v6, v12 src0_sel:BYTE_3 src1_sel:DWORD
	s_andn2_b64 s[4:5], s[4:5], exec
	s_and_b64 s[8:9], s[8:9], exec
	s_or_b64 s[4:5], s[4:5], s[8:9]
	s_or_b64 exec, exec, s[6:7]
	s_and_saveexec_b64 s[6:7], s[4:5]
	s_cbranch_execz .LBB1_28749
; %bb.50331:
	s_getpc_b64 s[14:15]
.Lpost_getpc10829:
	s_add_u32 s14, s14, (.LBB1_155-.Lpost_getpc10829)&4294967295
	s_addc_u32 s15, s15, (.LBB1_155-.Lpost_getpc10829)>>32
	s_setpc_b64 s[14:15]
.LBB1_28749:
	s_getpc_b64 s[14:15]
.Lpost_getpc38:
	s_add_u32 s14, s14, (.LBB1_156-.Lpost_getpc38)&4294967295
	s_addc_u32 s15, s15, (.LBB1_156-.Lpost_getpc38)>>32
	s_setpc_b64 s[14:15]
.LBB1_14493:
	s_movk_i32 s4, 0x80
	v_cmp_eq_u16_sdwa s[12:13], v2, s4 src0_sel:BYTE_3 src1_sel:DWORD
	s_mov_b64 s[4:5], -1
                                        ; implicit-def: $sgpr10
	s_and_saveexec_b64 s[8:9], s[12:13]
; %bb.14494:
	s_mov_b32 s10, 0x7f800001
	s_xor_b64 s[4:5], exec, -1
; %bb.14495:
	s_or_b64 exec, exec, s[8:9]
	s_and_b64 s[4:5], s[4:5], exec
	s_or_saveexec_b64 s[6:7], s[6:7]
	v_mov_b32_e32 v6, s10
	s_xor_b64 exec, exec, s[6:7]
	s_cbranch_execnz .LBB1_14496
; %bb.50333:
	s_getpc_b64 s[14:15]
.Lpost_getpc10830:
	s_add_u32 s14, s14, (.LBB1_158-.Lpost_getpc10830)&4294967295
	s_addc_u32 s15, s15, (.LBB1_158-.Lpost_getpc10830)>>32
	s_setpc_b64 s[14:15]
.LBB1_14496:
	v_mov_b32_e32 v6, 0
	v_cmp_ne_u16_sdwa s[8:9], v2, v6 src0_sel:BYTE_3 src1_sel:DWORD
	s_andn2_b64 s[4:5], s[4:5], exec
	s_and_b64 s[8:9], s[8:9], exec
	s_or_b64 s[4:5], s[4:5], s[8:9]
	s_or_b64 exec, exec, s[6:7]
	s_and_saveexec_b64 s[6:7], s[4:5]
	s_cbranch_execz .LBB1_28751
; %bb.50335:
	s_getpc_b64 s[14:15]
.Lpost_getpc10831:
	s_add_u32 s14, s14, (.LBB1_159-.Lpost_getpc10831)&4294967295
	s_addc_u32 s15, s15, (.LBB1_159-.Lpost_getpc10831)>>32
	s_setpc_b64 s[14:15]
.LBB1_28751:
	s_getpc_b64 s[14:15]
.Lpost_getpc39:
	s_add_u32 s14, s14, (.LBB1_160-.Lpost_getpc39)&4294967295
	s_addc_u32 s15, s15, (.LBB1_160-.Lpost_getpc39)>>32
	s_setpc_b64 s[14:15]
.LBB1_14497:
	s_movk_i32 s4, 0x80
	v_cmp_eq_u16_sdwa s[12:13], v7, s4 src0_sel:BYTE_0 src1_sel:DWORD
	s_mov_b64 s[4:5], -1
                                        ; implicit-def: $sgpr10
	s_and_saveexec_b64 s[8:9], s[12:13]
; %bb.14498:
	s_mov_b32 s10, 0x7f800001
	s_xor_b64 s[4:5], exec, -1
; %bb.14499:
	s_or_b64 exec, exec, s[8:9]
	s_and_b64 s[4:5], s[4:5], exec
	s_or_saveexec_b64 s[6:7], s[6:7]
	v_mov_b32_e32 v2, s10
	s_xor_b64 exec, exec, s[6:7]
	s_cbranch_execnz .LBB1_14500
; %bb.50337:
	s_getpc_b64 s[14:15]
.Lpost_getpc10832:
	s_add_u32 s14, s14, (.LBB1_162-.Lpost_getpc10832)&4294967295
	s_addc_u32 s15, s15, (.LBB1_162-.Lpost_getpc10832)>>32
	s_setpc_b64 s[14:15]
.LBB1_14500:
	v_mov_b32_e32 v2, 0
	v_cmp_ne_u16_sdwa s[8:9], v7, v2 src0_sel:BYTE_0 src1_sel:DWORD
	s_andn2_b64 s[4:5], s[4:5], exec
	s_and_b64 s[8:9], s[8:9], exec
	s_or_b64 s[4:5], s[4:5], s[8:9]
	s_or_b64 exec, exec, s[6:7]
	s_and_saveexec_b64 s[6:7], s[4:5]
	s_cbranch_execz .LBB1_28753
; %bb.50339:
	s_getpc_b64 s[14:15]
.Lpost_getpc10833:
	s_add_u32 s14, s14, (.LBB1_163-.Lpost_getpc10833)&4294967295
	s_addc_u32 s15, s15, (.LBB1_163-.Lpost_getpc10833)>>32
	s_setpc_b64 s[14:15]
.LBB1_28753:
	s_getpc_b64 s[14:15]
.Lpost_getpc40:
	s_add_u32 s14, s14, (.LBB1_164-.Lpost_getpc40)&4294967295
	s_addc_u32 s15, s15, (.LBB1_164-.Lpost_getpc40)>>32
	s_setpc_b64 s[14:15]
.LBB1_14501:
	s_movk_i32 s4, 0x80
	v_cmp_eq_u16_sdwa s[12:13], v3, s4 src0_sel:BYTE_0 src1_sel:DWORD
	s_mov_b64 s[4:5], -1
                                        ; implicit-def: $sgpr10
	s_and_saveexec_b64 s[8:9], s[12:13]
; %bb.14502:
	s_mov_b32 s10, 0x7f800001
	s_xor_b64 s[4:5], exec, -1
; %bb.14503:
	s_or_b64 exec, exec, s[8:9]
	s_and_b64 s[4:5], s[4:5], exec
	s_or_saveexec_b64 s[6:7], s[6:7]
	v_mov_b32_e32 v6, s10
	s_xor_b64 exec, exec, s[6:7]
	s_cbranch_execnz .LBB1_14504
; %bb.50341:
	s_getpc_b64 s[14:15]
.Lpost_getpc10834:
	s_add_u32 s14, s14, (.LBB1_166-.Lpost_getpc10834)&4294967295
	s_addc_u32 s15, s15, (.LBB1_166-.Lpost_getpc10834)>>32
	s_setpc_b64 s[14:15]
.LBB1_14504:
	v_mov_b32_e32 v6, 0
	v_cmp_ne_u16_sdwa s[8:9], v3, v6 src0_sel:BYTE_0 src1_sel:DWORD
	s_andn2_b64 s[4:5], s[4:5], exec
	s_and_b64 s[8:9], s[8:9], exec
	s_or_b64 s[4:5], s[4:5], s[8:9]
	s_or_b64 exec, exec, s[6:7]
	s_and_saveexec_b64 s[6:7], s[4:5]
	s_cbranch_execz .LBB1_28755
; %bb.50343:
	s_getpc_b64 s[14:15]
.Lpost_getpc10835:
	s_add_u32 s14, s14, (.LBB1_167-.Lpost_getpc10835)&4294967295
	s_addc_u32 s15, s15, (.LBB1_167-.Lpost_getpc10835)>>32
	s_setpc_b64 s[14:15]
.LBB1_28755:
	s_getpc_b64 s[14:15]
.Lpost_getpc41:
	s_add_u32 s14, s14, (.LBB1_168-.Lpost_getpc41)&4294967295
	s_addc_u32 s15, s15, (.LBB1_168-.Lpost_getpc41)>>32
	s_setpc_b64 s[14:15]
.LBB1_14505:
	s_movk_i32 s4, 0x80
	v_cmp_eq_u16_sdwa s[12:13], v6, s4 src0_sel:BYTE_0 src1_sel:DWORD
	s_mov_b64 s[4:5], -1
                                        ; implicit-def: $sgpr10
	s_and_saveexec_b64 s[8:9], s[12:13]
; %bb.14506:
	s_mov_b32 s10, 0x7f800001
	s_xor_b64 s[4:5], exec, -1
; %bb.14507:
	s_or_b64 exec, exec, s[8:9]
	s_and_b64 s[4:5], s[4:5], exec
	s_or_saveexec_b64 s[6:7], s[6:7]
	v_mov_b32_e32 v2, s10
	s_xor_b64 exec, exec, s[6:7]
	s_cbranch_execnz .LBB1_14508
; %bb.50345:
	s_getpc_b64 s[14:15]
.Lpost_getpc10836:
	s_add_u32 s14, s14, (.LBB1_170-.Lpost_getpc10836)&4294967295
	s_addc_u32 s15, s15, (.LBB1_170-.Lpost_getpc10836)>>32
	s_setpc_b64 s[14:15]
.LBB1_14508:
	v_mov_b32_e32 v2, 0
	v_cmp_ne_u16_sdwa s[8:9], v6, v2 src0_sel:BYTE_0 src1_sel:DWORD
	s_andn2_b64 s[4:5], s[4:5], exec
	s_and_b64 s[8:9], s[8:9], exec
	s_or_b64 s[4:5], s[4:5], s[8:9]
	s_or_b64 exec, exec, s[6:7]
	s_and_saveexec_b64 s[6:7], s[4:5]
	s_cbranch_execz .LBB1_28757
; %bb.50347:
	s_getpc_b64 s[14:15]
.Lpost_getpc10837:
	s_add_u32 s14, s14, (.LBB1_171-.Lpost_getpc10837)&4294967295
	s_addc_u32 s15, s15, (.LBB1_171-.Lpost_getpc10837)>>32
	s_setpc_b64 s[14:15]
.LBB1_28757:
	s_getpc_b64 s[14:15]
.Lpost_getpc42:
	s_add_u32 s14, s14, (.LBB1_172-.Lpost_getpc42)&4294967295
	s_addc_u32 s15, s15, (.LBB1_172-.Lpost_getpc42)>>32
	s_setpc_b64 s[14:15]
.LBB1_14509:
	s_movk_i32 s4, 0x80
	v_cmp_eq_u16_sdwa s[12:13], v6, s4 src0_sel:BYTE_0 src1_sel:DWORD
	s_mov_b64 s[4:5], -1
                                        ; implicit-def: $sgpr10
	s_and_saveexec_b64 s[8:9], s[12:13]
; %bb.14510:
	s_mov_b32 s10, 0x7f800001
	s_xor_b64 s[4:5], exec, -1
; %bb.14511:
	s_or_b64 exec, exec, s[8:9]
	s_and_b64 s[4:5], s[4:5], exec
	s_or_saveexec_b64 s[6:7], s[6:7]
	v_mov_b32_e32 v12, s10
	s_xor_b64 exec, exec, s[6:7]
	s_cbranch_execnz .LBB1_14512
; %bb.50349:
	s_getpc_b64 s[14:15]
.Lpost_getpc10838:
	s_add_u32 s14, s14, (.LBB1_174-.Lpost_getpc10838)&4294967295
	s_addc_u32 s15, s15, (.LBB1_174-.Lpost_getpc10838)>>32
	s_setpc_b64 s[14:15]
.LBB1_14512:
	v_mov_b32_e32 v12, 0
	v_cmp_ne_u16_sdwa s[8:9], v6, v12 src0_sel:BYTE_0 src1_sel:DWORD
	s_andn2_b64 s[4:5], s[4:5], exec
	s_and_b64 s[8:9], s[8:9], exec
	s_or_b64 s[4:5], s[4:5], s[8:9]
	s_or_b64 exec, exec, s[6:7]
	s_and_saveexec_b64 s[6:7], s[4:5]
	s_cbranch_execz .LBB1_28759
; %bb.50351:
	s_getpc_b64 s[14:15]
.Lpost_getpc10839:
	s_add_u32 s14, s14, (.LBB1_175-.Lpost_getpc10839)&4294967295
	s_addc_u32 s15, s15, (.LBB1_175-.Lpost_getpc10839)>>32
	s_setpc_b64 s[14:15]
.LBB1_28759:
	s_getpc_b64 s[14:15]
.Lpost_getpc43:
	s_add_u32 s14, s14, (.LBB1_176-.Lpost_getpc43)&4294967295
	s_addc_u32 s15, s15, (.LBB1_176-.Lpost_getpc43)>>32
	s_setpc_b64 s[14:15]
.LBB1_14513:
	s_movk_i32 s4, 0x80
	v_cmp_eq_u16_e32 vcc, s4, v6
	s_mov_b64 s[4:5], -1
                                        ; implicit-def: $sgpr10
	s_and_saveexec_b64 s[8:9], vcc
; %bb.14514:
	s_mov_b32 s10, 0x7f800001
	s_xor_b64 s[4:5], exec, -1
; %bb.14515:
	s_or_b64 exec, exec, s[8:9]
	s_and_b64 s[4:5], s[4:5], exec
                                        ; implicit-def: $vgpr6
	s_or_saveexec_b64 s[6:7], s[6:7]
	v_mov_b32_e32 v2, s10
	s_xor_b64 exec, exec, s[6:7]
	s_cbranch_execnz .LBB1_14516
; %bb.50353:
	s_getpc_b64 s[14:15]
.Lpost_getpc10840:
	s_add_u32 s14, s14, (.LBB1_178-.Lpost_getpc10840)&4294967295
	s_addc_u32 s15, s15, (.LBB1_178-.Lpost_getpc10840)>>32
	s_setpc_b64 s[14:15]
.LBB1_14516:
	v_cmp_ne_u16_e32 vcc, 0, v6
	s_andn2_b64 s[4:5], s[4:5], exec
	s_and_b64 s[8:9], vcc, exec
	v_mov_b32_e32 v2, 0
	s_or_b64 s[4:5], s[4:5], s[8:9]
	s_or_b64 exec, exec, s[6:7]
	s_and_saveexec_b64 s[6:7], s[4:5]
	s_cbranch_execz .LBB1_28761
; %bb.50355:
	s_getpc_b64 s[14:15]
.Lpost_getpc10841:
	s_add_u32 s14, s14, (.LBB1_179-.Lpost_getpc10841)&4294967295
	s_addc_u32 s15, s15, (.LBB1_179-.Lpost_getpc10841)>>32
	s_setpc_b64 s[14:15]
.LBB1_28761:
	s_getpc_b64 s[14:15]
.Lpost_getpc44:
	s_add_u32 s14, s14, (.LBB1_180-.Lpost_getpc44)&4294967295
	s_addc_u32 s15, s15, (.LBB1_180-.Lpost_getpc44)>>32
	s_setpc_b64 s[14:15]
.LBB1_14517:
	s_movk_i32 s4, 0x80
	v_cmp_eq_u16_e32 vcc, s4, v6
	s_mov_b64 s[4:5], -1
                                        ; implicit-def: $sgpr10
	s_and_saveexec_b64 s[8:9], vcc
; %bb.14518:
	s_mov_b32 s10, 0x7f800001
	s_xor_b64 s[4:5], exec, -1
; %bb.14519:
	s_or_b64 exec, exec, s[8:9]
	s_and_b64 s[4:5], s[4:5], exec
                                        ; implicit-def: $vgpr6
	s_or_saveexec_b64 s[6:7], s[6:7]
	v_mov_b32_e32 v12, s10
	s_xor_b64 exec, exec, s[6:7]
	s_cbranch_execnz .LBB1_14520
; %bb.50357:
	s_getpc_b64 s[14:15]
.Lpost_getpc10842:
	s_add_u32 s14, s14, (.LBB1_182-.Lpost_getpc10842)&4294967295
	s_addc_u32 s15, s15, (.LBB1_182-.Lpost_getpc10842)>>32
	s_setpc_b64 s[14:15]
.LBB1_14520:
	v_cmp_ne_u16_e32 vcc, 0, v6
	s_andn2_b64 s[4:5], s[4:5], exec
	s_and_b64 s[8:9], vcc, exec
	v_mov_b32_e32 v12, 0
	s_or_b64 s[4:5], s[4:5], s[8:9]
	s_or_b64 exec, exec, s[6:7]
	s_and_saveexec_b64 s[6:7], s[4:5]
	s_cbranch_execz .LBB1_28763
; %bb.50359:
	s_getpc_b64 s[14:15]
.Lpost_getpc10843:
	s_add_u32 s14, s14, (.LBB1_183-.Lpost_getpc10843)&4294967295
	s_addc_u32 s15, s15, (.LBB1_183-.Lpost_getpc10843)>>32
	s_setpc_b64 s[14:15]
.LBB1_28763:
	s_getpc_b64 s[14:15]
.Lpost_getpc45:
	s_add_u32 s14, s14, (.LBB1_184-.Lpost_getpc45)&4294967295
	s_addc_u32 s15, s15, (.LBB1_184-.Lpost_getpc45)>>32
	s_setpc_b64 s[14:15]
.LBB1_14521:
	s_movk_i32 s4, 0x80
	v_cmp_eq_u16_sdwa s[12:13], v7, s4 src0_sel:BYTE_3 src1_sel:DWORD
	s_mov_b64 s[4:5], -1
                                        ; implicit-def: $sgpr10
	s_and_saveexec_b64 s[8:9], s[12:13]
; %bb.14522:
	s_mov_b32 s10, 0x7f800001
	s_xor_b64 s[4:5], exec, -1
; %bb.14523:
	s_or_b64 exec, exec, s[8:9]
	s_and_b64 s[4:5], s[4:5], exec
	s_or_saveexec_b64 s[6:7], s[6:7]
	v_mov_b32_e32 v2, s10
	s_xor_b64 exec, exec, s[6:7]
	s_cbranch_execnz .LBB1_14524
; %bb.50361:
	s_getpc_b64 s[14:15]
.Lpost_getpc10844:
	s_add_u32 s14, s14, (.LBB1_186-.Lpost_getpc10844)&4294967295
	s_addc_u32 s15, s15, (.LBB1_186-.Lpost_getpc10844)>>32
	s_setpc_b64 s[14:15]
.LBB1_14524:
	v_mov_b32_e32 v2, 0
	v_cmp_ne_u16_sdwa s[8:9], v7, v2 src0_sel:BYTE_3 src1_sel:DWORD
	s_andn2_b64 s[4:5], s[4:5], exec
	s_and_b64 s[8:9], s[8:9], exec
	s_or_b64 s[4:5], s[4:5], s[8:9]
	s_or_b64 exec, exec, s[6:7]
	s_and_saveexec_b64 s[6:7], s[4:5]
	s_cbranch_execz .LBB1_28765
; %bb.50363:
	s_getpc_b64 s[14:15]
.Lpost_getpc10845:
	s_add_u32 s14, s14, (.LBB1_187-.Lpost_getpc10845)&4294967295
	s_addc_u32 s15, s15, (.LBB1_187-.Lpost_getpc10845)>>32
	s_setpc_b64 s[14:15]
.LBB1_28765:
	s_getpc_b64 s[14:15]
.Lpost_getpc46:
	s_add_u32 s14, s14, (.LBB1_188-.Lpost_getpc46)&4294967295
	s_addc_u32 s15, s15, (.LBB1_188-.Lpost_getpc46)>>32
	s_setpc_b64 s[14:15]
.LBB1_14525:
	s_movk_i32 s4, 0x80
	v_cmp_eq_u16_sdwa s[12:13], v3, s4 src0_sel:BYTE_3 src1_sel:DWORD
	s_mov_b64 s[4:5], -1
                                        ; implicit-def: $sgpr10
	s_and_saveexec_b64 s[8:9], s[12:13]
; %bb.14526:
	s_mov_b32 s10, 0x7f800001
	s_xor_b64 s[4:5], exec, -1
; %bb.14527:
	s_or_b64 exec, exec, s[8:9]
	s_and_b64 s[4:5], s[4:5], exec
	s_or_saveexec_b64 s[6:7], s[6:7]
	v_mov_b32_e32 v6, s10
	s_xor_b64 exec, exec, s[6:7]
	s_cbranch_execnz .LBB1_14528
; %bb.50365:
	s_getpc_b64 s[14:15]
.Lpost_getpc10846:
	s_add_u32 s14, s14, (.LBB1_190-.Lpost_getpc10846)&4294967295
	s_addc_u32 s15, s15, (.LBB1_190-.Lpost_getpc10846)>>32
	s_setpc_b64 s[14:15]
.LBB1_14528:
	v_mov_b32_e32 v6, 0
	v_cmp_ne_u16_sdwa s[8:9], v3, v6 src0_sel:BYTE_3 src1_sel:DWORD
	s_andn2_b64 s[4:5], s[4:5], exec
	s_and_b64 s[8:9], s[8:9], exec
	s_or_b64 s[4:5], s[4:5], s[8:9]
	s_or_b64 exec, exec, s[6:7]
	s_and_saveexec_b64 s[6:7], s[4:5]
	s_cbranch_execz .LBB1_28767
; %bb.50367:
	s_getpc_b64 s[14:15]
.Lpost_getpc10847:
	s_add_u32 s14, s14, (.LBB1_191-.Lpost_getpc10847)&4294967295
	s_addc_u32 s15, s15, (.LBB1_191-.Lpost_getpc10847)>>32
	s_setpc_b64 s[14:15]
.LBB1_28767:
	s_getpc_b64 s[14:15]
.Lpost_getpc47:
	s_add_u32 s14, s14, (.LBB1_192-.Lpost_getpc47)&4294967295
	s_addc_u32 s15, s15, (.LBB1_192-.Lpost_getpc47)>>32
	s_setpc_b64 s[14:15]
.LBB1_14529:
	s_movk_i32 s4, 0x80
	v_cmp_eq_u16_sdwa s[12:13], v8, s4 src0_sel:BYTE_0 src1_sel:DWORD
	s_mov_b64 s[4:5], -1
                                        ; implicit-def: $sgpr10
	s_and_saveexec_b64 s[8:9], s[12:13]
; %bb.14530:
	s_mov_b32 s10, 0x7f800001
	s_xor_b64 s[4:5], exec, -1
; %bb.14531:
	s_or_b64 exec, exec, s[8:9]
	s_and_b64 s[4:5], s[4:5], exec
	s_or_saveexec_b64 s[6:7], s[6:7]
	v_mov_b32_e32 v2, s10
	s_xor_b64 exec, exec, s[6:7]
	s_cbranch_execnz .LBB1_14532
; %bb.50369:
	s_getpc_b64 s[14:15]
.Lpost_getpc10848:
	s_add_u32 s14, s14, (.LBB1_194-.Lpost_getpc10848)&4294967295
	s_addc_u32 s15, s15, (.LBB1_194-.Lpost_getpc10848)>>32
	s_setpc_b64 s[14:15]
.LBB1_14532:
	v_mov_b32_e32 v2, 0
	v_cmp_ne_u16_sdwa s[8:9], v8, v2 src0_sel:BYTE_0 src1_sel:DWORD
	s_andn2_b64 s[4:5], s[4:5], exec
	s_and_b64 s[8:9], s[8:9], exec
	s_or_b64 s[4:5], s[4:5], s[8:9]
	s_or_b64 exec, exec, s[6:7]
	s_and_saveexec_b64 s[6:7], s[4:5]
	s_cbranch_execz .LBB1_28769
; %bb.50371:
	s_getpc_b64 s[14:15]
.Lpost_getpc10849:
	s_add_u32 s14, s14, (.LBB1_195-.Lpost_getpc10849)&4294967295
	s_addc_u32 s15, s15, (.LBB1_195-.Lpost_getpc10849)>>32
	s_setpc_b64 s[14:15]
.LBB1_28769:
	s_getpc_b64 s[14:15]
.Lpost_getpc48:
	s_add_u32 s14, s14, (.LBB1_196-.Lpost_getpc48)&4294967295
	s_addc_u32 s15, s15, (.LBB1_196-.Lpost_getpc48)>>32
	s_setpc_b64 s[14:15]
.LBB1_14533:
	s_movk_i32 s4, 0x80
	v_cmp_eq_u16_sdwa s[12:13], v4, s4 src0_sel:BYTE_0 src1_sel:DWORD
	s_mov_b64 s[4:5], -1
                                        ; implicit-def: $sgpr10
	s_and_saveexec_b64 s[8:9], s[12:13]
; %bb.14534:
	s_mov_b32 s10, 0x7f800001
	s_xor_b64 s[4:5], exec, -1
; %bb.14535:
	s_or_b64 exec, exec, s[8:9]
	s_and_b64 s[4:5], s[4:5], exec
	s_or_saveexec_b64 s[6:7], s[6:7]
	v_mov_b32_e32 v3, s10
	s_xor_b64 exec, exec, s[6:7]
	s_cbranch_execnz .LBB1_14536
; %bb.50373:
	s_getpc_b64 s[14:15]
.Lpost_getpc10850:
	s_add_u32 s14, s14, (.LBB1_198-.Lpost_getpc10850)&4294967295
	s_addc_u32 s15, s15, (.LBB1_198-.Lpost_getpc10850)>>32
	s_setpc_b64 s[14:15]
.LBB1_14536:
	v_mov_b32_e32 v3, 0
	v_cmp_ne_u16_sdwa s[8:9], v4, v3 src0_sel:BYTE_0 src1_sel:DWORD
	s_andn2_b64 s[4:5], s[4:5], exec
	s_and_b64 s[8:9], s[8:9], exec
	s_or_b64 s[4:5], s[4:5], s[8:9]
	s_or_b64 exec, exec, s[6:7]
	s_and_saveexec_b64 s[6:7], s[4:5]
	s_cbranch_execz .LBB1_28771
; %bb.50375:
	s_getpc_b64 s[14:15]
.Lpost_getpc10851:
	s_add_u32 s14, s14, (.LBB1_199-.Lpost_getpc10851)&4294967295
	s_addc_u32 s15, s15, (.LBB1_199-.Lpost_getpc10851)>>32
	s_setpc_b64 s[14:15]
.LBB1_28771:
	s_getpc_b64 s[14:15]
.Lpost_getpc49:
	s_add_u32 s14, s14, (.LBB1_200-.Lpost_getpc49)&4294967295
	s_addc_u32 s15, s15, (.LBB1_200-.Lpost_getpc49)>>32
	s_setpc_b64 s[14:15]
.LBB1_14537:
	s_movk_i32 s4, 0x80
	v_cmp_eq_u16_sdwa s[12:13], v3, s4 src0_sel:BYTE_0 src1_sel:DWORD
	s_mov_b64 s[4:5], -1
                                        ; implicit-def: $sgpr10
	s_and_saveexec_b64 s[8:9], s[12:13]
; %bb.14538:
	s_mov_b32 s10, 0x7f800001
	s_xor_b64 s[4:5], exec, -1
; %bb.14539:
	s_or_b64 exec, exec, s[8:9]
	s_and_b64 s[4:5], s[4:5], exec
	s_or_saveexec_b64 s[6:7], s[6:7]
	v_mov_b32_e32 v2, s10
	s_xor_b64 exec, exec, s[6:7]
	s_cbranch_execnz .LBB1_14540
; %bb.50377:
	s_getpc_b64 s[14:15]
.Lpost_getpc10852:
	s_add_u32 s14, s14, (.LBB1_202-.Lpost_getpc10852)&4294967295
	s_addc_u32 s15, s15, (.LBB1_202-.Lpost_getpc10852)>>32
	s_setpc_b64 s[14:15]
.LBB1_14540:
	v_mov_b32_e32 v2, 0
	v_cmp_ne_u16_sdwa s[8:9], v3, v2 src0_sel:BYTE_0 src1_sel:DWORD
	s_andn2_b64 s[4:5], s[4:5], exec
	s_and_b64 s[8:9], s[8:9], exec
	s_or_b64 s[4:5], s[4:5], s[8:9]
	s_or_b64 exec, exec, s[6:7]
	s_and_saveexec_b64 s[6:7], s[4:5]
	s_cbranch_execz .LBB1_28773
; %bb.50379:
	s_getpc_b64 s[14:15]
.Lpost_getpc10853:
	s_add_u32 s14, s14, (.LBB1_203-.Lpost_getpc10853)&4294967295
	s_addc_u32 s15, s15, (.LBB1_203-.Lpost_getpc10853)>>32
	s_setpc_b64 s[14:15]
.LBB1_28773:
	s_getpc_b64 s[14:15]
.Lpost_getpc50:
	s_add_u32 s14, s14, (.LBB1_204-.Lpost_getpc50)&4294967295
	s_addc_u32 s15, s15, (.LBB1_204-.Lpost_getpc50)>>32
	s_setpc_b64 s[14:15]
.LBB1_14541:
	s_movk_i32 s4, 0x80
	v_cmp_eq_u16_sdwa s[12:13], v3, s4 src0_sel:BYTE_0 src1_sel:DWORD
	s_mov_b64 s[4:5], -1
                                        ; implicit-def: $sgpr10
	s_and_saveexec_b64 s[8:9], s[12:13]
; %bb.14542:
	s_mov_b32 s10, 0x7f800001
	s_xor_b64 s[4:5], exec, -1
; %bb.14543:
	s_or_b64 exec, exec, s[8:9]
	s_and_b64 s[4:5], s[4:5], exec
	s_or_saveexec_b64 s[6:7], s[6:7]
	v_mov_b32_e32 v6, s10
	s_xor_b64 exec, exec, s[6:7]
	s_cbranch_execnz .LBB1_14544
; %bb.50381:
	s_getpc_b64 s[14:15]
.Lpost_getpc10854:
	s_add_u32 s14, s14, (.LBB1_206-.Lpost_getpc10854)&4294967295
	s_addc_u32 s15, s15, (.LBB1_206-.Lpost_getpc10854)>>32
	s_setpc_b64 s[14:15]
.LBB1_14544:
	v_mov_b32_e32 v6, 0
	v_cmp_ne_u16_sdwa s[8:9], v3, v6 src0_sel:BYTE_0 src1_sel:DWORD
	s_andn2_b64 s[4:5], s[4:5], exec
	s_and_b64 s[8:9], s[8:9], exec
	s_or_b64 s[4:5], s[4:5], s[8:9]
	s_or_b64 exec, exec, s[6:7]
	s_and_saveexec_b64 s[6:7], s[4:5]
	s_cbranch_execz .LBB1_28775
; %bb.50383:
	s_getpc_b64 s[14:15]
.Lpost_getpc10855:
	s_add_u32 s14, s14, (.LBB1_207-.Lpost_getpc10855)&4294967295
	s_addc_u32 s15, s15, (.LBB1_207-.Lpost_getpc10855)>>32
	s_setpc_b64 s[14:15]
.LBB1_28775:
	s_getpc_b64 s[14:15]
.Lpost_getpc51:
	s_add_u32 s14, s14, (.LBB1_208-.Lpost_getpc51)&4294967295
	s_addc_u32 s15, s15, (.LBB1_208-.Lpost_getpc51)>>32
	s_setpc_b64 s[14:15]
.LBB1_14545:
	s_movk_i32 s4, 0x80
	v_cmp_eq_u16_e32 vcc, s4, v3
	s_mov_b64 s[4:5], -1
                                        ; implicit-def: $sgpr10
	s_and_saveexec_b64 s[8:9], vcc
; %bb.14546:
	s_mov_b32 s10, 0x7f800001
	s_xor_b64 s[4:5], exec, -1
; %bb.14547:
	s_or_b64 exec, exec, s[8:9]
	s_and_b64 s[4:5], s[4:5], exec
                                        ; implicit-def: $vgpr3
	s_or_saveexec_b64 s[6:7], s[6:7]
	v_mov_b32_e32 v2, s10
	s_xor_b64 exec, exec, s[6:7]
	s_cbranch_execnz .LBB1_14548
; %bb.50385:
	s_getpc_b64 s[14:15]
.Lpost_getpc10856:
	s_add_u32 s14, s14, (.LBB1_210-.Lpost_getpc10856)&4294967295
	s_addc_u32 s15, s15, (.LBB1_210-.Lpost_getpc10856)>>32
	s_setpc_b64 s[14:15]
.LBB1_14548:
	v_cmp_ne_u16_e32 vcc, 0, v3
	s_andn2_b64 s[4:5], s[4:5], exec
	s_and_b64 s[8:9], vcc, exec
	v_mov_b32_e32 v2, 0
	s_or_b64 s[4:5], s[4:5], s[8:9]
	s_or_b64 exec, exec, s[6:7]
	s_and_saveexec_b64 s[6:7], s[4:5]
	s_cbranch_execz .LBB1_28777
; %bb.50387:
	s_getpc_b64 s[14:15]
.Lpost_getpc10857:
	s_add_u32 s14, s14, (.LBB1_211-.Lpost_getpc10857)&4294967295
	s_addc_u32 s15, s15, (.LBB1_211-.Lpost_getpc10857)>>32
	s_setpc_b64 s[14:15]
.LBB1_28777:
	s_getpc_b64 s[14:15]
.Lpost_getpc52:
	s_add_u32 s14, s14, (.LBB1_212-.Lpost_getpc52)&4294967295
	s_addc_u32 s15, s15, (.LBB1_212-.Lpost_getpc52)>>32
	s_setpc_b64 s[14:15]
.LBB1_14549:
	s_movk_i32 s4, 0x80
	v_cmp_eq_u16_e32 vcc, s4, v3
	s_mov_b64 s[4:5], -1
                                        ; implicit-def: $sgpr10
	s_and_saveexec_b64 s[8:9], vcc
; %bb.14550:
	s_mov_b32 s10, 0x7f800001
	s_xor_b64 s[4:5], exec, -1
; %bb.14551:
	s_or_b64 exec, exec, s[8:9]
	s_and_b64 s[4:5], s[4:5], exec
                                        ; implicit-def: $vgpr3
	s_or_saveexec_b64 s[6:7], s[6:7]
	v_mov_b32_e32 v6, s10
	s_xor_b64 exec, exec, s[6:7]
	s_cbranch_execnz .LBB1_14552
; %bb.50389:
	s_getpc_b64 s[14:15]
.Lpost_getpc10858:
	s_add_u32 s14, s14, (.LBB1_214-.Lpost_getpc10858)&4294967295
	s_addc_u32 s15, s15, (.LBB1_214-.Lpost_getpc10858)>>32
	s_setpc_b64 s[14:15]
.LBB1_14552:
	v_cmp_ne_u16_e32 vcc, 0, v3
	s_andn2_b64 s[4:5], s[4:5], exec
	s_and_b64 s[8:9], vcc, exec
	v_mov_b32_e32 v6, 0
	s_or_b64 s[4:5], s[4:5], s[8:9]
	s_or_b64 exec, exec, s[6:7]
	s_and_saveexec_b64 s[6:7], s[4:5]
	s_cbranch_execz .LBB1_28779
; %bb.50391:
	s_getpc_b64 s[14:15]
.Lpost_getpc10859:
	s_add_u32 s14, s14, (.LBB1_215-.Lpost_getpc10859)&4294967295
	s_addc_u32 s15, s15, (.LBB1_215-.Lpost_getpc10859)>>32
	s_setpc_b64 s[14:15]
.LBB1_28779:
	s_getpc_b64 s[14:15]
.Lpost_getpc53:
	s_add_u32 s14, s14, (.LBB1_216-.Lpost_getpc53)&4294967295
	s_addc_u32 s15, s15, (.LBB1_216-.Lpost_getpc53)>>32
	s_setpc_b64 s[14:15]
.LBB1_14553:
	s_movk_i32 s4, 0x80
	v_cmp_eq_u16_sdwa s[12:13], v8, s4 src0_sel:BYTE_3 src1_sel:DWORD
	s_mov_b64 s[4:5], -1
                                        ; implicit-def: $sgpr10
	s_and_saveexec_b64 s[8:9], s[12:13]
; %bb.14554:
	s_mov_b32 s10, 0x7f800001
	s_xor_b64 s[4:5], exec, -1
; %bb.14555:
	s_or_b64 exec, exec, s[8:9]
	s_and_b64 s[4:5], s[4:5], exec
	s_or_saveexec_b64 s[6:7], s[6:7]
	v_mov_b32_e32 v2, s10
	s_xor_b64 exec, exec, s[6:7]
	s_cbranch_execnz .LBB1_14556
; %bb.50393:
	s_getpc_b64 s[14:15]
.Lpost_getpc10860:
	s_add_u32 s14, s14, (.LBB1_218-.Lpost_getpc10860)&4294967295
	s_addc_u32 s15, s15, (.LBB1_218-.Lpost_getpc10860)>>32
	s_setpc_b64 s[14:15]
.LBB1_14556:
	v_mov_b32_e32 v2, 0
	v_cmp_ne_u16_sdwa s[8:9], v8, v2 src0_sel:BYTE_3 src1_sel:DWORD
	s_andn2_b64 s[4:5], s[4:5], exec
	s_and_b64 s[8:9], s[8:9], exec
	s_or_b64 s[4:5], s[4:5], s[8:9]
	s_or_b64 exec, exec, s[6:7]
	s_and_saveexec_b64 s[6:7], s[4:5]
	s_cbranch_execz .LBB1_28781
; %bb.50395:
	s_getpc_b64 s[14:15]
.Lpost_getpc10861:
	s_add_u32 s14, s14, (.LBB1_219-.Lpost_getpc10861)&4294967295
	s_addc_u32 s15, s15, (.LBB1_219-.Lpost_getpc10861)>>32
	s_setpc_b64 s[14:15]
.LBB1_28781:
	s_getpc_b64 s[14:15]
.Lpost_getpc54:
	s_add_u32 s14, s14, (.LBB1_220-.Lpost_getpc54)&4294967295
	s_addc_u32 s15, s15, (.LBB1_220-.Lpost_getpc54)>>32
	s_setpc_b64 s[14:15]
.LBB1_14557:
	s_movk_i32 s4, 0x80
	v_cmp_eq_u16_sdwa s[12:13], v4, s4 src0_sel:BYTE_3 src1_sel:DWORD
	s_mov_b64 s[4:5], -1
                                        ; implicit-def: $sgpr10
	s_and_saveexec_b64 s[8:9], s[12:13]
; %bb.14558:
	s_mov_b32 s10, 0x7f800001
	s_xor_b64 s[4:5], exec, -1
; %bb.14559:
	s_or_b64 exec, exec, s[8:9]
	s_and_b64 s[4:5], s[4:5], exec
	s_or_saveexec_b64 s[6:7], s[6:7]
	v_mov_b32_e32 v3, s10
	s_xor_b64 exec, exec, s[6:7]
	s_cbranch_execnz .LBB1_14560
; %bb.50397:
	s_getpc_b64 s[14:15]
.Lpost_getpc10862:
	s_add_u32 s14, s14, (.LBB1_222-.Lpost_getpc10862)&4294967295
	s_addc_u32 s15, s15, (.LBB1_222-.Lpost_getpc10862)>>32
	s_setpc_b64 s[14:15]
.LBB1_14560:
	v_mov_b32_e32 v3, 0
	v_cmp_ne_u16_sdwa s[8:9], v4, v3 src0_sel:BYTE_3 src1_sel:DWORD
	s_andn2_b64 s[4:5], s[4:5], exec
	s_and_b64 s[8:9], s[8:9], exec
	s_or_b64 s[4:5], s[4:5], s[8:9]
	s_or_b64 exec, exec, s[6:7]
	s_and_saveexec_b64 s[6:7], s[4:5]
	s_cbranch_execz .LBB1_28783
; %bb.50399:
	s_getpc_b64 s[14:15]
.Lpost_getpc10863:
	s_add_u32 s14, s14, (.LBB1_223-.Lpost_getpc10863)&4294967295
	s_addc_u32 s15, s15, (.LBB1_223-.Lpost_getpc10863)>>32
	s_setpc_b64 s[14:15]
.LBB1_28783:
	s_getpc_b64 s[14:15]
.Lpost_getpc55:
	s_add_u32 s14, s14, (.LBB1_224-.Lpost_getpc55)&4294967295
	s_addc_u32 s15, s15, (.LBB1_224-.Lpost_getpc55)>>32
	s_setpc_b64 s[14:15]
.LBB1_14561:
	s_movk_i32 s4, 0x80
	v_cmp_eq_u16_sdwa s[12:13], v9, s4 src0_sel:BYTE_0 src1_sel:DWORD
	s_mov_b64 s[4:5], -1
                                        ; implicit-def: $sgpr10
	s_and_saveexec_b64 s[8:9], s[12:13]
; %bb.14562:
	s_mov_b32 s10, 0x7f800001
	s_xor_b64 s[4:5], exec, -1
; %bb.14563:
	s_or_b64 exec, exec, s[8:9]
	s_and_b64 s[4:5], s[4:5], exec
	s_or_saveexec_b64 s[6:7], s[6:7]
	v_mov_b32_e32 v2, s10
	s_xor_b64 exec, exec, s[6:7]
	s_cbranch_execnz .LBB1_14564
; %bb.50401:
	s_getpc_b64 s[14:15]
.Lpost_getpc10864:
	s_add_u32 s14, s14, (.LBB1_226-.Lpost_getpc10864)&4294967295
	s_addc_u32 s15, s15, (.LBB1_226-.Lpost_getpc10864)>>32
	s_setpc_b64 s[14:15]
.LBB1_14564:
	v_mov_b32_e32 v2, 0
	v_cmp_ne_u16_sdwa s[8:9], v9, v2 src0_sel:BYTE_0 src1_sel:DWORD
	s_andn2_b64 s[4:5], s[4:5], exec
	s_and_b64 s[8:9], s[8:9], exec
	s_or_b64 s[4:5], s[4:5], s[8:9]
	s_or_b64 exec, exec, s[6:7]
	s_and_saveexec_b64 s[6:7], s[4:5]
	s_cbranch_execz .LBB1_28785
; %bb.50403:
	s_getpc_b64 s[14:15]
.Lpost_getpc10865:
	s_add_u32 s14, s14, (.LBB1_227-.Lpost_getpc10865)&4294967295
	s_addc_u32 s15, s15, (.LBB1_227-.Lpost_getpc10865)>>32
	s_setpc_b64 s[14:15]
.LBB1_28785:
	s_getpc_b64 s[14:15]
.Lpost_getpc56:
	s_add_u32 s14, s14, (.LBB1_228-.Lpost_getpc56)&4294967295
	s_addc_u32 s15, s15, (.LBB1_228-.Lpost_getpc56)>>32
	s_setpc_b64 s[14:15]
.LBB1_14565:
	s_movk_i32 s4, 0x80
	v_cmp_eq_u16_sdwa s[12:13], v5, s4 src0_sel:BYTE_0 src1_sel:DWORD
	s_mov_b64 s[4:5], -1
                                        ; implicit-def: $sgpr10
	s_and_saveexec_b64 s[8:9], s[12:13]
; %bb.14566:
	s_mov_b32 s10, 0x7f800001
	s_xor_b64 s[4:5], exec, -1
; %bb.14567:
	s_or_b64 exec, exec, s[8:9]
	s_and_b64 s[4:5], s[4:5], exec
	s_or_saveexec_b64 s[6:7], s[6:7]
	v_mov_b32_e32 v3, s10
	s_xor_b64 exec, exec, s[6:7]
	s_cbranch_execnz .LBB1_14568
; %bb.50405:
	s_getpc_b64 s[14:15]
.Lpost_getpc10866:
	s_add_u32 s14, s14, (.LBB1_230-.Lpost_getpc10866)&4294967295
	s_addc_u32 s15, s15, (.LBB1_230-.Lpost_getpc10866)>>32
	s_setpc_b64 s[14:15]
.LBB1_14568:
	v_mov_b32_e32 v3, 0
	v_cmp_ne_u16_sdwa s[8:9], v5, v3 src0_sel:BYTE_0 src1_sel:DWORD
	s_andn2_b64 s[4:5], s[4:5], exec
	s_and_b64 s[8:9], s[8:9], exec
	s_or_b64 s[4:5], s[4:5], s[8:9]
	s_or_b64 exec, exec, s[6:7]
	s_and_saveexec_b64 s[6:7], s[4:5]
	s_cbranch_execz .LBB1_28787
; %bb.50407:
	s_getpc_b64 s[14:15]
.Lpost_getpc10867:
	s_add_u32 s14, s14, (.LBB1_231-.Lpost_getpc10867)&4294967295
	s_addc_u32 s15, s15, (.LBB1_231-.Lpost_getpc10867)>>32
	s_setpc_b64 s[14:15]
.LBB1_28787:
	s_getpc_b64 s[14:15]
.Lpost_getpc57:
	s_add_u32 s14, s14, (.LBB1_232-.Lpost_getpc57)&4294967295
	s_addc_u32 s15, s15, (.LBB1_232-.Lpost_getpc57)>>32
	s_setpc_b64 s[14:15]
.LBB1_14569:
	s_movk_i32 s4, 0x80
	v_cmp_eq_u16_sdwa s[12:13], v3, s4 src0_sel:BYTE_0 src1_sel:DWORD
	s_mov_b64 s[4:5], -1
                                        ; implicit-def: $sgpr10
	s_and_saveexec_b64 s[8:9], s[12:13]
; %bb.14570:
	s_mov_b32 s10, 0x7f800001
	s_xor_b64 s[4:5], exec, -1
; %bb.14571:
	s_or_b64 exec, exec, s[8:9]
	s_and_b64 s[4:5], s[4:5], exec
	s_or_saveexec_b64 s[6:7], s[6:7]
	v_mov_b32_e32 v2, s10
	s_xor_b64 exec, exec, s[6:7]
	s_cbranch_execnz .LBB1_14572
; %bb.50409:
	s_getpc_b64 s[14:15]
.Lpost_getpc10868:
	s_add_u32 s14, s14, (.LBB1_234-.Lpost_getpc10868)&4294967295
	s_addc_u32 s15, s15, (.LBB1_234-.Lpost_getpc10868)>>32
	s_setpc_b64 s[14:15]
.LBB1_14572:
	v_mov_b32_e32 v2, 0
	v_cmp_ne_u16_sdwa s[8:9], v3, v2 src0_sel:BYTE_0 src1_sel:DWORD
	s_andn2_b64 s[4:5], s[4:5], exec
	s_and_b64 s[8:9], s[8:9], exec
	s_or_b64 s[4:5], s[4:5], s[8:9]
	s_or_b64 exec, exec, s[6:7]
	s_and_saveexec_b64 s[6:7], s[4:5]
	s_cbranch_execz .LBB1_28789
; %bb.50411:
	s_getpc_b64 s[14:15]
.Lpost_getpc10869:
	s_add_u32 s14, s14, (.LBB1_235-.Lpost_getpc10869)&4294967295
	s_addc_u32 s15, s15, (.LBB1_235-.Lpost_getpc10869)>>32
	s_setpc_b64 s[14:15]
.LBB1_28789:
	s_getpc_b64 s[14:15]
.Lpost_getpc58:
	s_add_u32 s14, s14, (.LBB1_236-.Lpost_getpc58)&4294967295
	s_addc_u32 s15, s15, (.LBB1_236-.Lpost_getpc58)>>32
	s_setpc_b64 s[14:15]
.LBB1_14573:
	s_movk_i32 s4, 0x80
	v_cmp_eq_u16_sdwa s[12:13], v3, s4 src0_sel:BYTE_0 src1_sel:DWORD
	s_mov_b64 s[4:5], -1
                                        ; implicit-def: $sgpr10
	s_and_saveexec_b64 s[8:9], s[12:13]
; %bb.14574:
	s_mov_b32 s10, 0x7f800001
	s_xor_b64 s[4:5], exec, -1
; %bb.14575:
	s_or_b64 exec, exec, s[8:9]
	s_and_b64 s[4:5], s[4:5], exec
	s_or_saveexec_b64 s[6:7], s[6:7]
	v_mov_b32_e32 v4, s10
	s_xor_b64 exec, exec, s[6:7]
	s_cbranch_execnz .LBB1_14576
; %bb.50413:
	s_getpc_b64 s[14:15]
.Lpost_getpc10870:
	s_add_u32 s14, s14, (.LBB1_238-.Lpost_getpc10870)&4294967295
	s_addc_u32 s15, s15, (.LBB1_238-.Lpost_getpc10870)>>32
	s_setpc_b64 s[14:15]
.LBB1_14576:
	v_mov_b32_e32 v4, 0
	v_cmp_ne_u16_sdwa s[8:9], v3, v4 src0_sel:BYTE_0 src1_sel:DWORD
	s_andn2_b64 s[4:5], s[4:5], exec
	s_and_b64 s[8:9], s[8:9], exec
	s_or_b64 s[4:5], s[4:5], s[8:9]
	s_or_b64 exec, exec, s[6:7]
	s_and_saveexec_b64 s[6:7], s[4:5]
	s_cbranch_execz .LBB1_28791
; %bb.50415:
	s_getpc_b64 s[14:15]
.Lpost_getpc10871:
	s_add_u32 s14, s14, (.LBB1_239-.Lpost_getpc10871)&4294967295
	s_addc_u32 s15, s15, (.LBB1_239-.Lpost_getpc10871)>>32
	s_setpc_b64 s[14:15]
.LBB1_28791:
	s_getpc_b64 s[14:15]
.Lpost_getpc59:
	s_add_u32 s14, s14, (.LBB1_240-.Lpost_getpc59)&4294967295
	s_addc_u32 s15, s15, (.LBB1_240-.Lpost_getpc59)>>32
	s_setpc_b64 s[14:15]
.LBB1_14577:
	s_movk_i32 s4, 0x80
	v_cmp_eq_u16_e32 vcc, s4, v3
	s_mov_b64 s[4:5], -1
                                        ; implicit-def: $sgpr10
	s_and_saveexec_b64 s[8:9], vcc
; %bb.14578:
	s_mov_b32 s10, 0x7f800001
	s_xor_b64 s[4:5], exec, -1
; %bb.14579:
	s_or_b64 exec, exec, s[8:9]
	s_and_b64 s[4:5], s[4:5], exec
                                        ; implicit-def: $vgpr3
	s_or_saveexec_b64 s[6:7], s[6:7]
	v_mov_b32_e32 v2, s10
	s_xor_b64 exec, exec, s[6:7]
	s_cbranch_execnz .LBB1_14580
; %bb.50417:
	s_getpc_b64 s[14:15]
.Lpost_getpc10872:
	s_add_u32 s14, s14, (.LBB1_242-.Lpost_getpc10872)&4294967295
	s_addc_u32 s15, s15, (.LBB1_242-.Lpost_getpc10872)>>32
	s_setpc_b64 s[14:15]
.LBB1_14580:
	v_cmp_ne_u16_e32 vcc, 0, v3
	s_andn2_b64 s[4:5], s[4:5], exec
	s_and_b64 s[8:9], vcc, exec
	v_mov_b32_e32 v2, 0
	s_or_b64 s[4:5], s[4:5], s[8:9]
	s_or_b64 exec, exec, s[6:7]
	s_and_saveexec_b64 s[6:7], s[4:5]
	s_cbranch_execz .LBB1_28793
; %bb.50419:
	s_getpc_b64 s[14:15]
.Lpost_getpc10873:
	s_add_u32 s14, s14, (.LBB1_243-.Lpost_getpc10873)&4294967295
	s_addc_u32 s15, s15, (.LBB1_243-.Lpost_getpc10873)>>32
	s_setpc_b64 s[14:15]
.LBB1_28793:
	s_getpc_b64 s[14:15]
.Lpost_getpc60:
	s_add_u32 s14, s14, (.LBB1_244-.Lpost_getpc60)&4294967295
	s_addc_u32 s15, s15, (.LBB1_244-.Lpost_getpc60)>>32
	s_setpc_b64 s[14:15]
.LBB1_14581:
	s_movk_i32 s4, 0x80
	v_cmp_eq_u16_e32 vcc, s4, v3
	s_mov_b64 s[4:5], -1
                                        ; implicit-def: $sgpr10
	s_and_saveexec_b64 s[8:9], vcc
; %bb.14582:
	s_mov_b32 s10, 0x7f800001
	s_xor_b64 s[4:5], exec, -1
; %bb.14583:
	s_or_b64 exec, exec, s[8:9]
	s_and_b64 s[4:5], s[4:5], exec
                                        ; implicit-def: $vgpr3
	s_or_saveexec_b64 s[6:7], s[6:7]
	v_mov_b32_e32 v4, s10
	s_xor_b64 exec, exec, s[6:7]
	s_cbranch_execnz .LBB1_14584
; %bb.50421:
	s_getpc_b64 s[14:15]
.Lpost_getpc10874:
	s_add_u32 s14, s14, (.LBB1_246-.Lpost_getpc10874)&4294967295
	s_addc_u32 s15, s15, (.LBB1_246-.Lpost_getpc10874)>>32
	s_setpc_b64 s[14:15]
.LBB1_14584:
	v_cmp_ne_u16_e32 vcc, 0, v3
	s_andn2_b64 s[4:5], s[4:5], exec
	s_and_b64 s[8:9], vcc, exec
	v_mov_b32_e32 v4, 0
	s_or_b64 s[4:5], s[4:5], s[8:9]
	s_or_b64 exec, exec, s[6:7]
	s_and_saveexec_b64 s[6:7], s[4:5]
	s_cbranch_execz .LBB1_28795
; %bb.50423:
	s_getpc_b64 s[14:15]
.Lpost_getpc10875:
	s_add_u32 s14, s14, (.LBB1_247-.Lpost_getpc10875)&4294967295
	s_addc_u32 s15, s15, (.LBB1_247-.Lpost_getpc10875)>>32
	s_setpc_b64 s[14:15]
.LBB1_28795:
	s_getpc_b64 s[14:15]
.Lpost_getpc61:
	s_add_u32 s14, s14, (.LBB1_248-.Lpost_getpc61)&4294967295
	s_addc_u32 s15, s15, (.LBB1_248-.Lpost_getpc61)>>32
	s_setpc_b64 s[14:15]
.LBB1_14585:
	s_movk_i32 s4, 0x80
	v_cmp_eq_u16_sdwa s[12:13], v9, s4 src0_sel:BYTE_3 src1_sel:DWORD
	s_mov_b64 s[4:5], -1
                                        ; implicit-def: $sgpr10
	s_and_saveexec_b64 s[8:9], s[12:13]
; %bb.14586:
	s_mov_b32 s10, 0x7f800001
	s_xor_b64 s[4:5], exec, -1
; %bb.14587:
	s_or_b64 exec, exec, s[8:9]
	s_and_b64 s[4:5], s[4:5], exec
	s_or_saveexec_b64 s[6:7], s[6:7]
	v_mov_b32_e32 v2, s10
	s_xor_b64 exec, exec, s[6:7]
	s_cbranch_execnz .LBB1_14588
; %bb.50425:
	s_getpc_b64 s[14:15]
.Lpost_getpc10876:
	s_add_u32 s14, s14, (.LBB1_250-.Lpost_getpc10876)&4294967295
	s_addc_u32 s15, s15, (.LBB1_250-.Lpost_getpc10876)>>32
	s_setpc_b64 s[14:15]
.LBB1_14588:
	v_mov_b32_e32 v2, 0
	v_cmp_ne_u16_sdwa s[8:9], v9, v2 src0_sel:BYTE_3 src1_sel:DWORD
	s_andn2_b64 s[4:5], s[4:5], exec
	s_and_b64 s[8:9], s[8:9], exec
	s_or_b64 s[4:5], s[4:5], s[8:9]
	s_or_b64 exec, exec, s[6:7]
	s_and_saveexec_b64 s[6:7], s[4:5]
	s_cbranch_execz .LBB1_28797
; %bb.50427:
	s_getpc_b64 s[14:15]
.Lpost_getpc10877:
	s_add_u32 s14, s14, (.LBB1_251-.Lpost_getpc10877)&4294967295
	s_addc_u32 s15, s15, (.LBB1_251-.Lpost_getpc10877)>>32
	s_setpc_b64 s[14:15]
.LBB1_28797:
	s_getpc_b64 s[14:15]
.Lpost_getpc62:
	s_add_u32 s14, s14, (.LBB1_252-.Lpost_getpc62)&4294967295
	s_addc_u32 s15, s15, (.LBB1_252-.Lpost_getpc62)>>32
	s_setpc_b64 s[14:15]
.LBB1_14589:
	s_movk_i32 s4, 0x80
	v_cmp_eq_u16_sdwa s[12:13], v5, s4 src0_sel:BYTE_3 src1_sel:DWORD
	s_mov_b64 s[4:5], -1
                                        ; implicit-def: $sgpr10
	s_and_saveexec_b64 s[8:9], s[12:13]
; %bb.14590:
	s_mov_b32 s10, 0x7f800001
	s_xor_b64 s[4:5], exec, -1
; %bb.14591:
	s_or_b64 exec, exec, s[8:9]
	s_and_b64 s[4:5], s[4:5], exec
	s_or_saveexec_b64 s[6:7], s[6:7]
	v_mov_b32_e32 v3, s10
	s_xor_b64 exec, exec, s[6:7]
	s_cbranch_execnz .LBB1_14592
; %bb.50429:
	s_getpc_b64 s[14:15]
.Lpost_getpc10878:
	s_add_u32 s14, s14, (.LBB1_254-.Lpost_getpc10878)&4294967295
	s_addc_u32 s15, s15, (.LBB1_254-.Lpost_getpc10878)>>32
	s_setpc_b64 s[14:15]
.LBB1_14592:
	v_mov_b32_e32 v3, 0
	v_cmp_ne_u16_sdwa s[8:9], v5, v3 src0_sel:BYTE_3 src1_sel:DWORD
	s_andn2_b64 s[4:5], s[4:5], exec
	s_and_b64 s[8:9], s[8:9], exec
	s_or_b64 s[4:5], s[4:5], s[8:9]
	s_or_b64 exec, exec, s[6:7]
	s_and_saveexec_b64 s[6:7], s[4:5]
	s_cbranch_execz .LBB1_28799
; %bb.50431:
	s_getpc_b64 s[14:15]
.Lpost_getpc10879:
	s_add_u32 s14, s14, (.LBB1_255-.Lpost_getpc10879)&4294967295
	s_addc_u32 s15, s15, (.LBB1_255-.Lpost_getpc10879)>>32
	s_setpc_b64 s[14:15]
.LBB1_28799:
	s_getpc_b64 s[14:15]
.Lpost_getpc63:
	s_add_u32 s14, s14, (.LBB1_256-.Lpost_getpc63)&4294967295
	s_addc_u32 s15, s15, (.LBB1_256-.Lpost_getpc63)>>32
	s_setpc_b64 s[14:15]
.LBB1_14593:
	s_movk_i32 s4, 0x80
	v_cmp_eq_u16_sdwa s[12:13], v6, s4 src0_sel:BYTE_0 src1_sel:DWORD
	s_mov_b64 s[4:5], -1
                                        ; implicit-def: $sgpr10
	s_and_saveexec_b64 s[8:9], s[12:13]
; %bb.14594:
	s_mov_b32 s10, 0x7f800001
	s_xor_b64 s[4:5], exec, -1
; %bb.14595:
	s_or_b64 exec, exec, s[8:9]
	s_and_b64 s[4:5], s[4:5], exec
	s_or_saveexec_b64 s[6:7], s[6:7]
	v_mov_b32_e32 v12, s10
	s_xor_b64 exec, exec, s[6:7]
	s_cbranch_execnz .LBB1_14596
; %bb.50433:
	s_getpc_b64 s[14:15]
.Lpost_getpc10880:
	s_add_u32 s14, s14, (.LBB1_258-.Lpost_getpc10880)&4294967295
	s_addc_u32 s15, s15, (.LBB1_258-.Lpost_getpc10880)>>32
	s_setpc_b64 s[14:15]
.LBB1_14596:
	v_mov_b32_e32 v12, 0
	v_cmp_ne_u16_sdwa s[8:9], v6, v12 src0_sel:BYTE_0 src1_sel:DWORD
	s_andn2_b64 s[4:5], s[4:5], exec
	s_and_b64 s[8:9], s[8:9], exec
	s_or_b64 s[4:5], s[4:5], s[8:9]
	s_or_b64 exec, exec, s[6:7]
	s_and_saveexec_b64 s[6:7], s[4:5]
	s_cbranch_execz .LBB1_28801
; %bb.50435:
	s_getpc_b64 s[14:15]
.Lpost_getpc10881:
	s_add_u32 s14, s14, (.LBB1_259-.Lpost_getpc10881)&4294967295
	s_addc_u32 s15, s15, (.LBB1_259-.Lpost_getpc10881)>>32
	s_setpc_b64 s[14:15]
.LBB1_28801:
	s_getpc_b64 s[14:15]
.Lpost_getpc64:
	s_add_u32 s14, s14, (.LBB1_260-.Lpost_getpc64)&4294967295
	s_addc_u32 s15, s15, (.LBB1_260-.Lpost_getpc64)>>32
	s_setpc_b64 s[14:15]
.LBB1_14597:
	s_movk_i32 s4, 0x80
	v_cmp_eq_u16_sdwa s[12:13], v2, s4 src0_sel:BYTE_0 src1_sel:DWORD
	s_mov_b64 s[4:5], -1
                                        ; implicit-def: $sgpr10
	s_and_saveexec_b64 s[8:9], s[12:13]
; %bb.14598:
	s_mov_b32 s10, 0x7f800001
	s_xor_b64 s[4:5], exec, -1
; %bb.14599:
	s_or_b64 exec, exec, s[8:9]
	s_and_b64 s[4:5], s[4:5], exec
	s_or_saveexec_b64 s[6:7], s[6:7]
	v_mov_b32_e32 v13, s10
	s_xor_b64 exec, exec, s[6:7]
	s_cbranch_execnz .LBB1_14600
; %bb.50437:
	s_getpc_b64 s[14:15]
.Lpost_getpc10882:
	s_add_u32 s14, s14, (.LBB1_262-.Lpost_getpc10882)&4294967295
	s_addc_u32 s15, s15, (.LBB1_262-.Lpost_getpc10882)>>32
	s_setpc_b64 s[14:15]
.LBB1_14600:
	v_mov_b32_e32 v13, 0
	v_cmp_ne_u16_sdwa s[8:9], v2, v13 src0_sel:BYTE_0 src1_sel:DWORD
	s_andn2_b64 s[4:5], s[4:5], exec
	s_and_b64 s[8:9], s[8:9], exec
	s_or_b64 s[4:5], s[4:5], s[8:9]
	s_or_b64 exec, exec, s[6:7]
	s_and_saveexec_b64 s[6:7], s[4:5]
	s_cbranch_execz .LBB1_28803
; %bb.50439:
	s_getpc_b64 s[14:15]
.Lpost_getpc10883:
	s_add_u32 s14, s14, (.LBB1_263-.Lpost_getpc10883)&4294967295
	s_addc_u32 s15, s15, (.LBB1_263-.Lpost_getpc10883)>>32
	s_setpc_b64 s[14:15]
.LBB1_28803:
	s_getpc_b64 s[14:15]
.Lpost_getpc65:
	s_add_u32 s14, s14, (.LBB1_264-.Lpost_getpc65)&4294967295
	s_addc_u32 s15, s15, (.LBB1_264-.Lpost_getpc65)>>32
	s_setpc_b64 s[14:15]
.LBB1_14601:
	s_movk_i32 s4, 0x80
	v_cmp_eq_u16_sdwa s[12:13], v13, s4 src0_sel:BYTE_0 src1_sel:DWORD
	s_mov_b64 s[4:5], -1
                                        ; implicit-def: $sgpr10
	s_and_saveexec_b64 s[8:9], s[12:13]
; %bb.14602:
	s_mov_b32 s10, 0x7f800001
	s_xor_b64 s[4:5], exec, -1
; %bb.14603:
	s_or_b64 exec, exec, s[8:9]
	s_and_b64 s[4:5], s[4:5], exec
	s_or_saveexec_b64 s[6:7], s[6:7]
	v_mov_b32_e32 v12, s10
	s_xor_b64 exec, exec, s[6:7]
	s_cbranch_execnz .LBB1_14604
; %bb.50441:
	s_getpc_b64 s[14:15]
.Lpost_getpc10884:
	s_add_u32 s14, s14, (.LBB1_266-.Lpost_getpc10884)&4294967295
	s_addc_u32 s15, s15, (.LBB1_266-.Lpost_getpc10884)>>32
	s_setpc_b64 s[14:15]
.LBB1_14604:
	v_mov_b32_e32 v12, 0
	v_cmp_ne_u16_sdwa s[8:9], v13, v12 src0_sel:BYTE_0 src1_sel:DWORD
	s_andn2_b64 s[4:5], s[4:5], exec
	s_and_b64 s[8:9], s[8:9], exec
	s_or_b64 s[4:5], s[4:5], s[8:9]
	s_or_b64 exec, exec, s[6:7]
	s_and_saveexec_b64 s[6:7], s[4:5]
	s_cbranch_execz .LBB1_28805
; %bb.50443:
	s_getpc_b64 s[14:15]
.Lpost_getpc10885:
	s_add_u32 s14, s14, (.LBB1_267-.Lpost_getpc10885)&4294967295
	s_addc_u32 s15, s15, (.LBB1_267-.Lpost_getpc10885)>>32
	s_setpc_b64 s[14:15]
.LBB1_28805:
	s_getpc_b64 s[14:15]
.Lpost_getpc66:
	s_add_u32 s14, s14, (.LBB1_268-.Lpost_getpc66)&4294967295
	s_addc_u32 s15, s15, (.LBB1_268-.Lpost_getpc66)>>32
	s_setpc_b64 s[14:15]
.LBB1_14605:
	s_movk_i32 s4, 0x80
	v_cmp_eq_u16_sdwa s[12:13], v13, s4 src0_sel:BYTE_0 src1_sel:DWORD
	s_mov_b64 s[4:5], -1
                                        ; implicit-def: $sgpr10
	s_and_saveexec_b64 s[8:9], s[12:13]
; %bb.14606:
	s_mov_b32 s10, 0x7f800001
	s_xor_b64 s[4:5], exec, -1
; %bb.14607:
	s_or_b64 exec, exec, s[8:9]
	s_and_b64 s[4:5], s[4:5], exec
	s_or_saveexec_b64 s[6:7], s[6:7]
	v_mov_b32_e32 v14, s10
	s_xor_b64 exec, exec, s[6:7]
	s_cbranch_execnz .LBB1_14608
; %bb.50445:
	s_getpc_b64 s[14:15]
.Lpost_getpc10886:
	s_add_u32 s14, s14, (.LBB1_270-.Lpost_getpc10886)&4294967295
	s_addc_u32 s15, s15, (.LBB1_270-.Lpost_getpc10886)>>32
	s_setpc_b64 s[14:15]
.LBB1_14608:
	v_mov_b32_e32 v14, 0
	v_cmp_ne_u16_sdwa s[8:9], v13, v14 src0_sel:BYTE_0 src1_sel:DWORD
	s_andn2_b64 s[4:5], s[4:5], exec
	s_and_b64 s[8:9], s[8:9], exec
	s_or_b64 s[4:5], s[4:5], s[8:9]
	s_or_b64 exec, exec, s[6:7]
	s_and_saveexec_b64 s[6:7], s[4:5]
	s_cbranch_execz .LBB1_28807
; %bb.50447:
	s_getpc_b64 s[14:15]
.Lpost_getpc10887:
	s_add_u32 s14, s14, (.LBB1_271-.Lpost_getpc10887)&4294967295
	s_addc_u32 s15, s15, (.LBB1_271-.Lpost_getpc10887)>>32
	s_setpc_b64 s[14:15]
.LBB1_28807:
	s_getpc_b64 s[14:15]
.Lpost_getpc67:
	s_add_u32 s14, s14, (.LBB1_272-.Lpost_getpc67)&4294967295
	s_addc_u32 s15, s15, (.LBB1_272-.Lpost_getpc67)>>32
	s_setpc_b64 s[14:15]
.LBB1_14609:
	s_movk_i32 s4, 0x80
	v_cmp_eq_u16_e32 vcc, s4, v13
	s_mov_b64 s[4:5], -1
                                        ; implicit-def: $sgpr10
	s_and_saveexec_b64 s[8:9], vcc
; %bb.14610:
	s_mov_b32 s10, 0x7f800001
	s_xor_b64 s[4:5], exec, -1
; %bb.14611:
	s_or_b64 exec, exec, s[8:9]
	s_and_b64 s[4:5], s[4:5], exec
                                        ; implicit-def: $vgpr13
	s_or_saveexec_b64 s[6:7], s[6:7]
	v_mov_b32_e32 v12, s10
	s_xor_b64 exec, exec, s[6:7]
	s_cbranch_execnz .LBB1_14612
; %bb.50449:
	s_getpc_b64 s[14:15]
.Lpost_getpc10888:
	s_add_u32 s14, s14, (.LBB1_274-.Lpost_getpc10888)&4294967295
	s_addc_u32 s15, s15, (.LBB1_274-.Lpost_getpc10888)>>32
	s_setpc_b64 s[14:15]
.LBB1_14612:
	v_cmp_ne_u16_e32 vcc, 0, v13
	s_andn2_b64 s[4:5], s[4:5], exec
	s_and_b64 s[8:9], vcc, exec
	v_mov_b32_e32 v12, 0
	s_or_b64 s[4:5], s[4:5], s[8:9]
	s_or_b64 exec, exec, s[6:7]
	s_and_saveexec_b64 s[6:7], s[4:5]
	s_cbranch_execz .LBB1_28809
; %bb.50451:
	s_getpc_b64 s[14:15]
.Lpost_getpc10889:
	s_add_u32 s14, s14, (.LBB1_275-.Lpost_getpc10889)&4294967295
	s_addc_u32 s15, s15, (.LBB1_275-.Lpost_getpc10889)>>32
	s_setpc_b64 s[14:15]
.LBB1_28809:
	s_getpc_b64 s[14:15]
.Lpost_getpc68:
	s_add_u32 s14, s14, (.LBB1_276-.Lpost_getpc68)&4294967295
	s_addc_u32 s15, s15, (.LBB1_276-.Lpost_getpc68)>>32
	s_setpc_b64 s[14:15]
.LBB1_14613:
	s_movk_i32 s4, 0x80
	v_cmp_eq_u16_e32 vcc, s4, v13
	s_mov_b64 s[4:5], -1
                                        ; implicit-def: $sgpr10
	s_and_saveexec_b64 s[8:9], vcc
; %bb.14614:
	s_mov_b32 s10, 0x7f800001
	s_xor_b64 s[4:5], exec, -1
; %bb.14615:
	s_or_b64 exec, exec, s[8:9]
	s_and_b64 s[4:5], s[4:5], exec
                                        ; implicit-def: $vgpr13
	s_or_saveexec_b64 s[6:7], s[6:7]
	v_mov_b32_e32 v14, s10
	s_xor_b64 exec, exec, s[6:7]
	s_cbranch_execnz .LBB1_14616
; %bb.50453:
	s_getpc_b64 s[14:15]
.Lpost_getpc10890:
	s_add_u32 s14, s14, (.LBB1_278-.Lpost_getpc10890)&4294967295
	s_addc_u32 s15, s15, (.LBB1_278-.Lpost_getpc10890)>>32
	s_setpc_b64 s[14:15]
.LBB1_14616:
	v_cmp_ne_u16_e32 vcc, 0, v13
	s_andn2_b64 s[4:5], s[4:5], exec
	s_and_b64 s[8:9], vcc, exec
	v_mov_b32_e32 v14, 0
	s_or_b64 s[4:5], s[4:5], s[8:9]
	s_or_b64 exec, exec, s[6:7]
	s_and_saveexec_b64 s[6:7], s[4:5]
	s_cbranch_execz .LBB1_28811
; %bb.50455:
	s_getpc_b64 s[14:15]
.Lpost_getpc10891:
	s_add_u32 s14, s14, (.LBB1_279-.Lpost_getpc10891)&4294967295
	s_addc_u32 s15, s15, (.LBB1_279-.Lpost_getpc10891)>>32
	s_setpc_b64 s[14:15]
.LBB1_28811:
	s_getpc_b64 s[14:15]
.Lpost_getpc69:
	s_add_u32 s14, s14, (.LBB1_280-.Lpost_getpc69)&4294967295
	s_addc_u32 s15, s15, (.LBB1_280-.Lpost_getpc69)>>32
	s_setpc_b64 s[14:15]
.LBB1_14617:
	s_movk_i32 s4, 0x80
	v_cmp_eq_u16_sdwa s[12:13], v6, s4 src0_sel:BYTE_3 src1_sel:DWORD
	s_mov_b64 s[4:5], -1
                                        ; implicit-def: $sgpr10
	s_and_saveexec_b64 s[8:9], s[12:13]
; %bb.14618:
	s_mov_b32 s10, 0x7f800001
	s_xor_b64 s[4:5], exec, -1
; %bb.14619:
	s_or_b64 exec, exec, s[8:9]
	s_and_b64 s[4:5], s[4:5], exec
	s_or_saveexec_b64 s[6:7], s[6:7]
	v_mov_b32_e32 v12, s10
	s_xor_b64 exec, exec, s[6:7]
	s_cbranch_execnz .LBB1_14620
; %bb.50457:
	s_getpc_b64 s[14:15]
.Lpost_getpc10892:
	s_add_u32 s14, s14, (.LBB1_282-.Lpost_getpc10892)&4294967295
	s_addc_u32 s15, s15, (.LBB1_282-.Lpost_getpc10892)>>32
	s_setpc_b64 s[14:15]
.LBB1_14620:
	v_mov_b32_e32 v12, 0
	v_cmp_ne_u16_sdwa s[8:9], v6, v12 src0_sel:BYTE_3 src1_sel:DWORD
	s_andn2_b64 s[4:5], s[4:5], exec
	s_and_b64 s[8:9], s[8:9], exec
	s_or_b64 s[4:5], s[4:5], s[8:9]
	s_or_b64 exec, exec, s[6:7]
	s_and_saveexec_b64 s[6:7], s[4:5]
	s_cbranch_execz .LBB1_28813
; %bb.50459:
	s_getpc_b64 s[14:15]
.Lpost_getpc10893:
	s_add_u32 s14, s14, (.LBB1_283-.Lpost_getpc10893)&4294967295
	s_addc_u32 s15, s15, (.LBB1_283-.Lpost_getpc10893)>>32
	s_setpc_b64 s[14:15]
.LBB1_28813:
	s_getpc_b64 s[14:15]
.Lpost_getpc70:
	s_add_u32 s14, s14, (.LBB1_284-.Lpost_getpc70)&4294967295
	s_addc_u32 s15, s15, (.LBB1_284-.Lpost_getpc70)>>32
	s_setpc_b64 s[14:15]
.LBB1_14621:
	s_movk_i32 s4, 0x80
	v_cmp_eq_u16_sdwa s[12:13], v2, s4 src0_sel:BYTE_3 src1_sel:DWORD
	s_mov_b64 s[4:5], -1
                                        ; implicit-def: $sgpr10
	s_and_saveexec_b64 s[8:9], s[12:13]
; %bb.14622:
	s_mov_b32 s10, 0x7f800001
	s_xor_b64 s[4:5], exec, -1
; %bb.14623:
	s_or_b64 exec, exec, s[8:9]
	s_and_b64 s[4:5], s[4:5], exec
	s_or_saveexec_b64 s[6:7], s[6:7]
	v_mov_b32_e32 v6, s10
	s_xor_b64 exec, exec, s[6:7]
	s_cbranch_execnz .LBB1_14624
; %bb.50461:
	s_getpc_b64 s[14:15]
.Lpost_getpc10894:
	s_add_u32 s14, s14, (.LBB1_286-.Lpost_getpc10894)&4294967295
	s_addc_u32 s15, s15, (.LBB1_286-.Lpost_getpc10894)>>32
	s_setpc_b64 s[14:15]
.LBB1_14624:
	v_mov_b32_e32 v6, 0
	v_cmp_ne_u16_sdwa s[8:9], v2, v6 src0_sel:BYTE_3 src1_sel:DWORD
	s_andn2_b64 s[4:5], s[4:5], exec
	s_and_b64 s[8:9], s[8:9], exec
	s_or_b64 s[4:5], s[4:5], s[8:9]
	s_or_b64 exec, exec, s[6:7]
	s_and_saveexec_b64 s[6:7], s[4:5]
	s_cbranch_execz .LBB1_28815
; %bb.50463:
	s_getpc_b64 s[14:15]
.Lpost_getpc10895:
	s_add_u32 s14, s14, (.LBB1_287-.Lpost_getpc10895)&4294967295
	s_addc_u32 s15, s15, (.LBB1_287-.Lpost_getpc10895)>>32
	s_setpc_b64 s[14:15]
.LBB1_28815:
	s_getpc_b64 s[14:15]
.Lpost_getpc71:
	s_add_u32 s14, s14, (.LBB1_288-.Lpost_getpc71)&4294967295
	s_addc_u32 s15, s15, (.LBB1_288-.Lpost_getpc71)>>32
	s_setpc_b64 s[14:15]
.LBB1_14625:
	s_movk_i32 s4, 0x80
	v_cmp_eq_u16_sdwa s[12:13], v7, s4 src0_sel:BYTE_0 src1_sel:DWORD
	s_mov_b64 s[4:5], -1
                                        ; implicit-def: $sgpr10
	s_and_saveexec_b64 s[8:9], s[12:13]
; %bb.14626:
	s_mov_b32 s10, 0x7f800001
	s_xor_b64 s[4:5], exec, -1
; %bb.14627:
	s_or_b64 exec, exec, s[8:9]
	s_and_b64 s[4:5], s[4:5], exec
	s_or_saveexec_b64 s[6:7], s[6:7]
	v_mov_b32_e32 v2, s10
	s_xor_b64 exec, exec, s[6:7]
	s_cbranch_execnz .LBB1_14628
; %bb.50465:
	s_getpc_b64 s[14:15]
.Lpost_getpc10896:
	s_add_u32 s14, s14, (.LBB1_290-.Lpost_getpc10896)&4294967295
	s_addc_u32 s15, s15, (.LBB1_290-.Lpost_getpc10896)>>32
	s_setpc_b64 s[14:15]
.LBB1_14628:
	v_mov_b32_e32 v2, 0
	v_cmp_ne_u16_sdwa s[8:9], v7, v2 src0_sel:BYTE_0 src1_sel:DWORD
	s_andn2_b64 s[4:5], s[4:5], exec
	s_and_b64 s[8:9], s[8:9], exec
	s_or_b64 s[4:5], s[4:5], s[8:9]
	s_or_b64 exec, exec, s[6:7]
	s_and_saveexec_b64 s[6:7], s[4:5]
	s_cbranch_execz .LBB1_28817
; %bb.50467:
	s_getpc_b64 s[14:15]
.Lpost_getpc10897:
	s_add_u32 s14, s14, (.LBB1_291-.Lpost_getpc10897)&4294967295
	s_addc_u32 s15, s15, (.LBB1_291-.Lpost_getpc10897)>>32
	s_setpc_b64 s[14:15]
.LBB1_28817:
	s_getpc_b64 s[14:15]
.Lpost_getpc72:
	s_add_u32 s14, s14, (.LBB1_292-.Lpost_getpc72)&4294967295
	s_addc_u32 s15, s15, (.LBB1_292-.Lpost_getpc72)>>32
	s_setpc_b64 s[14:15]
.LBB1_14629:
	s_movk_i32 s4, 0x80
	v_cmp_eq_u16_sdwa s[12:13], v3, s4 src0_sel:BYTE_0 src1_sel:DWORD
	s_mov_b64 s[4:5], -1
                                        ; implicit-def: $sgpr10
	s_and_saveexec_b64 s[8:9], s[12:13]
; %bb.14630:
	s_mov_b32 s10, 0x7f800001
	s_xor_b64 s[4:5], exec, -1
; %bb.14631:
	s_or_b64 exec, exec, s[8:9]
	s_and_b64 s[4:5], s[4:5], exec
	s_or_saveexec_b64 s[6:7], s[6:7]
	v_mov_b32_e32 v6, s10
	s_xor_b64 exec, exec, s[6:7]
	s_cbranch_execnz .LBB1_14632
; %bb.50469:
	s_getpc_b64 s[14:15]
.Lpost_getpc10898:
	s_add_u32 s14, s14, (.LBB1_294-.Lpost_getpc10898)&4294967295
	s_addc_u32 s15, s15, (.LBB1_294-.Lpost_getpc10898)>>32
	s_setpc_b64 s[14:15]
.LBB1_14632:
	v_mov_b32_e32 v6, 0
	v_cmp_ne_u16_sdwa s[8:9], v3, v6 src0_sel:BYTE_0 src1_sel:DWORD
	s_andn2_b64 s[4:5], s[4:5], exec
	s_and_b64 s[8:9], s[8:9], exec
	s_or_b64 s[4:5], s[4:5], s[8:9]
	s_or_b64 exec, exec, s[6:7]
	s_and_saveexec_b64 s[6:7], s[4:5]
	s_cbranch_execz .LBB1_28819
; %bb.50471:
	s_getpc_b64 s[14:15]
.Lpost_getpc10899:
	s_add_u32 s14, s14, (.LBB1_295-.Lpost_getpc10899)&4294967295
	s_addc_u32 s15, s15, (.LBB1_295-.Lpost_getpc10899)>>32
	s_setpc_b64 s[14:15]
.LBB1_28819:
	s_getpc_b64 s[14:15]
.Lpost_getpc73:
	s_add_u32 s14, s14, (.LBB1_296-.Lpost_getpc73)&4294967295
	s_addc_u32 s15, s15, (.LBB1_296-.Lpost_getpc73)>>32
	s_setpc_b64 s[14:15]
.LBB1_14633:
	s_movk_i32 s4, 0x80
	v_cmp_eq_u16_sdwa s[12:13], v6, s4 src0_sel:BYTE_0 src1_sel:DWORD
	s_mov_b64 s[4:5], -1
                                        ; implicit-def: $sgpr10
	s_and_saveexec_b64 s[8:9], s[12:13]
; %bb.14634:
	s_mov_b32 s10, 0x7f800001
	s_xor_b64 s[4:5], exec, -1
; %bb.14635:
	s_or_b64 exec, exec, s[8:9]
	s_and_b64 s[4:5], s[4:5], exec
	s_or_saveexec_b64 s[6:7], s[6:7]
	v_mov_b32_e32 v2, s10
	s_xor_b64 exec, exec, s[6:7]
	s_cbranch_execnz .LBB1_14636
; %bb.50473:
	s_getpc_b64 s[14:15]
.Lpost_getpc10900:
	s_add_u32 s14, s14, (.LBB1_298-.Lpost_getpc10900)&4294967295
	s_addc_u32 s15, s15, (.LBB1_298-.Lpost_getpc10900)>>32
	s_setpc_b64 s[14:15]
.LBB1_14636:
	v_mov_b32_e32 v2, 0
	v_cmp_ne_u16_sdwa s[8:9], v6, v2 src0_sel:BYTE_0 src1_sel:DWORD
	s_andn2_b64 s[4:5], s[4:5], exec
	s_and_b64 s[8:9], s[8:9], exec
	s_or_b64 s[4:5], s[4:5], s[8:9]
	s_or_b64 exec, exec, s[6:7]
	s_and_saveexec_b64 s[6:7], s[4:5]
	s_cbranch_execz .LBB1_28821
; %bb.50475:
	s_getpc_b64 s[14:15]
.Lpost_getpc10901:
	s_add_u32 s14, s14, (.LBB1_299-.Lpost_getpc10901)&4294967295
	s_addc_u32 s15, s15, (.LBB1_299-.Lpost_getpc10901)>>32
	s_setpc_b64 s[14:15]
.LBB1_28821:
	s_getpc_b64 s[14:15]
.Lpost_getpc74:
	s_add_u32 s14, s14, (.LBB1_300-.Lpost_getpc74)&4294967295
	s_addc_u32 s15, s15, (.LBB1_300-.Lpost_getpc74)>>32
	s_setpc_b64 s[14:15]
.LBB1_14637:
	s_movk_i32 s4, 0x80
	v_cmp_eq_u16_sdwa s[12:13], v6, s4 src0_sel:BYTE_0 src1_sel:DWORD
	s_mov_b64 s[4:5], -1
                                        ; implicit-def: $sgpr10
	s_and_saveexec_b64 s[8:9], s[12:13]
; %bb.14638:
	s_mov_b32 s10, 0x7f800001
	s_xor_b64 s[4:5], exec, -1
; %bb.14639:
	s_or_b64 exec, exec, s[8:9]
	s_and_b64 s[4:5], s[4:5], exec
	s_or_saveexec_b64 s[6:7], s[6:7]
	v_mov_b32_e32 v12, s10
	s_xor_b64 exec, exec, s[6:7]
	s_cbranch_execnz .LBB1_14640
; %bb.50477:
	s_getpc_b64 s[14:15]
.Lpost_getpc10902:
	s_add_u32 s14, s14, (.LBB1_302-.Lpost_getpc10902)&4294967295
	s_addc_u32 s15, s15, (.LBB1_302-.Lpost_getpc10902)>>32
	s_setpc_b64 s[14:15]
.LBB1_14640:
	v_mov_b32_e32 v12, 0
	v_cmp_ne_u16_sdwa s[8:9], v6, v12 src0_sel:BYTE_0 src1_sel:DWORD
	s_andn2_b64 s[4:5], s[4:5], exec
	s_and_b64 s[8:9], s[8:9], exec
	s_or_b64 s[4:5], s[4:5], s[8:9]
	s_or_b64 exec, exec, s[6:7]
	s_and_saveexec_b64 s[6:7], s[4:5]
	s_cbranch_execz .LBB1_28823
; %bb.50479:
	s_getpc_b64 s[14:15]
.Lpost_getpc10903:
	s_add_u32 s14, s14, (.LBB1_303-.Lpost_getpc10903)&4294967295
	s_addc_u32 s15, s15, (.LBB1_303-.Lpost_getpc10903)>>32
	s_setpc_b64 s[14:15]
.LBB1_28823:
	s_getpc_b64 s[14:15]
.Lpost_getpc75:
	s_add_u32 s14, s14, (.LBB1_304-.Lpost_getpc75)&4294967295
	s_addc_u32 s15, s15, (.LBB1_304-.Lpost_getpc75)>>32
	s_setpc_b64 s[14:15]
.LBB1_14641:
	s_movk_i32 s4, 0x80
	v_cmp_eq_u16_e32 vcc, s4, v6
	s_mov_b64 s[4:5], -1
                                        ; implicit-def: $sgpr10
	s_and_saveexec_b64 s[8:9], vcc
; %bb.14642:
	s_mov_b32 s10, 0x7f800001
	s_xor_b64 s[4:5], exec, -1
; %bb.14643:
	s_or_b64 exec, exec, s[8:9]
	s_and_b64 s[4:5], s[4:5], exec
                                        ; implicit-def: $vgpr6
	s_or_saveexec_b64 s[6:7], s[6:7]
	v_mov_b32_e32 v2, s10
	s_xor_b64 exec, exec, s[6:7]
	s_cbranch_execnz .LBB1_14644
; %bb.50481:
	s_getpc_b64 s[14:15]
.Lpost_getpc10904:
	s_add_u32 s14, s14, (.LBB1_306-.Lpost_getpc10904)&4294967295
	s_addc_u32 s15, s15, (.LBB1_306-.Lpost_getpc10904)>>32
	s_setpc_b64 s[14:15]
.LBB1_14644:
	v_cmp_ne_u16_e32 vcc, 0, v6
	s_andn2_b64 s[4:5], s[4:5], exec
	s_and_b64 s[8:9], vcc, exec
	v_mov_b32_e32 v2, 0
	s_or_b64 s[4:5], s[4:5], s[8:9]
	s_or_b64 exec, exec, s[6:7]
	s_and_saveexec_b64 s[6:7], s[4:5]
	s_cbranch_execz .LBB1_28825
; %bb.50483:
	s_getpc_b64 s[14:15]
.Lpost_getpc10905:
	s_add_u32 s14, s14, (.LBB1_307-.Lpost_getpc10905)&4294967295
	s_addc_u32 s15, s15, (.LBB1_307-.Lpost_getpc10905)>>32
	s_setpc_b64 s[14:15]
.LBB1_28825:
	s_getpc_b64 s[14:15]
.Lpost_getpc76:
	s_add_u32 s14, s14, (.LBB1_308-.Lpost_getpc76)&4294967295
	s_addc_u32 s15, s15, (.LBB1_308-.Lpost_getpc76)>>32
	s_setpc_b64 s[14:15]
.LBB1_14645:
	s_movk_i32 s4, 0x80
	v_cmp_eq_u16_e32 vcc, s4, v6
	s_mov_b64 s[4:5], -1
                                        ; implicit-def: $sgpr10
	s_and_saveexec_b64 s[8:9], vcc
; %bb.14646:
	s_mov_b32 s10, 0x7f800001
	s_xor_b64 s[4:5], exec, -1
; %bb.14647:
	s_or_b64 exec, exec, s[8:9]
	s_and_b64 s[4:5], s[4:5], exec
                                        ; implicit-def: $vgpr6
	s_or_saveexec_b64 s[6:7], s[6:7]
	v_mov_b32_e32 v12, s10
	s_xor_b64 exec, exec, s[6:7]
	s_cbranch_execnz .LBB1_14648
; %bb.50485:
	s_getpc_b64 s[14:15]
.Lpost_getpc10906:
	s_add_u32 s14, s14, (.LBB1_310-.Lpost_getpc10906)&4294967295
	s_addc_u32 s15, s15, (.LBB1_310-.Lpost_getpc10906)>>32
	s_setpc_b64 s[14:15]
.LBB1_14648:
	v_cmp_ne_u16_e32 vcc, 0, v6
	s_andn2_b64 s[4:5], s[4:5], exec
	s_and_b64 s[8:9], vcc, exec
	v_mov_b32_e32 v12, 0
	s_or_b64 s[4:5], s[4:5], s[8:9]
	s_or_b64 exec, exec, s[6:7]
	s_and_saveexec_b64 s[6:7], s[4:5]
	s_cbranch_execz .LBB1_28827
; %bb.50487:
	s_getpc_b64 s[14:15]
.Lpost_getpc10907:
	s_add_u32 s14, s14, (.LBB1_311-.Lpost_getpc10907)&4294967295
	s_addc_u32 s15, s15, (.LBB1_311-.Lpost_getpc10907)>>32
	s_setpc_b64 s[14:15]
.LBB1_28827:
	s_getpc_b64 s[14:15]
.Lpost_getpc77:
	s_add_u32 s14, s14, (.LBB1_312-.Lpost_getpc77)&4294967295
	s_addc_u32 s15, s15, (.LBB1_312-.Lpost_getpc77)>>32
	s_setpc_b64 s[14:15]
.LBB1_14649:
	s_movk_i32 s4, 0x80
	v_cmp_eq_u16_sdwa s[12:13], v7, s4 src0_sel:BYTE_3 src1_sel:DWORD
	s_mov_b64 s[4:5], -1
                                        ; implicit-def: $sgpr10
	s_and_saveexec_b64 s[8:9], s[12:13]
; %bb.14650:
	s_mov_b32 s10, 0x7f800001
	s_xor_b64 s[4:5], exec, -1
; %bb.14651:
	s_or_b64 exec, exec, s[8:9]
	s_and_b64 s[4:5], s[4:5], exec
	s_or_saveexec_b64 s[6:7], s[6:7]
	v_mov_b32_e32 v2, s10
	s_xor_b64 exec, exec, s[6:7]
	s_cbranch_execnz .LBB1_14652
; %bb.50489:
	s_getpc_b64 s[14:15]
.Lpost_getpc10908:
	s_add_u32 s14, s14, (.LBB1_314-.Lpost_getpc10908)&4294967295
	s_addc_u32 s15, s15, (.LBB1_314-.Lpost_getpc10908)>>32
	s_setpc_b64 s[14:15]
.LBB1_14652:
	v_mov_b32_e32 v2, 0
	v_cmp_ne_u16_sdwa s[8:9], v7, v2 src0_sel:BYTE_3 src1_sel:DWORD
	s_andn2_b64 s[4:5], s[4:5], exec
	s_and_b64 s[8:9], s[8:9], exec
	s_or_b64 s[4:5], s[4:5], s[8:9]
	s_or_b64 exec, exec, s[6:7]
	s_and_saveexec_b64 s[6:7], s[4:5]
	s_cbranch_execz .LBB1_28829
; %bb.50491:
	s_getpc_b64 s[14:15]
.Lpost_getpc10909:
	s_add_u32 s14, s14, (.LBB1_315-.Lpost_getpc10909)&4294967295
	s_addc_u32 s15, s15, (.LBB1_315-.Lpost_getpc10909)>>32
	s_setpc_b64 s[14:15]
.LBB1_28829:
	s_getpc_b64 s[14:15]
.Lpost_getpc78:
	s_add_u32 s14, s14, (.LBB1_316-.Lpost_getpc78)&4294967295
	s_addc_u32 s15, s15, (.LBB1_316-.Lpost_getpc78)>>32
	s_setpc_b64 s[14:15]
.LBB1_14653:
	s_movk_i32 s4, 0x80
	v_cmp_eq_u16_sdwa s[12:13], v3, s4 src0_sel:BYTE_3 src1_sel:DWORD
	s_mov_b64 s[4:5], -1
                                        ; implicit-def: $sgpr10
	s_and_saveexec_b64 s[8:9], s[12:13]
; %bb.14654:
	s_mov_b32 s10, 0x7f800001
	s_xor_b64 s[4:5], exec, -1
; %bb.14655:
	s_or_b64 exec, exec, s[8:9]
	s_and_b64 s[4:5], s[4:5], exec
	s_or_saveexec_b64 s[6:7], s[6:7]
	v_mov_b32_e32 v6, s10
	s_xor_b64 exec, exec, s[6:7]
	s_cbranch_execnz .LBB1_14656
; %bb.50493:
	s_getpc_b64 s[14:15]
.Lpost_getpc10910:
	s_add_u32 s14, s14, (.LBB1_318-.Lpost_getpc10910)&4294967295
	s_addc_u32 s15, s15, (.LBB1_318-.Lpost_getpc10910)>>32
	s_setpc_b64 s[14:15]
.LBB1_14656:
	v_mov_b32_e32 v6, 0
	v_cmp_ne_u16_sdwa s[8:9], v3, v6 src0_sel:BYTE_3 src1_sel:DWORD
	s_andn2_b64 s[4:5], s[4:5], exec
	s_and_b64 s[8:9], s[8:9], exec
	s_or_b64 s[4:5], s[4:5], s[8:9]
	s_or_b64 exec, exec, s[6:7]
	s_and_saveexec_b64 s[6:7], s[4:5]
	s_cbranch_execz .LBB1_28831
; %bb.50495:
	s_getpc_b64 s[14:15]
.Lpost_getpc10911:
	s_add_u32 s14, s14, (.LBB1_319-.Lpost_getpc10911)&4294967295
	s_addc_u32 s15, s15, (.LBB1_319-.Lpost_getpc10911)>>32
	s_setpc_b64 s[14:15]
.LBB1_28831:
	s_getpc_b64 s[14:15]
.Lpost_getpc79:
	s_add_u32 s14, s14, (.LBB1_320-.Lpost_getpc79)&4294967295
	s_addc_u32 s15, s15, (.LBB1_320-.Lpost_getpc79)>>32
	s_setpc_b64 s[14:15]
.LBB1_14657:
	s_movk_i32 s4, 0x80
	v_cmp_eq_u16_sdwa s[12:13], v8, s4 src0_sel:BYTE_0 src1_sel:DWORD
	s_mov_b64 s[4:5], -1
                                        ; implicit-def: $sgpr10
	s_and_saveexec_b64 s[8:9], s[12:13]
; %bb.14658:
	s_mov_b32 s10, 0x7f800001
	s_xor_b64 s[4:5], exec, -1
; %bb.14659:
	s_or_b64 exec, exec, s[8:9]
	s_and_b64 s[4:5], s[4:5], exec
	s_or_saveexec_b64 s[6:7], s[6:7]
	v_mov_b32_e32 v2, s10
	s_xor_b64 exec, exec, s[6:7]
	s_cbranch_execnz .LBB1_14660
; %bb.50497:
	s_getpc_b64 s[14:15]
.Lpost_getpc10912:
	s_add_u32 s14, s14, (.LBB1_322-.Lpost_getpc10912)&4294967295
	s_addc_u32 s15, s15, (.LBB1_322-.Lpost_getpc10912)>>32
	s_setpc_b64 s[14:15]
.LBB1_14660:
	v_mov_b32_e32 v2, 0
	v_cmp_ne_u16_sdwa s[8:9], v8, v2 src0_sel:BYTE_0 src1_sel:DWORD
	s_andn2_b64 s[4:5], s[4:5], exec
	s_and_b64 s[8:9], s[8:9], exec
	s_or_b64 s[4:5], s[4:5], s[8:9]
	s_or_b64 exec, exec, s[6:7]
	s_and_saveexec_b64 s[6:7], s[4:5]
	s_cbranch_execz .LBB1_28833
; %bb.50499:
	s_getpc_b64 s[14:15]
.Lpost_getpc10913:
	s_add_u32 s14, s14, (.LBB1_323-.Lpost_getpc10913)&4294967295
	s_addc_u32 s15, s15, (.LBB1_323-.Lpost_getpc10913)>>32
	s_setpc_b64 s[14:15]
.LBB1_28833:
	s_getpc_b64 s[14:15]
.Lpost_getpc80:
	s_add_u32 s14, s14, (.LBB1_324-.Lpost_getpc80)&4294967295
	s_addc_u32 s15, s15, (.LBB1_324-.Lpost_getpc80)>>32
	s_setpc_b64 s[14:15]
.LBB1_14661:
	s_movk_i32 s4, 0x80
	v_cmp_eq_u16_sdwa s[12:13], v4, s4 src0_sel:BYTE_0 src1_sel:DWORD
	s_mov_b64 s[4:5], -1
                                        ; implicit-def: $sgpr10
	s_and_saveexec_b64 s[8:9], s[12:13]
; %bb.14662:
	s_mov_b32 s10, 0x7f800001
	s_xor_b64 s[4:5], exec, -1
; %bb.14663:
	s_or_b64 exec, exec, s[8:9]
	s_and_b64 s[4:5], s[4:5], exec
	s_or_saveexec_b64 s[6:7], s[6:7]
	v_mov_b32_e32 v3, s10
	s_xor_b64 exec, exec, s[6:7]
	s_cbranch_execnz .LBB1_14664
; %bb.50501:
	s_getpc_b64 s[14:15]
.Lpost_getpc10914:
	s_add_u32 s14, s14, (.LBB1_326-.Lpost_getpc10914)&4294967295
	s_addc_u32 s15, s15, (.LBB1_326-.Lpost_getpc10914)>>32
	s_setpc_b64 s[14:15]
.LBB1_14664:
	v_mov_b32_e32 v3, 0
	v_cmp_ne_u16_sdwa s[8:9], v4, v3 src0_sel:BYTE_0 src1_sel:DWORD
	s_andn2_b64 s[4:5], s[4:5], exec
	s_and_b64 s[8:9], s[8:9], exec
	s_or_b64 s[4:5], s[4:5], s[8:9]
	s_or_b64 exec, exec, s[6:7]
	s_and_saveexec_b64 s[6:7], s[4:5]
	s_cbranch_execz .LBB1_28835
; %bb.50503:
	s_getpc_b64 s[14:15]
.Lpost_getpc10915:
	s_add_u32 s14, s14, (.LBB1_327-.Lpost_getpc10915)&4294967295
	s_addc_u32 s15, s15, (.LBB1_327-.Lpost_getpc10915)>>32
	s_setpc_b64 s[14:15]
.LBB1_28835:
	s_getpc_b64 s[14:15]
.Lpost_getpc81:
	s_add_u32 s14, s14, (.LBB1_328-.Lpost_getpc81)&4294967295
	s_addc_u32 s15, s15, (.LBB1_328-.Lpost_getpc81)>>32
	s_setpc_b64 s[14:15]
.LBB1_14665:
	s_movk_i32 s4, 0x80
	v_cmp_eq_u16_sdwa s[12:13], v3, s4 src0_sel:BYTE_0 src1_sel:DWORD
	s_mov_b64 s[4:5], -1
                                        ; implicit-def: $sgpr10
	s_and_saveexec_b64 s[8:9], s[12:13]
; %bb.14666:
	s_mov_b32 s10, 0x7f800001
	s_xor_b64 s[4:5], exec, -1
; %bb.14667:
	s_or_b64 exec, exec, s[8:9]
	s_and_b64 s[4:5], s[4:5], exec
	s_or_saveexec_b64 s[6:7], s[6:7]
	v_mov_b32_e32 v2, s10
	s_xor_b64 exec, exec, s[6:7]
	s_cbranch_execnz .LBB1_14668
; %bb.50505:
	s_getpc_b64 s[14:15]
.Lpost_getpc10916:
	s_add_u32 s14, s14, (.LBB1_330-.Lpost_getpc10916)&4294967295
	s_addc_u32 s15, s15, (.LBB1_330-.Lpost_getpc10916)>>32
	s_setpc_b64 s[14:15]
.LBB1_14668:
	v_mov_b32_e32 v2, 0
	v_cmp_ne_u16_sdwa s[8:9], v3, v2 src0_sel:BYTE_0 src1_sel:DWORD
	s_andn2_b64 s[4:5], s[4:5], exec
	s_and_b64 s[8:9], s[8:9], exec
	s_or_b64 s[4:5], s[4:5], s[8:9]
	s_or_b64 exec, exec, s[6:7]
	s_and_saveexec_b64 s[6:7], s[4:5]
	s_cbranch_execz .LBB1_28837
; %bb.50507:
	s_getpc_b64 s[14:15]
.Lpost_getpc10917:
	s_add_u32 s14, s14, (.LBB1_331-.Lpost_getpc10917)&4294967295
	s_addc_u32 s15, s15, (.LBB1_331-.Lpost_getpc10917)>>32
	s_setpc_b64 s[14:15]
.LBB1_28837:
	s_getpc_b64 s[14:15]
.Lpost_getpc82:
	s_add_u32 s14, s14, (.LBB1_332-.Lpost_getpc82)&4294967295
	s_addc_u32 s15, s15, (.LBB1_332-.Lpost_getpc82)>>32
	s_setpc_b64 s[14:15]
.LBB1_14669:
	s_movk_i32 s4, 0x80
	v_cmp_eq_u16_sdwa s[12:13], v3, s4 src0_sel:BYTE_0 src1_sel:DWORD
	s_mov_b64 s[4:5], -1
                                        ; implicit-def: $sgpr10
	s_and_saveexec_b64 s[8:9], s[12:13]
; %bb.14670:
	s_mov_b32 s10, 0x7f800001
	s_xor_b64 s[4:5], exec, -1
; %bb.14671:
	s_or_b64 exec, exec, s[8:9]
	s_and_b64 s[4:5], s[4:5], exec
	s_or_saveexec_b64 s[6:7], s[6:7]
	v_mov_b32_e32 v6, s10
	s_xor_b64 exec, exec, s[6:7]
	s_cbranch_execnz .LBB1_14672
; %bb.50509:
	s_getpc_b64 s[14:15]
.Lpost_getpc10918:
	s_add_u32 s14, s14, (.LBB1_334-.Lpost_getpc10918)&4294967295
	s_addc_u32 s15, s15, (.LBB1_334-.Lpost_getpc10918)>>32
	s_setpc_b64 s[14:15]
.LBB1_14672:
	v_mov_b32_e32 v6, 0
	v_cmp_ne_u16_sdwa s[8:9], v3, v6 src0_sel:BYTE_0 src1_sel:DWORD
	s_andn2_b64 s[4:5], s[4:5], exec
	s_and_b64 s[8:9], s[8:9], exec
	s_or_b64 s[4:5], s[4:5], s[8:9]
	s_or_b64 exec, exec, s[6:7]
	s_and_saveexec_b64 s[6:7], s[4:5]
	s_cbranch_execz .LBB1_28839
; %bb.50511:
	s_getpc_b64 s[14:15]
.Lpost_getpc10919:
	s_add_u32 s14, s14, (.LBB1_335-.Lpost_getpc10919)&4294967295
	s_addc_u32 s15, s15, (.LBB1_335-.Lpost_getpc10919)>>32
	s_setpc_b64 s[14:15]
.LBB1_28839:
	s_getpc_b64 s[14:15]
.Lpost_getpc83:
	s_add_u32 s14, s14, (.LBB1_336-.Lpost_getpc83)&4294967295
	s_addc_u32 s15, s15, (.LBB1_336-.Lpost_getpc83)>>32
	s_setpc_b64 s[14:15]
.LBB1_14673:
	s_movk_i32 s4, 0x80
	v_cmp_eq_u16_e32 vcc, s4, v3
	s_mov_b64 s[4:5], -1
                                        ; implicit-def: $sgpr10
	s_and_saveexec_b64 s[8:9], vcc
; %bb.14674:
	s_mov_b32 s10, 0x7f800001
	s_xor_b64 s[4:5], exec, -1
; %bb.14675:
	s_or_b64 exec, exec, s[8:9]
	s_and_b64 s[4:5], s[4:5], exec
                                        ; implicit-def: $vgpr3
	s_or_saveexec_b64 s[6:7], s[6:7]
	v_mov_b32_e32 v2, s10
	s_xor_b64 exec, exec, s[6:7]
	s_cbranch_execnz .LBB1_14676
; %bb.50513:
	s_getpc_b64 s[14:15]
.Lpost_getpc10920:
	s_add_u32 s14, s14, (.LBB1_338-.Lpost_getpc10920)&4294967295
	s_addc_u32 s15, s15, (.LBB1_338-.Lpost_getpc10920)>>32
	s_setpc_b64 s[14:15]
.LBB1_14676:
	v_cmp_ne_u16_e32 vcc, 0, v3
	s_andn2_b64 s[4:5], s[4:5], exec
	s_and_b64 s[8:9], vcc, exec
	v_mov_b32_e32 v2, 0
	s_or_b64 s[4:5], s[4:5], s[8:9]
	s_or_b64 exec, exec, s[6:7]
	s_and_saveexec_b64 s[6:7], s[4:5]
	s_cbranch_execz .LBB1_28841
; %bb.50515:
	s_getpc_b64 s[14:15]
.Lpost_getpc10921:
	s_add_u32 s14, s14, (.LBB1_339-.Lpost_getpc10921)&4294967295
	s_addc_u32 s15, s15, (.LBB1_339-.Lpost_getpc10921)>>32
	s_setpc_b64 s[14:15]
.LBB1_28841:
	s_getpc_b64 s[14:15]
.Lpost_getpc84:
	s_add_u32 s14, s14, (.LBB1_340-.Lpost_getpc84)&4294967295
	s_addc_u32 s15, s15, (.LBB1_340-.Lpost_getpc84)>>32
	s_setpc_b64 s[14:15]
.LBB1_14677:
	s_movk_i32 s4, 0x80
	v_cmp_eq_u16_e32 vcc, s4, v3
	s_mov_b64 s[4:5], -1
                                        ; implicit-def: $sgpr10
	s_and_saveexec_b64 s[8:9], vcc
; %bb.14678:
	s_mov_b32 s10, 0x7f800001
	s_xor_b64 s[4:5], exec, -1
; %bb.14679:
	s_or_b64 exec, exec, s[8:9]
	s_and_b64 s[4:5], s[4:5], exec
                                        ; implicit-def: $vgpr3
	s_or_saveexec_b64 s[6:7], s[6:7]
	v_mov_b32_e32 v6, s10
	s_xor_b64 exec, exec, s[6:7]
	s_cbranch_execnz .LBB1_14680
; %bb.50517:
	s_getpc_b64 s[14:15]
.Lpost_getpc10922:
	s_add_u32 s14, s14, (.LBB1_342-.Lpost_getpc10922)&4294967295
	s_addc_u32 s15, s15, (.LBB1_342-.Lpost_getpc10922)>>32
	s_setpc_b64 s[14:15]
.LBB1_14680:
	v_cmp_ne_u16_e32 vcc, 0, v3
	s_andn2_b64 s[4:5], s[4:5], exec
	s_and_b64 s[8:9], vcc, exec
	v_mov_b32_e32 v6, 0
	s_or_b64 s[4:5], s[4:5], s[8:9]
	s_or_b64 exec, exec, s[6:7]
	s_and_saveexec_b64 s[6:7], s[4:5]
	s_cbranch_execz .LBB1_28843
; %bb.50519:
	s_getpc_b64 s[14:15]
.Lpost_getpc10923:
	s_add_u32 s14, s14, (.LBB1_343-.Lpost_getpc10923)&4294967295
	s_addc_u32 s15, s15, (.LBB1_343-.Lpost_getpc10923)>>32
	s_setpc_b64 s[14:15]
.LBB1_28843:
	s_getpc_b64 s[14:15]
.Lpost_getpc85:
	s_add_u32 s14, s14, (.LBB1_344-.Lpost_getpc85)&4294967295
	s_addc_u32 s15, s15, (.LBB1_344-.Lpost_getpc85)>>32
	s_setpc_b64 s[14:15]
.LBB1_14681:
	s_movk_i32 s4, 0x80
	v_cmp_eq_u16_sdwa s[12:13], v8, s4 src0_sel:BYTE_3 src1_sel:DWORD
	s_mov_b64 s[4:5], -1
                                        ; implicit-def: $sgpr10
	s_and_saveexec_b64 s[8:9], s[12:13]
; %bb.14682:
	s_mov_b32 s10, 0x7f800001
	s_xor_b64 s[4:5], exec, -1
; %bb.14683:
	s_or_b64 exec, exec, s[8:9]
	s_and_b64 s[4:5], s[4:5], exec
	s_or_saveexec_b64 s[6:7], s[6:7]
	v_mov_b32_e32 v2, s10
	s_xor_b64 exec, exec, s[6:7]
	s_cbranch_execnz .LBB1_14684
; %bb.50521:
	s_getpc_b64 s[14:15]
.Lpost_getpc10924:
	s_add_u32 s14, s14, (.LBB1_346-.Lpost_getpc10924)&4294967295
	s_addc_u32 s15, s15, (.LBB1_346-.Lpost_getpc10924)>>32
	s_setpc_b64 s[14:15]
.LBB1_14684:
	v_mov_b32_e32 v2, 0
	v_cmp_ne_u16_sdwa s[8:9], v8, v2 src0_sel:BYTE_3 src1_sel:DWORD
	s_andn2_b64 s[4:5], s[4:5], exec
	s_and_b64 s[8:9], s[8:9], exec
	s_or_b64 s[4:5], s[4:5], s[8:9]
	s_or_b64 exec, exec, s[6:7]
	s_and_saveexec_b64 s[6:7], s[4:5]
	s_cbranch_execz .LBB1_28845
; %bb.50523:
	s_getpc_b64 s[14:15]
.Lpost_getpc10925:
	s_add_u32 s14, s14, (.LBB1_347-.Lpost_getpc10925)&4294967295
	s_addc_u32 s15, s15, (.LBB1_347-.Lpost_getpc10925)>>32
	s_setpc_b64 s[14:15]
.LBB1_28845:
	s_getpc_b64 s[14:15]
.Lpost_getpc86:
	s_add_u32 s14, s14, (.LBB1_348-.Lpost_getpc86)&4294967295
	s_addc_u32 s15, s15, (.LBB1_348-.Lpost_getpc86)>>32
	s_setpc_b64 s[14:15]
.LBB1_14685:
	s_movk_i32 s4, 0x80
	v_cmp_eq_u16_sdwa s[12:13], v4, s4 src0_sel:BYTE_3 src1_sel:DWORD
	s_mov_b64 s[4:5], -1
                                        ; implicit-def: $sgpr10
	s_and_saveexec_b64 s[8:9], s[12:13]
; %bb.14686:
	s_mov_b32 s10, 0x7f800001
	s_xor_b64 s[4:5], exec, -1
; %bb.14687:
	s_or_b64 exec, exec, s[8:9]
	s_and_b64 s[4:5], s[4:5], exec
	s_or_saveexec_b64 s[6:7], s[6:7]
	v_mov_b32_e32 v3, s10
	s_xor_b64 exec, exec, s[6:7]
	s_cbranch_execnz .LBB1_14688
; %bb.50525:
	s_getpc_b64 s[14:15]
.Lpost_getpc10926:
	s_add_u32 s14, s14, (.LBB1_350-.Lpost_getpc10926)&4294967295
	s_addc_u32 s15, s15, (.LBB1_350-.Lpost_getpc10926)>>32
	s_setpc_b64 s[14:15]
.LBB1_14688:
	v_mov_b32_e32 v3, 0
	v_cmp_ne_u16_sdwa s[8:9], v4, v3 src0_sel:BYTE_3 src1_sel:DWORD
	s_andn2_b64 s[4:5], s[4:5], exec
	s_and_b64 s[8:9], s[8:9], exec
	s_or_b64 s[4:5], s[4:5], s[8:9]
	s_or_b64 exec, exec, s[6:7]
	s_and_saveexec_b64 s[6:7], s[4:5]
	s_cbranch_execz .LBB1_28847
; %bb.50527:
	s_getpc_b64 s[14:15]
.Lpost_getpc10927:
	s_add_u32 s14, s14, (.LBB1_351-.Lpost_getpc10927)&4294967295
	s_addc_u32 s15, s15, (.LBB1_351-.Lpost_getpc10927)>>32
	s_setpc_b64 s[14:15]
.LBB1_28847:
	s_getpc_b64 s[14:15]
.Lpost_getpc87:
	s_add_u32 s14, s14, (.LBB1_352-.Lpost_getpc87)&4294967295
	s_addc_u32 s15, s15, (.LBB1_352-.Lpost_getpc87)>>32
	s_setpc_b64 s[14:15]
.LBB1_14689:
	s_movk_i32 s4, 0x80
	v_cmp_eq_u16_sdwa s[12:13], v9, s4 src0_sel:BYTE_0 src1_sel:DWORD
	s_mov_b64 s[4:5], -1
                                        ; implicit-def: $sgpr10
	s_and_saveexec_b64 s[8:9], s[12:13]
; %bb.14690:
	s_mov_b32 s10, 0x7f800001
	s_xor_b64 s[4:5], exec, -1
; %bb.14691:
	s_or_b64 exec, exec, s[8:9]
	s_and_b64 s[4:5], s[4:5], exec
	s_or_saveexec_b64 s[6:7], s[6:7]
	v_mov_b32_e32 v2, s10
	s_xor_b64 exec, exec, s[6:7]
	s_cbranch_execnz .LBB1_14692
; %bb.50529:
	s_getpc_b64 s[14:15]
.Lpost_getpc10928:
	s_add_u32 s14, s14, (.LBB1_354-.Lpost_getpc10928)&4294967295
	s_addc_u32 s15, s15, (.LBB1_354-.Lpost_getpc10928)>>32
	s_setpc_b64 s[14:15]
.LBB1_14692:
	v_mov_b32_e32 v2, 0
	v_cmp_ne_u16_sdwa s[8:9], v9, v2 src0_sel:BYTE_0 src1_sel:DWORD
	s_andn2_b64 s[4:5], s[4:5], exec
	s_and_b64 s[8:9], s[8:9], exec
	s_or_b64 s[4:5], s[4:5], s[8:9]
	s_or_b64 exec, exec, s[6:7]
	s_and_saveexec_b64 s[6:7], s[4:5]
	s_cbranch_execz .LBB1_28849
; %bb.50531:
	s_getpc_b64 s[14:15]
.Lpost_getpc10929:
	s_add_u32 s14, s14, (.LBB1_355-.Lpost_getpc10929)&4294967295
	s_addc_u32 s15, s15, (.LBB1_355-.Lpost_getpc10929)>>32
	s_setpc_b64 s[14:15]
.LBB1_28849:
	s_getpc_b64 s[14:15]
.Lpost_getpc88:
	s_add_u32 s14, s14, (.LBB1_356-.Lpost_getpc88)&4294967295
	s_addc_u32 s15, s15, (.LBB1_356-.Lpost_getpc88)>>32
	s_setpc_b64 s[14:15]
.LBB1_14693:
	s_movk_i32 s4, 0x80
	v_cmp_eq_u16_sdwa s[12:13], v5, s4 src0_sel:BYTE_0 src1_sel:DWORD
	s_mov_b64 s[4:5], -1
                                        ; implicit-def: $sgpr10
	s_and_saveexec_b64 s[8:9], s[12:13]
; %bb.14694:
	s_mov_b32 s10, 0x7f800001
	s_xor_b64 s[4:5], exec, -1
; %bb.14695:
	s_or_b64 exec, exec, s[8:9]
	s_and_b64 s[4:5], s[4:5], exec
	s_or_saveexec_b64 s[6:7], s[6:7]
	v_mov_b32_e32 v3, s10
	s_xor_b64 exec, exec, s[6:7]
	s_cbranch_execnz .LBB1_14696
; %bb.50533:
	s_getpc_b64 s[14:15]
.Lpost_getpc10930:
	s_add_u32 s14, s14, (.LBB1_358-.Lpost_getpc10930)&4294967295
	s_addc_u32 s15, s15, (.LBB1_358-.Lpost_getpc10930)>>32
	s_setpc_b64 s[14:15]
.LBB1_14696:
	v_mov_b32_e32 v3, 0
	v_cmp_ne_u16_sdwa s[8:9], v5, v3 src0_sel:BYTE_0 src1_sel:DWORD
	s_andn2_b64 s[4:5], s[4:5], exec
	s_and_b64 s[8:9], s[8:9], exec
	s_or_b64 s[4:5], s[4:5], s[8:9]
	s_or_b64 exec, exec, s[6:7]
	s_and_saveexec_b64 s[6:7], s[4:5]
	s_cbranch_execz .LBB1_28851
; %bb.50535:
	s_getpc_b64 s[14:15]
.Lpost_getpc10931:
	s_add_u32 s14, s14, (.LBB1_359-.Lpost_getpc10931)&4294967295
	s_addc_u32 s15, s15, (.LBB1_359-.Lpost_getpc10931)>>32
	s_setpc_b64 s[14:15]
.LBB1_28851:
	s_getpc_b64 s[14:15]
.Lpost_getpc89:
	s_add_u32 s14, s14, (.LBB1_360-.Lpost_getpc89)&4294967295
	s_addc_u32 s15, s15, (.LBB1_360-.Lpost_getpc89)>>32
	s_setpc_b64 s[14:15]
.LBB1_14697:
	s_movk_i32 s4, 0x80
	v_cmp_eq_u16_sdwa s[12:13], v3, s4 src0_sel:BYTE_0 src1_sel:DWORD
	s_mov_b64 s[4:5], -1
                                        ; implicit-def: $sgpr10
	s_and_saveexec_b64 s[8:9], s[12:13]
; %bb.14698:
	s_mov_b32 s10, 0x7f800001
	s_xor_b64 s[4:5], exec, -1
; %bb.14699:
	s_or_b64 exec, exec, s[8:9]
	s_and_b64 s[4:5], s[4:5], exec
	s_or_saveexec_b64 s[6:7], s[6:7]
	v_mov_b32_e32 v2, s10
	s_xor_b64 exec, exec, s[6:7]
	s_cbranch_execnz .LBB1_14700
; %bb.50537:
	s_getpc_b64 s[14:15]
.Lpost_getpc10932:
	s_add_u32 s14, s14, (.LBB1_362-.Lpost_getpc10932)&4294967295
	s_addc_u32 s15, s15, (.LBB1_362-.Lpost_getpc10932)>>32
	s_setpc_b64 s[14:15]
.LBB1_14700:
	v_mov_b32_e32 v2, 0
	v_cmp_ne_u16_sdwa s[8:9], v3, v2 src0_sel:BYTE_0 src1_sel:DWORD
	s_andn2_b64 s[4:5], s[4:5], exec
	s_and_b64 s[8:9], s[8:9], exec
	s_or_b64 s[4:5], s[4:5], s[8:9]
	s_or_b64 exec, exec, s[6:7]
	s_and_saveexec_b64 s[6:7], s[4:5]
	s_cbranch_execz .LBB1_28853
; %bb.50539:
	s_getpc_b64 s[14:15]
.Lpost_getpc10933:
	s_add_u32 s14, s14, (.LBB1_363-.Lpost_getpc10933)&4294967295
	s_addc_u32 s15, s15, (.LBB1_363-.Lpost_getpc10933)>>32
	s_setpc_b64 s[14:15]
.LBB1_28853:
	s_getpc_b64 s[14:15]
.Lpost_getpc90:
	s_add_u32 s14, s14, (.LBB1_364-.Lpost_getpc90)&4294967295
	s_addc_u32 s15, s15, (.LBB1_364-.Lpost_getpc90)>>32
	s_setpc_b64 s[14:15]
.LBB1_14701:
	s_movk_i32 s4, 0x80
	v_cmp_eq_u16_sdwa s[12:13], v3, s4 src0_sel:BYTE_0 src1_sel:DWORD
	s_mov_b64 s[4:5], -1
                                        ; implicit-def: $sgpr10
	s_and_saveexec_b64 s[8:9], s[12:13]
; %bb.14702:
	s_mov_b32 s10, 0x7f800001
	s_xor_b64 s[4:5], exec, -1
; %bb.14703:
	s_or_b64 exec, exec, s[8:9]
	s_and_b64 s[4:5], s[4:5], exec
	s_or_saveexec_b64 s[6:7], s[6:7]
	v_mov_b32_e32 v4, s10
	s_xor_b64 exec, exec, s[6:7]
	s_cbranch_execnz .LBB1_14704
; %bb.50541:
	s_getpc_b64 s[14:15]
.Lpost_getpc10934:
	s_add_u32 s14, s14, (.LBB1_366-.Lpost_getpc10934)&4294967295
	s_addc_u32 s15, s15, (.LBB1_366-.Lpost_getpc10934)>>32
	s_setpc_b64 s[14:15]
.LBB1_14704:
	v_mov_b32_e32 v4, 0
	v_cmp_ne_u16_sdwa s[8:9], v3, v4 src0_sel:BYTE_0 src1_sel:DWORD
	s_andn2_b64 s[4:5], s[4:5], exec
	s_and_b64 s[8:9], s[8:9], exec
	s_or_b64 s[4:5], s[4:5], s[8:9]
	s_or_b64 exec, exec, s[6:7]
	s_and_saveexec_b64 s[6:7], s[4:5]
	s_cbranch_execz .LBB1_28855
; %bb.50543:
	s_getpc_b64 s[14:15]
.Lpost_getpc10935:
	s_add_u32 s14, s14, (.LBB1_367-.Lpost_getpc10935)&4294967295
	s_addc_u32 s15, s15, (.LBB1_367-.Lpost_getpc10935)>>32
	s_setpc_b64 s[14:15]
.LBB1_28855:
	s_getpc_b64 s[14:15]
.Lpost_getpc91:
	s_add_u32 s14, s14, (.LBB1_368-.Lpost_getpc91)&4294967295
	s_addc_u32 s15, s15, (.LBB1_368-.Lpost_getpc91)>>32
	s_setpc_b64 s[14:15]
.LBB1_14705:
	s_movk_i32 s4, 0x80
	v_cmp_eq_u16_e32 vcc, s4, v3
	s_mov_b64 s[4:5], -1
                                        ; implicit-def: $sgpr10
	s_and_saveexec_b64 s[8:9], vcc
; %bb.14706:
	s_mov_b32 s10, 0x7f800001
	s_xor_b64 s[4:5], exec, -1
; %bb.14707:
	s_or_b64 exec, exec, s[8:9]
	s_and_b64 s[4:5], s[4:5], exec
                                        ; implicit-def: $vgpr3
	s_or_saveexec_b64 s[6:7], s[6:7]
	v_mov_b32_e32 v2, s10
	s_xor_b64 exec, exec, s[6:7]
	s_cbranch_execnz .LBB1_14708
; %bb.50545:
	s_getpc_b64 s[14:15]
.Lpost_getpc10936:
	s_add_u32 s14, s14, (.LBB1_370-.Lpost_getpc10936)&4294967295
	s_addc_u32 s15, s15, (.LBB1_370-.Lpost_getpc10936)>>32
	s_setpc_b64 s[14:15]
.LBB1_14708:
	v_cmp_ne_u16_e32 vcc, 0, v3
	s_andn2_b64 s[4:5], s[4:5], exec
	s_and_b64 s[8:9], vcc, exec
	v_mov_b32_e32 v2, 0
	s_or_b64 s[4:5], s[4:5], s[8:9]
	s_or_b64 exec, exec, s[6:7]
	s_and_saveexec_b64 s[6:7], s[4:5]
	s_cbranch_execz .LBB1_28857
; %bb.50547:
	s_getpc_b64 s[14:15]
.Lpost_getpc10937:
	s_add_u32 s14, s14, (.LBB1_371-.Lpost_getpc10937)&4294967295
	s_addc_u32 s15, s15, (.LBB1_371-.Lpost_getpc10937)>>32
	s_setpc_b64 s[14:15]
.LBB1_28857:
	s_getpc_b64 s[14:15]
.Lpost_getpc92:
	s_add_u32 s14, s14, (.LBB1_372-.Lpost_getpc92)&4294967295
	s_addc_u32 s15, s15, (.LBB1_372-.Lpost_getpc92)>>32
	s_setpc_b64 s[14:15]
.LBB1_14709:
	s_movk_i32 s4, 0x80
	v_cmp_eq_u16_e32 vcc, s4, v3
	s_mov_b64 s[4:5], -1
                                        ; implicit-def: $sgpr10
	s_and_saveexec_b64 s[8:9], vcc
; %bb.14710:
	s_mov_b32 s10, 0x7f800001
	s_xor_b64 s[4:5], exec, -1
; %bb.14711:
	s_or_b64 exec, exec, s[8:9]
	s_and_b64 s[4:5], s[4:5], exec
                                        ; implicit-def: $vgpr3
	s_or_saveexec_b64 s[6:7], s[6:7]
	v_mov_b32_e32 v4, s10
	s_xor_b64 exec, exec, s[6:7]
	s_cbranch_execnz .LBB1_14712
; %bb.50549:
	s_getpc_b64 s[14:15]
.Lpost_getpc10938:
	s_add_u32 s14, s14, (.LBB1_374-.Lpost_getpc10938)&4294967295
	s_addc_u32 s15, s15, (.LBB1_374-.Lpost_getpc10938)>>32
	s_setpc_b64 s[14:15]
.LBB1_14712:
	v_cmp_ne_u16_e32 vcc, 0, v3
	s_andn2_b64 s[4:5], s[4:5], exec
	s_and_b64 s[8:9], vcc, exec
	v_mov_b32_e32 v4, 0
	s_or_b64 s[4:5], s[4:5], s[8:9]
	s_or_b64 exec, exec, s[6:7]
	s_and_saveexec_b64 s[6:7], s[4:5]
	s_cbranch_execz .LBB1_28859
; %bb.50551:
	s_getpc_b64 s[14:15]
.Lpost_getpc10939:
	s_add_u32 s14, s14, (.LBB1_375-.Lpost_getpc10939)&4294967295
	s_addc_u32 s15, s15, (.LBB1_375-.Lpost_getpc10939)>>32
	s_setpc_b64 s[14:15]
.LBB1_28859:
	s_getpc_b64 s[14:15]
.Lpost_getpc93:
	s_add_u32 s14, s14, (.LBB1_376-.Lpost_getpc93)&4294967295
	s_addc_u32 s15, s15, (.LBB1_376-.Lpost_getpc93)>>32
	s_setpc_b64 s[14:15]
.LBB1_14713:
	s_movk_i32 s4, 0x80
	v_cmp_eq_u16_sdwa s[12:13], v9, s4 src0_sel:BYTE_3 src1_sel:DWORD
	s_mov_b64 s[4:5], -1
                                        ; implicit-def: $sgpr10
	s_and_saveexec_b64 s[8:9], s[12:13]
; %bb.14714:
	s_mov_b32 s10, 0x7f800001
	s_xor_b64 s[4:5], exec, -1
; %bb.14715:
	s_or_b64 exec, exec, s[8:9]
	s_and_b64 s[4:5], s[4:5], exec
	s_or_saveexec_b64 s[6:7], s[6:7]
	v_mov_b32_e32 v2, s10
	s_xor_b64 exec, exec, s[6:7]
	s_cbranch_execnz .LBB1_14716
; %bb.50553:
	s_getpc_b64 s[14:15]
.Lpost_getpc10940:
	s_add_u32 s14, s14, (.LBB1_378-.Lpost_getpc10940)&4294967295
	s_addc_u32 s15, s15, (.LBB1_378-.Lpost_getpc10940)>>32
	s_setpc_b64 s[14:15]
.LBB1_14716:
	v_mov_b32_e32 v2, 0
	v_cmp_ne_u16_sdwa s[8:9], v9, v2 src0_sel:BYTE_3 src1_sel:DWORD
	s_andn2_b64 s[4:5], s[4:5], exec
	s_and_b64 s[8:9], s[8:9], exec
	s_or_b64 s[4:5], s[4:5], s[8:9]
	s_or_b64 exec, exec, s[6:7]
	s_and_saveexec_b64 s[6:7], s[4:5]
	s_cbranch_execz .LBB1_28861
; %bb.50555:
	s_getpc_b64 s[14:15]
.Lpost_getpc10941:
	s_add_u32 s14, s14, (.LBB1_379-.Lpost_getpc10941)&4294967295
	s_addc_u32 s15, s15, (.LBB1_379-.Lpost_getpc10941)>>32
	s_setpc_b64 s[14:15]
.LBB1_28861:
	s_getpc_b64 s[14:15]
.Lpost_getpc94:
	s_add_u32 s14, s14, (.LBB1_380-.Lpost_getpc94)&4294967295
	s_addc_u32 s15, s15, (.LBB1_380-.Lpost_getpc94)>>32
	s_setpc_b64 s[14:15]
.LBB1_14717:
	s_movk_i32 s4, 0x80
	v_cmp_eq_u16_sdwa s[12:13], v5, s4 src0_sel:BYTE_3 src1_sel:DWORD
	s_mov_b64 s[4:5], -1
                                        ; implicit-def: $sgpr10
	s_and_saveexec_b64 s[8:9], s[12:13]
; %bb.14718:
	s_mov_b32 s10, 0x7f800001
	s_xor_b64 s[4:5], exec, -1
; %bb.14719:
	s_or_b64 exec, exec, s[8:9]
	s_and_b64 s[4:5], s[4:5], exec
	s_or_saveexec_b64 s[6:7], s[6:7]
	v_mov_b32_e32 v3, s10
	s_xor_b64 exec, exec, s[6:7]
	s_cbranch_execnz .LBB1_14720
; %bb.50557:
	s_getpc_b64 s[14:15]
.Lpost_getpc10942:
	s_add_u32 s14, s14, (.LBB1_382-.Lpost_getpc10942)&4294967295
	s_addc_u32 s15, s15, (.LBB1_382-.Lpost_getpc10942)>>32
	s_setpc_b64 s[14:15]
.LBB1_14720:
	v_mov_b32_e32 v3, 0
	v_cmp_ne_u16_sdwa s[8:9], v5, v3 src0_sel:BYTE_3 src1_sel:DWORD
	s_andn2_b64 s[4:5], s[4:5], exec
	s_and_b64 s[8:9], s[8:9], exec
	s_or_b64 s[4:5], s[4:5], s[8:9]
	s_or_b64 exec, exec, s[6:7]
	s_and_saveexec_b64 s[6:7], s[4:5]
	s_cbranch_execz .LBB1_28863
; %bb.50559:
	s_getpc_b64 s[14:15]
.Lpost_getpc10943:
	s_add_u32 s14, s14, (.LBB1_383-.Lpost_getpc10943)&4294967295
	s_addc_u32 s15, s15, (.LBB1_383-.Lpost_getpc10943)>>32
	s_setpc_b64 s[14:15]
.LBB1_28863:
	s_getpc_b64 s[14:15]
.Lpost_getpc95:
	s_add_u32 s14, s14, (.LBB1_384-.Lpost_getpc95)&4294967295
	s_addc_u32 s15, s15, (.LBB1_384-.Lpost_getpc95)>>32
	s_setpc_b64 s[14:15]
.LBB1_14721:
	s_movk_i32 s4, 0x80
	v_cmp_eq_u16_sdwa s[12:13], v6, s4 src0_sel:BYTE_0 src1_sel:DWORD
	s_mov_b64 s[4:5], -1
                                        ; implicit-def: $sgpr10
	s_and_saveexec_b64 s[8:9], s[12:13]
; %bb.14722:
	s_mov_b32 s10, 0x7f800001
	s_xor_b64 s[4:5], exec, -1
; %bb.14723:
	s_or_b64 exec, exec, s[8:9]
	s_and_b64 s[4:5], s[4:5], exec
	s_or_saveexec_b64 s[6:7], s[6:7]
	v_mov_b32_e32 v12, s10
	s_xor_b64 exec, exec, s[6:7]
	s_cbranch_execnz .LBB1_14724
; %bb.50561:
	s_getpc_b64 s[14:15]
.Lpost_getpc10944:
	s_add_u32 s14, s14, (.LBB1_386-.Lpost_getpc10944)&4294967295
	s_addc_u32 s15, s15, (.LBB1_386-.Lpost_getpc10944)>>32
	s_setpc_b64 s[14:15]
.LBB1_14724:
	v_mov_b32_e32 v12, 0
	v_cmp_ne_u16_sdwa s[8:9], v6, v12 src0_sel:BYTE_0 src1_sel:DWORD
	s_andn2_b64 s[4:5], s[4:5], exec
	s_and_b64 s[8:9], s[8:9], exec
	s_or_b64 s[4:5], s[4:5], s[8:9]
	s_or_b64 exec, exec, s[6:7]
	s_and_saveexec_b64 s[6:7], s[4:5]
	s_cbranch_execz .LBB1_28865
; %bb.50563:
	s_getpc_b64 s[14:15]
.Lpost_getpc10945:
	s_add_u32 s14, s14, (.LBB1_387-.Lpost_getpc10945)&4294967295
	s_addc_u32 s15, s15, (.LBB1_387-.Lpost_getpc10945)>>32
	s_setpc_b64 s[14:15]
.LBB1_28865:
	s_getpc_b64 s[14:15]
.Lpost_getpc96:
	s_add_u32 s14, s14, (.LBB1_388-.Lpost_getpc96)&4294967295
	s_addc_u32 s15, s15, (.LBB1_388-.Lpost_getpc96)>>32
	s_setpc_b64 s[14:15]
.LBB1_14725:
	s_movk_i32 s4, 0x80
	v_cmp_eq_u16_sdwa s[12:13], v2, s4 src0_sel:BYTE_0 src1_sel:DWORD
	s_mov_b64 s[4:5], -1
                                        ; implicit-def: $sgpr10
	s_and_saveexec_b64 s[8:9], s[12:13]
; %bb.14726:
	s_mov_b32 s10, 0x7f800001
	s_xor_b64 s[4:5], exec, -1
; %bb.14727:
	s_or_b64 exec, exec, s[8:9]
	s_and_b64 s[4:5], s[4:5], exec
	s_or_saveexec_b64 s[6:7], s[6:7]
	v_mov_b32_e32 v13, s10
	s_xor_b64 exec, exec, s[6:7]
	s_cbranch_execnz .LBB1_14728
; %bb.50565:
	s_getpc_b64 s[14:15]
.Lpost_getpc10946:
	s_add_u32 s14, s14, (.LBB1_390-.Lpost_getpc10946)&4294967295
	s_addc_u32 s15, s15, (.LBB1_390-.Lpost_getpc10946)>>32
	s_setpc_b64 s[14:15]
.LBB1_14728:
	v_mov_b32_e32 v13, 0
	v_cmp_ne_u16_sdwa s[8:9], v2, v13 src0_sel:BYTE_0 src1_sel:DWORD
	s_andn2_b64 s[4:5], s[4:5], exec
	s_and_b64 s[8:9], s[8:9], exec
	s_or_b64 s[4:5], s[4:5], s[8:9]
	s_or_b64 exec, exec, s[6:7]
	s_and_saveexec_b64 s[6:7], s[4:5]
	s_cbranch_execz .LBB1_28867
; %bb.50567:
	s_getpc_b64 s[14:15]
.Lpost_getpc10947:
	s_add_u32 s14, s14, (.LBB1_391-.Lpost_getpc10947)&4294967295
	s_addc_u32 s15, s15, (.LBB1_391-.Lpost_getpc10947)>>32
	s_setpc_b64 s[14:15]
.LBB1_28867:
	s_getpc_b64 s[14:15]
.Lpost_getpc97:
	s_add_u32 s14, s14, (.LBB1_392-.Lpost_getpc97)&4294967295
	s_addc_u32 s15, s15, (.LBB1_392-.Lpost_getpc97)>>32
	s_setpc_b64 s[14:15]
.LBB1_14729:
	s_movk_i32 s4, 0x80
	v_cmp_eq_u16_sdwa s[12:13], v13, s4 src0_sel:BYTE_0 src1_sel:DWORD
	s_mov_b64 s[4:5], -1
                                        ; implicit-def: $sgpr10
	s_and_saveexec_b64 s[8:9], s[12:13]
; %bb.14730:
	s_mov_b32 s10, 0x7f800001
	s_xor_b64 s[4:5], exec, -1
; %bb.14731:
	s_or_b64 exec, exec, s[8:9]
	s_and_b64 s[4:5], s[4:5], exec
	s_or_saveexec_b64 s[6:7], s[6:7]
	v_mov_b32_e32 v12, s10
	s_xor_b64 exec, exec, s[6:7]
	s_cbranch_execnz .LBB1_14732
; %bb.50569:
	s_getpc_b64 s[14:15]
.Lpost_getpc10948:
	s_add_u32 s14, s14, (.LBB1_394-.Lpost_getpc10948)&4294967295
	s_addc_u32 s15, s15, (.LBB1_394-.Lpost_getpc10948)>>32
	s_setpc_b64 s[14:15]
.LBB1_14732:
	v_mov_b32_e32 v12, 0
	v_cmp_ne_u16_sdwa s[8:9], v13, v12 src0_sel:BYTE_0 src1_sel:DWORD
	s_andn2_b64 s[4:5], s[4:5], exec
	s_and_b64 s[8:9], s[8:9], exec
	s_or_b64 s[4:5], s[4:5], s[8:9]
	s_or_b64 exec, exec, s[6:7]
	s_and_saveexec_b64 s[6:7], s[4:5]
	s_cbranch_execz .LBB1_28869
; %bb.50571:
	s_getpc_b64 s[14:15]
.Lpost_getpc10949:
	s_add_u32 s14, s14, (.LBB1_395-.Lpost_getpc10949)&4294967295
	s_addc_u32 s15, s15, (.LBB1_395-.Lpost_getpc10949)>>32
	s_setpc_b64 s[14:15]
.LBB1_28869:
	s_getpc_b64 s[14:15]
.Lpost_getpc98:
	s_add_u32 s14, s14, (.LBB1_396-.Lpost_getpc98)&4294967295
	s_addc_u32 s15, s15, (.LBB1_396-.Lpost_getpc98)>>32
	s_setpc_b64 s[14:15]
.LBB1_14733:
	s_movk_i32 s4, 0x80
	v_cmp_eq_u16_sdwa s[12:13], v13, s4 src0_sel:BYTE_0 src1_sel:DWORD
	s_mov_b64 s[4:5], -1
                                        ; implicit-def: $sgpr10
	s_and_saveexec_b64 s[8:9], s[12:13]
; %bb.14734:
	s_mov_b32 s10, 0x7f800001
	s_xor_b64 s[4:5], exec, -1
; %bb.14735:
	s_or_b64 exec, exec, s[8:9]
	s_and_b64 s[4:5], s[4:5], exec
	s_or_saveexec_b64 s[6:7], s[6:7]
	v_mov_b32_e32 v14, s10
	s_xor_b64 exec, exec, s[6:7]
	s_cbranch_execnz .LBB1_14736
; %bb.50573:
	s_getpc_b64 s[14:15]
.Lpost_getpc10950:
	s_add_u32 s14, s14, (.LBB1_398-.Lpost_getpc10950)&4294967295
	s_addc_u32 s15, s15, (.LBB1_398-.Lpost_getpc10950)>>32
	s_setpc_b64 s[14:15]
.LBB1_14736:
	v_mov_b32_e32 v14, 0
	v_cmp_ne_u16_sdwa s[8:9], v13, v14 src0_sel:BYTE_0 src1_sel:DWORD
	s_andn2_b64 s[4:5], s[4:5], exec
	s_and_b64 s[8:9], s[8:9], exec
	s_or_b64 s[4:5], s[4:5], s[8:9]
	s_or_b64 exec, exec, s[6:7]
	s_and_saveexec_b64 s[6:7], s[4:5]
	s_cbranch_execz .LBB1_28871
; %bb.50575:
	s_getpc_b64 s[14:15]
.Lpost_getpc10951:
	s_add_u32 s14, s14, (.LBB1_399-.Lpost_getpc10951)&4294967295
	s_addc_u32 s15, s15, (.LBB1_399-.Lpost_getpc10951)>>32
	s_setpc_b64 s[14:15]
.LBB1_28871:
	s_getpc_b64 s[14:15]
.Lpost_getpc99:
	s_add_u32 s14, s14, (.LBB1_400-.Lpost_getpc99)&4294967295
	s_addc_u32 s15, s15, (.LBB1_400-.Lpost_getpc99)>>32
	s_setpc_b64 s[14:15]
.LBB1_14737:
	s_movk_i32 s4, 0x80
	v_cmp_eq_u16_e32 vcc, s4, v13
	s_mov_b64 s[4:5], -1
                                        ; implicit-def: $sgpr10
	s_and_saveexec_b64 s[8:9], vcc
; %bb.14738:
	s_mov_b32 s10, 0x7f800001
	s_xor_b64 s[4:5], exec, -1
; %bb.14739:
	s_or_b64 exec, exec, s[8:9]
	s_and_b64 s[4:5], s[4:5], exec
                                        ; implicit-def: $vgpr13
	s_or_saveexec_b64 s[6:7], s[6:7]
	v_mov_b32_e32 v12, s10
	s_xor_b64 exec, exec, s[6:7]
	s_cbranch_execnz .LBB1_14740
; %bb.50577:
	s_getpc_b64 s[14:15]
.Lpost_getpc10952:
	s_add_u32 s14, s14, (.LBB1_402-.Lpost_getpc10952)&4294967295
	s_addc_u32 s15, s15, (.LBB1_402-.Lpost_getpc10952)>>32
	s_setpc_b64 s[14:15]
.LBB1_14740:
	v_cmp_ne_u16_e32 vcc, 0, v13
	s_andn2_b64 s[4:5], s[4:5], exec
	s_and_b64 s[8:9], vcc, exec
	v_mov_b32_e32 v12, 0
	s_or_b64 s[4:5], s[4:5], s[8:9]
	s_or_b64 exec, exec, s[6:7]
	s_and_saveexec_b64 s[6:7], s[4:5]
	s_cbranch_execz .LBB1_28873
; %bb.50579:
	s_getpc_b64 s[14:15]
.Lpost_getpc10953:
	s_add_u32 s14, s14, (.LBB1_403-.Lpost_getpc10953)&4294967295
	s_addc_u32 s15, s15, (.LBB1_403-.Lpost_getpc10953)>>32
	s_setpc_b64 s[14:15]
.LBB1_28873:
	s_getpc_b64 s[14:15]
.Lpost_getpc100:
	s_add_u32 s14, s14, (.LBB1_404-.Lpost_getpc100)&4294967295
	s_addc_u32 s15, s15, (.LBB1_404-.Lpost_getpc100)>>32
	s_setpc_b64 s[14:15]
.LBB1_14741:
	s_movk_i32 s4, 0x80
	v_cmp_eq_u16_e32 vcc, s4, v13
	s_mov_b64 s[4:5], -1
                                        ; implicit-def: $sgpr10
	s_and_saveexec_b64 s[8:9], vcc
; %bb.14742:
	s_mov_b32 s10, 0x7f800001
	s_xor_b64 s[4:5], exec, -1
; %bb.14743:
	s_or_b64 exec, exec, s[8:9]
	s_and_b64 s[4:5], s[4:5], exec
                                        ; implicit-def: $vgpr13
	s_or_saveexec_b64 s[6:7], s[6:7]
	v_mov_b32_e32 v14, s10
	s_xor_b64 exec, exec, s[6:7]
	s_cbranch_execnz .LBB1_14744
; %bb.50581:
	s_getpc_b64 s[14:15]
.Lpost_getpc10954:
	s_add_u32 s14, s14, (.LBB1_406-.Lpost_getpc10954)&4294967295
	s_addc_u32 s15, s15, (.LBB1_406-.Lpost_getpc10954)>>32
	s_setpc_b64 s[14:15]
.LBB1_14744:
	v_cmp_ne_u16_e32 vcc, 0, v13
	s_andn2_b64 s[4:5], s[4:5], exec
	s_and_b64 s[8:9], vcc, exec
	v_mov_b32_e32 v14, 0
	s_or_b64 s[4:5], s[4:5], s[8:9]
	s_or_b64 exec, exec, s[6:7]
	s_and_saveexec_b64 s[6:7], s[4:5]
	s_cbranch_execz .LBB1_28875
; %bb.50583:
	s_getpc_b64 s[14:15]
.Lpost_getpc10955:
	s_add_u32 s14, s14, (.LBB1_407-.Lpost_getpc10955)&4294967295
	s_addc_u32 s15, s15, (.LBB1_407-.Lpost_getpc10955)>>32
	s_setpc_b64 s[14:15]
.LBB1_28875:
	s_getpc_b64 s[14:15]
.Lpost_getpc101:
	s_add_u32 s14, s14, (.LBB1_408-.Lpost_getpc101)&4294967295
	s_addc_u32 s15, s15, (.LBB1_408-.Lpost_getpc101)>>32
	s_setpc_b64 s[14:15]
.LBB1_14745:
	s_movk_i32 s4, 0x80
	v_cmp_eq_u16_sdwa s[12:13], v6, s4 src0_sel:BYTE_3 src1_sel:DWORD
	s_mov_b64 s[4:5], -1
                                        ; implicit-def: $sgpr10
	s_and_saveexec_b64 s[8:9], s[12:13]
; %bb.14746:
	s_mov_b32 s10, 0x7f800001
	s_xor_b64 s[4:5], exec, -1
; %bb.14747:
	s_or_b64 exec, exec, s[8:9]
	s_and_b64 s[4:5], s[4:5], exec
	s_or_saveexec_b64 s[6:7], s[6:7]
	v_mov_b32_e32 v12, s10
	s_xor_b64 exec, exec, s[6:7]
	s_cbranch_execnz .LBB1_14748
; %bb.50585:
	s_getpc_b64 s[14:15]
.Lpost_getpc10956:
	s_add_u32 s14, s14, (.LBB1_410-.Lpost_getpc10956)&4294967295
	s_addc_u32 s15, s15, (.LBB1_410-.Lpost_getpc10956)>>32
	s_setpc_b64 s[14:15]
.LBB1_14748:
	v_mov_b32_e32 v12, 0
	v_cmp_ne_u16_sdwa s[8:9], v6, v12 src0_sel:BYTE_3 src1_sel:DWORD
	s_andn2_b64 s[4:5], s[4:5], exec
	s_and_b64 s[8:9], s[8:9], exec
	s_or_b64 s[4:5], s[4:5], s[8:9]
	s_or_b64 exec, exec, s[6:7]
	s_and_saveexec_b64 s[6:7], s[4:5]
	s_cbranch_execz .LBB1_28877
; %bb.50587:
	s_getpc_b64 s[14:15]
.Lpost_getpc10957:
	s_add_u32 s14, s14, (.LBB1_411-.Lpost_getpc10957)&4294967295
	s_addc_u32 s15, s15, (.LBB1_411-.Lpost_getpc10957)>>32
	s_setpc_b64 s[14:15]
.LBB1_28877:
	s_getpc_b64 s[14:15]
.Lpost_getpc102:
	s_add_u32 s14, s14, (.LBB1_412-.Lpost_getpc102)&4294967295
	s_addc_u32 s15, s15, (.LBB1_412-.Lpost_getpc102)>>32
	s_setpc_b64 s[14:15]
.LBB1_14749:
	s_movk_i32 s4, 0x80
	v_cmp_eq_u16_sdwa s[12:13], v2, s4 src0_sel:BYTE_3 src1_sel:DWORD
	s_mov_b64 s[4:5], -1
                                        ; implicit-def: $sgpr10
	s_and_saveexec_b64 s[8:9], s[12:13]
; %bb.14750:
	s_mov_b32 s10, 0x7f800001
	s_xor_b64 s[4:5], exec, -1
; %bb.14751:
	s_or_b64 exec, exec, s[8:9]
	s_and_b64 s[4:5], s[4:5], exec
	s_or_saveexec_b64 s[6:7], s[6:7]
	v_mov_b32_e32 v6, s10
	s_xor_b64 exec, exec, s[6:7]
	s_cbranch_execnz .LBB1_14752
; %bb.50589:
	s_getpc_b64 s[14:15]
.Lpost_getpc10958:
	s_add_u32 s14, s14, (.LBB1_414-.Lpost_getpc10958)&4294967295
	s_addc_u32 s15, s15, (.LBB1_414-.Lpost_getpc10958)>>32
	s_setpc_b64 s[14:15]
.LBB1_14752:
	v_mov_b32_e32 v6, 0
	v_cmp_ne_u16_sdwa s[8:9], v2, v6 src0_sel:BYTE_3 src1_sel:DWORD
	s_andn2_b64 s[4:5], s[4:5], exec
	s_and_b64 s[8:9], s[8:9], exec
	s_or_b64 s[4:5], s[4:5], s[8:9]
	s_or_b64 exec, exec, s[6:7]
	s_and_saveexec_b64 s[6:7], s[4:5]
	s_cbranch_execz .LBB1_28879
; %bb.50591:
	s_getpc_b64 s[14:15]
.Lpost_getpc10959:
	s_add_u32 s14, s14, (.LBB1_415-.Lpost_getpc10959)&4294967295
	s_addc_u32 s15, s15, (.LBB1_415-.Lpost_getpc10959)>>32
	s_setpc_b64 s[14:15]
.LBB1_28879:
	s_getpc_b64 s[14:15]
.Lpost_getpc103:
	s_add_u32 s14, s14, (.LBB1_416-.Lpost_getpc103)&4294967295
	s_addc_u32 s15, s15, (.LBB1_416-.Lpost_getpc103)>>32
	s_setpc_b64 s[14:15]
.LBB1_14753:
	s_movk_i32 s4, 0x80
	v_cmp_eq_u16_sdwa s[12:13], v7, s4 src0_sel:BYTE_0 src1_sel:DWORD
	s_mov_b64 s[4:5], -1
                                        ; implicit-def: $sgpr10
	s_and_saveexec_b64 s[8:9], s[12:13]
; %bb.14754:
	s_mov_b32 s10, 0x7f800001
	s_xor_b64 s[4:5], exec, -1
; %bb.14755:
	s_or_b64 exec, exec, s[8:9]
	s_and_b64 s[4:5], s[4:5], exec
	s_or_saveexec_b64 s[6:7], s[6:7]
	v_mov_b32_e32 v2, s10
	s_xor_b64 exec, exec, s[6:7]
	s_cbranch_execnz .LBB1_14756
; %bb.50593:
	s_getpc_b64 s[14:15]
.Lpost_getpc10960:
	s_add_u32 s14, s14, (.LBB1_418-.Lpost_getpc10960)&4294967295
	s_addc_u32 s15, s15, (.LBB1_418-.Lpost_getpc10960)>>32
	s_setpc_b64 s[14:15]
.LBB1_14756:
	v_mov_b32_e32 v2, 0
	v_cmp_ne_u16_sdwa s[8:9], v7, v2 src0_sel:BYTE_0 src1_sel:DWORD
	s_andn2_b64 s[4:5], s[4:5], exec
	s_and_b64 s[8:9], s[8:9], exec
	s_or_b64 s[4:5], s[4:5], s[8:9]
	s_or_b64 exec, exec, s[6:7]
	s_and_saveexec_b64 s[6:7], s[4:5]
	s_cbranch_execz .LBB1_28881
; %bb.50595:
	s_getpc_b64 s[14:15]
.Lpost_getpc10961:
	s_add_u32 s14, s14, (.LBB1_419-.Lpost_getpc10961)&4294967295
	s_addc_u32 s15, s15, (.LBB1_419-.Lpost_getpc10961)>>32
	s_setpc_b64 s[14:15]
.LBB1_28881:
	s_getpc_b64 s[14:15]
.Lpost_getpc104:
	s_add_u32 s14, s14, (.LBB1_420-.Lpost_getpc104)&4294967295
	s_addc_u32 s15, s15, (.LBB1_420-.Lpost_getpc104)>>32
	s_setpc_b64 s[14:15]
.LBB1_14757:
	s_movk_i32 s4, 0x80
	v_cmp_eq_u16_sdwa s[12:13], v3, s4 src0_sel:BYTE_0 src1_sel:DWORD
	s_mov_b64 s[4:5], -1
                                        ; implicit-def: $sgpr10
	s_and_saveexec_b64 s[8:9], s[12:13]
; %bb.14758:
	s_mov_b32 s10, 0x7f800001
	s_xor_b64 s[4:5], exec, -1
; %bb.14759:
	s_or_b64 exec, exec, s[8:9]
	s_and_b64 s[4:5], s[4:5], exec
	s_or_saveexec_b64 s[6:7], s[6:7]
	v_mov_b32_e32 v6, s10
	s_xor_b64 exec, exec, s[6:7]
	s_cbranch_execnz .LBB1_14760
; %bb.50597:
	s_getpc_b64 s[14:15]
.Lpost_getpc10962:
	s_add_u32 s14, s14, (.LBB1_422-.Lpost_getpc10962)&4294967295
	s_addc_u32 s15, s15, (.LBB1_422-.Lpost_getpc10962)>>32
	s_setpc_b64 s[14:15]
.LBB1_14760:
	v_mov_b32_e32 v6, 0
	v_cmp_ne_u16_sdwa s[8:9], v3, v6 src0_sel:BYTE_0 src1_sel:DWORD
	s_andn2_b64 s[4:5], s[4:5], exec
	s_and_b64 s[8:9], s[8:9], exec
	s_or_b64 s[4:5], s[4:5], s[8:9]
	s_or_b64 exec, exec, s[6:7]
	s_and_saveexec_b64 s[6:7], s[4:5]
	s_cbranch_execz .LBB1_28883
; %bb.50599:
	s_getpc_b64 s[14:15]
.Lpost_getpc10963:
	s_add_u32 s14, s14, (.LBB1_423-.Lpost_getpc10963)&4294967295
	s_addc_u32 s15, s15, (.LBB1_423-.Lpost_getpc10963)>>32
	s_setpc_b64 s[14:15]
.LBB1_28883:
	s_getpc_b64 s[14:15]
.Lpost_getpc105:
	s_add_u32 s14, s14, (.LBB1_424-.Lpost_getpc105)&4294967295
	s_addc_u32 s15, s15, (.LBB1_424-.Lpost_getpc105)>>32
	s_setpc_b64 s[14:15]
.LBB1_14761:
	s_movk_i32 s4, 0x80
	v_cmp_eq_u16_sdwa s[12:13], v6, s4 src0_sel:BYTE_0 src1_sel:DWORD
	s_mov_b64 s[4:5], -1
                                        ; implicit-def: $sgpr10
	s_and_saveexec_b64 s[8:9], s[12:13]
; %bb.14762:
	s_mov_b32 s10, 0x7f800001
	s_xor_b64 s[4:5], exec, -1
; %bb.14763:
	s_or_b64 exec, exec, s[8:9]
	s_and_b64 s[4:5], s[4:5], exec
	s_or_saveexec_b64 s[6:7], s[6:7]
	v_mov_b32_e32 v2, s10
	s_xor_b64 exec, exec, s[6:7]
	s_cbranch_execnz .LBB1_14764
; %bb.50601:
	s_getpc_b64 s[14:15]
.Lpost_getpc10964:
	s_add_u32 s14, s14, (.LBB1_426-.Lpost_getpc10964)&4294967295
	s_addc_u32 s15, s15, (.LBB1_426-.Lpost_getpc10964)>>32
	s_setpc_b64 s[14:15]
.LBB1_14764:
	v_mov_b32_e32 v2, 0
	v_cmp_ne_u16_sdwa s[8:9], v6, v2 src0_sel:BYTE_0 src1_sel:DWORD
	s_andn2_b64 s[4:5], s[4:5], exec
	s_and_b64 s[8:9], s[8:9], exec
	s_or_b64 s[4:5], s[4:5], s[8:9]
	s_or_b64 exec, exec, s[6:7]
	s_and_saveexec_b64 s[6:7], s[4:5]
	s_cbranch_execz .LBB1_28885
; %bb.50603:
	s_getpc_b64 s[14:15]
.Lpost_getpc10965:
	s_add_u32 s14, s14, (.LBB1_427-.Lpost_getpc10965)&4294967295
	s_addc_u32 s15, s15, (.LBB1_427-.Lpost_getpc10965)>>32
	s_setpc_b64 s[14:15]
.LBB1_28885:
	s_getpc_b64 s[14:15]
.Lpost_getpc106:
	s_add_u32 s14, s14, (.LBB1_428-.Lpost_getpc106)&4294967295
	s_addc_u32 s15, s15, (.LBB1_428-.Lpost_getpc106)>>32
	s_setpc_b64 s[14:15]
.LBB1_14765:
	s_movk_i32 s4, 0x80
	v_cmp_eq_u16_sdwa s[12:13], v6, s4 src0_sel:BYTE_0 src1_sel:DWORD
	s_mov_b64 s[4:5], -1
                                        ; implicit-def: $sgpr10
	s_and_saveexec_b64 s[8:9], s[12:13]
; %bb.14766:
	s_mov_b32 s10, 0x7f800001
	s_xor_b64 s[4:5], exec, -1
; %bb.14767:
	s_or_b64 exec, exec, s[8:9]
	s_and_b64 s[4:5], s[4:5], exec
	s_or_saveexec_b64 s[6:7], s[6:7]
	v_mov_b32_e32 v12, s10
	s_xor_b64 exec, exec, s[6:7]
	s_cbranch_execnz .LBB1_14768
; %bb.50605:
	s_getpc_b64 s[14:15]
.Lpost_getpc10966:
	s_add_u32 s14, s14, (.LBB1_430-.Lpost_getpc10966)&4294967295
	s_addc_u32 s15, s15, (.LBB1_430-.Lpost_getpc10966)>>32
	s_setpc_b64 s[14:15]
.LBB1_14768:
	v_mov_b32_e32 v12, 0
	v_cmp_ne_u16_sdwa s[8:9], v6, v12 src0_sel:BYTE_0 src1_sel:DWORD
	s_andn2_b64 s[4:5], s[4:5], exec
	s_and_b64 s[8:9], s[8:9], exec
	s_or_b64 s[4:5], s[4:5], s[8:9]
	s_or_b64 exec, exec, s[6:7]
	s_and_saveexec_b64 s[6:7], s[4:5]
	s_cbranch_execz .LBB1_28887
; %bb.50607:
	s_getpc_b64 s[14:15]
.Lpost_getpc10967:
	s_add_u32 s14, s14, (.LBB1_431-.Lpost_getpc10967)&4294967295
	s_addc_u32 s15, s15, (.LBB1_431-.Lpost_getpc10967)>>32
	s_setpc_b64 s[14:15]
.LBB1_28887:
	s_getpc_b64 s[14:15]
.Lpost_getpc107:
	s_add_u32 s14, s14, (.LBB1_432-.Lpost_getpc107)&4294967295
	s_addc_u32 s15, s15, (.LBB1_432-.Lpost_getpc107)>>32
	s_setpc_b64 s[14:15]
.LBB1_14769:
	s_movk_i32 s4, 0x80
	v_cmp_eq_u16_e32 vcc, s4, v6
	s_mov_b64 s[4:5], -1
                                        ; implicit-def: $sgpr10
	s_and_saveexec_b64 s[8:9], vcc
; %bb.14770:
	s_mov_b32 s10, 0x7f800001
	s_xor_b64 s[4:5], exec, -1
; %bb.14771:
	s_or_b64 exec, exec, s[8:9]
	s_and_b64 s[4:5], s[4:5], exec
                                        ; implicit-def: $vgpr6
	s_or_saveexec_b64 s[6:7], s[6:7]
	v_mov_b32_e32 v2, s10
	s_xor_b64 exec, exec, s[6:7]
	s_cbranch_execnz .LBB1_14772
; %bb.50609:
	s_getpc_b64 s[14:15]
.Lpost_getpc10968:
	s_add_u32 s14, s14, (.LBB1_434-.Lpost_getpc10968)&4294967295
	s_addc_u32 s15, s15, (.LBB1_434-.Lpost_getpc10968)>>32
	s_setpc_b64 s[14:15]
.LBB1_14772:
	v_cmp_ne_u16_e32 vcc, 0, v6
	s_andn2_b64 s[4:5], s[4:5], exec
	s_and_b64 s[8:9], vcc, exec
	v_mov_b32_e32 v2, 0
	s_or_b64 s[4:5], s[4:5], s[8:9]
	s_or_b64 exec, exec, s[6:7]
	s_and_saveexec_b64 s[6:7], s[4:5]
	s_cbranch_execz .LBB1_28889
; %bb.50611:
	s_getpc_b64 s[14:15]
.Lpost_getpc10969:
	s_add_u32 s14, s14, (.LBB1_435-.Lpost_getpc10969)&4294967295
	s_addc_u32 s15, s15, (.LBB1_435-.Lpost_getpc10969)>>32
	s_setpc_b64 s[14:15]
.LBB1_28889:
	s_getpc_b64 s[14:15]
.Lpost_getpc108:
	s_add_u32 s14, s14, (.LBB1_436-.Lpost_getpc108)&4294967295
	s_addc_u32 s15, s15, (.LBB1_436-.Lpost_getpc108)>>32
	s_setpc_b64 s[14:15]
.LBB1_14773:
	s_movk_i32 s4, 0x80
	v_cmp_eq_u16_e32 vcc, s4, v6
	s_mov_b64 s[4:5], -1
                                        ; implicit-def: $sgpr10
	s_and_saveexec_b64 s[8:9], vcc
; %bb.14774:
	s_mov_b32 s10, 0x7f800001
	s_xor_b64 s[4:5], exec, -1
; %bb.14775:
	s_or_b64 exec, exec, s[8:9]
	s_and_b64 s[4:5], s[4:5], exec
                                        ; implicit-def: $vgpr6
	s_or_saveexec_b64 s[6:7], s[6:7]
	v_mov_b32_e32 v12, s10
	s_xor_b64 exec, exec, s[6:7]
	s_cbranch_execnz .LBB1_14776
; %bb.50613:
	s_getpc_b64 s[14:15]
.Lpost_getpc10970:
	s_add_u32 s14, s14, (.LBB1_438-.Lpost_getpc10970)&4294967295
	s_addc_u32 s15, s15, (.LBB1_438-.Lpost_getpc10970)>>32
	s_setpc_b64 s[14:15]
.LBB1_14776:
	v_cmp_ne_u16_e32 vcc, 0, v6
	s_andn2_b64 s[4:5], s[4:5], exec
	s_and_b64 s[8:9], vcc, exec
	v_mov_b32_e32 v12, 0
	s_or_b64 s[4:5], s[4:5], s[8:9]
	s_or_b64 exec, exec, s[6:7]
	s_and_saveexec_b64 s[6:7], s[4:5]
	s_cbranch_execz .LBB1_28891
; %bb.50615:
	s_getpc_b64 s[14:15]
.Lpost_getpc10971:
	s_add_u32 s14, s14, (.LBB1_439-.Lpost_getpc10971)&4294967295
	s_addc_u32 s15, s15, (.LBB1_439-.Lpost_getpc10971)>>32
	s_setpc_b64 s[14:15]
.LBB1_28891:
	s_getpc_b64 s[14:15]
.Lpost_getpc109:
	s_add_u32 s14, s14, (.LBB1_440-.Lpost_getpc109)&4294967295
	s_addc_u32 s15, s15, (.LBB1_440-.Lpost_getpc109)>>32
	s_setpc_b64 s[14:15]
.LBB1_14777:
	s_movk_i32 s4, 0x80
	v_cmp_eq_u16_sdwa s[12:13], v7, s4 src0_sel:BYTE_3 src1_sel:DWORD
	s_mov_b64 s[4:5], -1
                                        ; implicit-def: $sgpr10
	s_and_saveexec_b64 s[8:9], s[12:13]
; %bb.14778:
	s_mov_b32 s10, 0x7f800001
	s_xor_b64 s[4:5], exec, -1
; %bb.14779:
	s_or_b64 exec, exec, s[8:9]
	s_and_b64 s[4:5], s[4:5], exec
	s_or_saveexec_b64 s[6:7], s[6:7]
	v_mov_b32_e32 v2, s10
	s_xor_b64 exec, exec, s[6:7]
	s_cbranch_execnz .LBB1_14780
; %bb.50617:
	s_getpc_b64 s[14:15]
.Lpost_getpc10972:
	s_add_u32 s14, s14, (.LBB1_442-.Lpost_getpc10972)&4294967295
	s_addc_u32 s15, s15, (.LBB1_442-.Lpost_getpc10972)>>32
	s_setpc_b64 s[14:15]
.LBB1_14780:
	v_mov_b32_e32 v2, 0
	v_cmp_ne_u16_sdwa s[8:9], v7, v2 src0_sel:BYTE_3 src1_sel:DWORD
	s_andn2_b64 s[4:5], s[4:5], exec
	s_and_b64 s[8:9], s[8:9], exec
	s_or_b64 s[4:5], s[4:5], s[8:9]
	s_or_b64 exec, exec, s[6:7]
	s_and_saveexec_b64 s[6:7], s[4:5]
	s_cbranch_execz .LBB1_28893
; %bb.50619:
	s_getpc_b64 s[14:15]
.Lpost_getpc10973:
	s_add_u32 s14, s14, (.LBB1_443-.Lpost_getpc10973)&4294967295
	s_addc_u32 s15, s15, (.LBB1_443-.Lpost_getpc10973)>>32
	s_setpc_b64 s[14:15]
.LBB1_28893:
	s_getpc_b64 s[14:15]
.Lpost_getpc110:
	s_add_u32 s14, s14, (.LBB1_444-.Lpost_getpc110)&4294967295
	s_addc_u32 s15, s15, (.LBB1_444-.Lpost_getpc110)>>32
	s_setpc_b64 s[14:15]
.LBB1_14781:
	s_movk_i32 s4, 0x80
	v_cmp_eq_u16_sdwa s[12:13], v3, s4 src0_sel:BYTE_3 src1_sel:DWORD
	s_mov_b64 s[4:5], -1
                                        ; implicit-def: $sgpr10
	s_and_saveexec_b64 s[8:9], s[12:13]
; %bb.14782:
	s_mov_b32 s10, 0x7f800001
	s_xor_b64 s[4:5], exec, -1
; %bb.14783:
	s_or_b64 exec, exec, s[8:9]
	s_and_b64 s[4:5], s[4:5], exec
	s_or_saveexec_b64 s[6:7], s[6:7]
	v_mov_b32_e32 v6, s10
	s_xor_b64 exec, exec, s[6:7]
	s_cbranch_execnz .LBB1_14784
; %bb.50621:
	s_getpc_b64 s[14:15]
.Lpost_getpc10974:
	s_add_u32 s14, s14, (.LBB1_446-.Lpost_getpc10974)&4294967295
	s_addc_u32 s15, s15, (.LBB1_446-.Lpost_getpc10974)>>32
	s_setpc_b64 s[14:15]
.LBB1_14784:
	v_mov_b32_e32 v6, 0
	v_cmp_ne_u16_sdwa s[8:9], v3, v6 src0_sel:BYTE_3 src1_sel:DWORD
	s_andn2_b64 s[4:5], s[4:5], exec
	s_and_b64 s[8:9], s[8:9], exec
	s_or_b64 s[4:5], s[4:5], s[8:9]
	s_or_b64 exec, exec, s[6:7]
	s_and_saveexec_b64 s[6:7], s[4:5]
	s_cbranch_execz .LBB1_28895
; %bb.50623:
	s_getpc_b64 s[14:15]
.Lpost_getpc10975:
	s_add_u32 s14, s14, (.LBB1_447-.Lpost_getpc10975)&4294967295
	s_addc_u32 s15, s15, (.LBB1_447-.Lpost_getpc10975)>>32
	s_setpc_b64 s[14:15]
.LBB1_28895:
	s_getpc_b64 s[14:15]
.Lpost_getpc111:
	s_add_u32 s14, s14, (.LBB1_448-.Lpost_getpc111)&4294967295
	s_addc_u32 s15, s15, (.LBB1_448-.Lpost_getpc111)>>32
	s_setpc_b64 s[14:15]
.LBB1_14785:
	s_movk_i32 s4, 0x80
	v_cmp_eq_u16_sdwa s[12:13], v8, s4 src0_sel:BYTE_0 src1_sel:DWORD
	s_mov_b64 s[4:5], -1
                                        ; implicit-def: $sgpr10
	s_and_saveexec_b64 s[8:9], s[12:13]
; %bb.14786:
	s_mov_b32 s10, 0x7f800001
	s_xor_b64 s[4:5], exec, -1
; %bb.14787:
	s_or_b64 exec, exec, s[8:9]
	s_and_b64 s[4:5], s[4:5], exec
	s_or_saveexec_b64 s[6:7], s[6:7]
	v_mov_b32_e32 v2, s10
	s_xor_b64 exec, exec, s[6:7]
	s_cbranch_execnz .LBB1_14788
; %bb.50625:
	s_getpc_b64 s[14:15]
.Lpost_getpc10976:
	s_add_u32 s14, s14, (.LBB1_450-.Lpost_getpc10976)&4294967295
	s_addc_u32 s15, s15, (.LBB1_450-.Lpost_getpc10976)>>32
	s_setpc_b64 s[14:15]
.LBB1_14788:
	v_mov_b32_e32 v2, 0
	v_cmp_ne_u16_sdwa s[8:9], v8, v2 src0_sel:BYTE_0 src1_sel:DWORD
	s_andn2_b64 s[4:5], s[4:5], exec
	s_and_b64 s[8:9], s[8:9], exec
	s_or_b64 s[4:5], s[4:5], s[8:9]
	s_or_b64 exec, exec, s[6:7]
	s_and_saveexec_b64 s[6:7], s[4:5]
	s_cbranch_execz .LBB1_28897
; %bb.50627:
	s_getpc_b64 s[14:15]
.Lpost_getpc10977:
	s_add_u32 s14, s14, (.LBB1_451-.Lpost_getpc10977)&4294967295
	s_addc_u32 s15, s15, (.LBB1_451-.Lpost_getpc10977)>>32
	s_setpc_b64 s[14:15]
.LBB1_28897:
	s_getpc_b64 s[14:15]
.Lpost_getpc112:
	s_add_u32 s14, s14, (.LBB1_452-.Lpost_getpc112)&4294967295
	s_addc_u32 s15, s15, (.LBB1_452-.Lpost_getpc112)>>32
	s_setpc_b64 s[14:15]
.LBB1_14789:
	s_movk_i32 s4, 0x80
	v_cmp_eq_u16_sdwa s[12:13], v4, s4 src0_sel:BYTE_0 src1_sel:DWORD
	s_mov_b64 s[4:5], -1
                                        ; implicit-def: $sgpr10
	s_and_saveexec_b64 s[8:9], s[12:13]
; %bb.14790:
	s_mov_b32 s10, 0x7f800001
	s_xor_b64 s[4:5], exec, -1
; %bb.14791:
	s_or_b64 exec, exec, s[8:9]
	s_and_b64 s[4:5], s[4:5], exec
	s_or_saveexec_b64 s[6:7], s[6:7]
	v_mov_b32_e32 v3, s10
	s_xor_b64 exec, exec, s[6:7]
	s_cbranch_execnz .LBB1_14792
; %bb.50629:
	s_getpc_b64 s[14:15]
.Lpost_getpc10978:
	s_add_u32 s14, s14, (.LBB1_454-.Lpost_getpc10978)&4294967295
	s_addc_u32 s15, s15, (.LBB1_454-.Lpost_getpc10978)>>32
	s_setpc_b64 s[14:15]
.LBB1_14792:
	v_mov_b32_e32 v3, 0
	v_cmp_ne_u16_sdwa s[8:9], v4, v3 src0_sel:BYTE_0 src1_sel:DWORD
	s_andn2_b64 s[4:5], s[4:5], exec
	s_and_b64 s[8:9], s[8:9], exec
	s_or_b64 s[4:5], s[4:5], s[8:9]
	s_or_b64 exec, exec, s[6:7]
	s_and_saveexec_b64 s[6:7], s[4:5]
	s_cbranch_execz .LBB1_28899
; %bb.50631:
	s_getpc_b64 s[14:15]
.Lpost_getpc10979:
	s_add_u32 s14, s14, (.LBB1_455-.Lpost_getpc10979)&4294967295
	s_addc_u32 s15, s15, (.LBB1_455-.Lpost_getpc10979)>>32
	s_setpc_b64 s[14:15]
.LBB1_28899:
	s_getpc_b64 s[14:15]
.Lpost_getpc113:
	s_add_u32 s14, s14, (.LBB1_456-.Lpost_getpc113)&4294967295
	s_addc_u32 s15, s15, (.LBB1_456-.Lpost_getpc113)>>32
	s_setpc_b64 s[14:15]
.LBB1_14793:
	s_movk_i32 s4, 0x80
	v_cmp_eq_u16_sdwa s[12:13], v3, s4 src0_sel:BYTE_0 src1_sel:DWORD
	s_mov_b64 s[4:5], -1
                                        ; implicit-def: $sgpr10
	s_and_saveexec_b64 s[8:9], s[12:13]
; %bb.14794:
	s_mov_b32 s10, 0x7f800001
	s_xor_b64 s[4:5], exec, -1
; %bb.14795:
	s_or_b64 exec, exec, s[8:9]
	s_and_b64 s[4:5], s[4:5], exec
	s_or_saveexec_b64 s[6:7], s[6:7]
	v_mov_b32_e32 v2, s10
	s_xor_b64 exec, exec, s[6:7]
	s_cbranch_execnz .LBB1_14796
; %bb.50633:
	s_getpc_b64 s[14:15]
.Lpost_getpc10980:
	s_add_u32 s14, s14, (.LBB1_458-.Lpost_getpc10980)&4294967295
	s_addc_u32 s15, s15, (.LBB1_458-.Lpost_getpc10980)>>32
	s_setpc_b64 s[14:15]
.LBB1_14796:
	v_mov_b32_e32 v2, 0
	v_cmp_ne_u16_sdwa s[8:9], v3, v2 src0_sel:BYTE_0 src1_sel:DWORD
	s_andn2_b64 s[4:5], s[4:5], exec
	s_and_b64 s[8:9], s[8:9], exec
	s_or_b64 s[4:5], s[4:5], s[8:9]
	s_or_b64 exec, exec, s[6:7]
	s_and_saveexec_b64 s[6:7], s[4:5]
	s_cbranch_execz .LBB1_28901
; %bb.50635:
	s_getpc_b64 s[14:15]
.Lpost_getpc10981:
	s_add_u32 s14, s14, (.LBB1_459-.Lpost_getpc10981)&4294967295
	s_addc_u32 s15, s15, (.LBB1_459-.Lpost_getpc10981)>>32
	s_setpc_b64 s[14:15]
.LBB1_28901:
	s_getpc_b64 s[14:15]
.Lpost_getpc114:
	s_add_u32 s14, s14, (.LBB1_460-.Lpost_getpc114)&4294967295
	s_addc_u32 s15, s15, (.LBB1_460-.Lpost_getpc114)>>32
	s_setpc_b64 s[14:15]
.LBB1_14797:
	s_movk_i32 s4, 0x80
	v_cmp_eq_u16_sdwa s[12:13], v3, s4 src0_sel:BYTE_0 src1_sel:DWORD
	s_mov_b64 s[4:5], -1
                                        ; implicit-def: $sgpr10
	s_and_saveexec_b64 s[8:9], s[12:13]
; %bb.14798:
	s_mov_b32 s10, 0x7f800001
	s_xor_b64 s[4:5], exec, -1
; %bb.14799:
	s_or_b64 exec, exec, s[8:9]
	s_and_b64 s[4:5], s[4:5], exec
	s_or_saveexec_b64 s[6:7], s[6:7]
	v_mov_b32_e32 v6, s10
	s_xor_b64 exec, exec, s[6:7]
	s_cbranch_execnz .LBB1_14800
; %bb.50637:
	s_getpc_b64 s[14:15]
.Lpost_getpc10982:
	s_add_u32 s14, s14, (.LBB1_462-.Lpost_getpc10982)&4294967295
	s_addc_u32 s15, s15, (.LBB1_462-.Lpost_getpc10982)>>32
	s_setpc_b64 s[14:15]
.LBB1_14800:
	v_mov_b32_e32 v6, 0
	v_cmp_ne_u16_sdwa s[8:9], v3, v6 src0_sel:BYTE_0 src1_sel:DWORD
	s_andn2_b64 s[4:5], s[4:5], exec
	s_and_b64 s[8:9], s[8:9], exec
	s_or_b64 s[4:5], s[4:5], s[8:9]
	s_or_b64 exec, exec, s[6:7]
	s_and_saveexec_b64 s[6:7], s[4:5]
	s_cbranch_execz .LBB1_28903
; %bb.50639:
	s_getpc_b64 s[14:15]
.Lpost_getpc10983:
	s_add_u32 s14, s14, (.LBB1_463-.Lpost_getpc10983)&4294967295
	s_addc_u32 s15, s15, (.LBB1_463-.Lpost_getpc10983)>>32
	s_setpc_b64 s[14:15]
.LBB1_28903:
	s_getpc_b64 s[14:15]
.Lpost_getpc115:
	s_add_u32 s14, s14, (.LBB1_464-.Lpost_getpc115)&4294967295
	s_addc_u32 s15, s15, (.LBB1_464-.Lpost_getpc115)>>32
	s_setpc_b64 s[14:15]
.LBB1_14801:
	s_movk_i32 s4, 0x80
	v_cmp_eq_u16_e32 vcc, s4, v3
	s_mov_b64 s[4:5], -1
                                        ; implicit-def: $sgpr10
	s_and_saveexec_b64 s[8:9], vcc
; %bb.14802:
	s_mov_b32 s10, 0x7f800001
	s_xor_b64 s[4:5], exec, -1
; %bb.14803:
	s_or_b64 exec, exec, s[8:9]
	s_and_b64 s[4:5], s[4:5], exec
                                        ; implicit-def: $vgpr3
	s_or_saveexec_b64 s[6:7], s[6:7]
	v_mov_b32_e32 v2, s10
	s_xor_b64 exec, exec, s[6:7]
	s_cbranch_execnz .LBB1_14804
; %bb.50641:
	s_getpc_b64 s[14:15]
.Lpost_getpc10984:
	s_add_u32 s14, s14, (.LBB1_466-.Lpost_getpc10984)&4294967295
	s_addc_u32 s15, s15, (.LBB1_466-.Lpost_getpc10984)>>32
	s_setpc_b64 s[14:15]
.LBB1_14804:
	v_cmp_ne_u16_e32 vcc, 0, v3
	s_andn2_b64 s[4:5], s[4:5], exec
	s_and_b64 s[8:9], vcc, exec
	v_mov_b32_e32 v2, 0
	s_or_b64 s[4:5], s[4:5], s[8:9]
	s_or_b64 exec, exec, s[6:7]
	s_and_saveexec_b64 s[6:7], s[4:5]
	s_cbranch_execz .LBB1_28905
; %bb.50643:
	s_getpc_b64 s[14:15]
.Lpost_getpc10985:
	s_add_u32 s14, s14, (.LBB1_467-.Lpost_getpc10985)&4294967295
	s_addc_u32 s15, s15, (.LBB1_467-.Lpost_getpc10985)>>32
	s_setpc_b64 s[14:15]
.LBB1_28905:
	s_getpc_b64 s[14:15]
.Lpost_getpc116:
	s_add_u32 s14, s14, (.LBB1_468-.Lpost_getpc116)&4294967295
	s_addc_u32 s15, s15, (.LBB1_468-.Lpost_getpc116)>>32
	s_setpc_b64 s[14:15]
.LBB1_14805:
	s_movk_i32 s4, 0x80
	v_cmp_eq_u16_e32 vcc, s4, v3
	s_mov_b64 s[4:5], -1
                                        ; implicit-def: $sgpr10
	s_and_saveexec_b64 s[8:9], vcc
; %bb.14806:
	s_mov_b32 s10, 0x7f800001
	s_xor_b64 s[4:5], exec, -1
; %bb.14807:
	s_or_b64 exec, exec, s[8:9]
	s_and_b64 s[4:5], s[4:5], exec
                                        ; implicit-def: $vgpr3
	s_or_saveexec_b64 s[6:7], s[6:7]
	v_mov_b32_e32 v6, s10
	s_xor_b64 exec, exec, s[6:7]
	s_cbranch_execnz .LBB1_14808
; %bb.50645:
	s_getpc_b64 s[14:15]
.Lpost_getpc10986:
	s_add_u32 s14, s14, (.LBB1_470-.Lpost_getpc10986)&4294967295
	s_addc_u32 s15, s15, (.LBB1_470-.Lpost_getpc10986)>>32
	s_setpc_b64 s[14:15]
.LBB1_14808:
	v_cmp_ne_u16_e32 vcc, 0, v3
	s_andn2_b64 s[4:5], s[4:5], exec
	s_and_b64 s[8:9], vcc, exec
	v_mov_b32_e32 v6, 0
	s_or_b64 s[4:5], s[4:5], s[8:9]
	s_or_b64 exec, exec, s[6:7]
	s_and_saveexec_b64 s[6:7], s[4:5]
	s_cbranch_execz .LBB1_28907
; %bb.50647:
	s_getpc_b64 s[14:15]
.Lpost_getpc10987:
	s_add_u32 s14, s14, (.LBB1_471-.Lpost_getpc10987)&4294967295
	s_addc_u32 s15, s15, (.LBB1_471-.Lpost_getpc10987)>>32
	s_setpc_b64 s[14:15]
.LBB1_28907:
	s_getpc_b64 s[14:15]
.Lpost_getpc117:
	s_add_u32 s14, s14, (.LBB1_472-.Lpost_getpc117)&4294967295
	s_addc_u32 s15, s15, (.LBB1_472-.Lpost_getpc117)>>32
	s_setpc_b64 s[14:15]
.LBB1_14809:
	s_movk_i32 s4, 0x80
	v_cmp_eq_u16_sdwa s[12:13], v8, s4 src0_sel:BYTE_3 src1_sel:DWORD
	s_mov_b64 s[4:5], -1
                                        ; implicit-def: $sgpr10
	s_and_saveexec_b64 s[8:9], s[12:13]
; %bb.14810:
	s_mov_b32 s10, 0x7f800001
	s_xor_b64 s[4:5], exec, -1
; %bb.14811:
	s_or_b64 exec, exec, s[8:9]
	s_and_b64 s[4:5], s[4:5], exec
	s_or_saveexec_b64 s[6:7], s[6:7]
	v_mov_b32_e32 v2, s10
	s_xor_b64 exec, exec, s[6:7]
	s_cbranch_execnz .LBB1_14812
; %bb.50649:
	s_getpc_b64 s[14:15]
.Lpost_getpc10988:
	s_add_u32 s14, s14, (.LBB1_474-.Lpost_getpc10988)&4294967295
	s_addc_u32 s15, s15, (.LBB1_474-.Lpost_getpc10988)>>32
	s_setpc_b64 s[14:15]
.LBB1_14812:
	v_mov_b32_e32 v2, 0
	v_cmp_ne_u16_sdwa s[8:9], v8, v2 src0_sel:BYTE_3 src1_sel:DWORD
	s_andn2_b64 s[4:5], s[4:5], exec
	s_and_b64 s[8:9], s[8:9], exec
	s_or_b64 s[4:5], s[4:5], s[8:9]
	s_or_b64 exec, exec, s[6:7]
	s_and_saveexec_b64 s[6:7], s[4:5]
	s_cbranch_execz .LBB1_28909
; %bb.50651:
	s_getpc_b64 s[14:15]
.Lpost_getpc10989:
	s_add_u32 s14, s14, (.LBB1_475-.Lpost_getpc10989)&4294967295
	s_addc_u32 s15, s15, (.LBB1_475-.Lpost_getpc10989)>>32
	s_setpc_b64 s[14:15]
.LBB1_28909:
	s_getpc_b64 s[14:15]
.Lpost_getpc118:
	s_add_u32 s14, s14, (.LBB1_476-.Lpost_getpc118)&4294967295
	s_addc_u32 s15, s15, (.LBB1_476-.Lpost_getpc118)>>32
	s_setpc_b64 s[14:15]
.LBB1_14813:
	s_movk_i32 s4, 0x80
	v_cmp_eq_u16_sdwa s[12:13], v4, s4 src0_sel:BYTE_3 src1_sel:DWORD
	s_mov_b64 s[4:5], -1
                                        ; implicit-def: $sgpr10
	s_and_saveexec_b64 s[8:9], s[12:13]
; %bb.14814:
	s_mov_b32 s10, 0x7f800001
	s_xor_b64 s[4:5], exec, -1
; %bb.14815:
	s_or_b64 exec, exec, s[8:9]
	s_and_b64 s[4:5], s[4:5], exec
	s_or_saveexec_b64 s[6:7], s[6:7]
	v_mov_b32_e32 v3, s10
	s_xor_b64 exec, exec, s[6:7]
	s_cbranch_execnz .LBB1_14816
; %bb.50653:
	s_getpc_b64 s[14:15]
.Lpost_getpc10990:
	s_add_u32 s14, s14, (.LBB1_478-.Lpost_getpc10990)&4294967295
	s_addc_u32 s15, s15, (.LBB1_478-.Lpost_getpc10990)>>32
	s_setpc_b64 s[14:15]
.LBB1_14816:
	v_mov_b32_e32 v3, 0
	v_cmp_ne_u16_sdwa s[8:9], v4, v3 src0_sel:BYTE_3 src1_sel:DWORD
	s_andn2_b64 s[4:5], s[4:5], exec
	s_and_b64 s[8:9], s[8:9], exec
	s_or_b64 s[4:5], s[4:5], s[8:9]
	s_or_b64 exec, exec, s[6:7]
	s_and_saveexec_b64 s[6:7], s[4:5]
	s_cbranch_execz .LBB1_28911
; %bb.50655:
	s_getpc_b64 s[14:15]
.Lpost_getpc10991:
	s_add_u32 s14, s14, (.LBB1_479-.Lpost_getpc10991)&4294967295
	s_addc_u32 s15, s15, (.LBB1_479-.Lpost_getpc10991)>>32
	s_setpc_b64 s[14:15]
.LBB1_28911:
	s_getpc_b64 s[14:15]
.Lpost_getpc119:
	s_add_u32 s14, s14, (.LBB1_480-.Lpost_getpc119)&4294967295
	s_addc_u32 s15, s15, (.LBB1_480-.Lpost_getpc119)>>32
	s_setpc_b64 s[14:15]
.LBB1_14817:
	s_movk_i32 s4, 0x80
	v_cmp_eq_u16_sdwa s[12:13], v9, s4 src0_sel:BYTE_0 src1_sel:DWORD
	s_mov_b64 s[4:5], -1
                                        ; implicit-def: $sgpr10
	s_and_saveexec_b64 s[8:9], s[12:13]
; %bb.14818:
	s_mov_b32 s10, 0x7f800001
	s_xor_b64 s[4:5], exec, -1
; %bb.14819:
	s_or_b64 exec, exec, s[8:9]
	s_and_b64 s[4:5], s[4:5], exec
	s_or_saveexec_b64 s[6:7], s[6:7]
	v_mov_b32_e32 v2, s10
	s_xor_b64 exec, exec, s[6:7]
	s_cbranch_execnz .LBB1_14820
; %bb.50657:
	s_getpc_b64 s[14:15]
.Lpost_getpc10992:
	s_add_u32 s14, s14, (.LBB1_482-.Lpost_getpc10992)&4294967295
	s_addc_u32 s15, s15, (.LBB1_482-.Lpost_getpc10992)>>32
	s_setpc_b64 s[14:15]
.LBB1_14820:
	v_mov_b32_e32 v2, 0
	v_cmp_ne_u16_sdwa s[8:9], v9, v2 src0_sel:BYTE_0 src1_sel:DWORD
	s_andn2_b64 s[4:5], s[4:5], exec
	s_and_b64 s[8:9], s[8:9], exec
	s_or_b64 s[4:5], s[4:5], s[8:9]
	s_or_b64 exec, exec, s[6:7]
	s_and_saveexec_b64 s[6:7], s[4:5]
	s_cbranch_execz .LBB1_28913
; %bb.50659:
	s_getpc_b64 s[14:15]
.Lpost_getpc10993:
	s_add_u32 s14, s14, (.LBB1_483-.Lpost_getpc10993)&4294967295
	s_addc_u32 s15, s15, (.LBB1_483-.Lpost_getpc10993)>>32
	s_setpc_b64 s[14:15]
.LBB1_28913:
	s_getpc_b64 s[14:15]
.Lpost_getpc120:
	s_add_u32 s14, s14, (.LBB1_484-.Lpost_getpc120)&4294967295
	s_addc_u32 s15, s15, (.LBB1_484-.Lpost_getpc120)>>32
	s_setpc_b64 s[14:15]
.LBB1_14821:
	s_movk_i32 s4, 0x80
	v_cmp_eq_u16_sdwa s[12:13], v5, s4 src0_sel:BYTE_0 src1_sel:DWORD
	s_mov_b64 s[4:5], -1
                                        ; implicit-def: $sgpr10
	s_and_saveexec_b64 s[8:9], s[12:13]
; %bb.14822:
	s_mov_b32 s10, 0x7f800001
	s_xor_b64 s[4:5], exec, -1
; %bb.14823:
	s_or_b64 exec, exec, s[8:9]
	s_and_b64 s[4:5], s[4:5], exec
	s_or_saveexec_b64 s[6:7], s[6:7]
	v_mov_b32_e32 v3, s10
	s_xor_b64 exec, exec, s[6:7]
	s_cbranch_execnz .LBB1_14824
; %bb.50661:
	s_getpc_b64 s[14:15]
.Lpost_getpc10994:
	s_add_u32 s14, s14, (.LBB1_486-.Lpost_getpc10994)&4294967295
	s_addc_u32 s15, s15, (.LBB1_486-.Lpost_getpc10994)>>32
	s_setpc_b64 s[14:15]
.LBB1_14824:
	v_mov_b32_e32 v3, 0
	v_cmp_ne_u16_sdwa s[8:9], v5, v3 src0_sel:BYTE_0 src1_sel:DWORD
	s_andn2_b64 s[4:5], s[4:5], exec
	s_and_b64 s[8:9], s[8:9], exec
	s_or_b64 s[4:5], s[4:5], s[8:9]
	s_or_b64 exec, exec, s[6:7]
	s_and_saveexec_b64 s[6:7], s[4:5]
	s_cbranch_execz .LBB1_28915
; %bb.50663:
	s_getpc_b64 s[14:15]
.Lpost_getpc10995:
	s_add_u32 s14, s14, (.LBB1_487-.Lpost_getpc10995)&4294967295
	s_addc_u32 s15, s15, (.LBB1_487-.Lpost_getpc10995)>>32
	s_setpc_b64 s[14:15]
.LBB1_28915:
	s_getpc_b64 s[14:15]
.Lpost_getpc121:
	s_add_u32 s14, s14, (.LBB1_488-.Lpost_getpc121)&4294967295
	s_addc_u32 s15, s15, (.LBB1_488-.Lpost_getpc121)>>32
	s_setpc_b64 s[14:15]
.LBB1_14825:
	s_movk_i32 s4, 0x80
	v_cmp_eq_u16_sdwa s[12:13], v3, s4 src0_sel:BYTE_0 src1_sel:DWORD
	s_mov_b64 s[4:5], -1
                                        ; implicit-def: $sgpr10
	s_and_saveexec_b64 s[8:9], s[12:13]
; %bb.14826:
	s_mov_b32 s10, 0x7f800001
	s_xor_b64 s[4:5], exec, -1
; %bb.14827:
	s_or_b64 exec, exec, s[8:9]
	s_and_b64 s[4:5], s[4:5], exec
	s_or_saveexec_b64 s[6:7], s[6:7]
	v_mov_b32_e32 v2, s10
	s_xor_b64 exec, exec, s[6:7]
	s_cbranch_execnz .LBB1_14828
; %bb.50665:
	s_getpc_b64 s[14:15]
.Lpost_getpc10996:
	s_add_u32 s14, s14, (.LBB1_490-.Lpost_getpc10996)&4294967295
	s_addc_u32 s15, s15, (.LBB1_490-.Lpost_getpc10996)>>32
	s_setpc_b64 s[14:15]
.LBB1_14828:
	v_mov_b32_e32 v2, 0
	v_cmp_ne_u16_sdwa s[8:9], v3, v2 src0_sel:BYTE_0 src1_sel:DWORD
	s_andn2_b64 s[4:5], s[4:5], exec
	s_and_b64 s[8:9], s[8:9], exec
	s_or_b64 s[4:5], s[4:5], s[8:9]
	s_or_b64 exec, exec, s[6:7]
	s_and_saveexec_b64 s[6:7], s[4:5]
	s_cbranch_execz .LBB1_28917
; %bb.50667:
	s_getpc_b64 s[14:15]
.Lpost_getpc10997:
	s_add_u32 s14, s14, (.LBB1_491-.Lpost_getpc10997)&4294967295
	s_addc_u32 s15, s15, (.LBB1_491-.Lpost_getpc10997)>>32
	s_setpc_b64 s[14:15]
.LBB1_28917:
	s_getpc_b64 s[14:15]
.Lpost_getpc122:
	s_add_u32 s14, s14, (.LBB1_492-.Lpost_getpc122)&4294967295
	s_addc_u32 s15, s15, (.LBB1_492-.Lpost_getpc122)>>32
	s_setpc_b64 s[14:15]
.LBB1_14829:
	s_movk_i32 s4, 0x80
	v_cmp_eq_u16_sdwa s[12:13], v3, s4 src0_sel:BYTE_0 src1_sel:DWORD
	s_mov_b64 s[4:5], -1
                                        ; implicit-def: $sgpr10
	s_and_saveexec_b64 s[8:9], s[12:13]
; %bb.14830:
	s_mov_b32 s10, 0x7f800001
	s_xor_b64 s[4:5], exec, -1
; %bb.14831:
	s_or_b64 exec, exec, s[8:9]
	s_and_b64 s[4:5], s[4:5], exec
	s_or_saveexec_b64 s[6:7], s[6:7]
	v_mov_b32_e32 v4, s10
	s_xor_b64 exec, exec, s[6:7]
	s_cbranch_execnz .LBB1_14832
; %bb.50669:
	s_getpc_b64 s[14:15]
.Lpost_getpc10998:
	s_add_u32 s14, s14, (.LBB1_494-.Lpost_getpc10998)&4294967295
	s_addc_u32 s15, s15, (.LBB1_494-.Lpost_getpc10998)>>32
	s_setpc_b64 s[14:15]
.LBB1_14832:
	v_mov_b32_e32 v4, 0
	v_cmp_ne_u16_sdwa s[8:9], v3, v4 src0_sel:BYTE_0 src1_sel:DWORD
	s_andn2_b64 s[4:5], s[4:5], exec
	s_and_b64 s[8:9], s[8:9], exec
	s_or_b64 s[4:5], s[4:5], s[8:9]
	s_or_b64 exec, exec, s[6:7]
	s_and_saveexec_b64 s[6:7], s[4:5]
	s_cbranch_execz .LBB1_28919
; %bb.50671:
	s_getpc_b64 s[14:15]
.Lpost_getpc10999:
	s_add_u32 s14, s14, (.LBB1_495-.Lpost_getpc10999)&4294967295
	s_addc_u32 s15, s15, (.LBB1_495-.Lpost_getpc10999)>>32
	s_setpc_b64 s[14:15]
.LBB1_28919:
	s_getpc_b64 s[14:15]
.Lpost_getpc123:
	s_add_u32 s14, s14, (.LBB1_496-.Lpost_getpc123)&4294967295
	s_addc_u32 s15, s15, (.LBB1_496-.Lpost_getpc123)>>32
	s_setpc_b64 s[14:15]
.LBB1_14833:
	s_movk_i32 s4, 0x80
	v_cmp_eq_u16_e32 vcc, s4, v3
	s_mov_b64 s[4:5], -1
                                        ; implicit-def: $sgpr10
	s_and_saveexec_b64 s[8:9], vcc
; %bb.14834:
	s_mov_b32 s10, 0x7f800001
	s_xor_b64 s[4:5], exec, -1
; %bb.14835:
	s_or_b64 exec, exec, s[8:9]
	s_and_b64 s[4:5], s[4:5], exec
                                        ; implicit-def: $vgpr3
	s_or_saveexec_b64 s[6:7], s[6:7]
	v_mov_b32_e32 v2, s10
	s_xor_b64 exec, exec, s[6:7]
	s_cbranch_execnz .LBB1_14836
; %bb.50673:
	s_getpc_b64 s[14:15]
.Lpost_getpc11000:
	s_add_u32 s14, s14, (.LBB1_498-.Lpost_getpc11000)&4294967295
	s_addc_u32 s15, s15, (.LBB1_498-.Lpost_getpc11000)>>32
	s_setpc_b64 s[14:15]
.LBB1_14836:
	v_cmp_ne_u16_e32 vcc, 0, v3
	s_andn2_b64 s[4:5], s[4:5], exec
	s_and_b64 s[8:9], vcc, exec
	v_mov_b32_e32 v2, 0
	s_or_b64 s[4:5], s[4:5], s[8:9]
	s_or_b64 exec, exec, s[6:7]
	s_and_saveexec_b64 s[6:7], s[4:5]
	s_cbranch_execz .LBB1_28921
; %bb.50675:
	s_getpc_b64 s[14:15]
.Lpost_getpc11001:
	s_add_u32 s14, s14, (.LBB1_499-.Lpost_getpc11001)&4294967295
	s_addc_u32 s15, s15, (.LBB1_499-.Lpost_getpc11001)>>32
	s_setpc_b64 s[14:15]
.LBB1_28921:
	s_getpc_b64 s[14:15]
.Lpost_getpc124:
	s_add_u32 s14, s14, (.LBB1_500-.Lpost_getpc124)&4294967295
	s_addc_u32 s15, s15, (.LBB1_500-.Lpost_getpc124)>>32
	s_setpc_b64 s[14:15]
.LBB1_14837:
	s_movk_i32 s4, 0x80
	v_cmp_eq_u16_e32 vcc, s4, v3
	s_mov_b64 s[4:5], -1
                                        ; implicit-def: $sgpr10
	s_and_saveexec_b64 s[8:9], vcc
; %bb.14838:
	s_mov_b32 s10, 0x7f800001
	s_xor_b64 s[4:5], exec, -1
; %bb.14839:
	s_or_b64 exec, exec, s[8:9]
	s_and_b64 s[4:5], s[4:5], exec
                                        ; implicit-def: $vgpr3
	s_or_saveexec_b64 s[6:7], s[6:7]
	v_mov_b32_e32 v4, s10
	s_xor_b64 exec, exec, s[6:7]
	s_cbranch_execnz .LBB1_14840
; %bb.50677:
	s_getpc_b64 s[14:15]
.Lpost_getpc11002:
	s_add_u32 s14, s14, (.LBB1_502-.Lpost_getpc11002)&4294967295
	s_addc_u32 s15, s15, (.LBB1_502-.Lpost_getpc11002)>>32
	s_setpc_b64 s[14:15]
.LBB1_14840:
	v_cmp_ne_u16_e32 vcc, 0, v3
	s_andn2_b64 s[4:5], s[4:5], exec
	s_and_b64 s[8:9], vcc, exec
	v_mov_b32_e32 v4, 0
	s_or_b64 s[4:5], s[4:5], s[8:9]
	s_or_b64 exec, exec, s[6:7]
	s_and_saveexec_b64 s[6:7], s[4:5]
	s_cbranch_execz .LBB1_28923
; %bb.50679:
	s_getpc_b64 s[14:15]
.Lpost_getpc11003:
	s_add_u32 s14, s14, (.LBB1_503-.Lpost_getpc11003)&4294967295
	s_addc_u32 s15, s15, (.LBB1_503-.Lpost_getpc11003)>>32
	s_setpc_b64 s[14:15]
.LBB1_28923:
	s_getpc_b64 s[14:15]
.Lpost_getpc125:
	s_add_u32 s14, s14, (.LBB1_504-.Lpost_getpc125)&4294967295
	s_addc_u32 s15, s15, (.LBB1_504-.Lpost_getpc125)>>32
	s_setpc_b64 s[14:15]
.LBB1_14841:
	s_movk_i32 s4, 0x80
	v_cmp_eq_u16_sdwa s[12:13], v9, s4 src0_sel:BYTE_3 src1_sel:DWORD
	s_mov_b64 s[4:5], -1
                                        ; implicit-def: $sgpr10
	s_and_saveexec_b64 s[8:9], s[12:13]
; %bb.14842:
	s_mov_b32 s10, 0x7f800001
	s_xor_b64 s[4:5], exec, -1
; %bb.14843:
	s_or_b64 exec, exec, s[8:9]
	s_and_b64 s[4:5], s[4:5], exec
	s_or_saveexec_b64 s[6:7], s[6:7]
	v_mov_b32_e32 v2, s10
	s_xor_b64 exec, exec, s[6:7]
	s_cbranch_execnz .LBB1_14844
; %bb.50681:
	s_getpc_b64 s[14:15]
.Lpost_getpc11004:
	s_add_u32 s14, s14, (.LBB1_506-.Lpost_getpc11004)&4294967295
	s_addc_u32 s15, s15, (.LBB1_506-.Lpost_getpc11004)>>32
	s_setpc_b64 s[14:15]
.LBB1_14844:
	v_mov_b32_e32 v2, 0
	v_cmp_ne_u16_sdwa s[8:9], v9, v2 src0_sel:BYTE_3 src1_sel:DWORD
	s_andn2_b64 s[4:5], s[4:5], exec
	s_and_b64 s[8:9], s[8:9], exec
	s_or_b64 s[4:5], s[4:5], s[8:9]
	s_or_b64 exec, exec, s[6:7]
	s_and_saveexec_b64 s[6:7], s[4:5]
	s_cbranch_execz .LBB1_28925
; %bb.50683:
	s_getpc_b64 s[14:15]
.Lpost_getpc11005:
	s_add_u32 s14, s14, (.LBB1_507-.Lpost_getpc11005)&4294967295
	s_addc_u32 s15, s15, (.LBB1_507-.Lpost_getpc11005)>>32
	s_setpc_b64 s[14:15]
.LBB1_28925:
	s_getpc_b64 s[14:15]
.Lpost_getpc126:
	s_add_u32 s14, s14, (.LBB1_508-.Lpost_getpc126)&4294967295
	s_addc_u32 s15, s15, (.LBB1_508-.Lpost_getpc126)>>32
	s_setpc_b64 s[14:15]
.LBB1_14845:
	s_movk_i32 s4, 0x80
	v_cmp_eq_u16_sdwa s[12:13], v5, s4 src0_sel:BYTE_3 src1_sel:DWORD
	s_mov_b64 s[4:5], -1
                                        ; implicit-def: $sgpr10
	s_and_saveexec_b64 s[8:9], s[12:13]
; %bb.14846:
	s_mov_b32 s10, 0x7f800001
	s_xor_b64 s[4:5], exec, -1
; %bb.14847:
	s_or_b64 exec, exec, s[8:9]
	s_and_b64 s[4:5], s[4:5], exec
	s_or_saveexec_b64 s[6:7], s[6:7]
	v_mov_b32_e32 v3, s10
	s_xor_b64 exec, exec, s[6:7]
	s_cbranch_execnz .LBB1_14848
; %bb.50685:
	s_getpc_b64 s[14:15]
.Lpost_getpc11006:
	s_add_u32 s14, s14, (.LBB1_510-.Lpost_getpc11006)&4294967295
	s_addc_u32 s15, s15, (.LBB1_510-.Lpost_getpc11006)>>32
	s_setpc_b64 s[14:15]
.LBB1_14848:
	v_mov_b32_e32 v3, 0
	v_cmp_ne_u16_sdwa s[8:9], v5, v3 src0_sel:BYTE_3 src1_sel:DWORD
	s_andn2_b64 s[4:5], s[4:5], exec
	s_and_b64 s[8:9], s[8:9], exec
	s_or_b64 s[4:5], s[4:5], s[8:9]
	s_or_b64 exec, exec, s[6:7]
	s_and_saveexec_b64 s[6:7], s[4:5]
	s_cbranch_execz .LBB1_28927
; %bb.50687:
	s_getpc_b64 s[14:15]
.Lpost_getpc11007:
	s_add_u32 s14, s14, (.LBB1_511-.Lpost_getpc11007)&4294967295
	s_addc_u32 s15, s15, (.LBB1_511-.Lpost_getpc11007)>>32
	s_setpc_b64 s[14:15]
.LBB1_28927:
	s_getpc_b64 s[14:15]
.Lpost_getpc127:
	s_add_u32 s14, s14, (.LBB1_512-.Lpost_getpc127)&4294967295
	s_addc_u32 s15, s15, (.LBB1_512-.Lpost_getpc127)>>32
	s_setpc_b64 s[14:15]
.LBB1_14849:
	s_movk_i32 s4, 0x80
	v_cmp_eq_u16_sdwa s[12:13], v6, s4 src0_sel:BYTE_0 src1_sel:DWORD
	s_mov_b64 s[4:5], -1
                                        ; implicit-def: $sgpr10
	s_and_saveexec_b64 s[8:9], s[12:13]
; %bb.14850:
	s_mov_b32 s10, 0x7f800001
	s_xor_b64 s[4:5], exec, -1
; %bb.14851:
	s_or_b64 exec, exec, s[8:9]
	s_and_b64 s[4:5], s[4:5], exec
	s_or_saveexec_b64 s[6:7], s[6:7]
	v_mov_b32_e32 v12, s10
	s_xor_b64 exec, exec, s[6:7]
	s_cbranch_execnz .LBB1_14852
; %bb.50689:
	s_getpc_b64 s[14:15]
.Lpost_getpc11008:
	s_add_u32 s14, s14, (.LBB1_514-.Lpost_getpc11008)&4294967295
	s_addc_u32 s15, s15, (.LBB1_514-.Lpost_getpc11008)>>32
	s_setpc_b64 s[14:15]
.LBB1_14852:
	v_mov_b32_e32 v12, 0
	v_cmp_ne_u16_sdwa s[8:9], v6, v12 src0_sel:BYTE_0 src1_sel:DWORD
	s_andn2_b64 s[4:5], s[4:5], exec
	s_and_b64 s[8:9], s[8:9], exec
	s_or_b64 s[4:5], s[4:5], s[8:9]
	s_or_b64 exec, exec, s[6:7]
	s_and_saveexec_b64 s[6:7], s[4:5]
	s_cbranch_execz .LBB1_28929
; %bb.50691:
	s_getpc_b64 s[14:15]
.Lpost_getpc11009:
	s_add_u32 s14, s14, (.LBB1_515-.Lpost_getpc11009)&4294967295
	s_addc_u32 s15, s15, (.LBB1_515-.Lpost_getpc11009)>>32
	s_setpc_b64 s[14:15]
.LBB1_28929:
	s_getpc_b64 s[14:15]
.Lpost_getpc128:
	s_add_u32 s14, s14, (.LBB1_516-.Lpost_getpc128)&4294967295
	s_addc_u32 s15, s15, (.LBB1_516-.Lpost_getpc128)>>32
	s_setpc_b64 s[14:15]
.LBB1_14853:
	s_movk_i32 s4, 0x80
	v_cmp_eq_u16_sdwa s[12:13], v2, s4 src0_sel:BYTE_0 src1_sel:DWORD
	s_mov_b64 s[4:5], -1
                                        ; implicit-def: $sgpr10
	s_and_saveexec_b64 s[8:9], s[12:13]
; %bb.14854:
	s_mov_b32 s10, 0x7f800001
	s_xor_b64 s[4:5], exec, -1
; %bb.14855:
	s_or_b64 exec, exec, s[8:9]
	s_and_b64 s[4:5], s[4:5], exec
	s_or_saveexec_b64 s[6:7], s[6:7]
	v_mov_b32_e32 v13, s10
	s_xor_b64 exec, exec, s[6:7]
	s_cbranch_execnz .LBB1_14856
; %bb.50693:
	s_getpc_b64 s[14:15]
.Lpost_getpc11010:
	s_add_u32 s14, s14, (.LBB1_518-.Lpost_getpc11010)&4294967295
	s_addc_u32 s15, s15, (.LBB1_518-.Lpost_getpc11010)>>32
	s_setpc_b64 s[14:15]
.LBB1_14856:
	v_mov_b32_e32 v13, 0
	v_cmp_ne_u16_sdwa s[8:9], v2, v13 src0_sel:BYTE_0 src1_sel:DWORD
	s_andn2_b64 s[4:5], s[4:5], exec
	s_and_b64 s[8:9], s[8:9], exec
	s_or_b64 s[4:5], s[4:5], s[8:9]
	s_or_b64 exec, exec, s[6:7]
	s_and_saveexec_b64 s[6:7], s[4:5]
	s_cbranch_execz .LBB1_28931
; %bb.50695:
	s_getpc_b64 s[14:15]
.Lpost_getpc11011:
	s_add_u32 s14, s14, (.LBB1_519-.Lpost_getpc11011)&4294967295
	s_addc_u32 s15, s15, (.LBB1_519-.Lpost_getpc11011)>>32
	s_setpc_b64 s[14:15]
.LBB1_28931:
	s_getpc_b64 s[14:15]
.Lpost_getpc129:
	s_add_u32 s14, s14, (.LBB1_520-.Lpost_getpc129)&4294967295
	s_addc_u32 s15, s15, (.LBB1_520-.Lpost_getpc129)>>32
	s_setpc_b64 s[14:15]
.LBB1_14857:
	s_movk_i32 s4, 0x80
	v_cmp_eq_u16_sdwa s[12:13], v13, s4 src0_sel:BYTE_0 src1_sel:DWORD
	s_mov_b64 s[4:5], -1
                                        ; implicit-def: $sgpr10
	s_and_saveexec_b64 s[8:9], s[12:13]
; %bb.14858:
	s_mov_b32 s10, 0x7f800001
	s_xor_b64 s[4:5], exec, -1
; %bb.14859:
	s_or_b64 exec, exec, s[8:9]
	s_and_b64 s[4:5], s[4:5], exec
	s_or_saveexec_b64 s[6:7], s[6:7]
	v_mov_b32_e32 v12, s10
	s_xor_b64 exec, exec, s[6:7]
	s_cbranch_execnz .LBB1_14860
; %bb.50697:
	s_getpc_b64 s[14:15]
.Lpost_getpc11012:
	s_add_u32 s14, s14, (.LBB1_522-.Lpost_getpc11012)&4294967295
	s_addc_u32 s15, s15, (.LBB1_522-.Lpost_getpc11012)>>32
	s_setpc_b64 s[14:15]
.LBB1_14860:
	v_mov_b32_e32 v12, 0
	v_cmp_ne_u16_sdwa s[8:9], v13, v12 src0_sel:BYTE_0 src1_sel:DWORD
	s_andn2_b64 s[4:5], s[4:5], exec
	s_and_b64 s[8:9], s[8:9], exec
	s_or_b64 s[4:5], s[4:5], s[8:9]
	s_or_b64 exec, exec, s[6:7]
	s_and_saveexec_b64 s[6:7], s[4:5]
	s_cbranch_execz .LBB1_28933
; %bb.50699:
	s_getpc_b64 s[14:15]
.Lpost_getpc11013:
	s_add_u32 s14, s14, (.LBB1_523-.Lpost_getpc11013)&4294967295
	s_addc_u32 s15, s15, (.LBB1_523-.Lpost_getpc11013)>>32
	s_setpc_b64 s[14:15]
.LBB1_28933:
	s_getpc_b64 s[14:15]
.Lpost_getpc130:
	s_add_u32 s14, s14, (.LBB1_524-.Lpost_getpc130)&4294967295
	s_addc_u32 s15, s15, (.LBB1_524-.Lpost_getpc130)>>32
	s_setpc_b64 s[14:15]
.LBB1_14861:
	s_movk_i32 s4, 0x80
	v_cmp_eq_u16_sdwa s[12:13], v13, s4 src0_sel:BYTE_0 src1_sel:DWORD
	s_mov_b64 s[4:5], -1
                                        ; implicit-def: $sgpr10
	s_and_saveexec_b64 s[8:9], s[12:13]
; %bb.14862:
	s_mov_b32 s10, 0x7f800001
	s_xor_b64 s[4:5], exec, -1
; %bb.14863:
	s_or_b64 exec, exec, s[8:9]
	s_and_b64 s[4:5], s[4:5], exec
	s_or_saveexec_b64 s[6:7], s[6:7]
	v_mov_b32_e32 v14, s10
	s_xor_b64 exec, exec, s[6:7]
	s_cbranch_execnz .LBB1_14864
; %bb.50701:
	s_getpc_b64 s[14:15]
.Lpost_getpc11014:
	s_add_u32 s14, s14, (.LBB1_526-.Lpost_getpc11014)&4294967295
	s_addc_u32 s15, s15, (.LBB1_526-.Lpost_getpc11014)>>32
	s_setpc_b64 s[14:15]
.LBB1_14864:
	v_mov_b32_e32 v14, 0
	v_cmp_ne_u16_sdwa s[8:9], v13, v14 src0_sel:BYTE_0 src1_sel:DWORD
	s_andn2_b64 s[4:5], s[4:5], exec
	s_and_b64 s[8:9], s[8:9], exec
	s_or_b64 s[4:5], s[4:5], s[8:9]
	s_or_b64 exec, exec, s[6:7]
	s_and_saveexec_b64 s[6:7], s[4:5]
	s_cbranch_execz .LBB1_28935
; %bb.50703:
	s_getpc_b64 s[14:15]
.Lpost_getpc11015:
	s_add_u32 s14, s14, (.LBB1_527-.Lpost_getpc11015)&4294967295
	s_addc_u32 s15, s15, (.LBB1_527-.Lpost_getpc11015)>>32
	s_setpc_b64 s[14:15]
.LBB1_28935:
	s_getpc_b64 s[14:15]
.Lpost_getpc131:
	s_add_u32 s14, s14, (.LBB1_528-.Lpost_getpc131)&4294967295
	s_addc_u32 s15, s15, (.LBB1_528-.Lpost_getpc131)>>32
	s_setpc_b64 s[14:15]
.LBB1_14865:
	s_movk_i32 s4, 0x80
	v_cmp_eq_u16_e32 vcc, s4, v13
	s_mov_b64 s[4:5], -1
                                        ; implicit-def: $sgpr10
	s_and_saveexec_b64 s[8:9], vcc
; %bb.14866:
	s_mov_b32 s10, 0x7f800001
	s_xor_b64 s[4:5], exec, -1
; %bb.14867:
	s_or_b64 exec, exec, s[8:9]
	s_and_b64 s[4:5], s[4:5], exec
                                        ; implicit-def: $vgpr13
	s_or_saveexec_b64 s[6:7], s[6:7]
	v_mov_b32_e32 v12, s10
	s_xor_b64 exec, exec, s[6:7]
	s_cbranch_execnz .LBB1_14868
; %bb.50705:
	s_getpc_b64 s[14:15]
.Lpost_getpc11016:
	s_add_u32 s14, s14, (.LBB1_530-.Lpost_getpc11016)&4294967295
	s_addc_u32 s15, s15, (.LBB1_530-.Lpost_getpc11016)>>32
	s_setpc_b64 s[14:15]
.LBB1_14868:
	v_cmp_ne_u16_e32 vcc, 0, v13
	s_andn2_b64 s[4:5], s[4:5], exec
	s_and_b64 s[8:9], vcc, exec
	v_mov_b32_e32 v12, 0
	s_or_b64 s[4:5], s[4:5], s[8:9]
	s_or_b64 exec, exec, s[6:7]
	s_and_saveexec_b64 s[6:7], s[4:5]
	s_cbranch_execz .LBB1_28937
; %bb.50707:
	s_getpc_b64 s[14:15]
.Lpost_getpc11017:
	s_add_u32 s14, s14, (.LBB1_531-.Lpost_getpc11017)&4294967295
	s_addc_u32 s15, s15, (.LBB1_531-.Lpost_getpc11017)>>32
	s_setpc_b64 s[14:15]
.LBB1_28937:
	s_getpc_b64 s[14:15]
.Lpost_getpc132:
	s_add_u32 s14, s14, (.LBB1_532-.Lpost_getpc132)&4294967295
	s_addc_u32 s15, s15, (.LBB1_532-.Lpost_getpc132)>>32
	s_setpc_b64 s[14:15]
.LBB1_14869:
	s_movk_i32 s4, 0x80
	v_cmp_eq_u16_e32 vcc, s4, v13
	s_mov_b64 s[4:5], -1
                                        ; implicit-def: $sgpr10
	s_and_saveexec_b64 s[8:9], vcc
; %bb.14870:
	s_mov_b32 s10, 0x7f800001
	s_xor_b64 s[4:5], exec, -1
; %bb.14871:
	s_or_b64 exec, exec, s[8:9]
	s_and_b64 s[4:5], s[4:5], exec
                                        ; implicit-def: $vgpr13
	s_or_saveexec_b64 s[6:7], s[6:7]
	v_mov_b32_e32 v14, s10
	s_xor_b64 exec, exec, s[6:7]
	s_cbranch_execnz .LBB1_14872
; %bb.50709:
	s_getpc_b64 s[14:15]
.Lpost_getpc11018:
	s_add_u32 s14, s14, (.LBB1_534-.Lpost_getpc11018)&4294967295
	s_addc_u32 s15, s15, (.LBB1_534-.Lpost_getpc11018)>>32
	s_setpc_b64 s[14:15]
.LBB1_14872:
	v_cmp_ne_u16_e32 vcc, 0, v13
	s_andn2_b64 s[4:5], s[4:5], exec
	s_and_b64 s[8:9], vcc, exec
	v_mov_b32_e32 v14, 0
	s_or_b64 s[4:5], s[4:5], s[8:9]
	s_or_b64 exec, exec, s[6:7]
	s_and_saveexec_b64 s[6:7], s[4:5]
	s_cbranch_execz .LBB1_28939
; %bb.50711:
	s_getpc_b64 s[14:15]
.Lpost_getpc11019:
	s_add_u32 s14, s14, (.LBB1_535-.Lpost_getpc11019)&4294967295
	s_addc_u32 s15, s15, (.LBB1_535-.Lpost_getpc11019)>>32
	s_setpc_b64 s[14:15]
.LBB1_28939:
	s_getpc_b64 s[14:15]
.Lpost_getpc133:
	s_add_u32 s14, s14, (.LBB1_536-.Lpost_getpc133)&4294967295
	s_addc_u32 s15, s15, (.LBB1_536-.Lpost_getpc133)>>32
	s_setpc_b64 s[14:15]
.LBB1_14873:
	s_movk_i32 s4, 0x80
	v_cmp_eq_u16_sdwa s[12:13], v6, s4 src0_sel:BYTE_3 src1_sel:DWORD
	s_mov_b64 s[4:5], -1
                                        ; implicit-def: $sgpr10
	s_and_saveexec_b64 s[8:9], s[12:13]
; %bb.14874:
	s_mov_b32 s10, 0x7f800001
	s_xor_b64 s[4:5], exec, -1
; %bb.14875:
	s_or_b64 exec, exec, s[8:9]
	s_and_b64 s[4:5], s[4:5], exec
	s_or_saveexec_b64 s[6:7], s[6:7]
	v_mov_b32_e32 v12, s10
	s_xor_b64 exec, exec, s[6:7]
	s_cbranch_execnz .LBB1_14876
; %bb.50713:
	s_getpc_b64 s[14:15]
.Lpost_getpc11020:
	s_add_u32 s14, s14, (.LBB1_538-.Lpost_getpc11020)&4294967295
	s_addc_u32 s15, s15, (.LBB1_538-.Lpost_getpc11020)>>32
	s_setpc_b64 s[14:15]
.LBB1_14876:
	v_mov_b32_e32 v12, 0
	v_cmp_ne_u16_sdwa s[8:9], v6, v12 src0_sel:BYTE_3 src1_sel:DWORD
	s_andn2_b64 s[4:5], s[4:5], exec
	s_and_b64 s[8:9], s[8:9], exec
	s_or_b64 s[4:5], s[4:5], s[8:9]
	s_or_b64 exec, exec, s[6:7]
	s_and_saveexec_b64 s[6:7], s[4:5]
	s_cbranch_execz .LBB1_28941
; %bb.50715:
	s_getpc_b64 s[14:15]
.Lpost_getpc11021:
	s_add_u32 s14, s14, (.LBB1_539-.Lpost_getpc11021)&4294967295
	s_addc_u32 s15, s15, (.LBB1_539-.Lpost_getpc11021)>>32
	s_setpc_b64 s[14:15]
.LBB1_28941:
	s_getpc_b64 s[14:15]
.Lpost_getpc134:
	s_add_u32 s14, s14, (.LBB1_540-.Lpost_getpc134)&4294967295
	s_addc_u32 s15, s15, (.LBB1_540-.Lpost_getpc134)>>32
	s_setpc_b64 s[14:15]
.LBB1_14877:
	s_movk_i32 s4, 0x80
	v_cmp_eq_u16_sdwa s[12:13], v2, s4 src0_sel:BYTE_3 src1_sel:DWORD
	s_mov_b64 s[4:5], -1
                                        ; implicit-def: $sgpr10
	s_and_saveexec_b64 s[8:9], s[12:13]
; %bb.14878:
	s_mov_b32 s10, 0x7f800001
	s_xor_b64 s[4:5], exec, -1
; %bb.14879:
	s_or_b64 exec, exec, s[8:9]
	s_and_b64 s[4:5], s[4:5], exec
	s_or_saveexec_b64 s[6:7], s[6:7]
	v_mov_b32_e32 v6, s10
	s_xor_b64 exec, exec, s[6:7]
	s_cbranch_execnz .LBB1_14880
; %bb.50717:
	s_getpc_b64 s[14:15]
.Lpost_getpc11022:
	s_add_u32 s14, s14, (.LBB1_542-.Lpost_getpc11022)&4294967295
	s_addc_u32 s15, s15, (.LBB1_542-.Lpost_getpc11022)>>32
	s_setpc_b64 s[14:15]
.LBB1_14880:
	v_mov_b32_e32 v6, 0
	v_cmp_ne_u16_sdwa s[8:9], v2, v6 src0_sel:BYTE_3 src1_sel:DWORD
	s_andn2_b64 s[4:5], s[4:5], exec
	s_and_b64 s[8:9], s[8:9], exec
	s_or_b64 s[4:5], s[4:5], s[8:9]
	s_or_b64 exec, exec, s[6:7]
	s_and_saveexec_b64 s[6:7], s[4:5]
	s_cbranch_execz .LBB1_28943
; %bb.50719:
	s_getpc_b64 s[14:15]
.Lpost_getpc11023:
	s_add_u32 s14, s14, (.LBB1_543-.Lpost_getpc11023)&4294967295
	s_addc_u32 s15, s15, (.LBB1_543-.Lpost_getpc11023)>>32
	s_setpc_b64 s[14:15]
.LBB1_28943:
	s_getpc_b64 s[14:15]
.Lpost_getpc135:
	s_add_u32 s14, s14, (.LBB1_544-.Lpost_getpc135)&4294967295
	s_addc_u32 s15, s15, (.LBB1_544-.Lpost_getpc135)>>32
	s_setpc_b64 s[14:15]
.LBB1_14881:
	s_movk_i32 s4, 0x80
	v_cmp_eq_u16_sdwa s[12:13], v7, s4 src0_sel:BYTE_0 src1_sel:DWORD
	s_mov_b64 s[4:5], -1
                                        ; implicit-def: $sgpr10
	s_and_saveexec_b64 s[8:9], s[12:13]
; %bb.14882:
	s_mov_b32 s10, 0x7f800001
	s_xor_b64 s[4:5], exec, -1
; %bb.14883:
	s_or_b64 exec, exec, s[8:9]
	s_and_b64 s[4:5], s[4:5], exec
	s_or_saveexec_b64 s[6:7], s[6:7]
	v_mov_b32_e32 v2, s10
	s_xor_b64 exec, exec, s[6:7]
	s_cbranch_execnz .LBB1_14884
; %bb.50721:
	s_getpc_b64 s[14:15]
.Lpost_getpc11024:
	s_add_u32 s14, s14, (.LBB1_546-.Lpost_getpc11024)&4294967295
	s_addc_u32 s15, s15, (.LBB1_546-.Lpost_getpc11024)>>32
	s_setpc_b64 s[14:15]
.LBB1_14884:
	v_mov_b32_e32 v2, 0
	v_cmp_ne_u16_sdwa s[8:9], v7, v2 src0_sel:BYTE_0 src1_sel:DWORD
	s_andn2_b64 s[4:5], s[4:5], exec
	s_and_b64 s[8:9], s[8:9], exec
	s_or_b64 s[4:5], s[4:5], s[8:9]
	s_or_b64 exec, exec, s[6:7]
	s_and_saveexec_b64 s[6:7], s[4:5]
	s_cbranch_execz .LBB1_28945
; %bb.50723:
	s_getpc_b64 s[14:15]
.Lpost_getpc11025:
	s_add_u32 s14, s14, (.LBB1_547-.Lpost_getpc11025)&4294967295
	s_addc_u32 s15, s15, (.LBB1_547-.Lpost_getpc11025)>>32
	s_setpc_b64 s[14:15]
.LBB1_28945:
	s_getpc_b64 s[14:15]
.Lpost_getpc136:
	s_add_u32 s14, s14, (.LBB1_548-.Lpost_getpc136)&4294967295
	s_addc_u32 s15, s15, (.LBB1_548-.Lpost_getpc136)>>32
	s_setpc_b64 s[14:15]
.LBB1_14885:
	s_movk_i32 s4, 0x80
	v_cmp_eq_u16_sdwa s[12:13], v3, s4 src0_sel:BYTE_0 src1_sel:DWORD
	s_mov_b64 s[4:5], -1
                                        ; implicit-def: $sgpr10
	s_and_saveexec_b64 s[8:9], s[12:13]
; %bb.14886:
	s_mov_b32 s10, 0x7f800001
	s_xor_b64 s[4:5], exec, -1
; %bb.14887:
	s_or_b64 exec, exec, s[8:9]
	s_and_b64 s[4:5], s[4:5], exec
	s_or_saveexec_b64 s[6:7], s[6:7]
	v_mov_b32_e32 v6, s10
	s_xor_b64 exec, exec, s[6:7]
	s_cbranch_execnz .LBB1_14888
; %bb.50725:
	s_getpc_b64 s[14:15]
.Lpost_getpc11026:
	s_add_u32 s14, s14, (.LBB1_550-.Lpost_getpc11026)&4294967295
	s_addc_u32 s15, s15, (.LBB1_550-.Lpost_getpc11026)>>32
	s_setpc_b64 s[14:15]
.LBB1_14888:
	v_mov_b32_e32 v6, 0
	v_cmp_ne_u16_sdwa s[8:9], v3, v6 src0_sel:BYTE_0 src1_sel:DWORD
	s_andn2_b64 s[4:5], s[4:5], exec
	s_and_b64 s[8:9], s[8:9], exec
	s_or_b64 s[4:5], s[4:5], s[8:9]
	s_or_b64 exec, exec, s[6:7]
	s_and_saveexec_b64 s[6:7], s[4:5]
	s_cbranch_execz .LBB1_28947
; %bb.50727:
	s_getpc_b64 s[14:15]
.Lpost_getpc11027:
	s_add_u32 s14, s14, (.LBB1_551-.Lpost_getpc11027)&4294967295
	s_addc_u32 s15, s15, (.LBB1_551-.Lpost_getpc11027)>>32
	s_setpc_b64 s[14:15]
.LBB1_28947:
	s_getpc_b64 s[14:15]
.Lpost_getpc137:
	s_add_u32 s14, s14, (.LBB1_552-.Lpost_getpc137)&4294967295
	s_addc_u32 s15, s15, (.LBB1_552-.Lpost_getpc137)>>32
	s_setpc_b64 s[14:15]
.LBB1_14889:
	s_movk_i32 s4, 0x80
	v_cmp_eq_u16_sdwa s[12:13], v6, s4 src0_sel:BYTE_0 src1_sel:DWORD
	s_mov_b64 s[4:5], -1
                                        ; implicit-def: $sgpr10
	s_and_saveexec_b64 s[8:9], s[12:13]
; %bb.14890:
	s_mov_b32 s10, 0x7f800001
	s_xor_b64 s[4:5], exec, -1
; %bb.14891:
	s_or_b64 exec, exec, s[8:9]
	s_and_b64 s[4:5], s[4:5], exec
	s_or_saveexec_b64 s[6:7], s[6:7]
	v_mov_b32_e32 v2, s10
	s_xor_b64 exec, exec, s[6:7]
	s_cbranch_execnz .LBB1_14892
; %bb.50729:
	s_getpc_b64 s[14:15]
.Lpost_getpc11028:
	s_add_u32 s14, s14, (.LBB1_554-.Lpost_getpc11028)&4294967295
	s_addc_u32 s15, s15, (.LBB1_554-.Lpost_getpc11028)>>32
	s_setpc_b64 s[14:15]
.LBB1_14892:
	v_mov_b32_e32 v2, 0
	v_cmp_ne_u16_sdwa s[8:9], v6, v2 src0_sel:BYTE_0 src1_sel:DWORD
	s_andn2_b64 s[4:5], s[4:5], exec
	s_and_b64 s[8:9], s[8:9], exec
	s_or_b64 s[4:5], s[4:5], s[8:9]
	s_or_b64 exec, exec, s[6:7]
	s_and_saveexec_b64 s[6:7], s[4:5]
	s_cbranch_execz .LBB1_28949
; %bb.50731:
	s_getpc_b64 s[14:15]
.Lpost_getpc11029:
	s_add_u32 s14, s14, (.LBB1_555-.Lpost_getpc11029)&4294967295
	s_addc_u32 s15, s15, (.LBB1_555-.Lpost_getpc11029)>>32
	s_setpc_b64 s[14:15]
.LBB1_28949:
	s_getpc_b64 s[14:15]
.Lpost_getpc138:
	s_add_u32 s14, s14, (.LBB1_556-.Lpost_getpc138)&4294967295
	s_addc_u32 s15, s15, (.LBB1_556-.Lpost_getpc138)>>32
	s_setpc_b64 s[14:15]
.LBB1_14893:
	s_movk_i32 s4, 0x80
	v_cmp_eq_u16_sdwa s[12:13], v6, s4 src0_sel:BYTE_0 src1_sel:DWORD
	s_mov_b64 s[4:5], -1
                                        ; implicit-def: $sgpr10
	s_and_saveexec_b64 s[8:9], s[12:13]
; %bb.14894:
	s_mov_b32 s10, 0x7f800001
	s_xor_b64 s[4:5], exec, -1
; %bb.14895:
	s_or_b64 exec, exec, s[8:9]
	s_and_b64 s[4:5], s[4:5], exec
	s_or_saveexec_b64 s[6:7], s[6:7]
	v_mov_b32_e32 v12, s10
	s_xor_b64 exec, exec, s[6:7]
	s_cbranch_execnz .LBB1_14896
; %bb.50733:
	s_getpc_b64 s[14:15]
.Lpost_getpc11030:
	s_add_u32 s14, s14, (.LBB1_558-.Lpost_getpc11030)&4294967295
	s_addc_u32 s15, s15, (.LBB1_558-.Lpost_getpc11030)>>32
	s_setpc_b64 s[14:15]
.LBB1_14896:
	v_mov_b32_e32 v12, 0
	v_cmp_ne_u16_sdwa s[8:9], v6, v12 src0_sel:BYTE_0 src1_sel:DWORD
	s_andn2_b64 s[4:5], s[4:5], exec
	s_and_b64 s[8:9], s[8:9], exec
	s_or_b64 s[4:5], s[4:5], s[8:9]
	s_or_b64 exec, exec, s[6:7]
	s_and_saveexec_b64 s[6:7], s[4:5]
	s_cbranch_execz .LBB1_28951
; %bb.50735:
	s_getpc_b64 s[14:15]
.Lpost_getpc11031:
	s_add_u32 s14, s14, (.LBB1_559-.Lpost_getpc11031)&4294967295
	s_addc_u32 s15, s15, (.LBB1_559-.Lpost_getpc11031)>>32
	s_setpc_b64 s[14:15]
.LBB1_28951:
	s_getpc_b64 s[14:15]
.Lpost_getpc139:
	s_add_u32 s14, s14, (.LBB1_560-.Lpost_getpc139)&4294967295
	s_addc_u32 s15, s15, (.LBB1_560-.Lpost_getpc139)>>32
	s_setpc_b64 s[14:15]
.LBB1_14897:
	s_movk_i32 s4, 0x80
	v_cmp_eq_u16_e32 vcc, s4, v6
	s_mov_b64 s[4:5], -1
                                        ; implicit-def: $sgpr10
	s_and_saveexec_b64 s[8:9], vcc
; %bb.14898:
	s_mov_b32 s10, 0x7f800001
	s_xor_b64 s[4:5], exec, -1
; %bb.14899:
	s_or_b64 exec, exec, s[8:9]
	s_and_b64 s[4:5], s[4:5], exec
                                        ; implicit-def: $vgpr6
	s_or_saveexec_b64 s[6:7], s[6:7]
	v_mov_b32_e32 v2, s10
	s_xor_b64 exec, exec, s[6:7]
	s_cbranch_execnz .LBB1_14900
; %bb.50737:
	s_getpc_b64 s[14:15]
.Lpost_getpc11032:
	s_add_u32 s14, s14, (.LBB1_562-.Lpost_getpc11032)&4294967295
	s_addc_u32 s15, s15, (.LBB1_562-.Lpost_getpc11032)>>32
	s_setpc_b64 s[14:15]
.LBB1_14900:
	v_cmp_ne_u16_e32 vcc, 0, v6
	s_andn2_b64 s[4:5], s[4:5], exec
	s_and_b64 s[8:9], vcc, exec
	v_mov_b32_e32 v2, 0
	s_or_b64 s[4:5], s[4:5], s[8:9]
	s_or_b64 exec, exec, s[6:7]
	s_and_saveexec_b64 s[6:7], s[4:5]
	s_cbranch_execz .LBB1_28953
; %bb.50739:
	s_getpc_b64 s[14:15]
.Lpost_getpc11033:
	s_add_u32 s14, s14, (.LBB1_563-.Lpost_getpc11033)&4294967295
	s_addc_u32 s15, s15, (.LBB1_563-.Lpost_getpc11033)>>32
	s_setpc_b64 s[14:15]
.LBB1_28953:
	s_getpc_b64 s[14:15]
.Lpost_getpc140:
	s_add_u32 s14, s14, (.LBB1_564-.Lpost_getpc140)&4294967295
	s_addc_u32 s15, s15, (.LBB1_564-.Lpost_getpc140)>>32
	s_setpc_b64 s[14:15]
.LBB1_14901:
	s_movk_i32 s4, 0x80
	v_cmp_eq_u16_e32 vcc, s4, v6
	s_mov_b64 s[4:5], -1
                                        ; implicit-def: $sgpr10
	s_and_saveexec_b64 s[8:9], vcc
; %bb.14902:
	s_mov_b32 s10, 0x7f800001
	s_xor_b64 s[4:5], exec, -1
; %bb.14903:
	s_or_b64 exec, exec, s[8:9]
	s_and_b64 s[4:5], s[4:5], exec
                                        ; implicit-def: $vgpr6
	s_or_saveexec_b64 s[6:7], s[6:7]
	v_mov_b32_e32 v12, s10
	s_xor_b64 exec, exec, s[6:7]
	s_cbranch_execnz .LBB1_14904
; %bb.50741:
	s_getpc_b64 s[14:15]
.Lpost_getpc11034:
	s_add_u32 s14, s14, (.LBB1_566-.Lpost_getpc11034)&4294967295
	s_addc_u32 s15, s15, (.LBB1_566-.Lpost_getpc11034)>>32
	s_setpc_b64 s[14:15]
.LBB1_14904:
	v_cmp_ne_u16_e32 vcc, 0, v6
	s_andn2_b64 s[4:5], s[4:5], exec
	s_and_b64 s[8:9], vcc, exec
	v_mov_b32_e32 v12, 0
	s_or_b64 s[4:5], s[4:5], s[8:9]
	s_or_b64 exec, exec, s[6:7]
	s_and_saveexec_b64 s[6:7], s[4:5]
	s_cbranch_execz .LBB1_28955
; %bb.50743:
	s_getpc_b64 s[14:15]
.Lpost_getpc11035:
	s_add_u32 s14, s14, (.LBB1_567-.Lpost_getpc11035)&4294967295
	s_addc_u32 s15, s15, (.LBB1_567-.Lpost_getpc11035)>>32
	s_setpc_b64 s[14:15]
.LBB1_28955:
	s_getpc_b64 s[14:15]
.Lpost_getpc141:
	s_add_u32 s14, s14, (.LBB1_568-.Lpost_getpc141)&4294967295
	s_addc_u32 s15, s15, (.LBB1_568-.Lpost_getpc141)>>32
	s_setpc_b64 s[14:15]
.LBB1_14905:
	s_movk_i32 s4, 0x80
	v_cmp_eq_u16_sdwa s[12:13], v7, s4 src0_sel:BYTE_3 src1_sel:DWORD
	s_mov_b64 s[4:5], -1
                                        ; implicit-def: $sgpr10
	s_and_saveexec_b64 s[8:9], s[12:13]
; %bb.14906:
	s_mov_b32 s10, 0x7f800001
	s_xor_b64 s[4:5], exec, -1
; %bb.14907:
	s_or_b64 exec, exec, s[8:9]
	s_and_b64 s[4:5], s[4:5], exec
	s_or_saveexec_b64 s[6:7], s[6:7]
	v_mov_b32_e32 v2, s10
	s_xor_b64 exec, exec, s[6:7]
	s_cbranch_execnz .LBB1_14908
; %bb.50745:
	s_getpc_b64 s[14:15]
.Lpost_getpc11036:
	s_add_u32 s14, s14, (.LBB1_570-.Lpost_getpc11036)&4294967295
	s_addc_u32 s15, s15, (.LBB1_570-.Lpost_getpc11036)>>32
	s_setpc_b64 s[14:15]
.LBB1_14908:
	v_mov_b32_e32 v2, 0
	v_cmp_ne_u16_sdwa s[8:9], v7, v2 src0_sel:BYTE_3 src1_sel:DWORD
	s_andn2_b64 s[4:5], s[4:5], exec
	s_and_b64 s[8:9], s[8:9], exec
	s_or_b64 s[4:5], s[4:5], s[8:9]
	s_or_b64 exec, exec, s[6:7]
	s_and_saveexec_b64 s[6:7], s[4:5]
	s_cbranch_execz .LBB1_28957
; %bb.50747:
	s_getpc_b64 s[14:15]
.Lpost_getpc11037:
	s_add_u32 s14, s14, (.LBB1_571-.Lpost_getpc11037)&4294967295
	s_addc_u32 s15, s15, (.LBB1_571-.Lpost_getpc11037)>>32
	s_setpc_b64 s[14:15]
.LBB1_28957:
	s_getpc_b64 s[14:15]
.Lpost_getpc142:
	s_add_u32 s14, s14, (.LBB1_572-.Lpost_getpc142)&4294967295
	s_addc_u32 s15, s15, (.LBB1_572-.Lpost_getpc142)>>32
	s_setpc_b64 s[14:15]
.LBB1_14909:
	s_movk_i32 s4, 0x80
	v_cmp_eq_u16_sdwa s[12:13], v3, s4 src0_sel:BYTE_3 src1_sel:DWORD
	s_mov_b64 s[4:5], -1
                                        ; implicit-def: $sgpr10
	s_and_saveexec_b64 s[8:9], s[12:13]
; %bb.14910:
	s_mov_b32 s10, 0x7f800001
	s_xor_b64 s[4:5], exec, -1
; %bb.14911:
	s_or_b64 exec, exec, s[8:9]
	s_and_b64 s[4:5], s[4:5], exec
	s_or_saveexec_b64 s[6:7], s[6:7]
	v_mov_b32_e32 v6, s10
	s_xor_b64 exec, exec, s[6:7]
	s_cbranch_execnz .LBB1_14912
; %bb.50749:
	s_getpc_b64 s[14:15]
.Lpost_getpc11038:
	s_add_u32 s14, s14, (.LBB1_574-.Lpost_getpc11038)&4294967295
	s_addc_u32 s15, s15, (.LBB1_574-.Lpost_getpc11038)>>32
	s_setpc_b64 s[14:15]
.LBB1_14912:
	v_mov_b32_e32 v6, 0
	v_cmp_ne_u16_sdwa s[8:9], v3, v6 src0_sel:BYTE_3 src1_sel:DWORD
	s_andn2_b64 s[4:5], s[4:5], exec
	s_and_b64 s[8:9], s[8:9], exec
	s_or_b64 s[4:5], s[4:5], s[8:9]
	s_or_b64 exec, exec, s[6:7]
	s_and_saveexec_b64 s[6:7], s[4:5]
	s_cbranch_execz .LBB1_28959
; %bb.50751:
	s_getpc_b64 s[14:15]
.Lpost_getpc11039:
	s_add_u32 s14, s14, (.LBB1_575-.Lpost_getpc11039)&4294967295
	s_addc_u32 s15, s15, (.LBB1_575-.Lpost_getpc11039)>>32
	s_setpc_b64 s[14:15]
.LBB1_28959:
	s_getpc_b64 s[14:15]
.Lpost_getpc143:
	s_add_u32 s14, s14, (.LBB1_576-.Lpost_getpc143)&4294967295
	s_addc_u32 s15, s15, (.LBB1_576-.Lpost_getpc143)>>32
	s_setpc_b64 s[14:15]
.LBB1_14913:
	s_movk_i32 s4, 0x80
	v_cmp_eq_u16_sdwa s[12:13], v8, s4 src0_sel:BYTE_0 src1_sel:DWORD
	s_mov_b64 s[4:5], -1
                                        ; implicit-def: $sgpr10
	s_and_saveexec_b64 s[8:9], s[12:13]
; %bb.14914:
	s_mov_b32 s10, 0x7f800001
	s_xor_b64 s[4:5], exec, -1
; %bb.14915:
	s_or_b64 exec, exec, s[8:9]
	s_and_b64 s[4:5], s[4:5], exec
	s_or_saveexec_b64 s[6:7], s[6:7]
	v_mov_b32_e32 v2, s10
	s_xor_b64 exec, exec, s[6:7]
	s_cbranch_execnz .LBB1_14916
; %bb.50753:
	s_getpc_b64 s[14:15]
.Lpost_getpc11040:
	s_add_u32 s14, s14, (.LBB1_578-.Lpost_getpc11040)&4294967295
	s_addc_u32 s15, s15, (.LBB1_578-.Lpost_getpc11040)>>32
	s_setpc_b64 s[14:15]
.LBB1_14916:
	v_mov_b32_e32 v2, 0
	v_cmp_ne_u16_sdwa s[8:9], v8, v2 src0_sel:BYTE_0 src1_sel:DWORD
	s_andn2_b64 s[4:5], s[4:5], exec
	s_and_b64 s[8:9], s[8:9], exec
	s_or_b64 s[4:5], s[4:5], s[8:9]
	s_or_b64 exec, exec, s[6:7]
	s_and_saveexec_b64 s[6:7], s[4:5]
	s_cbranch_execz .LBB1_28961
; %bb.50755:
	s_getpc_b64 s[14:15]
.Lpost_getpc11041:
	s_add_u32 s14, s14, (.LBB1_579-.Lpost_getpc11041)&4294967295
	s_addc_u32 s15, s15, (.LBB1_579-.Lpost_getpc11041)>>32
	s_setpc_b64 s[14:15]
.LBB1_28961:
	s_getpc_b64 s[14:15]
.Lpost_getpc144:
	s_add_u32 s14, s14, (.LBB1_580-.Lpost_getpc144)&4294967295
	s_addc_u32 s15, s15, (.LBB1_580-.Lpost_getpc144)>>32
	s_setpc_b64 s[14:15]
.LBB1_14917:
	s_movk_i32 s4, 0x80
	v_cmp_eq_u16_sdwa s[12:13], v4, s4 src0_sel:BYTE_0 src1_sel:DWORD
	s_mov_b64 s[4:5], -1
                                        ; implicit-def: $sgpr10
	s_and_saveexec_b64 s[8:9], s[12:13]
; %bb.14918:
	s_mov_b32 s10, 0x7f800001
	s_xor_b64 s[4:5], exec, -1
; %bb.14919:
	s_or_b64 exec, exec, s[8:9]
	s_and_b64 s[4:5], s[4:5], exec
	s_or_saveexec_b64 s[6:7], s[6:7]
	v_mov_b32_e32 v3, s10
	s_xor_b64 exec, exec, s[6:7]
	s_cbranch_execnz .LBB1_14920
; %bb.50757:
	s_getpc_b64 s[14:15]
.Lpost_getpc11042:
	s_add_u32 s14, s14, (.LBB1_582-.Lpost_getpc11042)&4294967295
	s_addc_u32 s15, s15, (.LBB1_582-.Lpost_getpc11042)>>32
	s_setpc_b64 s[14:15]
.LBB1_14920:
	v_mov_b32_e32 v3, 0
	v_cmp_ne_u16_sdwa s[8:9], v4, v3 src0_sel:BYTE_0 src1_sel:DWORD
	s_andn2_b64 s[4:5], s[4:5], exec
	s_and_b64 s[8:9], s[8:9], exec
	s_or_b64 s[4:5], s[4:5], s[8:9]
	s_or_b64 exec, exec, s[6:7]
	s_and_saveexec_b64 s[6:7], s[4:5]
	s_cbranch_execz .LBB1_28963
; %bb.50759:
	s_getpc_b64 s[14:15]
.Lpost_getpc11043:
	s_add_u32 s14, s14, (.LBB1_583-.Lpost_getpc11043)&4294967295
	s_addc_u32 s15, s15, (.LBB1_583-.Lpost_getpc11043)>>32
	s_setpc_b64 s[14:15]
.LBB1_28963:
	s_getpc_b64 s[14:15]
.Lpost_getpc145:
	s_add_u32 s14, s14, (.LBB1_584-.Lpost_getpc145)&4294967295
	s_addc_u32 s15, s15, (.LBB1_584-.Lpost_getpc145)>>32
	s_setpc_b64 s[14:15]
.LBB1_14921:
	s_movk_i32 s4, 0x80
	v_cmp_eq_u16_sdwa s[12:13], v3, s4 src0_sel:BYTE_0 src1_sel:DWORD
	s_mov_b64 s[4:5], -1
                                        ; implicit-def: $sgpr10
	s_and_saveexec_b64 s[8:9], s[12:13]
; %bb.14922:
	s_mov_b32 s10, 0x7f800001
	s_xor_b64 s[4:5], exec, -1
; %bb.14923:
	s_or_b64 exec, exec, s[8:9]
	s_and_b64 s[4:5], s[4:5], exec
	s_or_saveexec_b64 s[6:7], s[6:7]
	v_mov_b32_e32 v2, s10
	s_xor_b64 exec, exec, s[6:7]
	s_cbranch_execnz .LBB1_14924
; %bb.50761:
	s_getpc_b64 s[14:15]
.Lpost_getpc11044:
	s_add_u32 s14, s14, (.LBB1_586-.Lpost_getpc11044)&4294967295
	s_addc_u32 s15, s15, (.LBB1_586-.Lpost_getpc11044)>>32
	s_setpc_b64 s[14:15]
.LBB1_14924:
	v_mov_b32_e32 v2, 0
	v_cmp_ne_u16_sdwa s[8:9], v3, v2 src0_sel:BYTE_0 src1_sel:DWORD
	s_andn2_b64 s[4:5], s[4:5], exec
	s_and_b64 s[8:9], s[8:9], exec
	s_or_b64 s[4:5], s[4:5], s[8:9]
	s_or_b64 exec, exec, s[6:7]
	s_and_saveexec_b64 s[6:7], s[4:5]
	s_cbranch_execz .LBB1_28965
; %bb.50763:
	s_getpc_b64 s[14:15]
.Lpost_getpc11045:
	s_add_u32 s14, s14, (.LBB1_587-.Lpost_getpc11045)&4294967295
	s_addc_u32 s15, s15, (.LBB1_587-.Lpost_getpc11045)>>32
	s_setpc_b64 s[14:15]
.LBB1_28965:
	s_getpc_b64 s[14:15]
.Lpost_getpc146:
	s_add_u32 s14, s14, (.LBB1_588-.Lpost_getpc146)&4294967295
	s_addc_u32 s15, s15, (.LBB1_588-.Lpost_getpc146)>>32
	s_setpc_b64 s[14:15]
.LBB1_14925:
	s_movk_i32 s4, 0x80
	v_cmp_eq_u16_sdwa s[12:13], v3, s4 src0_sel:BYTE_0 src1_sel:DWORD
	s_mov_b64 s[4:5], -1
                                        ; implicit-def: $sgpr10
	s_and_saveexec_b64 s[8:9], s[12:13]
; %bb.14926:
	s_mov_b32 s10, 0x7f800001
	s_xor_b64 s[4:5], exec, -1
; %bb.14927:
	s_or_b64 exec, exec, s[8:9]
	s_and_b64 s[4:5], s[4:5], exec
	s_or_saveexec_b64 s[6:7], s[6:7]
	v_mov_b32_e32 v6, s10
	s_xor_b64 exec, exec, s[6:7]
	s_cbranch_execnz .LBB1_14928
; %bb.50765:
	s_getpc_b64 s[14:15]
.Lpost_getpc11046:
	s_add_u32 s14, s14, (.LBB1_590-.Lpost_getpc11046)&4294967295
	s_addc_u32 s15, s15, (.LBB1_590-.Lpost_getpc11046)>>32
	s_setpc_b64 s[14:15]
.LBB1_14928:
	v_mov_b32_e32 v6, 0
	v_cmp_ne_u16_sdwa s[8:9], v3, v6 src0_sel:BYTE_0 src1_sel:DWORD
	s_andn2_b64 s[4:5], s[4:5], exec
	s_and_b64 s[8:9], s[8:9], exec
	s_or_b64 s[4:5], s[4:5], s[8:9]
	s_or_b64 exec, exec, s[6:7]
	s_and_saveexec_b64 s[6:7], s[4:5]
	s_cbranch_execz .LBB1_28967
; %bb.50767:
	s_getpc_b64 s[14:15]
.Lpost_getpc11047:
	s_add_u32 s14, s14, (.LBB1_591-.Lpost_getpc11047)&4294967295
	s_addc_u32 s15, s15, (.LBB1_591-.Lpost_getpc11047)>>32
	s_setpc_b64 s[14:15]
.LBB1_28967:
	s_getpc_b64 s[14:15]
.Lpost_getpc147:
	s_add_u32 s14, s14, (.LBB1_592-.Lpost_getpc147)&4294967295
	s_addc_u32 s15, s15, (.LBB1_592-.Lpost_getpc147)>>32
	s_setpc_b64 s[14:15]
.LBB1_14929:
	s_movk_i32 s4, 0x80
	v_cmp_eq_u16_e32 vcc, s4, v3
	s_mov_b64 s[4:5], -1
                                        ; implicit-def: $sgpr10
	s_and_saveexec_b64 s[8:9], vcc
; %bb.14930:
	s_mov_b32 s10, 0x7f800001
	s_xor_b64 s[4:5], exec, -1
; %bb.14931:
	s_or_b64 exec, exec, s[8:9]
	s_and_b64 s[4:5], s[4:5], exec
                                        ; implicit-def: $vgpr3
	s_or_saveexec_b64 s[6:7], s[6:7]
	v_mov_b32_e32 v2, s10
	s_xor_b64 exec, exec, s[6:7]
	s_cbranch_execnz .LBB1_14932
; %bb.50769:
	s_getpc_b64 s[14:15]
.Lpost_getpc11048:
	s_add_u32 s14, s14, (.LBB1_594-.Lpost_getpc11048)&4294967295
	s_addc_u32 s15, s15, (.LBB1_594-.Lpost_getpc11048)>>32
	s_setpc_b64 s[14:15]
.LBB1_14932:
	v_cmp_ne_u16_e32 vcc, 0, v3
	s_andn2_b64 s[4:5], s[4:5], exec
	s_and_b64 s[8:9], vcc, exec
	v_mov_b32_e32 v2, 0
	s_or_b64 s[4:5], s[4:5], s[8:9]
	s_or_b64 exec, exec, s[6:7]
	s_and_saveexec_b64 s[6:7], s[4:5]
	s_cbranch_execz .LBB1_28969
; %bb.50771:
	s_getpc_b64 s[14:15]
.Lpost_getpc11049:
	s_add_u32 s14, s14, (.LBB1_595-.Lpost_getpc11049)&4294967295
	s_addc_u32 s15, s15, (.LBB1_595-.Lpost_getpc11049)>>32
	s_setpc_b64 s[14:15]
.LBB1_28969:
	s_getpc_b64 s[14:15]
.Lpost_getpc148:
	s_add_u32 s14, s14, (.LBB1_596-.Lpost_getpc148)&4294967295
	s_addc_u32 s15, s15, (.LBB1_596-.Lpost_getpc148)>>32
	s_setpc_b64 s[14:15]
.LBB1_14933:
	s_movk_i32 s4, 0x80
	v_cmp_eq_u16_e32 vcc, s4, v3
	s_mov_b64 s[4:5], -1
                                        ; implicit-def: $sgpr10
	s_and_saveexec_b64 s[8:9], vcc
; %bb.14934:
	s_mov_b32 s10, 0x7f800001
	s_xor_b64 s[4:5], exec, -1
; %bb.14935:
	s_or_b64 exec, exec, s[8:9]
	s_and_b64 s[4:5], s[4:5], exec
                                        ; implicit-def: $vgpr3
	s_or_saveexec_b64 s[6:7], s[6:7]
	v_mov_b32_e32 v6, s10
	s_xor_b64 exec, exec, s[6:7]
	s_cbranch_execnz .LBB1_14936
; %bb.50773:
	s_getpc_b64 s[14:15]
.Lpost_getpc11050:
	s_add_u32 s14, s14, (.LBB1_598-.Lpost_getpc11050)&4294967295
	s_addc_u32 s15, s15, (.LBB1_598-.Lpost_getpc11050)>>32
	s_setpc_b64 s[14:15]
.LBB1_14936:
	v_cmp_ne_u16_e32 vcc, 0, v3
	s_andn2_b64 s[4:5], s[4:5], exec
	s_and_b64 s[8:9], vcc, exec
	v_mov_b32_e32 v6, 0
	s_or_b64 s[4:5], s[4:5], s[8:9]
	s_or_b64 exec, exec, s[6:7]
	s_and_saveexec_b64 s[6:7], s[4:5]
	s_cbranch_execz .LBB1_28971
; %bb.50775:
	s_getpc_b64 s[14:15]
.Lpost_getpc11051:
	s_add_u32 s14, s14, (.LBB1_599-.Lpost_getpc11051)&4294967295
	s_addc_u32 s15, s15, (.LBB1_599-.Lpost_getpc11051)>>32
	s_setpc_b64 s[14:15]
.LBB1_28971:
	s_getpc_b64 s[14:15]
.Lpost_getpc149:
	s_add_u32 s14, s14, (.LBB1_600-.Lpost_getpc149)&4294967295
	s_addc_u32 s15, s15, (.LBB1_600-.Lpost_getpc149)>>32
	s_setpc_b64 s[14:15]
.LBB1_14937:
	s_movk_i32 s4, 0x80
	v_cmp_eq_u16_sdwa s[12:13], v8, s4 src0_sel:BYTE_3 src1_sel:DWORD
	s_mov_b64 s[4:5], -1
                                        ; implicit-def: $sgpr10
	s_and_saveexec_b64 s[8:9], s[12:13]
; %bb.14938:
	s_mov_b32 s10, 0x7f800001
	s_xor_b64 s[4:5], exec, -1
; %bb.14939:
	s_or_b64 exec, exec, s[8:9]
	s_and_b64 s[4:5], s[4:5], exec
	s_or_saveexec_b64 s[6:7], s[6:7]
	v_mov_b32_e32 v2, s10
	s_xor_b64 exec, exec, s[6:7]
	s_cbranch_execnz .LBB1_14940
; %bb.50777:
	s_getpc_b64 s[14:15]
.Lpost_getpc11052:
	s_add_u32 s14, s14, (.LBB1_602-.Lpost_getpc11052)&4294967295
	s_addc_u32 s15, s15, (.LBB1_602-.Lpost_getpc11052)>>32
	s_setpc_b64 s[14:15]
.LBB1_14940:
	v_mov_b32_e32 v2, 0
	v_cmp_ne_u16_sdwa s[8:9], v8, v2 src0_sel:BYTE_3 src1_sel:DWORD
	s_andn2_b64 s[4:5], s[4:5], exec
	s_and_b64 s[8:9], s[8:9], exec
	s_or_b64 s[4:5], s[4:5], s[8:9]
	s_or_b64 exec, exec, s[6:7]
	s_and_saveexec_b64 s[6:7], s[4:5]
	s_cbranch_execz .LBB1_28973
; %bb.50779:
	s_getpc_b64 s[14:15]
.Lpost_getpc11053:
	s_add_u32 s14, s14, (.LBB1_603-.Lpost_getpc11053)&4294967295
	s_addc_u32 s15, s15, (.LBB1_603-.Lpost_getpc11053)>>32
	s_setpc_b64 s[14:15]
.LBB1_28973:
	s_getpc_b64 s[14:15]
.Lpost_getpc150:
	s_add_u32 s14, s14, (.LBB1_604-.Lpost_getpc150)&4294967295
	s_addc_u32 s15, s15, (.LBB1_604-.Lpost_getpc150)>>32
	s_setpc_b64 s[14:15]
.LBB1_14941:
	s_movk_i32 s4, 0x80
	v_cmp_eq_u16_sdwa s[12:13], v4, s4 src0_sel:BYTE_3 src1_sel:DWORD
	s_mov_b64 s[4:5], -1
                                        ; implicit-def: $sgpr10
	s_and_saveexec_b64 s[8:9], s[12:13]
; %bb.14942:
	s_mov_b32 s10, 0x7f800001
	s_xor_b64 s[4:5], exec, -1
; %bb.14943:
	s_or_b64 exec, exec, s[8:9]
	s_and_b64 s[4:5], s[4:5], exec
	s_or_saveexec_b64 s[6:7], s[6:7]
	v_mov_b32_e32 v3, s10
	s_xor_b64 exec, exec, s[6:7]
	s_cbranch_execnz .LBB1_14944
; %bb.50781:
	s_getpc_b64 s[14:15]
.Lpost_getpc11054:
	s_add_u32 s14, s14, (.LBB1_606-.Lpost_getpc11054)&4294967295
	s_addc_u32 s15, s15, (.LBB1_606-.Lpost_getpc11054)>>32
	s_setpc_b64 s[14:15]
.LBB1_14944:
	v_mov_b32_e32 v3, 0
	v_cmp_ne_u16_sdwa s[8:9], v4, v3 src0_sel:BYTE_3 src1_sel:DWORD
	s_andn2_b64 s[4:5], s[4:5], exec
	s_and_b64 s[8:9], s[8:9], exec
	s_or_b64 s[4:5], s[4:5], s[8:9]
	s_or_b64 exec, exec, s[6:7]
	s_and_saveexec_b64 s[6:7], s[4:5]
	s_cbranch_execz .LBB1_28975
; %bb.50783:
	s_getpc_b64 s[14:15]
.Lpost_getpc11055:
	s_add_u32 s14, s14, (.LBB1_607-.Lpost_getpc11055)&4294967295
	s_addc_u32 s15, s15, (.LBB1_607-.Lpost_getpc11055)>>32
	s_setpc_b64 s[14:15]
.LBB1_28975:
	s_getpc_b64 s[14:15]
.Lpost_getpc151:
	s_add_u32 s14, s14, (.LBB1_608-.Lpost_getpc151)&4294967295
	s_addc_u32 s15, s15, (.LBB1_608-.Lpost_getpc151)>>32
	s_setpc_b64 s[14:15]
.LBB1_14945:
	s_movk_i32 s4, 0x80
	v_cmp_eq_u16_sdwa s[12:13], v9, s4 src0_sel:BYTE_0 src1_sel:DWORD
	s_mov_b64 s[4:5], -1
                                        ; implicit-def: $sgpr10
	s_and_saveexec_b64 s[8:9], s[12:13]
; %bb.14946:
	s_mov_b32 s10, 0x7f800001
	s_xor_b64 s[4:5], exec, -1
; %bb.14947:
	s_or_b64 exec, exec, s[8:9]
	s_and_b64 s[4:5], s[4:5], exec
	s_or_saveexec_b64 s[6:7], s[6:7]
	v_mov_b32_e32 v2, s10
	s_xor_b64 exec, exec, s[6:7]
	s_cbranch_execnz .LBB1_14948
; %bb.50785:
	s_getpc_b64 s[14:15]
.Lpost_getpc11056:
	s_add_u32 s14, s14, (.LBB1_610-.Lpost_getpc11056)&4294967295
	s_addc_u32 s15, s15, (.LBB1_610-.Lpost_getpc11056)>>32
	s_setpc_b64 s[14:15]
.LBB1_14948:
	v_mov_b32_e32 v2, 0
	v_cmp_ne_u16_sdwa s[8:9], v9, v2 src0_sel:BYTE_0 src1_sel:DWORD
	s_andn2_b64 s[4:5], s[4:5], exec
	s_and_b64 s[8:9], s[8:9], exec
	s_or_b64 s[4:5], s[4:5], s[8:9]
	s_or_b64 exec, exec, s[6:7]
	s_and_saveexec_b64 s[6:7], s[4:5]
	s_cbranch_execz .LBB1_28977
; %bb.50787:
	s_getpc_b64 s[14:15]
.Lpost_getpc11057:
	s_add_u32 s14, s14, (.LBB1_611-.Lpost_getpc11057)&4294967295
	s_addc_u32 s15, s15, (.LBB1_611-.Lpost_getpc11057)>>32
	s_setpc_b64 s[14:15]
.LBB1_28977:
	s_getpc_b64 s[14:15]
.Lpost_getpc152:
	s_add_u32 s14, s14, (.LBB1_612-.Lpost_getpc152)&4294967295
	s_addc_u32 s15, s15, (.LBB1_612-.Lpost_getpc152)>>32
	s_setpc_b64 s[14:15]
.LBB1_14949:
	s_movk_i32 s4, 0x80
	v_cmp_eq_u16_sdwa s[12:13], v5, s4 src0_sel:BYTE_0 src1_sel:DWORD
	s_mov_b64 s[4:5], -1
                                        ; implicit-def: $sgpr10
	s_and_saveexec_b64 s[8:9], s[12:13]
; %bb.14950:
	s_mov_b32 s10, 0x7f800001
	s_xor_b64 s[4:5], exec, -1
; %bb.14951:
	s_or_b64 exec, exec, s[8:9]
	s_and_b64 s[4:5], s[4:5], exec
	s_or_saveexec_b64 s[6:7], s[6:7]
	v_mov_b32_e32 v3, s10
	s_xor_b64 exec, exec, s[6:7]
	s_cbranch_execnz .LBB1_14952
; %bb.50789:
	s_getpc_b64 s[14:15]
.Lpost_getpc11058:
	s_add_u32 s14, s14, (.LBB1_614-.Lpost_getpc11058)&4294967295
	s_addc_u32 s15, s15, (.LBB1_614-.Lpost_getpc11058)>>32
	s_setpc_b64 s[14:15]
.LBB1_14952:
	v_mov_b32_e32 v3, 0
	v_cmp_ne_u16_sdwa s[8:9], v5, v3 src0_sel:BYTE_0 src1_sel:DWORD
	s_andn2_b64 s[4:5], s[4:5], exec
	s_and_b64 s[8:9], s[8:9], exec
	s_or_b64 s[4:5], s[4:5], s[8:9]
	s_or_b64 exec, exec, s[6:7]
	s_and_saveexec_b64 s[6:7], s[4:5]
	s_cbranch_execz .LBB1_28979
; %bb.50791:
	s_getpc_b64 s[14:15]
.Lpost_getpc11059:
	s_add_u32 s14, s14, (.LBB1_615-.Lpost_getpc11059)&4294967295
	s_addc_u32 s15, s15, (.LBB1_615-.Lpost_getpc11059)>>32
	s_setpc_b64 s[14:15]
.LBB1_28979:
	s_getpc_b64 s[14:15]
.Lpost_getpc153:
	s_add_u32 s14, s14, (.LBB1_616-.Lpost_getpc153)&4294967295
	s_addc_u32 s15, s15, (.LBB1_616-.Lpost_getpc153)>>32
	s_setpc_b64 s[14:15]
.LBB1_14953:
	s_movk_i32 s4, 0x80
	v_cmp_eq_u16_sdwa s[12:13], v3, s4 src0_sel:BYTE_0 src1_sel:DWORD
	s_mov_b64 s[4:5], -1
                                        ; implicit-def: $sgpr10
	s_and_saveexec_b64 s[8:9], s[12:13]
; %bb.14954:
	s_mov_b32 s10, 0x7f800001
	s_xor_b64 s[4:5], exec, -1
; %bb.14955:
	s_or_b64 exec, exec, s[8:9]
	s_and_b64 s[4:5], s[4:5], exec
	s_or_saveexec_b64 s[6:7], s[6:7]
	v_mov_b32_e32 v2, s10
	s_xor_b64 exec, exec, s[6:7]
	s_cbranch_execnz .LBB1_14956
; %bb.50793:
	s_getpc_b64 s[14:15]
.Lpost_getpc11060:
	s_add_u32 s14, s14, (.LBB1_618-.Lpost_getpc11060)&4294967295
	s_addc_u32 s15, s15, (.LBB1_618-.Lpost_getpc11060)>>32
	s_setpc_b64 s[14:15]
.LBB1_14956:
	v_mov_b32_e32 v2, 0
	v_cmp_ne_u16_sdwa s[8:9], v3, v2 src0_sel:BYTE_0 src1_sel:DWORD
	s_andn2_b64 s[4:5], s[4:5], exec
	s_and_b64 s[8:9], s[8:9], exec
	s_or_b64 s[4:5], s[4:5], s[8:9]
	s_or_b64 exec, exec, s[6:7]
	s_and_saveexec_b64 s[6:7], s[4:5]
	s_cbranch_execz .LBB1_28981
; %bb.50795:
	s_getpc_b64 s[14:15]
.Lpost_getpc11061:
	s_add_u32 s14, s14, (.LBB1_619-.Lpost_getpc11061)&4294967295
	s_addc_u32 s15, s15, (.LBB1_619-.Lpost_getpc11061)>>32
	s_setpc_b64 s[14:15]
.LBB1_28981:
	s_getpc_b64 s[14:15]
.Lpost_getpc154:
	s_add_u32 s14, s14, (.LBB1_620-.Lpost_getpc154)&4294967295
	s_addc_u32 s15, s15, (.LBB1_620-.Lpost_getpc154)>>32
	s_setpc_b64 s[14:15]
.LBB1_14957:
	s_movk_i32 s4, 0x80
	v_cmp_eq_u16_sdwa s[12:13], v3, s4 src0_sel:BYTE_0 src1_sel:DWORD
	s_mov_b64 s[4:5], -1
                                        ; implicit-def: $sgpr10
	s_and_saveexec_b64 s[8:9], s[12:13]
; %bb.14958:
	s_mov_b32 s10, 0x7f800001
	s_xor_b64 s[4:5], exec, -1
; %bb.14959:
	s_or_b64 exec, exec, s[8:9]
	s_and_b64 s[4:5], s[4:5], exec
	s_or_saveexec_b64 s[6:7], s[6:7]
	v_mov_b32_e32 v4, s10
	s_xor_b64 exec, exec, s[6:7]
	s_cbranch_execnz .LBB1_14960
; %bb.50797:
	s_getpc_b64 s[14:15]
.Lpost_getpc11062:
	s_add_u32 s14, s14, (.LBB1_622-.Lpost_getpc11062)&4294967295
	s_addc_u32 s15, s15, (.LBB1_622-.Lpost_getpc11062)>>32
	s_setpc_b64 s[14:15]
.LBB1_14960:
	v_mov_b32_e32 v4, 0
	v_cmp_ne_u16_sdwa s[8:9], v3, v4 src0_sel:BYTE_0 src1_sel:DWORD
	s_andn2_b64 s[4:5], s[4:5], exec
	s_and_b64 s[8:9], s[8:9], exec
	s_or_b64 s[4:5], s[4:5], s[8:9]
	s_or_b64 exec, exec, s[6:7]
	s_and_saveexec_b64 s[6:7], s[4:5]
	s_cbranch_execz .LBB1_28983
; %bb.50799:
	s_getpc_b64 s[14:15]
.Lpost_getpc11063:
	s_add_u32 s14, s14, (.LBB1_623-.Lpost_getpc11063)&4294967295
	s_addc_u32 s15, s15, (.LBB1_623-.Lpost_getpc11063)>>32
	s_setpc_b64 s[14:15]
.LBB1_28983:
	s_getpc_b64 s[14:15]
.Lpost_getpc155:
	s_add_u32 s14, s14, (.LBB1_624-.Lpost_getpc155)&4294967295
	s_addc_u32 s15, s15, (.LBB1_624-.Lpost_getpc155)>>32
	s_setpc_b64 s[14:15]
.LBB1_14961:
	s_movk_i32 s4, 0x80
	v_cmp_eq_u16_e32 vcc, s4, v3
	s_mov_b64 s[4:5], -1
                                        ; implicit-def: $sgpr10
	s_and_saveexec_b64 s[8:9], vcc
; %bb.14962:
	s_mov_b32 s10, 0x7f800001
	s_xor_b64 s[4:5], exec, -1
; %bb.14963:
	s_or_b64 exec, exec, s[8:9]
	s_and_b64 s[4:5], s[4:5], exec
                                        ; implicit-def: $vgpr3
	s_or_saveexec_b64 s[6:7], s[6:7]
	v_mov_b32_e32 v2, s10
	s_xor_b64 exec, exec, s[6:7]
	s_cbranch_execnz .LBB1_14964
; %bb.50801:
	s_getpc_b64 s[14:15]
.Lpost_getpc11064:
	s_add_u32 s14, s14, (.LBB1_626-.Lpost_getpc11064)&4294967295
	s_addc_u32 s15, s15, (.LBB1_626-.Lpost_getpc11064)>>32
	s_setpc_b64 s[14:15]
.LBB1_14964:
	v_cmp_ne_u16_e32 vcc, 0, v3
	s_andn2_b64 s[4:5], s[4:5], exec
	s_and_b64 s[8:9], vcc, exec
	v_mov_b32_e32 v2, 0
	s_or_b64 s[4:5], s[4:5], s[8:9]
	s_or_b64 exec, exec, s[6:7]
	s_and_saveexec_b64 s[6:7], s[4:5]
	s_cbranch_execz .LBB1_28985
; %bb.50803:
	s_getpc_b64 s[14:15]
.Lpost_getpc11065:
	s_add_u32 s14, s14, (.LBB1_627-.Lpost_getpc11065)&4294967295
	s_addc_u32 s15, s15, (.LBB1_627-.Lpost_getpc11065)>>32
	s_setpc_b64 s[14:15]
.LBB1_28985:
	s_getpc_b64 s[14:15]
.Lpost_getpc156:
	s_add_u32 s14, s14, (.LBB1_628-.Lpost_getpc156)&4294967295
	s_addc_u32 s15, s15, (.LBB1_628-.Lpost_getpc156)>>32
	s_setpc_b64 s[14:15]
.LBB1_14965:
	s_movk_i32 s4, 0x80
	v_cmp_eq_u16_e32 vcc, s4, v3
	s_mov_b64 s[4:5], -1
                                        ; implicit-def: $sgpr10
	s_and_saveexec_b64 s[8:9], vcc
; %bb.14966:
	s_mov_b32 s10, 0x7f800001
	s_xor_b64 s[4:5], exec, -1
; %bb.14967:
	s_or_b64 exec, exec, s[8:9]
	s_and_b64 s[4:5], s[4:5], exec
                                        ; implicit-def: $vgpr3
	s_or_saveexec_b64 s[6:7], s[6:7]
	v_mov_b32_e32 v4, s10
	s_xor_b64 exec, exec, s[6:7]
	s_cbranch_execnz .LBB1_14968
; %bb.50805:
	s_getpc_b64 s[14:15]
.Lpost_getpc11066:
	s_add_u32 s14, s14, (.LBB1_630-.Lpost_getpc11066)&4294967295
	s_addc_u32 s15, s15, (.LBB1_630-.Lpost_getpc11066)>>32
	s_setpc_b64 s[14:15]
.LBB1_14968:
	v_cmp_ne_u16_e32 vcc, 0, v3
	s_andn2_b64 s[4:5], s[4:5], exec
	s_and_b64 s[8:9], vcc, exec
	v_mov_b32_e32 v4, 0
	s_or_b64 s[4:5], s[4:5], s[8:9]
	s_or_b64 exec, exec, s[6:7]
	s_and_saveexec_b64 s[6:7], s[4:5]
	s_cbranch_execz .LBB1_28987
; %bb.50807:
	s_getpc_b64 s[14:15]
.Lpost_getpc11067:
	s_add_u32 s14, s14, (.LBB1_631-.Lpost_getpc11067)&4294967295
	s_addc_u32 s15, s15, (.LBB1_631-.Lpost_getpc11067)>>32
	s_setpc_b64 s[14:15]
.LBB1_28987:
	s_getpc_b64 s[14:15]
.Lpost_getpc157:
	s_add_u32 s14, s14, (.LBB1_632-.Lpost_getpc157)&4294967295
	s_addc_u32 s15, s15, (.LBB1_632-.Lpost_getpc157)>>32
	s_setpc_b64 s[14:15]
.LBB1_14969:
	s_movk_i32 s4, 0x80
	v_cmp_eq_u16_sdwa s[12:13], v9, s4 src0_sel:BYTE_3 src1_sel:DWORD
	s_mov_b64 s[4:5], -1
                                        ; implicit-def: $sgpr10
	s_and_saveexec_b64 s[8:9], s[12:13]
; %bb.14970:
	s_mov_b32 s10, 0x7f800001
	s_xor_b64 s[4:5], exec, -1
; %bb.14971:
	s_or_b64 exec, exec, s[8:9]
	s_and_b64 s[4:5], s[4:5], exec
	s_or_saveexec_b64 s[6:7], s[6:7]
	v_mov_b32_e32 v2, s10
	s_xor_b64 exec, exec, s[6:7]
	s_cbranch_execnz .LBB1_14972
; %bb.50809:
	s_getpc_b64 s[14:15]
.Lpost_getpc11068:
	s_add_u32 s14, s14, (.LBB1_634-.Lpost_getpc11068)&4294967295
	s_addc_u32 s15, s15, (.LBB1_634-.Lpost_getpc11068)>>32
	s_setpc_b64 s[14:15]
.LBB1_14972:
	v_mov_b32_e32 v2, 0
	v_cmp_ne_u16_sdwa s[8:9], v9, v2 src0_sel:BYTE_3 src1_sel:DWORD
	s_andn2_b64 s[4:5], s[4:5], exec
	s_and_b64 s[8:9], s[8:9], exec
	s_or_b64 s[4:5], s[4:5], s[8:9]
	s_or_b64 exec, exec, s[6:7]
	s_and_saveexec_b64 s[6:7], s[4:5]
	s_cbranch_execz .LBB1_28989
; %bb.50811:
	s_getpc_b64 s[14:15]
.Lpost_getpc11069:
	s_add_u32 s14, s14, (.LBB1_635-.Lpost_getpc11069)&4294967295
	s_addc_u32 s15, s15, (.LBB1_635-.Lpost_getpc11069)>>32
	s_setpc_b64 s[14:15]
.LBB1_28989:
	s_getpc_b64 s[14:15]
.Lpost_getpc158:
	s_add_u32 s14, s14, (.LBB1_636-.Lpost_getpc158)&4294967295
	s_addc_u32 s15, s15, (.LBB1_636-.Lpost_getpc158)>>32
	s_setpc_b64 s[14:15]
.LBB1_14973:
	s_movk_i32 s4, 0x80
	v_cmp_eq_u16_sdwa s[12:13], v5, s4 src0_sel:BYTE_3 src1_sel:DWORD
	s_mov_b64 s[4:5], -1
                                        ; implicit-def: $sgpr10
	s_and_saveexec_b64 s[8:9], s[12:13]
; %bb.14974:
	s_mov_b32 s10, 0x7f800001
	s_xor_b64 s[4:5], exec, -1
; %bb.14975:
	s_or_b64 exec, exec, s[8:9]
	s_and_b64 s[4:5], s[4:5], exec
	s_or_saveexec_b64 s[6:7], s[6:7]
	v_mov_b32_e32 v3, s10
	s_xor_b64 exec, exec, s[6:7]
	s_cbranch_execnz .LBB1_14976
; %bb.50813:
	s_getpc_b64 s[14:15]
.Lpost_getpc11070:
	s_add_u32 s14, s14, (.LBB1_638-.Lpost_getpc11070)&4294967295
	s_addc_u32 s15, s15, (.LBB1_638-.Lpost_getpc11070)>>32
	s_setpc_b64 s[14:15]
.LBB1_14976:
	v_mov_b32_e32 v3, 0
	v_cmp_ne_u16_sdwa s[8:9], v5, v3 src0_sel:BYTE_3 src1_sel:DWORD
	s_andn2_b64 s[4:5], s[4:5], exec
	s_and_b64 s[8:9], s[8:9], exec
	s_or_b64 s[4:5], s[4:5], s[8:9]
	s_or_b64 exec, exec, s[6:7]
	s_and_saveexec_b64 s[6:7], s[4:5]
	s_cbranch_execz .LBB1_28991
; %bb.50815:
	s_getpc_b64 s[14:15]
.Lpost_getpc11071:
	s_add_u32 s14, s14, (.LBB1_639-.Lpost_getpc11071)&4294967295
	s_addc_u32 s15, s15, (.LBB1_639-.Lpost_getpc11071)>>32
	s_setpc_b64 s[14:15]
.LBB1_28991:
	s_getpc_b64 s[14:15]
.Lpost_getpc159:
	s_add_u32 s14, s14, (.LBB1_640-.Lpost_getpc159)&4294967295
	s_addc_u32 s15, s15, (.LBB1_640-.Lpost_getpc159)>>32
	s_setpc_b64 s[14:15]
.LBB1_14977:
	s_movk_i32 s4, 0x80
	v_cmp_eq_u16_sdwa s[12:13], v6, s4 src0_sel:BYTE_0 src1_sel:DWORD
	s_mov_b64 s[4:5], -1
                                        ; implicit-def: $sgpr10
	s_and_saveexec_b64 s[8:9], s[12:13]
; %bb.14978:
	s_mov_b32 s10, 0x7f800001
	s_xor_b64 s[4:5], exec, -1
; %bb.14979:
	s_or_b64 exec, exec, s[8:9]
	s_and_b64 s[4:5], s[4:5], exec
	s_or_saveexec_b64 s[6:7], s[6:7]
	v_mov_b32_e32 v12, s10
	s_xor_b64 exec, exec, s[6:7]
	s_cbranch_execnz .LBB1_14980
; %bb.50817:
	s_getpc_b64 s[14:15]
.Lpost_getpc11072:
	s_add_u32 s14, s14, (.LBB1_642-.Lpost_getpc11072)&4294967295
	s_addc_u32 s15, s15, (.LBB1_642-.Lpost_getpc11072)>>32
	s_setpc_b64 s[14:15]
.LBB1_14980:
	v_mov_b32_e32 v12, 0
	v_cmp_ne_u16_sdwa s[8:9], v6, v12 src0_sel:BYTE_0 src1_sel:DWORD
	s_andn2_b64 s[4:5], s[4:5], exec
	s_and_b64 s[8:9], s[8:9], exec
	s_or_b64 s[4:5], s[4:5], s[8:9]
	s_or_b64 exec, exec, s[6:7]
	s_and_saveexec_b64 s[6:7], s[4:5]
	s_cbranch_execz .LBB1_28993
; %bb.50819:
	s_getpc_b64 s[14:15]
.Lpost_getpc11073:
	s_add_u32 s14, s14, (.LBB1_643-.Lpost_getpc11073)&4294967295
	s_addc_u32 s15, s15, (.LBB1_643-.Lpost_getpc11073)>>32
	s_setpc_b64 s[14:15]
.LBB1_28993:
	s_getpc_b64 s[14:15]
.Lpost_getpc160:
	s_add_u32 s14, s14, (.LBB1_644-.Lpost_getpc160)&4294967295
	s_addc_u32 s15, s15, (.LBB1_644-.Lpost_getpc160)>>32
	s_setpc_b64 s[14:15]
.LBB1_14981:
	s_movk_i32 s4, 0x80
	v_cmp_eq_u16_sdwa s[12:13], v2, s4 src0_sel:BYTE_0 src1_sel:DWORD
	s_mov_b64 s[4:5], -1
                                        ; implicit-def: $sgpr10
	s_and_saveexec_b64 s[8:9], s[12:13]
; %bb.14982:
	s_mov_b32 s10, 0x7f800001
	s_xor_b64 s[4:5], exec, -1
; %bb.14983:
	s_or_b64 exec, exec, s[8:9]
	s_and_b64 s[4:5], s[4:5], exec
	s_or_saveexec_b64 s[6:7], s[6:7]
	v_mov_b32_e32 v13, s10
	s_xor_b64 exec, exec, s[6:7]
	s_cbranch_execnz .LBB1_14984
; %bb.50821:
	s_getpc_b64 s[14:15]
.Lpost_getpc11074:
	s_add_u32 s14, s14, (.LBB1_646-.Lpost_getpc11074)&4294967295
	s_addc_u32 s15, s15, (.LBB1_646-.Lpost_getpc11074)>>32
	s_setpc_b64 s[14:15]
.LBB1_14984:
	v_mov_b32_e32 v13, 0
	v_cmp_ne_u16_sdwa s[8:9], v2, v13 src0_sel:BYTE_0 src1_sel:DWORD
	s_andn2_b64 s[4:5], s[4:5], exec
	s_and_b64 s[8:9], s[8:9], exec
	s_or_b64 s[4:5], s[4:5], s[8:9]
	s_or_b64 exec, exec, s[6:7]
	s_and_saveexec_b64 s[6:7], s[4:5]
	s_cbranch_execz .LBB1_28995
; %bb.50823:
	s_getpc_b64 s[14:15]
.Lpost_getpc11075:
	s_add_u32 s14, s14, (.LBB1_647-.Lpost_getpc11075)&4294967295
	s_addc_u32 s15, s15, (.LBB1_647-.Lpost_getpc11075)>>32
	s_setpc_b64 s[14:15]
.LBB1_28995:
	s_getpc_b64 s[14:15]
.Lpost_getpc161:
	s_add_u32 s14, s14, (.LBB1_648-.Lpost_getpc161)&4294967295
	s_addc_u32 s15, s15, (.LBB1_648-.Lpost_getpc161)>>32
	s_setpc_b64 s[14:15]
.LBB1_14985:
	s_movk_i32 s4, 0x80
	v_cmp_eq_u16_sdwa s[12:13], v13, s4 src0_sel:BYTE_0 src1_sel:DWORD
	s_mov_b64 s[4:5], -1
                                        ; implicit-def: $sgpr10
	s_and_saveexec_b64 s[8:9], s[12:13]
; %bb.14986:
	s_mov_b32 s10, 0x7f800001
	s_xor_b64 s[4:5], exec, -1
; %bb.14987:
	s_or_b64 exec, exec, s[8:9]
	s_and_b64 s[4:5], s[4:5], exec
	s_or_saveexec_b64 s[6:7], s[6:7]
	v_mov_b32_e32 v12, s10
	s_xor_b64 exec, exec, s[6:7]
	s_cbranch_execnz .LBB1_14988
; %bb.50825:
	s_getpc_b64 s[14:15]
.Lpost_getpc11076:
	s_add_u32 s14, s14, (.LBB1_650-.Lpost_getpc11076)&4294967295
	s_addc_u32 s15, s15, (.LBB1_650-.Lpost_getpc11076)>>32
	s_setpc_b64 s[14:15]
.LBB1_14988:
	v_mov_b32_e32 v12, 0
	v_cmp_ne_u16_sdwa s[8:9], v13, v12 src0_sel:BYTE_0 src1_sel:DWORD
	s_andn2_b64 s[4:5], s[4:5], exec
	s_and_b64 s[8:9], s[8:9], exec
	s_or_b64 s[4:5], s[4:5], s[8:9]
	s_or_b64 exec, exec, s[6:7]
	s_and_saveexec_b64 s[6:7], s[4:5]
	s_cbranch_execz .LBB1_28997
; %bb.50827:
	s_getpc_b64 s[14:15]
.Lpost_getpc11077:
	s_add_u32 s14, s14, (.LBB1_651-.Lpost_getpc11077)&4294967295
	s_addc_u32 s15, s15, (.LBB1_651-.Lpost_getpc11077)>>32
	s_setpc_b64 s[14:15]
.LBB1_28997:
	s_getpc_b64 s[14:15]
.Lpost_getpc162:
	s_add_u32 s14, s14, (.LBB1_652-.Lpost_getpc162)&4294967295
	s_addc_u32 s15, s15, (.LBB1_652-.Lpost_getpc162)>>32
	s_setpc_b64 s[14:15]
.LBB1_14989:
	s_movk_i32 s4, 0x80
	v_cmp_eq_u16_sdwa s[12:13], v13, s4 src0_sel:BYTE_0 src1_sel:DWORD
	s_mov_b64 s[4:5], -1
                                        ; implicit-def: $sgpr10
	s_and_saveexec_b64 s[8:9], s[12:13]
; %bb.14990:
	s_mov_b32 s10, 0x7f800001
	s_xor_b64 s[4:5], exec, -1
; %bb.14991:
	s_or_b64 exec, exec, s[8:9]
	s_and_b64 s[4:5], s[4:5], exec
	s_or_saveexec_b64 s[6:7], s[6:7]
	v_mov_b32_e32 v14, s10
	s_xor_b64 exec, exec, s[6:7]
	s_cbranch_execnz .LBB1_14992
; %bb.50829:
	s_getpc_b64 s[14:15]
.Lpost_getpc11078:
	s_add_u32 s14, s14, (.LBB1_654-.Lpost_getpc11078)&4294967295
	s_addc_u32 s15, s15, (.LBB1_654-.Lpost_getpc11078)>>32
	s_setpc_b64 s[14:15]
.LBB1_14992:
	v_mov_b32_e32 v14, 0
	v_cmp_ne_u16_sdwa s[8:9], v13, v14 src0_sel:BYTE_0 src1_sel:DWORD
	s_andn2_b64 s[4:5], s[4:5], exec
	s_and_b64 s[8:9], s[8:9], exec
	s_or_b64 s[4:5], s[4:5], s[8:9]
	s_or_b64 exec, exec, s[6:7]
	s_and_saveexec_b64 s[6:7], s[4:5]
	s_cbranch_execz .LBB1_28999
; %bb.50831:
	s_getpc_b64 s[14:15]
.Lpost_getpc11079:
	s_add_u32 s14, s14, (.LBB1_655-.Lpost_getpc11079)&4294967295
	s_addc_u32 s15, s15, (.LBB1_655-.Lpost_getpc11079)>>32
	s_setpc_b64 s[14:15]
.LBB1_28999:
	s_getpc_b64 s[14:15]
.Lpost_getpc163:
	s_add_u32 s14, s14, (.LBB1_656-.Lpost_getpc163)&4294967295
	s_addc_u32 s15, s15, (.LBB1_656-.Lpost_getpc163)>>32
	s_setpc_b64 s[14:15]
.LBB1_14993:
	s_movk_i32 s4, 0x80
	v_cmp_eq_u16_e32 vcc, s4, v13
	s_mov_b64 s[4:5], -1
                                        ; implicit-def: $sgpr10
	s_and_saveexec_b64 s[8:9], vcc
; %bb.14994:
	s_mov_b32 s10, 0x7f800001
	s_xor_b64 s[4:5], exec, -1
; %bb.14995:
	s_or_b64 exec, exec, s[8:9]
	s_and_b64 s[4:5], s[4:5], exec
                                        ; implicit-def: $vgpr13
	s_or_saveexec_b64 s[6:7], s[6:7]
	v_mov_b32_e32 v12, s10
	s_xor_b64 exec, exec, s[6:7]
	s_cbranch_execnz .LBB1_14996
; %bb.50833:
	s_getpc_b64 s[14:15]
.Lpost_getpc11080:
	s_add_u32 s14, s14, (.LBB1_658-.Lpost_getpc11080)&4294967295
	s_addc_u32 s15, s15, (.LBB1_658-.Lpost_getpc11080)>>32
	s_setpc_b64 s[14:15]
.LBB1_14996:
	v_cmp_ne_u16_e32 vcc, 0, v13
	s_andn2_b64 s[4:5], s[4:5], exec
	s_and_b64 s[8:9], vcc, exec
	v_mov_b32_e32 v12, 0
	s_or_b64 s[4:5], s[4:5], s[8:9]
	s_or_b64 exec, exec, s[6:7]
	s_and_saveexec_b64 s[6:7], s[4:5]
	s_cbranch_execz .LBB1_29001
; %bb.50835:
	s_getpc_b64 s[14:15]
.Lpost_getpc11081:
	s_add_u32 s14, s14, (.LBB1_659-.Lpost_getpc11081)&4294967295
	s_addc_u32 s15, s15, (.LBB1_659-.Lpost_getpc11081)>>32
	s_setpc_b64 s[14:15]
.LBB1_29001:
	s_getpc_b64 s[14:15]
.Lpost_getpc164:
	s_add_u32 s14, s14, (.LBB1_660-.Lpost_getpc164)&4294967295
	s_addc_u32 s15, s15, (.LBB1_660-.Lpost_getpc164)>>32
	s_setpc_b64 s[14:15]
.LBB1_14997:
	s_movk_i32 s4, 0x80
	v_cmp_eq_u16_e32 vcc, s4, v13
	s_mov_b64 s[4:5], -1
                                        ; implicit-def: $sgpr10
	s_and_saveexec_b64 s[8:9], vcc
; %bb.14998:
	s_mov_b32 s10, 0x7f800001
	s_xor_b64 s[4:5], exec, -1
; %bb.14999:
	s_or_b64 exec, exec, s[8:9]
	s_and_b64 s[4:5], s[4:5], exec
                                        ; implicit-def: $vgpr13
	s_or_saveexec_b64 s[6:7], s[6:7]
	v_mov_b32_e32 v14, s10
	s_xor_b64 exec, exec, s[6:7]
	s_cbranch_execnz .LBB1_15000
; %bb.50837:
	s_getpc_b64 s[14:15]
.Lpost_getpc11082:
	s_add_u32 s14, s14, (.LBB1_662-.Lpost_getpc11082)&4294967295
	s_addc_u32 s15, s15, (.LBB1_662-.Lpost_getpc11082)>>32
	s_setpc_b64 s[14:15]
.LBB1_15000:
	v_cmp_ne_u16_e32 vcc, 0, v13
	s_andn2_b64 s[4:5], s[4:5], exec
	s_and_b64 s[8:9], vcc, exec
	v_mov_b32_e32 v14, 0
	s_or_b64 s[4:5], s[4:5], s[8:9]
	s_or_b64 exec, exec, s[6:7]
	s_and_saveexec_b64 s[6:7], s[4:5]
	s_cbranch_execz .LBB1_29003
; %bb.50839:
	s_getpc_b64 s[14:15]
.Lpost_getpc11083:
	s_add_u32 s14, s14, (.LBB1_663-.Lpost_getpc11083)&4294967295
	s_addc_u32 s15, s15, (.LBB1_663-.Lpost_getpc11083)>>32
	s_setpc_b64 s[14:15]
.LBB1_29003:
	s_getpc_b64 s[14:15]
.Lpost_getpc165:
	s_add_u32 s14, s14, (.LBB1_664-.Lpost_getpc165)&4294967295
	s_addc_u32 s15, s15, (.LBB1_664-.Lpost_getpc165)>>32
	s_setpc_b64 s[14:15]
.LBB1_15001:
	s_movk_i32 s4, 0x80
	v_cmp_eq_u16_sdwa s[12:13], v6, s4 src0_sel:BYTE_3 src1_sel:DWORD
	s_mov_b64 s[4:5], -1
                                        ; implicit-def: $sgpr10
	s_and_saveexec_b64 s[8:9], s[12:13]
; %bb.15002:
	s_mov_b32 s10, 0x7f800001
	s_xor_b64 s[4:5], exec, -1
; %bb.15003:
	s_or_b64 exec, exec, s[8:9]
	s_and_b64 s[4:5], s[4:5], exec
	s_or_saveexec_b64 s[6:7], s[6:7]
	v_mov_b32_e32 v12, s10
	s_xor_b64 exec, exec, s[6:7]
	s_cbranch_execnz .LBB1_15004
; %bb.50841:
	s_getpc_b64 s[14:15]
.Lpost_getpc11084:
	s_add_u32 s14, s14, (.LBB1_666-.Lpost_getpc11084)&4294967295
	s_addc_u32 s15, s15, (.LBB1_666-.Lpost_getpc11084)>>32
	s_setpc_b64 s[14:15]
.LBB1_15004:
	v_mov_b32_e32 v12, 0
	v_cmp_ne_u16_sdwa s[8:9], v6, v12 src0_sel:BYTE_3 src1_sel:DWORD
	s_andn2_b64 s[4:5], s[4:5], exec
	s_and_b64 s[8:9], s[8:9], exec
	s_or_b64 s[4:5], s[4:5], s[8:9]
	s_or_b64 exec, exec, s[6:7]
	s_and_saveexec_b64 s[6:7], s[4:5]
	s_cbranch_execz .LBB1_29005
; %bb.50843:
	s_getpc_b64 s[14:15]
.Lpost_getpc11085:
	s_add_u32 s14, s14, (.LBB1_667-.Lpost_getpc11085)&4294967295
	s_addc_u32 s15, s15, (.LBB1_667-.Lpost_getpc11085)>>32
	s_setpc_b64 s[14:15]
.LBB1_29005:
	s_getpc_b64 s[14:15]
.Lpost_getpc166:
	s_add_u32 s14, s14, (.LBB1_668-.Lpost_getpc166)&4294967295
	s_addc_u32 s15, s15, (.LBB1_668-.Lpost_getpc166)>>32
	s_setpc_b64 s[14:15]
.LBB1_15005:
	s_movk_i32 s4, 0x80
	v_cmp_eq_u16_sdwa s[12:13], v2, s4 src0_sel:BYTE_3 src1_sel:DWORD
	s_mov_b64 s[4:5], -1
                                        ; implicit-def: $sgpr10
	s_and_saveexec_b64 s[8:9], s[12:13]
; %bb.15006:
	s_mov_b32 s10, 0x7f800001
	s_xor_b64 s[4:5], exec, -1
; %bb.15007:
	s_or_b64 exec, exec, s[8:9]
	s_and_b64 s[4:5], s[4:5], exec
	s_or_saveexec_b64 s[6:7], s[6:7]
	v_mov_b32_e32 v6, s10
	s_xor_b64 exec, exec, s[6:7]
	s_cbranch_execnz .LBB1_15008
; %bb.50845:
	s_getpc_b64 s[14:15]
.Lpost_getpc11086:
	s_add_u32 s14, s14, (.LBB1_670-.Lpost_getpc11086)&4294967295
	s_addc_u32 s15, s15, (.LBB1_670-.Lpost_getpc11086)>>32
	s_setpc_b64 s[14:15]
.LBB1_15008:
	v_mov_b32_e32 v6, 0
	v_cmp_ne_u16_sdwa s[8:9], v2, v6 src0_sel:BYTE_3 src1_sel:DWORD
	s_andn2_b64 s[4:5], s[4:5], exec
	s_and_b64 s[8:9], s[8:9], exec
	s_or_b64 s[4:5], s[4:5], s[8:9]
	s_or_b64 exec, exec, s[6:7]
	s_and_saveexec_b64 s[6:7], s[4:5]
	s_cbranch_execz .LBB1_29007
; %bb.50847:
	s_getpc_b64 s[14:15]
.Lpost_getpc11087:
	s_add_u32 s14, s14, (.LBB1_671-.Lpost_getpc11087)&4294967295
	s_addc_u32 s15, s15, (.LBB1_671-.Lpost_getpc11087)>>32
	s_setpc_b64 s[14:15]
.LBB1_29007:
	s_getpc_b64 s[14:15]
.Lpost_getpc167:
	s_add_u32 s14, s14, (.LBB1_672-.Lpost_getpc167)&4294967295
	s_addc_u32 s15, s15, (.LBB1_672-.Lpost_getpc167)>>32
	s_setpc_b64 s[14:15]
.LBB1_15009:
	s_movk_i32 s4, 0x80
	v_cmp_eq_u16_sdwa s[12:13], v7, s4 src0_sel:BYTE_0 src1_sel:DWORD
	s_mov_b64 s[4:5], -1
                                        ; implicit-def: $sgpr10
	s_and_saveexec_b64 s[8:9], s[12:13]
; %bb.15010:
	s_mov_b32 s10, 0x7f800001
	s_xor_b64 s[4:5], exec, -1
; %bb.15011:
	s_or_b64 exec, exec, s[8:9]
	s_and_b64 s[4:5], s[4:5], exec
	s_or_saveexec_b64 s[6:7], s[6:7]
	v_mov_b32_e32 v2, s10
	s_xor_b64 exec, exec, s[6:7]
	s_cbranch_execnz .LBB1_15012
; %bb.50849:
	s_getpc_b64 s[14:15]
.Lpost_getpc11088:
	s_add_u32 s14, s14, (.LBB1_674-.Lpost_getpc11088)&4294967295
	s_addc_u32 s15, s15, (.LBB1_674-.Lpost_getpc11088)>>32
	s_setpc_b64 s[14:15]
.LBB1_15012:
	v_mov_b32_e32 v2, 0
	v_cmp_ne_u16_sdwa s[8:9], v7, v2 src0_sel:BYTE_0 src1_sel:DWORD
	s_andn2_b64 s[4:5], s[4:5], exec
	s_and_b64 s[8:9], s[8:9], exec
	s_or_b64 s[4:5], s[4:5], s[8:9]
	s_or_b64 exec, exec, s[6:7]
	s_and_saveexec_b64 s[6:7], s[4:5]
	s_cbranch_execz .LBB1_29009
; %bb.50851:
	s_getpc_b64 s[14:15]
.Lpost_getpc11089:
	s_add_u32 s14, s14, (.LBB1_675-.Lpost_getpc11089)&4294967295
	s_addc_u32 s15, s15, (.LBB1_675-.Lpost_getpc11089)>>32
	s_setpc_b64 s[14:15]
.LBB1_29009:
	s_getpc_b64 s[14:15]
.Lpost_getpc168:
	s_add_u32 s14, s14, (.LBB1_676-.Lpost_getpc168)&4294967295
	s_addc_u32 s15, s15, (.LBB1_676-.Lpost_getpc168)>>32
	s_setpc_b64 s[14:15]
.LBB1_15013:
	s_movk_i32 s4, 0x80
	v_cmp_eq_u16_sdwa s[12:13], v3, s4 src0_sel:BYTE_0 src1_sel:DWORD
	s_mov_b64 s[4:5], -1
                                        ; implicit-def: $sgpr10
	s_and_saveexec_b64 s[8:9], s[12:13]
; %bb.15014:
	s_mov_b32 s10, 0x7f800001
	s_xor_b64 s[4:5], exec, -1
; %bb.15015:
	s_or_b64 exec, exec, s[8:9]
	s_and_b64 s[4:5], s[4:5], exec
	s_or_saveexec_b64 s[6:7], s[6:7]
	v_mov_b32_e32 v6, s10
	s_xor_b64 exec, exec, s[6:7]
	s_cbranch_execnz .LBB1_15016
; %bb.50853:
	s_getpc_b64 s[14:15]
.Lpost_getpc11090:
	s_add_u32 s14, s14, (.LBB1_678-.Lpost_getpc11090)&4294967295
	s_addc_u32 s15, s15, (.LBB1_678-.Lpost_getpc11090)>>32
	s_setpc_b64 s[14:15]
.LBB1_15016:
	v_mov_b32_e32 v6, 0
	v_cmp_ne_u16_sdwa s[8:9], v3, v6 src0_sel:BYTE_0 src1_sel:DWORD
	s_andn2_b64 s[4:5], s[4:5], exec
	s_and_b64 s[8:9], s[8:9], exec
	s_or_b64 s[4:5], s[4:5], s[8:9]
	s_or_b64 exec, exec, s[6:7]
	s_and_saveexec_b64 s[6:7], s[4:5]
	s_cbranch_execz .LBB1_29011
; %bb.50855:
	s_getpc_b64 s[14:15]
.Lpost_getpc11091:
	s_add_u32 s14, s14, (.LBB1_679-.Lpost_getpc11091)&4294967295
	s_addc_u32 s15, s15, (.LBB1_679-.Lpost_getpc11091)>>32
	s_setpc_b64 s[14:15]
.LBB1_29011:
	s_getpc_b64 s[14:15]
.Lpost_getpc169:
	s_add_u32 s14, s14, (.LBB1_680-.Lpost_getpc169)&4294967295
	s_addc_u32 s15, s15, (.LBB1_680-.Lpost_getpc169)>>32
	s_setpc_b64 s[14:15]
.LBB1_15017:
	s_movk_i32 s4, 0x80
	v_cmp_eq_u16_sdwa s[12:13], v6, s4 src0_sel:BYTE_0 src1_sel:DWORD
	s_mov_b64 s[4:5], -1
                                        ; implicit-def: $sgpr10
	s_and_saveexec_b64 s[8:9], s[12:13]
; %bb.15018:
	s_mov_b32 s10, 0x7f800001
	s_xor_b64 s[4:5], exec, -1
; %bb.15019:
	s_or_b64 exec, exec, s[8:9]
	s_and_b64 s[4:5], s[4:5], exec
	s_or_saveexec_b64 s[6:7], s[6:7]
	v_mov_b32_e32 v2, s10
	s_xor_b64 exec, exec, s[6:7]
	s_cbranch_execnz .LBB1_15020
; %bb.50857:
	s_getpc_b64 s[14:15]
.Lpost_getpc11092:
	s_add_u32 s14, s14, (.LBB1_682-.Lpost_getpc11092)&4294967295
	s_addc_u32 s15, s15, (.LBB1_682-.Lpost_getpc11092)>>32
	s_setpc_b64 s[14:15]
.LBB1_15020:
	v_mov_b32_e32 v2, 0
	v_cmp_ne_u16_sdwa s[8:9], v6, v2 src0_sel:BYTE_0 src1_sel:DWORD
	s_andn2_b64 s[4:5], s[4:5], exec
	s_and_b64 s[8:9], s[8:9], exec
	s_or_b64 s[4:5], s[4:5], s[8:9]
	s_or_b64 exec, exec, s[6:7]
	s_and_saveexec_b64 s[6:7], s[4:5]
	s_cbranch_execz .LBB1_29013
; %bb.50859:
	s_getpc_b64 s[14:15]
.Lpost_getpc11093:
	s_add_u32 s14, s14, (.LBB1_683-.Lpost_getpc11093)&4294967295
	s_addc_u32 s15, s15, (.LBB1_683-.Lpost_getpc11093)>>32
	s_setpc_b64 s[14:15]
.LBB1_29013:
	s_getpc_b64 s[14:15]
.Lpost_getpc170:
	s_add_u32 s14, s14, (.LBB1_684-.Lpost_getpc170)&4294967295
	s_addc_u32 s15, s15, (.LBB1_684-.Lpost_getpc170)>>32
	s_setpc_b64 s[14:15]
.LBB1_15021:
	s_movk_i32 s4, 0x80
	v_cmp_eq_u16_sdwa s[12:13], v6, s4 src0_sel:BYTE_0 src1_sel:DWORD
	s_mov_b64 s[4:5], -1
                                        ; implicit-def: $sgpr10
	s_and_saveexec_b64 s[8:9], s[12:13]
; %bb.15022:
	s_mov_b32 s10, 0x7f800001
	s_xor_b64 s[4:5], exec, -1
; %bb.15023:
	s_or_b64 exec, exec, s[8:9]
	s_and_b64 s[4:5], s[4:5], exec
	s_or_saveexec_b64 s[6:7], s[6:7]
	v_mov_b32_e32 v12, s10
	s_xor_b64 exec, exec, s[6:7]
	s_cbranch_execnz .LBB1_15024
; %bb.50861:
	s_getpc_b64 s[14:15]
.Lpost_getpc11094:
	s_add_u32 s14, s14, (.LBB1_686-.Lpost_getpc11094)&4294967295
	s_addc_u32 s15, s15, (.LBB1_686-.Lpost_getpc11094)>>32
	s_setpc_b64 s[14:15]
.LBB1_15024:
	v_mov_b32_e32 v12, 0
	v_cmp_ne_u16_sdwa s[8:9], v6, v12 src0_sel:BYTE_0 src1_sel:DWORD
	s_andn2_b64 s[4:5], s[4:5], exec
	s_and_b64 s[8:9], s[8:9], exec
	s_or_b64 s[4:5], s[4:5], s[8:9]
	s_or_b64 exec, exec, s[6:7]
	s_and_saveexec_b64 s[6:7], s[4:5]
	s_cbranch_execz .LBB1_29015
; %bb.50863:
	s_getpc_b64 s[14:15]
.Lpost_getpc11095:
	s_add_u32 s14, s14, (.LBB1_687-.Lpost_getpc11095)&4294967295
	s_addc_u32 s15, s15, (.LBB1_687-.Lpost_getpc11095)>>32
	s_setpc_b64 s[14:15]
.LBB1_29015:
	s_getpc_b64 s[14:15]
.Lpost_getpc171:
	s_add_u32 s14, s14, (.LBB1_688-.Lpost_getpc171)&4294967295
	s_addc_u32 s15, s15, (.LBB1_688-.Lpost_getpc171)>>32
	s_setpc_b64 s[14:15]
.LBB1_15025:
	s_movk_i32 s4, 0x80
	v_cmp_eq_u16_e32 vcc, s4, v6
	s_mov_b64 s[4:5], -1
                                        ; implicit-def: $sgpr10
	s_and_saveexec_b64 s[8:9], vcc
; %bb.15026:
	s_mov_b32 s10, 0x7f800001
	s_xor_b64 s[4:5], exec, -1
; %bb.15027:
	s_or_b64 exec, exec, s[8:9]
	s_and_b64 s[4:5], s[4:5], exec
                                        ; implicit-def: $vgpr6
	s_or_saveexec_b64 s[6:7], s[6:7]
	v_mov_b32_e32 v2, s10
	s_xor_b64 exec, exec, s[6:7]
	s_cbranch_execnz .LBB1_15028
; %bb.50865:
	s_getpc_b64 s[14:15]
.Lpost_getpc11096:
	s_add_u32 s14, s14, (.LBB1_690-.Lpost_getpc11096)&4294967295
	s_addc_u32 s15, s15, (.LBB1_690-.Lpost_getpc11096)>>32
	s_setpc_b64 s[14:15]
.LBB1_15028:
	v_cmp_ne_u16_e32 vcc, 0, v6
	s_andn2_b64 s[4:5], s[4:5], exec
	s_and_b64 s[8:9], vcc, exec
	v_mov_b32_e32 v2, 0
	s_or_b64 s[4:5], s[4:5], s[8:9]
	s_or_b64 exec, exec, s[6:7]
	s_and_saveexec_b64 s[6:7], s[4:5]
	s_cbranch_execz .LBB1_29017
; %bb.50867:
	s_getpc_b64 s[14:15]
.Lpost_getpc11097:
	s_add_u32 s14, s14, (.LBB1_691-.Lpost_getpc11097)&4294967295
	s_addc_u32 s15, s15, (.LBB1_691-.Lpost_getpc11097)>>32
	s_setpc_b64 s[14:15]
.LBB1_29017:
	s_getpc_b64 s[14:15]
.Lpost_getpc172:
	s_add_u32 s14, s14, (.LBB1_692-.Lpost_getpc172)&4294967295
	s_addc_u32 s15, s15, (.LBB1_692-.Lpost_getpc172)>>32
	s_setpc_b64 s[14:15]
.LBB1_15029:
	s_movk_i32 s4, 0x80
	v_cmp_eq_u16_e32 vcc, s4, v6
	s_mov_b64 s[4:5], -1
                                        ; implicit-def: $sgpr10
	s_and_saveexec_b64 s[8:9], vcc
; %bb.15030:
	s_mov_b32 s10, 0x7f800001
	s_xor_b64 s[4:5], exec, -1
; %bb.15031:
	s_or_b64 exec, exec, s[8:9]
	s_and_b64 s[4:5], s[4:5], exec
                                        ; implicit-def: $vgpr6
	s_or_saveexec_b64 s[6:7], s[6:7]
	v_mov_b32_e32 v12, s10
	s_xor_b64 exec, exec, s[6:7]
	s_cbranch_execnz .LBB1_15032
; %bb.50869:
	s_getpc_b64 s[14:15]
.Lpost_getpc11098:
	s_add_u32 s14, s14, (.LBB1_694-.Lpost_getpc11098)&4294967295
	s_addc_u32 s15, s15, (.LBB1_694-.Lpost_getpc11098)>>32
	s_setpc_b64 s[14:15]
.LBB1_15032:
	v_cmp_ne_u16_e32 vcc, 0, v6
	s_andn2_b64 s[4:5], s[4:5], exec
	s_and_b64 s[8:9], vcc, exec
	v_mov_b32_e32 v12, 0
	s_or_b64 s[4:5], s[4:5], s[8:9]
	s_or_b64 exec, exec, s[6:7]
	s_and_saveexec_b64 s[6:7], s[4:5]
	s_cbranch_execz .LBB1_29019
; %bb.50871:
	s_getpc_b64 s[14:15]
.Lpost_getpc11099:
	s_add_u32 s14, s14, (.LBB1_695-.Lpost_getpc11099)&4294967295
	s_addc_u32 s15, s15, (.LBB1_695-.Lpost_getpc11099)>>32
	s_setpc_b64 s[14:15]
.LBB1_29019:
	s_getpc_b64 s[14:15]
.Lpost_getpc173:
	s_add_u32 s14, s14, (.LBB1_696-.Lpost_getpc173)&4294967295
	s_addc_u32 s15, s15, (.LBB1_696-.Lpost_getpc173)>>32
	s_setpc_b64 s[14:15]
.LBB1_15033:
	s_movk_i32 s4, 0x80
	v_cmp_eq_u16_sdwa s[12:13], v7, s4 src0_sel:BYTE_3 src1_sel:DWORD
	s_mov_b64 s[4:5], -1
                                        ; implicit-def: $sgpr10
	s_and_saveexec_b64 s[8:9], s[12:13]
; %bb.15034:
	s_mov_b32 s10, 0x7f800001
	s_xor_b64 s[4:5], exec, -1
; %bb.15035:
	s_or_b64 exec, exec, s[8:9]
	s_and_b64 s[4:5], s[4:5], exec
	s_or_saveexec_b64 s[6:7], s[6:7]
	v_mov_b32_e32 v2, s10
	s_xor_b64 exec, exec, s[6:7]
	s_cbranch_execnz .LBB1_15036
; %bb.50873:
	s_getpc_b64 s[14:15]
.Lpost_getpc11100:
	s_add_u32 s14, s14, (.LBB1_698-.Lpost_getpc11100)&4294967295
	s_addc_u32 s15, s15, (.LBB1_698-.Lpost_getpc11100)>>32
	s_setpc_b64 s[14:15]
.LBB1_15036:
	v_mov_b32_e32 v2, 0
	v_cmp_ne_u16_sdwa s[8:9], v7, v2 src0_sel:BYTE_3 src1_sel:DWORD
	s_andn2_b64 s[4:5], s[4:5], exec
	s_and_b64 s[8:9], s[8:9], exec
	s_or_b64 s[4:5], s[4:5], s[8:9]
	s_or_b64 exec, exec, s[6:7]
	s_and_saveexec_b64 s[6:7], s[4:5]
	s_cbranch_execz .LBB1_29021
; %bb.50875:
	s_getpc_b64 s[14:15]
.Lpost_getpc11101:
	s_add_u32 s14, s14, (.LBB1_699-.Lpost_getpc11101)&4294967295
	s_addc_u32 s15, s15, (.LBB1_699-.Lpost_getpc11101)>>32
	s_setpc_b64 s[14:15]
.LBB1_29021:
	s_getpc_b64 s[14:15]
.Lpost_getpc174:
	s_add_u32 s14, s14, (.LBB1_700-.Lpost_getpc174)&4294967295
	s_addc_u32 s15, s15, (.LBB1_700-.Lpost_getpc174)>>32
	s_setpc_b64 s[14:15]
.LBB1_15037:
	s_movk_i32 s4, 0x80
	v_cmp_eq_u16_sdwa s[12:13], v3, s4 src0_sel:BYTE_3 src1_sel:DWORD
	s_mov_b64 s[4:5], -1
                                        ; implicit-def: $sgpr10
	s_and_saveexec_b64 s[8:9], s[12:13]
; %bb.15038:
	s_mov_b32 s10, 0x7f800001
	s_xor_b64 s[4:5], exec, -1
; %bb.15039:
	s_or_b64 exec, exec, s[8:9]
	s_and_b64 s[4:5], s[4:5], exec
	s_or_saveexec_b64 s[6:7], s[6:7]
	v_mov_b32_e32 v6, s10
	s_xor_b64 exec, exec, s[6:7]
	s_cbranch_execnz .LBB1_15040
; %bb.50877:
	s_getpc_b64 s[14:15]
.Lpost_getpc11102:
	s_add_u32 s14, s14, (.LBB1_702-.Lpost_getpc11102)&4294967295
	s_addc_u32 s15, s15, (.LBB1_702-.Lpost_getpc11102)>>32
	s_setpc_b64 s[14:15]
.LBB1_15040:
	v_mov_b32_e32 v6, 0
	v_cmp_ne_u16_sdwa s[8:9], v3, v6 src0_sel:BYTE_3 src1_sel:DWORD
	s_andn2_b64 s[4:5], s[4:5], exec
	s_and_b64 s[8:9], s[8:9], exec
	s_or_b64 s[4:5], s[4:5], s[8:9]
	s_or_b64 exec, exec, s[6:7]
	s_and_saveexec_b64 s[6:7], s[4:5]
	s_cbranch_execz .LBB1_29023
; %bb.50879:
	s_getpc_b64 s[14:15]
.Lpost_getpc11103:
	s_add_u32 s14, s14, (.LBB1_703-.Lpost_getpc11103)&4294967295
	s_addc_u32 s15, s15, (.LBB1_703-.Lpost_getpc11103)>>32
	s_setpc_b64 s[14:15]
.LBB1_29023:
	s_getpc_b64 s[14:15]
.Lpost_getpc175:
	s_add_u32 s14, s14, (.LBB1_704-.Lpost_getpc175)&4294967295
	s_addc_u32 s15, s15, (.LBB1_704-.Lpost_getpc175)>>32
	s_setpc_b64 s[14:15]
.LBB1_15041:
	s_movk_i32 s4, 0x80
	v_cmp_eq_u16_sdwa s[12:13], v8, s4 src0_sel:BYTE_0 src1_sel:DWORD
	s_mov_b64 s[4:5], -1
                                        ; implicit-def: $sgpr10
	s_and_saveexec_b64 s[8:9], s[12:13]
; %bb.15042:
	s_mov_b32 s10, 0x7f800001
	s_xor_b64 s[4:5], exec, -1
; %bb.15043:
	s_or_b64 exec, exec, s[8:9]
	s_and_b64 s[4:5], s[4:5], exec
	s_or_saveexec_b64 s[6:7], s[6:7]
	v_mov_b32_e32 v2, s10
	s_xor_b64 exec, exec, s[6:7]
	s_cbranch_execnz .LBB1_15044
; %bb.50881:
	s_getpc_b64 s[14:15]
.Lpost_getpc11104:
	s_add_u32 s14, s14, (.LBB1_706-.Lpost_getpc11104)&4294967295
	s_addc_u32 s15, s15, (.LBB1_706-.Lpost_getpc11104)>>32
	s_setpc_b64 s[14:15]
.LBB1_15044:
	v_mov_b32_e32 v2, 0
	v_cmp_ne_u16_sdwa s[8:9], v8, v2 src0_sel:BYTE_0 src1_sel:DWORD
	s_andn2_b64 s[4:5], s[4:5], exec
	s_and_b64 s[8:9], s[8:9], exec
	s_or_b64 s[4:5], s[4:5], s[8:9]
	s_or_b64 exec, exec, s[6:7]
	s_and_saveexec_b64 s[6:7], s[4:5]
	s_cbranch_execz .LBB1_29025
; %bb.50883:
	s_getpc_b64 s[14:15]
.Lpost_getpc11105:
	s_add_u32 s14, s14, (.LBB1_707-.Lpost_getpc11105)&4294967295
	s_addc_u32 s15, s15, (.LBB1_707-.Lpost_getpc11105)>>32
	s_setpc_b64 s[14:15]
.LBB1_29025:
	s_getpc_b64 s[14:15]
.Lpost_getpc176:
	s_add_u32 s14, s14, (.LBB1_708-.Lpost_getpc176)&4294967295
	s_addc_u32 s15, s15, (.LBB1_708-.Lpost_getpc176)>>32
	s_setpc_b64 s[14:15]
.LBB1_15045:
	s_movk_i32 s4, 0x80
	v_cmp_eq_u16_sdwa s[12:13], v4, s4 src0_sel:BYTE_0 src1_sel:DWORD
	s_mov_b64 s[4:5], -1
                                        ; implicit-def: $sgpr10
	s_and_saveexec_b64 s[8:9], s[12:13]
; %bb.15046:
	s_mov_b32 s10, 0x7f800001
	s_xor_b64 s[4:5], exec, -1
; %bb.15047:
	s_or_b64 exec, exec, s[8:9]
	s_and_b64 s[4:5], s[4:5], exec
	s_or_saveexec_b64 s[6:7], s[6:7]
	v_mov_b32_e32 v3, s10
	s_xor_b64 exec, exec, s[6:7]
	s_cbranch_execnz .LBB1_15048
; %bb.50885:
	s_getpc_b64 s[14:15]
.Lpost_getpc11106:
	s_add_u32 s14, s14, (.LBB1_710-.Lpost_getpc11106)&4294967295
	s_addc_u32 s15, s15, (.LBB1_710-.Lpost_getpc11106)>>32
	s_setpc_b64 s[14:15]
.LBB1_15048:
	v_mov_b32_e32 v3, 0
	v_cmp_ne_u16_sdwa s[8:9], v4, v3 src0_sel:BYTE_0 src1_sel:DWORD
	s_andn2_b64 s[4:5], s[4:5], exec
	s_and_b64 s[8:9], s[8:9], exec
	s_or_b64 s[4:5], s[4:5], s[8:9]
	s_or_b64 exec, exec, s[6:7]
	s_and_saveexec_b64 s[6:7], s[4:5]
	s_cbranch_execz .LBB1_29027
; %bb.50887:
	s_getpc_b64 s[14:15]
.Lpost_getpc11107:
	s_add_u32 s14, s14, (.LBB1_711-.Lpost_getpc11107)&4294967295
	s_addc_u32 s15, s15, (.LBB1_711-.Lpost_getpc11107)>>32
	s_setpc_b64 s[14:15]
.LBB1_29027:
	s_getpc_b64 s[14:15]
.Lpost_getpc177:
	s_add_u32 s14, s14, (.LBB1_712-.Lpost_getpc177)&4294967295
	s_addc_u32 s15, s15, (.LBB1_712-.Lpost_getpc177)>>32
	s_setpc_b64 s[14:15]
.LBB1_15049:
	s_movk_i32 s4, 0x80
	v_cmp_eq_u16_sdwa s[12:13], v3, s4 src0_sel:BYTE_0 src1_sel:DWORD
	s_mov_b64 s[4:5], -1
                                        ; implicit-def: $sgpr10
	s_and_saveexec_b64 s[8:9], s[12:13]
; %bb.15050:
	s_mov_b32 s10, 0x7f800001
	s_xor_b64 s[4:5], exec, -1
; %bb.15051:
	s_or_b64 exec, exec, s[8:9]
	s_and_b64 s[4:5], s[4:5], exec
	s_or_saveexec_b64 s[6:7], s[6:7]
	v_mov_b32_e32 v2, s10
	s_xor_b64 exec, exec, s[6:7]
	s_cbranch_execnz .LBB1_15052
; %bb.50889:
	s_getpc_b64 s[14:15]
.Lpost_getpc11108:
	s_add_u32 s14, s14, (.LBB1_714-.Lpost_getpc11108)&4294967295
	s_addc_u32 s15, s15, (.LBB1_714-.Lpost_getpc11108)>>32
	s_setpc_b64 s[14:15]
.LBB1_15052:
	v_mov_b32_e32 v2, 0
	v_cmp_ne_u16_sdwa s[8:9], v3, v2 src0_sel:BYTE_0 src1_sel:DWORD
	s_andn2_b64 s[4:5], s[4:5], exec
	s_and_b64 s[8:9], s[8:9], exec
	s_or_b64 s[4:5], s[4:5], s[8:9]
	s_or_b64 exec, exec, s[6:7]
	s_and_saveexec_b64 s[6:7], s[4:5]
	s_cbranch_execz .LBB1_29029
; %bb.50891:
	s_getpc_b64 s[14:15]
.Lpost_getpc11109:
	s_add_u32 s14, s14, (.LBB1_715-.Lpost_getpc11109)&4294967295
	s_addc_u32 s15, s15, (.LBB1_715-.Lpost_getpc11109)>>32
	s_setpc_b64 s[14:15]
.LBB1_29029:
	s_getpc_b64 s[14:15]
.Lpost_getpc178:
	s_add_u32 s14, s14, (.LBB1_716-.Lpost_getpc178)&4294967295
	s_addc_u32 s15, s15, (.LBB1_716-.Lpost_getpc178)>>32
	s_setpc_b64 s[14:15]
.LBB1_15053:
	s_movk_i32 s4, 0x80
	v_cmp_eq_u16_sdwa s[12:13], v3, s4 src0_sel:BYTE_0 src1_sel:DWORD
	s_mov_b64 s[4:5], -1
                                        ; implicit-def: $sgpr10
	s_and_saveexec_b64 s[8:9], s[12:13]
; %bb.15054:
	s_mov_b32 s10, 0x7f800001
	s_xor_b64 s[4:5], exec, -1
; %bb.15055:
	s_or_b64 exec, exec, s[8:9]
	s_and_b64 s[4:5], s[4:5], exec
	s_or_saveexec_b64 s[6:7], s[6:7]
	v_mov_b32_e32 v6, s10
	s_xor_b64 exec, exec, s[6:7]
	s_cbranch_execnz .LBB1_15056
; %bb.50893:
	s_getpc_b64 s[14:15]
.Lpost_getpc11110:
	s_add_u32 s14, s14, (.LBB1_718-.Lpost_getpc11110)&4294967295
	s_addc_u32 s15, s15, (.LBB1_718-.Lpost_getpc11110)>>32
	s_setpc_b64 s[14:15]
.LBB1_15056:
	v_mov_b32_e32 v6, 0
	v_cmp_ne_u16_sdwa s[8:9], v3, v6 src0_sel:BYTE_0 src1_sel:DWORD
	s_andn2_b64 s[4:5], s[4:5], exec
	s_and_b64 s[8:9], s[8:9], exec
	s_or_b64 s[4:5], s[4:5], s[8:9]
	s_or_b64 exec, exec, s[6:7]
	s_and_saveexec_b64 s[6:7], s[4:5]
	s_cbranch_execz .LBB1_29031
; %bb.50895:
	s_getpc_b64 s[14:15]
.Lpost_getpc11111:
	s_add_u32 s14, s14, (.LBB1_719-.Lpost_getpc11111)&4294967295
	s_addc_u32 s15, s15, (.LBB1_719-.Lpost_getpc11111)>>32
	s_setpc_b64 s[14:15]
.LBB1_29031:
	s_getpc_b64 s[14:15]
.Lpost_getpc179:
	s_add_u32 s14, s14, (.LBB1_720-.Lpost_getpc179)&4294967295
	s_addc_u32 s15, s15, (.LBB1_720-.Lpost_getpc179)>>32
	s_setpc_b64 s[14:15]
.LBB1_15057:
	s_movk_i32 s4, 0x80
	v_cmp_eq_u16_e32 vcc, s4, v3
	s_mov_b64 s[4:5], -1
                                        ; implicit-def: $sgpr10
	s_and_saveexec_b64 s[8:9], vcc
; %bb.15058:
	s_mov_b32 s10, 0x7f800001
	s_xor_b64 s[4:5], exec, -1
; %bb.15059:
	s_or_b64 exec, exec, s[8:9]
	s_and_b64 s[4:5], s[4:5], exec
                                        ; implicit-def: $vgpr3
	s_or_saveexec_b64 s[6:7], s[6:7]
	v_mov_b32_e32 v2, s10
	s_xor_b64 exec, exec, s[6:7]
	s_cbranch_execnz .LBB1_15060
; %bb.50897:
	s_getpc_b64 s[14:15]
.Lpost_getpc11112:
	s_add_u32 s14, s14, (.LBB1_722-.Lpost_getpc11112)&4294967295
	s_addc_u32 s15, s15, (.LBB1_722-.Lpost_getpc11112)>>32
	s_setpc_b64 s[14:15]
.LBB1_15060:
	v_cmp_ne_u16_e32 vcc, 0, v3
	s_andn2_b64 s[4:5], s[4:5], exec
	s_and_b64 s[8:9], vcc, exec
	v_mov_b32_e32 v2, 0
	s_or_b64 s[4:5], s[4:5], s[8:9]
	s_or_b64 exec, exec, s[6:7]
	s_and_saveexec_b64 s[6:7], s[4:5]
	s_cbranch_execz .LBB1_29033
; %bb.50899:
	s_getpc_b64 s[14:15]
.Lpost_getpc11113:
	s_add_u32 s14, s14, (.LBB1_723-.Lpost_getpc11113)&4294967295
	s_addc_u32 s15, s15, (.LBB1_723-.Lpost_getpc11113)>>32
	s_setpc_b64 s[14:15]
.LBB1_29033:
	s_getpc_b64 s[14:15]
.Lpost_getpc180:
	s_add_u32 s14, s14, (.LBB1_724-.Lpost_getpc180)&4294967295
	s_addc_u32 s15, s15, (.LBB1_724-.Lpost_getpc180)>>32
	s_setpc_b64 s[14:15]
.LBB1_15061:
	s_movk_i32 s4, 0x80
	v_cmp_eq_u16_e32 vcc, s4, v3
	s_mov_b64 s[4:5], -1
                                        ; implicit-def: $sgpr10
	s_and_saveexec_b64 s[8:9], vcc
; %bb.15062:
	s_mov_b32 s10, 0x7f800001
	s_xor_b64 s[4:5], exec, -1
; %bb.15063:
	s_or_b64 exec, exec, s[8:9]
	s_and_b64 s[4:5], s[4:5], exec
                                        ; implicit-def: $vgpr3
	s_or_saveexec_b64 s[6:7], s[6:7]
	v_mov_b32_e32 v6, s10
	s_xor_b64 exec, exec, s[6:7]
	s_cbranch_execnz .LBB1_15064
; %bb.50901:
	s_getpc_b64 s[14:15]
.Lpost_getpc11114:
	s_add_u32 s14, s14, (.LBB1_726-.Lpost_getpc11114)&4294967295
	s_addc_u32 s15, s15, (.LBB1_726-.Lpost_getpc11114)>>32
	s_setpc_b64 s[14:15]
.LBB1_15064:
	v_cmp_ne_u16_e32 vcc, 0, v3
	s_andn2_b64 s[4:5], s[4:5], exec
	s_and_b64 s[8:9], vcc, exec
	v_mov_b32_e32 v6, 0
	s_or_b64 s[4:5], s[4:5], s[8:9]
	s_or_b64 exec, exec, s[6:7]
	s_and_saveexec_b64 s[6:7], s[4:5]
	s_cbranch_execz .LBB1_29035
; %bb.50903:
	s_getpc_b64 s[14:15]
.Lpost_getpc11115:
	s_add_u32 s14, s14, (.LBB1_727-.Lpost_getpc11115)&4294967295
	s_addc_u32 s15, s15, (.LBB1_727-.Lpost_getpc11115)>>32
	s_setpc_b64 s[14:15]
.LBB1_29035:
	s_getpc_b64 s[14:15]
.Lpost_getpc181:
	s_add_u32 s14, s14, (.LBB1_728-.Lpost_getpc181)&4294967295
	s_addc_u32 s15, s15, (.LBB1_728-.Lpost_getpc181)>>32
	s_setpc_b64 s[14:15]
.LBB1_15065:
	s_movk_i32 s4, 0x80
	v_cmp_eq_u16_sdwa s[12:13], v8, s4 src0_sel:BYTE_3 src1_sel:DWORD
	s_mov_b64 s[4:5], -1
                                        ; implicit-def: $sgpr10
	s_and_saveexec_b64 s[8:9], s[12:13]
; %bb.15066:
	s_mov_b32 s10, 0x7f800001
	s_xor_b64 s[4:5], exec, -1
; %bb.15067:
	s_or_b64 exec, exec, s[8:9]
	s_and_b64 s[4:5], s[4:5], exec
	s_or_saveexec_b64 s[6:7], s[6:7]
	v_mov_b32_e32 v2, s10
	s_xor_b64 exec, exec, s[6:7]
	s_cbranch_execnz .LBB1_15068
; %bb.50905:
	s_getpc_b64 s[14:15]
.Lpost_getpc11116:
	s_add_u32 s14, s14, (.LBB1_730-.Lpost_getpc11116)&4294967295
	s_addc_u32 s15, s15, (.LBB1_730-.Lpost_getpc11116)>>32
	s_setpc_b64 s[14:15]
.LBB1_15068:
	v_mov_b32_e32 v2, 0
	v_cmp_ne_u16_sdwa s[8:9], v8, v2 src0_sel:BYTE_3 src1_sel:DWORD
	s_andn2_b64 s[4:5], s[4:5], exec
	s_and_b64 s[8:9], s[8:9], exec
	s_or_b64 s[4:5], s[4:5], s[8:9]
	s_or_b64 exec, exec, s[6:7]
	s_and_saveexec_b64 s[6:7], s[4:5]
	s_cbranch_execz .LBB1_29037
; %bb.50907:
	s_getpc_b64 s[14:15]
.Lpost_getpc11117:
	s_add_u32 s14, s14, (.LBB1_731-.Lpost_getpc11117)&4294967295
	s_addc_u32 s15, s15, (.LBB1_731-.Lpost_getpc11117)>>32
	s_setpc_b64 s[14:15]
.LBB1_29037:
	s_getpc_b64 s[14:15]
.Lpost_getpc182:
	s_add_u32 s14, s14, (.LBB1_732-.Lpost_getpc182)&4294967295
	s_addc_u32 s15, s15, (.LBB1_732-.Lpost_getpc182)>>32
	s_setpc_b64 s[14:15]
.LBB1_15069:
	s_movk_i32 s4, 0x80
	v_cmp_eq_u16_sdwa s[12:13], v4, s4 src0_sel:BYTE_3 src1_sel:DWORD
	s_mov_b64 s[4:5], -1
                                        ; implicit-def: $sgpr10
	s_and_saveexec_b64 s[8:9], s[12:13]
; %bb.15070:
	s_mov_b32 s10, 0x7f800001
	s_xor_b64 s[4:5], exec, -1
; %bb.15071:
	s_or_b64 exec, exec, s[8:9]
	s_and_b64 s[4:5], s[4:5], exec
	s_or_saveexec_b64 s[6:7], s[6:7]
	v_mov_b32_e32 v3, s10
	s_xor_b64 exec, exec, s[6:7]
	s_cbranch_execnz .LBB1_15072
; %bb.50909:
	s_getpc_b64 s[14:15]
.Lpost_getpc11118:
	s_add_u32 s14, s14, (.LBB1_734-.Lpost_getpc11118)&4294967295
	s_addc_u32 s15, s15, (.LBB1_734-.Lpost_getpc11118)>>32
	s_setpc_b64 s[14:15]
.LBB1_15072:
	v_mov_b32_e32 v3, 0
	v_cmp_ne_u16_sdwa s[8:9], v4, v3 src0_sel:BYTE_3 src1_sel:DWORD
	s_andn2_b64 s[4:5], s[4:5], exec
	s_and_b64 s[8:9], s[8:9], exec
	s_or_b64 s[4:5], s[4:5], s[8:9]
	s_or_b64 exec, exec, s[6:7]
	s_and_saveexec_b64 s[6:7], s[4:5]
	s_cbranch_execz .LBB1_29039
; %bb.50911:
	s_getpc_b64 s[14:15]
.Lpost_getpc11119:
	s_add_u32 s14, s14, (.LBB1_735-.Lpost_getpc11119)&4294967295
	s_addc_u32 s15, s15, (.LBB1_735-.Lpost_getpc11119)>>32
	s_setpc_b64 s[14:15]
.LBB1_29039:
	s_getpc_b64 s[14:15]
.Lpost_getpc183:
	s_add_u32 s14, s14, (.LBB1_736-.Lpost_getpc183)&4294967295
	s_addc_u32 s15, s15, (.LBB1_736-.Lpost_getpc183)>>32
	s_setpc_b64 s[14:15]
.LBB1_15073:
	s_movk_i32 s4, 0x80
	v_cmp_eq_u16_sdwa s[12:13], v9, s4 src0_sel:BYTE_0 src1_sel:DWORD
	s_mov_b64 s[4:5], -1
                                        ; implicit-def: $sgpr10
	s_and_saveexec_b64 s[8:9], s[12:13]
; %bb.15074:
	s_mov_b32 s10, 0x7f800001
	s_xor_b64 s[4:5], exec, -1
; %bb.15075:
	s_or_b64 exec, exec, s[8:9]
	s_and_b64 s[4:5], s[4:5], exec
	s_or_saveexec_b64 s[6:7], s[6:7]
	v_mov_b32_e32 v2, s10
	s_xor_b64 exec, exec, s[6:7]
	s_cbranch_execnz .LBB1_15076
; %bb.50913:
	s_getpc_b64 s[14:15]
.Lpost_getpc11120:
	s_add_u32 s14, s14, (.LBB1_738-.Lpost_getpc11120)&4294967295
	s_addc_u32 s15, s15, (.LBB1_738-.Lpost_getpc11120)>>32
	s_setpc_b64 s[14:15]
.LBB1_15076:
	v_mov_b32_e32 v2, 0
	v_cmp_ne_u16_sdwa s[8:9], v9, v2 src0_sel:BYTE_0 src1_sel:DWORD
	s_andn2_b64 s[4:5], s[4:5], exec
	s_and_b64 s[8:9], s[8:9], exec
	s_or_b64 s[4:5], s[4:5], s[8:9]
	s_or_b64 exec, exec, s[6:7]
	s_and_saveexec_b64 s[6:7], s[4:5]
	s_cbranch_execz .LBB1_29041
; %bb.50915:
	s_getpc_b64 s[14:15]
.Lpost_getpc11121:
	s_add_u32 s14, s14, (.LBB1_739-.Lpost_getpc11121)&4294967295
	s_addc_u32 s15, s15, (.LBB1_739-.Lpost_getpc11121)>>32
	s_setpc_b64 s[14:15]
.LBB1_29041:
	s_getpc_b64 s[14:15]
.Lpost_getpc184:
	s_add_u32 s14, s14, (.LBB1_740-.Lpost_getpc184)&4294967295
	s_addc_u32 s15, s15, (.LBB1_740-.Lpost_getpc184)>>32
	s_setpc_b64 s[14:15]
.LBB1_15077:
	s_movk_i32 s4, 0x80
	v_cmp_eq_u16_sdwa s[12:13], v5, s4 src0_sel:BYTE_0 src1_sel:DWORD
	s_mov_b64 s[4:5], -1
                                        ; implicit-def: $sgpr10
	s_and_saveexec_b64 s[8:9], s[12:13]
; %bb.15078:
	s_mov_b32 s10, 0x7f800001
	s_xor_b64 s[4:5], exec, -1
; %bb.15079:
	s_or_b64 exec, exec, s[8:9]
	s_and_b64 s[4:5], s[4:5], exec
	s_or_saveexec_b64 s[6:7], s[6:7]
	v_mov_b32_e32 v3, s10
	s_xor_b64 exec, exec, s[6:7]
	s_cbranch_execnz .LBB1_15080
; %bb.50917:
	s_getpc_b64 s[14:15]
.Lpost_getpc11122:
	s_add_u32 s14, s14, (.LBB1_742-.Lpost_getpc11122)&4294967295
	s_addc_u32 s15, s15, (.LBB1_742-.Lpost_getpc11122)>>32
	s_setpc_b64 s[14:15]
.LBB1_15080:
	v_mov_b32_e32 v3, 0
	v_cmp_ne_u16_sdwa s[8:9], v5, v3 src0_sel:BYTE_0 src1_sel:DWORD
	s_andn2_b64 s[4:5], s[4:5], exec
	s_and_b64 s[8:9], s[8:9], exec
	s_or_b64 s[4:5], s[4:5], s[8:9]
	s_or_b64 exec, exec, s[6:7]
	s_and_saveexec_b64 s[6:7], s[4:5]
	s_cbranch_execz .LBB1_29043
; %bb.50919:
	s_getpc_b64 s[14:15]
.Lpost_getpc11123:
	s_add_u32 s14, s14, (.LBB1_743-.Lpost_getpc11123)&4294967295
	s_addc_u32 s15, s15, (.LBB1_743-.Lpost_getpc11123)>>32
	s_setpc_b64 s[14:15]
.LBB1_29043:
	s_getpc_b64 s[14:15]
.Lpost_getpc185:
	s_add_u32 s14, s14, (.LBB1_744-.Lpost_getpc185)&4294967295
	s_addc_u32 s15, s15, (.LBB1_744-.Lpost_getpc185)>>32
	s_setpc_b64 s[14:15]
.LBB1_15081:
	s_movk_i32 s4, 0x80
	v_cmp_eq_u16_sdwa s[12:13], v3, s4 src0_sel:BYTE_0 src1_sel:DWORD
	s_mov_b64 s[4:5], -1
                                        ; implicit-def: $sgpr10
	s_and_saveexec_b64 s[8:9], s[12:13]
; %bb.15082:
	s_mov_b32 s10, 0x7f800001
	s_xor_b64 s[4:5], exec, -1
; %bb.15083:
	s_or_b64 exec, exec, s[8:9]
	s_and_b64 s[4:5], s[4:5], exec
	s_or_saveexec_b64 s[6:7], s[6:7]
	v_mov_b32_e32 v2, s10
	s_xor_b64 exec, exec, s[6:7]
	s_cbranch_execnz .LBB1_15084
; %bb.50921:
	s_getpc_b64 s[14:15]
.Lpost_getpc11124:
	s_add_u32 s14, s14, (.LBB1_746-.Lpost_getpc11124)&4294967295
	s_addc_u32 s15, s15, (.LBB1_746-.Lpost_getpc11124)>>32
	s_setpc_b64 s[14:15]
.LBB1_15084:
	v_mov_b32_e32 v2, 0
	v_cmp_ne_u16_sdwa s[8:9], v3, v2 src0_sel:BYTE_0 src1_sel:DWORD
	s_andn2_b64 s[4:5], s[4:5], exec
	s_and_b64 s[8:9], s[8:9], exec
	s_or_b64 s[4:5], s[4:5], s[8:9]
	s_or_b64 exec, exec, s[6:7]
	s_and_saveexec_b64 s[6:7], s[4:5]
	s_cbranch_execz .LBB1_29045
; %bb.50923:
	s_getpc_b64 s[14:15]
.Lpost_getpc11125:
	s_add_u32 s14, s14, (.LBB1_747-.Lpost_getpc11125)&4294967295
	s_addc_u32 s15, s15, (.LBB1_747-.Lpost_getpc11125)>>32
	s_setpc_b64 s[14:15]
.LBB1_29045:
	s_getpc_b64 s[14:15]
.Lpost_getpc186:
	s_add_u32 s14, s14, (.LBB1_748-.Lpost_getpc186)&4294967295
	s_addc_u32 s15, s15, (.LBB1_748-.Lpost_getpc186)>>32
	s_setpc_b64 s[14:15]
.LBB1_15085:
	s_movk_i32 s4, 0x80
	v_cmp_eq_u16_sdwa s[12:13], v3, s4 src0_sel:BYTE_0 src1_sel:DWORD
	s_mov_b64 s[4:5], -1
                                        ; implicit-def: $sgpr10
	s_and_saveexec_b64 s[8:9], s[12:13]
; %bb.15086:
	s_mov_b32 s10, 0x7f800001
	s_xor_b64 s[4:5], exec, -1
; %bb.15087:
	s_or_b64 exec, exec, s[8:9]
	s_and_b64 s[4:5], s[4:5], exec
	s_or_saveexec_b64 s[6:7], s[6:7]
	v_mov_b32_e32 v4, s10
	s_xor_b64 exec, exec, s[6:7]
	s_cbranch_execnz .LBB1_15088
; %bb.50925:
	s_getpc_b64 s[14:15]
.Lpost_getpc11126:
	s_add_u32 s14, s14, (.LBB1_750-.Lpost_getpc11126)&4294967295
	s_addc_u32 s15, s15, (.LBB1_750-.Lpost_getpc11126)>>32
	s_setpc_b64 s[14:15]
.LBB1_15088:
	v_mov_b32_e32 v4, 0
	v_cmp_ne_u16_sdwa s[8:9], v3, v4 src0_sel:BYTE_0 src1_sel:DWORD
	s_andn2_b64 s[4:5], s[4:5], exec
	s_and_b64 s[8:9], s[8:9], exec
	s_or_b64 s[4:5], s[4:5], s[8:9]
	s_or_b64 exec, exec, s[6:7]
	s_and_saveexec_b64 s[6:7], s[4:5]
	s_cbranch_execz .LBB1_29047
; %bb.50927:
	s_getpc_b64 s[14:15]
.Lpost_getpc11127:
	s_add_u32 s14, s14, (.LBB1_751-.Lpost_getpc11127)&4294967295
	s_addc_u32 s15, s15, (.LBB1_751-.Lpost_getpc11127)>>32
	s_setpc_b64 s[14:15]
.LBB1_29047:
	s_getpc_b64 s[14:15]
.Lpost_getpc187:
	s_add_u32 s14, s14, (.LBB1_752-.Lpost_getpc187)&4294967295
	s_addc_u32 s15, s15, (.LBB1_752-.Lpost_getpc187)>>32
	s_setpc_b64 s[14:15]
.LBB1_15089:
	s_movk_i32 s4, 0x80
	v_cmp_eq_u16_e32 vcc, s4, v3
	s_mov_b64 s[4:5], -1
                                        ; implicit-def: $sgpr10
	s_and_saveexec_b64 s[8:9], vcc
; %bb.15090:
	s_mov_b32 s10, 0x7f800001
	s_xor_b64 s[4:5], exec, -1
; %bb.15091:
	s_or_b64 exec, exec, s[8:9]
	s_and_b64 s[4:5], s[4:5], exec
                                        ; implicit-def: $vgpr3
	s_or_saveexec_b64 s[6:7], s[6:7]
	v_mov_b32_e32 v2, s10
	s_xor_b64 exec, exec, s[6:7]
	s_cbranch_execnz .LBB1_15092
; %bb.50929:
	s_getpc_b64 s[14:15]
.Lpost_getpc11128:
	s_add_u32 s14, s14, (.LBB1_754-.Lpost_getpc11128)&4294967295
	s_addc_u32 s15, s15, (.LBB1_754-.Lpost_getpc11128)>>32
	s_setpc_b64 s[14:15]
.LBB1_15092:
	v_cmp_ne_u16_e32 vcc, 0, v3
	s_andn2_b64 s[4:5], s[4:5], exec
	s_and_b64 s[8:9], vcc, exec
	v_mov_b32_e32 v2, 0
	s_or_b64 s[4:5], s[4:5], s[8:9]
	s_or_b64 exec, exec, s[6:7]
	s_and_saveexec_b64 s[6:7], s[4:5]
	s_cbranch_execz .LBB1_29049
; %bb.50931:
	s_getpc_b64 s[14:15]
.Lpost_getpc11129:
	s_add_u32 s14, s14, (.LBB1_755-.Lpost_getpc11129)&4294967295
	s_addc_u32 s15, s15, (.LBB1_755-.Lpost_getpc11129)>>32
	s_setpc_b64 s[14:15]
.LBB1_29049:
	s_getpc_b64 s[14:15]
.Lpost_getpc188:
	s_add_u32 s14, s14, (.LBB1_756-.Lpost_getpc188)&4294967295
	s_addc_u32 s15, s15, (.LBB1_756-.Lpost_getpc188)>>32
	s_setpc_b64 s[14:15]
.LBB1_15093:
	s_movk_i32 s4, 0x80
	v_cmp_eq_u16_e32 vcc, s4, v3
	s_mov_b64 s[4:5], -1
                                        ; implicit-def: $sgpr10
	s_and_saveexec_b64 s[8:9], vcc
; %bb.15094:
	s_mov_b32 s10, 0x7f800001
	s_xor_b64 s[4:5], exec, -1
; %bb.15095:
	s_or_b64 exec, exec, s[8:9]
	s_and_b64 s[4:5], s[4:5], exec
                                        ; implicit-def: $vgpr3
	s_or_saveexec_b64 s[6:7], s[6:7]
	v_mov_b32_e32 v4, s10
	s_xor_b64 exec, exec, s[6:7]
	s_cbranch_execnz .LBB1_15096
; %bb.50933:
	s_getpc_b64 s[14:15]
.Lpost_getpc11130:
	s_add_u32 s14, s14, (.LBB1_758-.Lpost_getpc11130)&4294967295
	s_addc_u32 s15, s15, (.LBB1_758-.Lpost_getpc11130)>>32
	s_setpc_b64 s[14:15]
.LBB1_15096:
	v_cmp_ne_u16_e32 vcc, 0, v3
	s_andn2_b64 s[4:5], s[4:5], exec
	s_and_b64 s[8:9], vcc, exec
	v_mov_b32_e32 v4, 0
	s_or_b64 s[4:5], s[4:5], s[8:9]
	s_or_b64 exec, exec, s[6:7]
	s_and_saveexec_b64 s[6:7], s[4:5]
	s_cbranch_execz .LBB1_29051
; %bb.50935:
	s_getpc_b64 s[14:15]
.Lpost_getpc11131:
	s_add_u32 s14, s14, (.LBB1_759-.Lpost_getpc11131)&4294967295
	s_addc_u32 s15, s15, (.LBB1_759-.Lpost_getpc11131)>>32
	s_setpc_b64 s[14:15]
.LBB1_29051:
	s_getpc_b64 s[14:15]
.Lpost_getpc189:
	s_add_u32 s14, s14, (.LBB1_760-.Lpost_getpc189)&4294967295
	s_addc_u32 s15, s15, (.LBB1_760-.Lpost_getpc189)>>32
	s_setpc_b64 s[14:15]
.LBB1_15097:
	s_movk_i32 s4, 0x80
	v_cmp_eq_u16_sdwa s[12:13], v9, s4 src0_sel:BYTE_3 src1_sel:DWORD
	s_mov_b64 s[4:5], -1
                                        ; implicit-def: $sgpr10
	s_and_saveexec_b64 s[8:9], s[12:13]
; %bb.15098:
	s_mov_b32 s10, 0x7f800001
	s_xor_b64 s[4:5], exec, -1
; %bb.15099:
	s_or_b64 exec, exec, s[8:9]
	s_and_b64 s[4:5], s[4:5], exec
	s_or_saveexec_b64 s[6:7], s[6:7]
	v_mov_b32_e32 v2, s10
	s_xor_b64 exec, exec, s[6:7]
	s_cbranch_execnz .LBB1_15100
; %bb.50937:
	s_getpc_b64 s[14:15]
.Lpost_getpc11132:
	s_add_u32 s14, s14, (.LBB1_762-.Lpost_getpc11132)&4294967295
	s_addc_u32 s15, s15, (.LBB1_762-.Lpost_getpc11132)>>32
	s_setpc_b64 s[14:15]
.LBB1_15100:
	v_mov_b32_e32 v2, 0
	v_cmp_ne_u16_sdwa s[8:9], v9, v2 src0_sel:BYTE_3 src1_sel:DWORD
	s_andn2_b64 s[4:5], s[4:5], exec
	s_and_b64 s[8:9], s[8:9], exec
	s_or_b64 s[4:5], s[4:5], s[8:9]
	s_or_b64 exec, exec, s[6:7]
	s_and_saveexec_b64 s[6:7], s[4:5]
	s_cbranch_execz .LBB1_29053
; %bb.50939:
	s_getpc_b64 s[14:15]
.Lpost_getpc11133:
	s_add_u32 s14, s14, (.LBB1_763-.Lpost_getpc11133)&4294967295
	s_addc_u32 s15, s15, (.LBB1_763-.Lpost_getpc11133)>>32
	s_setpc_b64 s[14:15]
.LBB1_29053:
	s_getpc_b64 s[14:15]
.Lpost_getpc190:
	s_add_u32 s14, s14, (.LBB1_764-.Lpost_getpc190)&4294967295
	s_addc_u32 s15, s15, (.LBB1_764-.Lpost_getpc190)>>32
	s_setpc_b64 s[14:15]
.LBB1_15101:
	s_movk_i32 s4, 0x80
	v_cmp_eq_u16_sdwa s[12:13], v5, s4 src0_sel:BYTE_3 src1_sel:DWORD
	s_mov_b64 s[4:5], -1
                                        ; implicit-def: $sgpr10
	s_and_saveexec_b64 s[8:9], s[12:13]
; %bb.15102:
	s_mov_b32 s10, 0x7f800001
	s_xor_b64 s[4:5], exec, -1
; %bb.15103:
	s_or_b64 exec, exec, s[8:9]
	s_and_b64 s[4:5], s[4:5], exec
	s_or_saveexec_b64 s[6:7], s[6:7]
	v_mov_b32_e32 v3, s10
	s_xor_b64 exec, exec, s[6:7]
	s_cbranch_execnz .LBB1_15104
; %bb.50941:
	s_getpc_b64 s[14:15]
.Lpost_getpc11134:
	s_add_u32 s14, s14, (.LBB1_766-.Lpost_getpc11134)&4294967295
	s_addc_u32 s15, s15, (.LBB1_766-.Lpost_getpc11134)>>32
	s_setpc_b64 s[14:15]
.LBB1_15104:
	v_mov_b32_e32 v3, 0
	v_cmp_ne_u16_sdwa s[8:9], v5, v3 src0_sel:BYTE_3 src1_sel:DWORD
	s_andn2_b64 s[4:5], s[4:5], exec
	s_and_b64 s[8:9], s[8:9], exec
	s_or_b64 s[4:5], s[4:5], s[8:9]
	s_or_b64 exec, exec, s[6:7]
	s_and_saveexec_b64 s[6:7], s[4:5]
	s_cbranch_execz .LBB1_29055
; %bb.50943:
	s_getpc_b64 s[14:15]
.Lpost_getpc11135:
	s_add_u32 s14, s14, (.LBB1_767-.Lpost_getpc11135)&4294967295
	s_addc_u32 s15, s15, (.LBB1_767-.Lpost_getpc11135)>>32
	s_setpc_b64 s[14:15]
.LBB1_29055:
	s_getpc_b64 s[14:15]
.Lpost_getpc191:
	s_add_u32 s14, s14, (.LBB1_768-.Lpost_getpc191)&4294967295
	s_addc_u32 s15, s15, (.LBB1_768-.Lpost_getpc191)>>32
	s_setpc_b64 s[14:15]
.LBB1_15105:
	s_movk_i32 s4, 0x80
	v_cmp_eq_u16_sdwa s[12:13], v6, s4 src0_sel:BYTE_0 src1_sel:DWORD
	s_mov_b64 s[4:5], -1
                                        ; implicit-def: $sgpr10
	s_and_saveexec_b64 s[8:9], s[12:13]
; %bb.15106:
	s_mov_b32 s10, 0x7f800001
	s_xor_b64 s[4:5], exec, -1
; %bb.15107:
	s_or_b64 exec, exec, s[8:9]
	s_and_b64 s[4:5], s[4:5], exec
	s_or_saveexec_b64 s[6:7], s[6:7]
	v_mov_b32_e32 v12, s10
	s_xor_b64 exec, exec, s[6:7]
	s_cbranch_execnz .LBB1_15108
; %bb.50945:
	s_getpc_b64 s[14:15]
.Lpost_getpc11136:
	s_add_u32 s14, s14, (.LBB1_770-.Lpost_getpc11136)&4294967295
	s_addc_u32 s15, s15, (.LBB1_770-.Lpost_getpc11136)>>32
	s_setpc_b64 s[14:15]
.LBB1_15108:
	v_mov_b32_e32 v12, 0
	v_cmp_ne_u16_sdwa s[8:9], v6, v12 src0_sel:BYTE_0 src1_sel:DWORD
	s_andn2_b64 s[4:5], s[4:5], exec
	s_and_b64 s[8:9], s[8:9], exec
	s_or_b64 s[4:5], s[4:5], s[8:9]
	s_or_b64 exec, exec, s[6:7]
	s_and_saveexec_b64 s[6:7], s[4:5]
	s_cbranch_execz .LBB1_29057
; %bb.50947:
	s_getpc_b64 s[14:15]
.Lpost_getpc11137:
	s_add_u32 s14, s14, (.LBB1_771-.Lpost_getpc11137)&4294967295
	s_addc_u32 s15, s15, (.LBB1_771-.Lpost_getpc11137)>>32
	s_setpc_b64 s[14:15]
.LBB1_29057:
	s_getpc_b64 s[14:15]
.Lpost_getpc192:
	s_add_u32 s14, s14, (.LBB1_772-.Lpost_getpc192)&4294967295
	s_addc_u32 s15, s15, (.LBB1_772-.Lpost_getpc192)>>32
	s_setpc_b64 s[14:15]
.LBB1_15109:
	s_movk_i32 s4, 0x80
	v_cmp_eq_u16_sdwa s[12:13], v2, s4 src0_sel:BYTE_0 src1_sel:DWORD
	s_mov_b64 s[4:5], -1
                                        ; implicit-def: $sgpr10
	s_and_saveexec_b64 s[8:9], s[12:13]
; %bb.15110:
	s_mov_b32 s10, 0x7f800001
	s_xor_b64 s[4:5], exec, -1
; %bb.15111:
	s_or_b64 exec, exec, s[8:9]
	s_and_b64 s[4:5], s[4:5], exec
	s_or_saveexec_b64 s[6:7], s[6:7]
	v_mov_b32_e32 v13, s10
	s_xor_b64 exec, exec, s[6:7]
	s_cbranch_execnz .LBB1_15112
; %bb.50949:
	s_getpc_b64 s[14:15]
.Lpost_getpc11138:
	s_add_u32 s14, s14, (.LBB1_774-.Lpost_getpc11138)&4294967295
	s_addc_u32 s15, s15, (.LBB1_774-.Lpost_getpc11138)>>32
	s_setpc_b64 s[14:15]
.LBB1_15112:
	v_mov_b32_e32 v13, 0
	v_cmp_ne_u16_sdwa s[8:9], v2, v13 src0_sel:BYTE_0 src1_sel:DWORD
	s_andn2_b64 s[4:5], s[4:5], exec
	s_and_b64 s[8:9], s[8:9], exec
	s_or_b64 s[4:5], s[4:5], s[8:9]
	s_or_b64 exec, exec, s[6:7]
	s_and_saveexec_b64 s[6:7], s[4:5]
	s_cbranch_execz .LBB1_29059
; %bb.50951:
	s_getpc_b64 s[14:15]
.Lpost_getpc11139:
	s_add_u32 s14, s14, (.LBB1_775-.Lpost_getpc11139)&4294967295
	s_addc_u32 s15, s15, (.LBB1_775-.Lpost_getpc11139)>>32
	s_setpc_b64 s[14:15]
.LBB1_29059:
	s_getpc_b64 s[14:15]
.Lpost_getpc193:
	s_add_u32 s14, s14, (.LBB1_776-.Lpost_getpc193)&4294967295
	s_addc_u32 s15, s15, (.LBB1_776-.Lpost_getpc193)>>32
	s_setpc_b64 s[14:15]
.LBB1_15113:
	s_movk_i32 s4, 0x80
	v_cmp_eq_u16_sdwa s[12:13], v13, s4 src0_sel:BYTE_0 src1_sel:DWORD
	s_mov_b64 s[4:5], -1
                                        ; implicit-def: $sgpr10
	s_and_saveexec_b64 s[8:9], s[12:13]
; %bb.15114:
	s_mov_b32 s10, 0x7f800001
	s_xor_b64 s[4:5], exec, -1
; %bb.15115:
	s_or_b64 exec, exec, s[8:9]
	s_and_b64 s[4:5], s[4:5], exec
	s_or_saveexec_b64 s[6:7], s[6:7]
	v_mov_b32_e32 v12, s10
	s_xor_b64 exec, exec, s[6:7]
	s_cbranch_execnz .LBB1_15116
; %bb.50953:
	s_getpc_b64 s[14:15]
.Lpost_getpc11140:
	s_add_u32 s14, s14, (.LBB1_778-.Lpost_getpc11140)&4294967295
	s_addc_u32 s15, s15, (.LBB1_778-.Lpost_getpc11140)>>32
	s_setpc_b64 s[14:15]
.LBB1_15116:
	v_mov_b32_e32 v12, 0
	v_cmp_ne_u16_sdwa s[8:9], v13, v12 src0_sel:BYTE_0 src1_sel:DWORD
	s_andn2_b64 s[4:5], s[4:5], exec
	s_and_b64 s[8:9], s[8:9], exec
	s_or_b64 s[4:5], s[4:5], s[8:9]
	s_or_b64 exec, exec, s[6:7]
	s_and_saveexec_b64 s[6:7], s[4:5]
	s_cbranch_execz .LBB1_29061
; %bb.50955:
	s_getpc_b64 s[14:15]
.Lpost_getpc11141:
	s_add_u32 s14, s14, (.LBB1_779-.Lpost_getpc11141)&4294967295
	s_addc_u32 s15, s15, (.LBB1_779-.Lpost_getpc11141)>>32
	s_setpc_b64 s[14:15]
.LBB1_29061:
	s_getpc_b64 s[14:15]
.Lpost_getpc194:
	s_add_u32 s14, s14, (.LBB1_780-.Lpost_getpc194)&4294967295
	s_addc_u32 s15, s15, (.LBB1_780-.Lpost_getpc194)>>32
	s_setpc_b64 s[14:15]
.LBB1_15117:
	s_movk_i32 s4, 0x80
	v_cmp_eq_u16_sdwa s[12:13], v13, s4 src0_sel:BYTE_0 src1_sel:DWORD
	s_mov_b64 s[4:5], -1
                                        ; implicit-def: $sgpr10
	s_and_saveexec_b64 s[8:9], s[12:13]
; %bb.15118:
	s_mov_b32 s10, 0x7f800001
	s_xor_b64 s[4:5], exec, -1
; %bb.15119:
	s_or_b64 exec, exec, s[8:9]
	s_and_b64 s[4:5], s[4:5], exec
	s_or_saveexec_b64 s[6:7], s[6:7]
	v_mov_b32_e32 v14, s10
	s_xor_b64 exec, exec, s[6:7]
	s_cbranch_execnz .LBB1_15120
; %bb.50957:
	s_getpc_b64 s[14:15]
.Lpost_getpc11142:
	s_add_u32 s14, s14, (.LBB1_782-.Lpost_getpc11142)&4294967295
	s_addc_u32 s15, s15, (.LBB1_782-.Lpost_getpc11142)>>32
	s_setpc_b64 s[14:15]
.LBB1_15120:
	v_mov_b32_e32 v14, 0
	v_cmp_ne_u16_sdwa s[8:9], v13, v14 src0_sel:BYTE_0 src1_sel:DWORD
	s_andn2_b64 s[4:5], s[4:5], exec
	s_and_b64 s[8:9], s[8:9], exec
	s_or_b64 s[4:5], s[4:5], s[8:9]
	s_or_b64 exec, exec, s[6:7]
	s_and_saveexec_b64 s[6:7], s[4:5]
	s_cbranch_execz .LBB1_29063
; %bb.50959:
	s_getpc_b64 s[14:15]
.Lpost_getpc11143:
	s_add_u32 s14, s14, (.LBB1_783-.Lpost_getpc11143)&4294967295
	s_addc_u32 s15, s15, (.LBB1_783-.Lpost_getpc11143)>>32
	s_setpc_b64 s[14:15]
.LBB1_29063:
	s_getpc_b64 s[14:15]
.Lpost_getpc195:
	s_add_u32 s14, s14, (.LBB1_784-.Lpost_getpc195)&4294967295
	s_addc_u32 s15, s15, (.LBB1_784-.Lpost_getpc195)>>32
	s_setpc_b64 s[14:15]
.LBB1_15121:
	s_movk_i32 s4, 0x80
	v_cmp_eq_u16_e32 vcc, s4, v13
	s_mov_b64 s[4:5], -1
                                        ; implicit-def: $sgpr10
	s_and_saveexec_b64 s[8:9], vcc
; %bb.15122:
	s_mov_b32 s10, 0x7f800001
	s_xor_b64 s[4:5], exec, -1
; %bb.15123:
	s_or_b64 exec, exec, s[8:9]
	s_and_b64 s[4:5], s[4:5], exec
                                        ; implicit-def: $vgpr13
	s_or_saveexec_b64 s[6:7], s[6:7]
	v_mov_b32_e32 v12, s10
	s_xor_b64 exec, exec, s[6:7]
	s_cbranch_execnz .LBB1_15124
; %bb.50961:
	s_getpc_b64 s[14:15]
.Lpost_getpc11144:
	s_add_u32 s14, s14, (.LBB1_786-.Lpost_getpc11144)&4294967295
	s_addc_u32 s15, s15, (.LBB1_786-.Lpost_getpc11144)>>32
	s_setpc_b64 s[14:15]
.LBB1_15124:
	v_cmp_ne_u16_e32 vcc, 0, v13
	s_andn2_b64 s[4:5], s[4:5], exec
	s_and_b64 s[8:9], vcc, exec
	v_mov_b32_e32 v12, 0
	s_or_b64 s[4:5], s[4:5], s[8:9]
	s_or_b64 exec, exec, s[6:7]
	s_and_saveexec_b64 s[6:7], s[4:5]
	s_cbranch_execz .LBB1_29065
; %bb.50963:
	s_getpc_b64 s[14:15]
.Lpost_getpc11145:
	s_add_u32 s14, s14, (.LBB1_787-.Lpost_getpc11145)&4294967295
	s_addc_u32 s15, s15, (.LBB1_787-.Lpost_getpc11145)>>32
	s_setpc_b64 s[14:15]
.LBB1_29065:
	s_getpc_b64 s[14:15]
.Lpost_getpc196:
	s_add_u32 s14, s14, (.LBB1_788-.Lpost_getpc196)&4294967295
	s_addc_u32 s15, s15, (.LBB1_788-.Lpost_getpc196)>>32
	s_setpc_b64 s[14:15]
.LBB1_15125:
	s_movk_i32 s4, 0x80
	v_cmp_eq_u16_e32 vcc, s4, v13
	s_mov_b64 s[4:5], -1
                                        ; implicit-def: $sgpr10
	s_and_saveexec_b64 s[8:9], vcc
; %bb.15126:
	s_mov_b32 s10, 0x7f800001
	s_xor_b64 s[4:5], exec, -1
; %bb.15127:
	s_or_b64 exec, exec, s[8:9]
	s_and_b64 s[4:5], s[4:5], exec
                                        ; implicit-def: $vgpr13
	s_or_saveexec_b64 s[6:7], s[6:7]
	v_mov_b32_e32 v14, s10
	s_xor_b64 exec, exec, s[6:7]
	s_cbranch_execnz .LBB1_15128
; %bb.50965:
	s_getpc_b64 s[14:15]
.Lpost_getpc11146:
	s_add_u32 s14, s14, (.LBB1_790-.Lpost_getpc11146)&4294967295
	s_addc_u32 s15, s15, (.LBB1_790-.Lpost_getpc11146)>>32
	s_setpc_b64 s[14:15]
.LBB1_15128:
	v_cmp_ne_u16_e32 vcc, 0, v13
	s_andn2_b64 s[4:5], s[4:5], exec
	s_and_b64 s[8:9], vcc, exec
	v_mov_b32_e32 v14, 0
	s_or_b64 s[4:5], s[4:5], s[8:9]
	s_or_b64 exec, exec, s[6:7]
	s_and_saveexec_b64 s[6:7], s[4:5]
	s_cbranch_execz .LBB1_29067
; %bb.50967:
	s_getpc_b64 s[14:15]
.Lpost_getpc11147:
	s_add_u32 s14, s14, (.LBB1_791-.Lpost_getpc11147)&4294967295
	s_addc_u32 s15, s15, (.LBB1_791-.Lpost_getpc11147)>>32
	s_setpc_b64 s[14:15]
.LBB1_29067:
	s_getpc_b64 s[14:15]
.Lpost_getpc197:
	s_add_u32 s14, s14, (.LBB1_792-.Lpost_getpc197)&4294967295
	s_addc_u32 s15, s15, (.LBB1_792-.Lpost_getpc197)>>32
	s_setpc_b64 s[14:15]
.LBB1_15129:
	s_movk_i32 s4, 0x80
	v_cmp_eq_u16_sdwa s[12:13], v6, s4 src0_sel:BYTE_3 src1_sel:DWORD
	s_mov_b64 s[4:5], -1
                                        ; implicit-def: $sgpr10
	s_and_saveexec_b64 s[8:9], s[12:13]
; %bb.15130:
	s_mov_b32 s10, 0x7f800001
	s_xor_b64 s[4:5], exec, -1
; %bb.15131:
	s_or_b64 exec, exec, s[8:9]
	s_and_b64 s[4:5], s[4:5], exec
	s_or_saveexec_b64 s[6:7], s[6:7]
	v_mov_b32_e32 v12, s10
	s_xor_b64 exec, exec, s[6:7]
	s_cbranch_execnz .LBB1_15132
; %bb.50969:
	s_getpc_b64 s[14:15]
.Lpost_getpc11148:
	s_add_u32 s14, s14, (.LBB1_794-.Lpost_getpc11148)&4294967295
	s_addc_u32 s15, s15, (.LBB1_794-.Lpost_getpc11148)>>32
	s_setpc_b64 s[14:15]
.LBB1_15132:
	v_mov_b32_e32 v12, 0
	v_cmp_ne_u16_sdwa s[8:9], v6, v12 src0_sel:BYTE_3 src1_sel:DWORD
	s_andn2_b64 s[4:5], s[4:5], exec
	s_and_b64 s[8:9], s[8:9], exec
	s_or_b64 s[4:5], s[4:5], s[8:9]
	s_or_b64 exec, exec, s[6:7]
	s_and_saveexec_b64 s[6:7], s[4:5]
	s_cbranch_execz .LBB1_29069
; %bb.50971:
	s_getpc_b64 s[14:15]
.Lpost_getpc11149:
	s_add_u32 s14, s14, (.LBB1_795-.Lpost_getpc11149)&4294967295
	s_addc_u32 s15, s15, (.LBB1_795-.Lpost_getpc11149)>>32
	s_setpc_b64 s[14:15]
.LBB1_29069:
	s_getpc_b64 s[14:15]
.Lpost_getpc198:
	s_add_u32 s14, s14, (.LBB1_796-.Lpost_getpc198)&4294967295
	s_addc_u32 s15, s15, (.LBB1_796-.Lpost_getpc198)>>32
	s_setpc_b64 s[14:15]
.LBB1_15133:
	s_movk_i32 s4, 0x80
	v_cmp_eq_u16_sdwa s[12:13], v2, s4 src0_sel:BYTE_3 src1_sel:DWORD
	s_mov_b64 s[4:5], -1
                                        ; implicit-def: $sgpr10
	s_and_saveexec_b64 s[8:9], s[12:13]
; %bb.15134:
	s_mov_b32 s10, 0x7f800001
	s_xor_b64 s[4:5], exec, -1
; %bb.15135:
	s_or_b64 exec, exec, s[8:9]
	s_and_b64 s[4:5], s[4:5], exec
	s_or_saveexec_b64 s[6:7], s[6:7]
	v_mov_b32_e32 v6, s10
	s_xor_b64 exec, exec, s[6:7]
	s_cbranch_execnz .LBB1_15136
; %bb.50973:
	s_getpc_b64 s[14:15]
.Lpost_getpc11150:
	s_add_u32 s14, s14, (.LBB1_798-.Lpost_getpc11150)&4294967295
	s_addc_u32 s15, s15, (.LBB1_798-.Lpost_getpc11150)>>32
	s_setpc_b64 s[14:15]
.LBB1_15136:
	v_mov_b32_e32 v6, 0
	v_cmp_ne_u16_sdwa s[8:9], v2, v6 src0_sel:BYTE_3 src1_sel:DWORD
	s_andn2_b64 s[4:5], s[4:5], exec
	s_and_b64 s[8:9], s[8:9], exec
	s_or_b64 s[4:5], s[4:5], s[8:9]
	s_or_b64 exec, exec, s[6:7]
	s_and_saveexec_b64 s[6:7], s[4:5]
	s_cbranch_execz .LBB1_29071
; %bb.50975:
	s_getpc_b64 s[14:15]
.Lpost_getpc11151:
	s_add_u32 s14, s14, (.LBB1_799-.Lpost_getpc11151)&4294967295
	s_addc_u32 s15, s15, (.LBB1_799-.Lpost_getpc11151)>>32
	s_setpc_b64 s[14:15]
.LBB1_29071:
	s_getpc_b64 s[14:15]
.Lpost_getpc199:
	s_add_u32 s14, s14, (.LBB1_800-.Lpost_getpc199)&4294967295
	s_addc_u32 s15, s15, (.LBB1_800-.Lpost_getpc199)>>32
	s_setpc_b64 s[14:15]
.LBB1_15137:
	s_movk_i32 s4, 0x80
	v_cmp_eq_u16_sdwa s[12:13], v7, s4 src0_sel:BYTE_0 src1_sel:DWORD
	s_mov_b64 s[4:5], -1
                                        ; implicit-def: $sgpr10
	s_and_saveexec_b64 s[8:9], s[12:13]
; %bb.15138:
	s_mov_b32 s10, 0x7f800001
	s_xor_b64 s[4:5], exec, -1
; %bb.15139:
	s_or_b64 exec, exec, s[8:9]
	s_and_b64 s[4:5], s[4:5], exec
	s_or_saveexec_b64 s[6:7], s[6:7]
	v_mov_b32_e32 v2, s10
	s_xor_b64 exec, exec, s[6:7]
	s_cbranch_execnz .LBB1_15140
; %bb.50977:
	s_getpc_b64 s[14:15]
.Lpost_getpc11152:
	s_add_u32 s14, s14, (.LBB1_802-.Lpost_getpc11152)&4294967295
	s_addc_u32 s15, s15, (.LBB1_802-.Lpost_getpc11152)>>32
	s_setpc_b64 s[14:15]
.LBB1_15140:
	v_mov_b32_e32 v2, 0
	v_cmp_ne_u16_sdwa s[8:9], v7, v2 src0_sel:BYTE_0 src1_sel:DWORD
	s_andn2_b64 s[4:5], s[4:5], exec
	s_and_b64 s[8:9], s[8:9], exec
	s_or_b64 s[4:5], s[4:5], s[8:9]
	s_or_b64 exec, exec, s[6:7]
	s_and_saveexec_b64 s[6:7], s[4:5]
	s_cbranch_execz .LBB1_29073
; %bb.50979:
	s_getpc_b64 s[14:15]
.Lpost_getpc11153:
	s_add_u32 s14, s14, (.LBB1_803-.Lpost_getpc11153)&4294967295
	s_addc_u32 s15, s15, (.LBB1_803-.Lpost_getpc11153)>>32
	s_setpc_b64 s[14:15]
.LBB1_29073:
	s_getpc_b64 s[14:15]
.Lpost_getpc200:
	s_add_u32 s14, s14, (.LBB1_804-.Lpost_getpc200)&4294967295
	s_addc_u32 s15, s15, (.LBB1_804-.Lpost_getpc200)>>32
	s_setpc_b64 s[14:15]
.LBB1_15141:
	s_movk_i32 s4, 0x80
	v_cmp_eq_u16_sdwa s[12:13], v3, s4 src0_sel:BYTE_0 src1_sel:DWORD
	s_mov_b64 s[4:5], -1
                                        ; implicit-def: $sgpr10
	s_and_saveexec_b64 s[8:9], s[12:13]
; %bb.15142:
	s_mov_b32 s10, 0x7f800001
	s_xor_b64 s[4:5], exec, -1
; %bb.15143:
	s_or_b64 exec, exec, s[8:9]
	s_and_b64 s[4:5], s[4:5], exec
	s_or_saveexec_b64 s[6:7], s[6:7]
	v_mov_b32_e32 v6, s10
	s_xor_b64 exec, exec, s[6:7]
	s_cbranch_execnz .LBB1_15144
; %bb.50981:
	s_getpc_b64 s[14:15]
.Lpost_getpc11154:
	s_add_u32 s14, s14, (.LBB1_806-.Lpost_getpc11154)&4294967295
	s_addc_u32 s15, s15, (.LBB1_806-.Lpost_getpc11154)>>32
	s_setpc_b64 s[14:15]
.LBB1_15144:
	v_mov_b32_e32 v6, 0
	v_cmp_ne_u16_sdwa s[8:9], v3, v6 src0_sel:BYTE_0 src1_sel:DWORD
	s_andn2_b64 s[4:5], s[4:5], exec
	s_and_b64 s[8:9], s[8:9], exec
	s_or_b64 s[4:5], s[4:5], s[8:9]
	s_or_b64 exec, exec, s[6:7]
	s_and_saveexec_b64 s[6:7], s[4:5]
	s_cbranch_execz .LBB1_29075
; %bb.50983:
	s_getpc_b64 s[14:15]
.Lpost_getpc11155:
	s_add_u32 s14, s14, (.LBB1_807-.Lpost_getpc11155)&4294967295
	s_addc_u32 s15, s15, (.LBB1_807-.Lpost_getpc11155)>>32
	s_setpc_b64 s[14:15]
.LBB1_29075:
	s_getpc_b64 s[14:15]
.Lpost_getpc201:
	s_add_u32 s14, s14, (.LBB1_808-.Lpost_getpc201)&4294967295
	s_addc_u32 s15, s15, (.LBB1_808-.Lpost_getpc201)>>32
	s_setpc_b64 s[14:15]
.LBB1_15145:
	s_movk_i32 s4, 0x80
	v_cmp_eq_u16_sdwa s[12:13], v6, s4 src0_sel:BYTE_0 src1_sel:DWORD
	s_mov_b64 s[4:5], -1
                                        ; implicit-def: $sgpr10
	s_and_saveexec_b64 s[8:9], s[12:13]
; %bb.15146:
	s_mov_b32 s10, 0x7f800001
	s_xor_b64 s[4:5], exec, -1
; %bb.15147:
	s_or_b64 exec, exec, s[8:9]
	s_and_b64 s[4:5], s[4:5], exec
	s_or_saveexec_b64 s[6:7], s[6:7]
	v_mov_b32_e32 v2, s10
	s_xor_b64 exec, exec, s[6:7]
	s_cbranch_execnz .LBB1_15148
; %bb.50985:
	s_getpc_b64 s[14:15]
.Lpost_getpc11156:
	s_add_u32 s14, s14, (.LBB1_810-.Lpost_getpc11156)&4294967295
	s_addc_u32 s15, s15, (.LBB1_810-.Lpost_getpc11156)>>32
	s_setpc_b64 s[14:15]
.LBB1_15148:
	v_mov_b32_e32 v2, 0
	v_cmp_ne_u16_sdwa s[8:9], v6, v2 src0_sel:BYTE_0 src1_sel:DWORD
	s_andn2_b64 s[4:5], s[4:5], exec
	s_and_b64 s[8:9], s[8:9], exec
	s_or_b64 s[4:5], s[4:5], s[8:9]
	s_or_b64 exec, exec, s[6:7]
	s_and_saveexec_b64 s[6:7], s[4:5]
	s_cbranch_execz .LBB1_29077
; %bb.50987:
	s_getpc_b64 s[14:15]
.Lpost_getpc11157:
	s_add_u32 s14, s14, (.LBB1_811-.Lpost_getpc11157)&4294967295
	s_addc_u32 s15, s15, (.LBB1_811-.Lpost_getpc11157)>>32
	s_setpc_b64 s[14:15]
.LBB1_29077:
	s_getpc_b64 s[14:15]
.Lpost_getpc202:
	s_add_u32 s14, s14, (.LBB1_812-.Lpost_getpc202)&4294967295
	s_addc_u32 s15, s15, (.LBB1_812-.Lpost_getpc202)>>32
	s_setpc_b64 s[14:15]
.LBB1_15149:
	s_movk_i32 s4, 0x80
	v_cmp_eq_u16_sdwa s[12:13], v6, s4 src0_sel:BYTE_0 src1_sel:DWORD
	s_mov_b64 s[4:5], -1
                                        ; implicit-def: $sgpr10
	s_and_saveexec_b64 s[8:9], s[12:13]
; %bb.15150:
	s_mov_b32 s10, 0x7f800001
	s_xor_b64 s[4:5], exec, -1
; %bb.15151:
	s_or_b64 exec, exec, s[8:9]
	s_and_b64 s[4:5], s[4:5], exec
	s_or_saveexec_b64 s[6:7], s[6:7]
	v_mov_b32_e32 v12, s10
	s_xor_b64 exec, exec, s[6:7]
	s_cbranch_execnz .LBB1_15152
; %bb.50989:
	s_getpc_b64 s[14:15]
.Lpost_getpc11158:
	s_add_u32 s14, s14, (.LBB1_814-.Lpost_getpc11158)&4294967295
	s_addc_u32 s15, s15, (.LBB1_814-.Lpost_getpc11158)>>32
	s_setpc_b64 s[14:15]
.LBB1_15152:
	v_mov_b32_e32 v12, 0
	v_cmp_ne_u16_sdwa s[8:9], v6, v12 src0_sel:BYTE_0 src1_sel:DWORD
	s_andn2_b64 s[4:5], s[4:5], exec
	s_and_b64 s[8:9], s[8:9], exec
	s_or_b64 s[4:5], s[4:5], s[8:9]
	s_or_b64 exec, exec, s[6:7]
	s_and_saveexec_b64 s[6:7], s[4:5]
	s_cbranch_execz .LBB1_29079
; %bb.50991:
	s_getpc_b64 s[14:15]
.Lpost_getpc11159:
	s_add_u32 s14, s14, (.LBB1_815-.Lpost_getpc11159)&4294967295
	s_addc_u32 s15, s15, (.LBB1_815-.Lpost_getpc11159)>>32
	s_setpc_b64 s[14:15]
.LBB1_29079:
	s_getpc_b64 s[14:15]
.Lpost_getpc203:
	s_add_u32 s14, s14, (.LBB1_816-.Lpost_getpc203)&4294967295
	s_addc_u32 s15, s15, (.LBB1_816-.Lpost_getpc203)>>32
	s_setpc_b64 s[14:15]
.LBB1_15153:
	s_movk_i32 s4, 0x80
	v_cmp_eq_u16_e32 vcc, s4, v6
	s_mov_b64 s[4:5], -1
                                        ; implicit-def: $sgpr10
	s_and_saveexec_b64 s[8:9], vcc
; %bb.15154:
	s_mov_b32 s10, 0x7f800001
	s_xor_b64 s[4:5], exec, -1
; %bb.15155:
	s_or_b64 exec, exec, s[8:9]
	s_and_b64 s[4:5], s[4:5], exec
                                        ; implicit-def: $vgpr6
	s_or_saveexec_b64 s[6:7], s[6:7]
	v_mov_b32_e32 v2, s10
	s_xor_b64 exec, exec, s[6:7]
	s_cbranch_execnz .LBB1_15156
; %bb.50993:
	s_getpc_b64 s[14:15]
.Lpost_getpc11160:
	s_add_u32 s14, s14, (.LBB1_818-.Lpost_getpc11160)&4294967295
	s_addc_u32 s15, s15, (.LBB1_818-.Lpost_getpc11160)>>32
	s_setpc_b64 s[14:15]
.LBB1_15156:
	v_cmp_ne_u16_e32 vcc, 0, v6
	s_andn2_b64 s[4:5], s[4:5], exec
	s_and_b64 s[8:9], vcc, exec
	v_mov_b32_e32 v2, 0
	s_or_b64 s[4:5], s[4:5], s[8:9]
	s_or_b64 exec, exec, s[6:7]
	s_and_saveexec_b64 s[6:7], s[4:5]
	s_cbranch_execz .LBB1_29081
; %bb.50995:
	s_getpc_b64 s[14:15]
.Lpost_getpc11161:
	s_add_u32 s14, s14, (.LBB1_819-.Lpost_getpc11161)&4294967295
	s_addc_u32 s15, s15, (.LBB1_819-.Lpost_getpc11161)>>32
	s_setpc_b64 s[14:15]
.LBB1_29081:
	s_getpc_b64 s[14:15]
.Lpost_getpc204:
	s_add_u32 s14, s14, (.LBB1_820-.Lpost_getpc204)&4294967295
	s_addc_u32 s15, s15, (.LBB1_820-.Lpost_getpc204)>>32
	s_setpc_b64 s[14:15]
.LBB1_15157:
	s_movk_i32 s4, 0x80
	v_cmp_eq_u16_e32 vcc, s4, v6
	s_mov_b64 s[4:5], -1
                                        ; implicit-def: $sgpr10
	s_and_saveexec_b64 s[8:9], vcc
; %bb.15158:
	s_mov_b32 s10, 0x7f800001
	s_xor_b64 s[4:5], exec, -1
; %bb.15159:
	s_or_b64 exec, exec, s[8:9]
	s_and_b64 s[4:5], s[4:5], exec
                                        ; implicit-def: $vgpr6
	s_or_saveexec_b64 s[6:7], s[6:7]
	v_mov_b32_e32 v12, s10
	s_xor_b64 exec, exec, s[6:7]
	s_cbranch_execnz .LBB1_15160
; %bb.50997:
	s_getpc_b64 s[14:15]
.Lpost_getpc11162:
	s_add_u32 s14, s14, (.LBB1_822-.Lpost_getpc11162)&4294967295
	s_addc_u32 s15, s15, (.LBB1_822-.Lpost_getpc11162)>>32
	s_setpc_b64 s[14:15]
.LBB1_15160:
	v_cmp_ne_u16_e32 vcc, 0, v6
	s_andn2_b64 s[4:5], s[4:5], exec
	s_and_b64 s[8:9], vcc, exec
	v_mov_b32_e32 v12, 0
	s_or_b64 s[4:5], s[4:5], s[8:9]
	s_or_b64 exec, exec, s[6:7]
	s_and_saveexec_b64 s[6:7], s[4:5]
	s_cbranch_execz .LBB1_29083
; %bb.50999:
	s_getpc_b64 s[14:15]
.Lpost_getpc11163:
	s_add_u32 s14, s14, (.LBB1_823-.Lpost_getpc11163)&4294967295
	s_addc_u32 s15, s15, (.LBB1_823-.Lpost_getpc11163)>>32
	s_setpc_b64 s[14:15]
.LBB1_29083:
	s_getpc_b64 s[14:15]
.Lpost_getpc205:
	s_add_u32 s14, s14, (.LBB1_824-.Lpost_getpc205)&4294967295
	s_addc_u32 s15, s15, (.LBB1_824-.Lpost_getpc205)>>32
	s_setpc_b64 s[14:15]
.LBB1_15161:
	s_movk_i32 s4, 0x80
	v_cmp_eq_u16_sdwa s[12:13], v7, s4 src0_sel:BYTE_3 src1_sel:DWORD
	s_mov_b64 s[4:5], -1
                                        ; implicit-def: $sgpr10
	s_and_saveexec_b64 s[8:9], s[12:13]
; %bb.15162:
	s_mov_b32 s10, 0x7f800001
	s_xor_b64 s[4:5], exec, -1
; %bb.15163:
	s_or_b64 exec, exec, s[8:9]
	s_and_b64 s[4:5], s[4:5], exec
	s_or_saveexec_b64 s[6:7], s[6:7]
	v_mov_b32_e32 v2, s10
	s_xor_b64 exec, exec, s[6:7]
	s_cbranch_execnz .LBB1_15164
; %bb.51001:
	s_getpc_b64 s[14:15]
.Lpost_getpc11164:
	s_add_u32 s14, s14, (.LBB1_826-.Lpost_getpc11164)&4294967295
	s_addc_u32 s15, s15, (.LBB1_826-.Lpost_getpc11164)>>32
	s_setpc_b64 s[14:15]
.LBB1_15164:
	v_mov_b32_e32 v2, 0
	v_cmp_ne_u16_sdwa s[8:9], v7, v2 src0_sel:BYTE_3 src1_sel:DWORD
	s_andn2_b64 s[4:5], s[4:5], exec
	s_and_b64 s[8:9], s[8:9], exec
	s_or_b64 s[4:5], s[4:5], s[8:9]
	s_or_b64 exec, exec, s[6:7]
	s_and_saveexec_b64 s[6:7], s[4:5]
	s_cbranch_execz .LBB1_29085
; %bb.51003:
	s_getpc_b64 s[14:15]
.Lpost_getpc11165:
	s_add_u32 s14, s14, (.LBB1_827-.Lpost_getpc11165)&4294967295
	s_addc_u32 s15, s15, (.LBB1_827-.Lpost_getpc11165)>>32
	s_setpc_b64 s[14:15]
.LBB1_29085:
	s_getpc_b64 s[14:15]
.Lpost_getpc206:
	s_add_u32 s14, s14, (.LBB1_828-.Lpost_getpc206)&4294967295
	s_addc_u32 s15, s15, (.LBB1_828-.Lpost_getpc206)>>32
	s_setpc_b64 s[14:15]
.LBB1_15165:
	s_movk_i32 s4, 0x80
	v_cmp_eq_u16_sdwa s[12:13], v3, s4 src0_sel:BYTE_3 src1_sel:DWORD
	s_mov_b64 s[4:5], -1
                                        ; implicit-def: $sgpr10
	s_and_saveexec_b64 s[8:9], s[12:13]
; %bb.15166:
	s_mov_b32 s10, 0x7f800001
	s_xor_b64 s[4:5], exec, -1
; %bb.15167:
	s_or_b64 exec, exec, s[8:9]
	s_and_b64 s[4:5], s[4:5], exec
	s_or_saveexec_b64 s[6:7], s[6:7]
	v_mov_b32_e32 v6, s10
	s_xor_b64 exec, exec, s[6:7]
	s_cbranch_execnz .LBB1_15168
; %bb.51005:
	s_getpc_b64 s[14:15]
.Lpost_getpc11166:
	s_add_u32 s14, s14, (.LBB1_830-.Lpost_getpc11166)&4294967295
	s_addc_u32 s15, s15, (.LBB1_830-.Lpost_getpc11166)>>32
	s_setpc_b64 s[14:15]
.LBB1_15168:
	v_mov_b32_e32 v6, 0
	v_cmp_ne_u16_sdwa s[8:9], v3, v6 src0_sel:BYTE_3 src1_sel:DWORD
	s_andn2_b64 s[4:5], s[4:5], exec
	s_and_b64 s[8:9], s[8:9], exec
	s_or_b64 s[4:5], s[4:5], s[8:9]
	s_or_b64 exec, exec, s[6:7]
	s_and_saveexec_b64 s[6:7], s[4:5]
	s_cbranch_execz .LBB1_29087
; %bb.51007:
	s_getpc_b64 s[14:15]
.Lpost_getpc11167:
	s_add_u32 s14, s14, (.LBB1_831-.Lpost_getpc11167)&4294967295
	s_addc_u32 s15, s15, (.LBB1_831-.Lpost_getpc11167)>>32
	s_setpc_b64 s[14:15]
.LBB1_29087:
	s_getpc_b64 s[14:15]
.Lpost_getpc207:
	s_add_u32 s14, s14, (.LBB1_832-.Lpost_getpc207)&4294967295
	s_addc_u32 s15, s15, (.LBB1_832-.Lpost_getpc207)>>32
	s_setpc_b64 s[14:15]
.LBB1_15169:
	s_movk_i32 s4, 0x80
	v_cmp_eq_u16_sdwa s[12:13], v8, s4 src0_sel:BYTE_0 src1_sel:DWORD
	s_mov_b64 s[4:5], -1
                                        ; implicit-def: $sgpr10
	s_and_saveexec_b64 s[8:9], s[12:13]
; %bb.15170:
	s_mov_b32 s10, 0x7f800001
	s_xor_b64 s[4:5], exec, -1
; %bb.15171:
	s_or_b64 exec, exec, s[8:9]
	s_and_b64 s[4:5], s[4:5], exec
	s_or_saveexec_b64 s[6:7], s[6:7]
	v_mov_b32_e32 v2, s10
	s_xor_b64 exec, exec, s[6:7]
	s_cbranch_execnz .LBB1_15172
; %bb.51009:
	s_getpc_b64 s[14:15]
.Lpost_getpc11168:
	s_add_u32 s14, s14, (.LBB1_834-.Lpost_getpc11168)&4294967295
	s_addc_u32 s15, s15, (.LBB1_834-.Lpost_getpc11168)>>32
	s_setpc_b64 s[14:15]
.LBB1_15172:
	v_mov_b32_e32 v2, 0
	v_cmp_ne_u16_sdwa s[8:9], v8, v2 src0_sel:BYTE_0 src1_sel:DWORD
	s_andn2_b64 s[4:5], s[4:5], exec
	s_and_b64 s[8:9], s[8:9], exec
	s_or_b64 s[4:5], s[4:5], s[8:9]
	s_or_b64 exec, exec, s[6:7]
	s_and_saveexec_b64 s[6:7], s[4:5]
	s_cbranch_execz .LBB1_29089
; %bb.51011:
	s_getpc_b64 s[14:15]
.Lpost_getpc11169:
	s_add_u32 s14, s14, (.LBB1_835-.Lpost_getpc11169)&4294967295
	s_addc_u32 s15, s15, (.LBB1_835-.Lpost_getpc11169)>>32
	s_setpc_b64 s[14:15]
.LBB1_29089:
	s_getpc_b64 s[14:15]
.Lpost_getpc208:
	s_add_u32 s14, s14, (.LBB1_836-.Lpost_getpc208)&4294967295
	s_addc_u32 s15, s15, (.LBB1_836-.Lpost_getpc208)>>32
	s_setpc_b64 s[14:15]
.LBB1_15173:
	s_movk_i32 s4, 0x80
	v_cmp_eq_u16_sdwa s[12:13], v4, s4 src0_sel:BYTE_0 src1_sel:DWORD
	s_mov_b64 s[4:5], -1
                                        ; implicit-def: $sgpr10
	s_and_saveexec_b64 s[8:9], s[12:13]
; %bb.15174:
	s_mov_b32 s10, 0x7f800001
	s_xor_b64 s[4:5], exec, -1
; %bb.15175:
	s_or_b64 exec, exec, s[8:9]
	s_and_b64 s[4:5], s[4:5], exec
	s_or_saveexec_b64 s[6:7], s[6:7]
	v_mov_b32_e32 v3, s10
	s_xor_b64 exec, exec, s[6:7]
	s_cbranch_execnz .LBB1_15176
; %bb.51013:
	s_getpc_b64 s[14:15]
.Lpost_getpc11170:
	s_add_u32 s14, s14, (.LBB1_838-.Lpost_getpc11170)&4294967295
	s_addc_u32 s15, s15, (.LBB1_838-.Lpost_getpc11170)>>32
	s_setpc_b64 s[14:15]
.LBB1_15176:
	v_mov_b32_e32 v3, 0
	v_cmp_ne_u16_sdwa s[8:9], v4, v3 src0_sel:BYTE_0 src1_sel:DWORD
	s_andn2_b64 s[4:5], s[4:5], exec
	s_and_b64 s[8:9], s[8:9], exec
	s_or_b64 s[4:5], s[4:5], s[8:9]
	s_or_b64 exec, exec, s[6:7]
	s_and_saveexec_b64 s[6:7], s[4:5]
	s_cbranch_execz .LBB1_29091
; %bb.51015:
	s_getpc_b64 s[14:15]
.Lpost_getpc11171:
	s_add_u32 s14, s14, (.LBB1_839-.Lpost_getpc11171)&4294967295
	s_addc_u32 s15, s15, (.LBB1_839-.Lpost_getpc11171)>>32
	s_setpc_b64 s[14:15]
.LBB1_29091:
	s_getpc_b64 s[14:15]
.Lpost_getpc209:
	s_add_u32 s14, s14, (.LBB1_840-.Lpost_getpc209)&4294967295
	s_addc_u32 s15, s15, (.LBB1_840-.Lpost_getpc209)>>32
	s_setpc_b64 s[14:15]
.LBB1_15177:
	s_movk_i32 s4, 0x80
	v_cmp_eq_u16_sdwa s[12:13], v3, s4 src0_sel:BYTE_0 src1_sel:DWORD
	s_mov_b64 s[4:5], -1
                                        ; implicit-def: $sgpr10
	s_and_saveexec_b64 s[8:9], s[12:13]
; %bb.15178:
	s_mov_b32 s10, 0x7f800001
	s_xor_b64 s[4:5], exec, -1
; %bb.15179:
	s_or_b64 exec, exec, s[8:9]
	s_and_b64 s[4:5], s[4:5], exec
	s_or_saveexec_b64 s[6:7], s[6:7]
	v_mov_b32_e32 v2, s10
	s_xor_b64 exec, exec, s[6:7]
	s_cbranch_execnz .LBB1_15180
; %bb.51017:
	s_getpc_b64 s[14:15]
.Lpost_getpc11172:
	s_add_u32 s14, s14, (.LBB1_842-.Lpost_getpc11172)&4294967295
	s_addc_u32 s15, s15, (.LBB1_842-.Lpost_getpc11172)>>32
	s_setpc_b64 s[14:15]
.LBB1_15180:
	v_mov_b32_e32 v2, 0
	v_cmp_ne_u16_sdwa s[8:9], v3, v2 src0_sel:BYTE_0 src1_sel:DWORD
	s_andn2_b64 s[4:5], s[4:5], exec
	s_and_b64 s[8:9], s[8:9], exec
	s_or_b64 s[4:5], s[4:5], s[8:9]
	s_or_b64 exec, exec, s[6:7]
	s_and_saveexec_b64 s[6:7], s[4:5]
	s_cbranch_execz .LBB1_29093
; %bb.51019:
	s_getpc_b64 s[14:15]
.Lpost_getpc11173:
	s_add_u32 s14, s14, (.LBB1_843-.Lpost_getpc11173)&4294967295
	s_addc_u32 s15, s15, (.LBB1_843-.Lpost_getpc11173)>>32
	s_setpc_b64 s[14:15]
.LBB1_29093:
	s_getpc_b64 s[14:15]
.Lpost_getpc210:
	s_add_u32 s14, s14, (.LBB1_844-.Lpost_getpc210)&4294967295
	s_addc_u32 s15, s15, (.LBB1_844-.Lpost_getpc210)>>32
	s_setpc_b64 s[14:15]
.LBB1_15181:
	s_movk_i32 s4, 0x80
	v_cmp_eq_u16_sdwa s[12:13], v3, s4 src0_sel:BYTE_0 src1_sel:DWORD
	s_mov_b64 s[4:5], -1
                                        ; implicit-def: $sgpr10
	s_and_saveexec_b64 s[8:9], s[12:13]
; %bb.15182:
	s_mov_b32 s10, 0x7f800001
	s_xor_b64 s[4:5], exec, -1
; %bb.15183:
	s_or_b64 exec, exec, s[8:9]
	s_and_b64 s[4:5], s[4:5], exec
	s_or_saveexec_b64 s[6:7], s[6:7]
	v_mov_b32_e32 v6, s10
	s_xor_b64 exec, exec, s[6:7]
	s_cbranch_execnz .LBB1_15184
; %bb.51021:
	s_getpc_b64 s[14:15]
.Lpost_getpc11174:
	s_add_u32 s14, s14, (.LBB1_846-.Lpost_getpc11174)&4294967295
	s_addc_u32 s15, s15, (.LBB1_846-.Lpost_getpc11174)>>32
	s_setpc_b64 s[14:15]
.LBB1_15184:
	v_mov_b32_e32 v6, 0
	v_cmp_ne_u16_sdwa s[8:9], v3, v6 src0_sel:BYTE_0 src1_sel:DWORD
	s_andn2_b64 s[4:5], s[4:5], exec
	s_and_b64 s[8:9], s[8:9], exec
	s_or_b64 s[4:5], s[4:5], s[8:9]
	s_or_b64 exec, exec, s[6:7]
	s_and_saveexec_b64 s[6:7], s[4:5]
	s_cbranch_execz .LBB1_29095
; %bb.51023:
	s_getpc_b64 s[14:15]
.Lpost_getpc11175:
	s_add_u32 s14, s14, (.LBB1_847-.Lpost_getpc11175)&4294967295
	s_addc_u32 s15, s15, (.LBB1_847-.Lpost_getpc11175)>>32
	s_setpc_b64 s[14:15]
.LBB1_29095:
	s_getpc_b64 s[14:15]
.Lpost_getpc211:
	s_add_u32 s14, s14, (.LBB1_848-.Lpost_getpc211)&4294967295
	s_addc_u32 s15, s15, (.LBB1_848-.Lpost_getpc211)>>32
	s_setpc_b64 s[14:15]
.LBB1_15185:
	s_movk_i32 s4, 0x80
	v_cmp_eq_u16_e32 vcc, s4, v3
	s_mov_b64 s[4:5], -1
                                        ; implicit-def: $sgpr10
	s_and_saveexec_b64 s[8:9], vcc
; %bb.15186:
	s_mov_b32 s10, 0x7f800001
	s_xor_b64 s[4:5], exec, -1
; %bb.15187:
	s_or_b64 exec, exec, s[8:9]
	s_and_b64 s[4:5], s[4:5], exec
                                        ; implicit-def: $vgpr3
	s_or_saveexec_b64 s[6:7], s[6:7]
	v_mov_b32_e32 v2, s10
	s_xor_b64 exec, exec, s[6:7]
	s_cbranch_execnz .LBB1_15188
; %bb.51025:
	s_getpc_b64 s[14:15]
.Lpost_getpc11176:
	s_add_u32 s14, s14, (.LBB1_850-.Lpost_getpc11176)&4294967295
	s_addc_u32 s15, s15, (.LBB1_850-.Lpost_getpc11176)>>32
	s_setpc_b64 s[14:15]
.LBB1_15188:
	v_cmp_ne_u16_e32 vcc, 0, v3
	s_andn2_b64 s[4:5], s[4:5], exec
	s_and_b64 s[8:9], vcc, exec
	v_mov_b32_e32 v2, 0
	s_or_b64 s[4:5], s[4:5], s[8:9]
	s_or_b64 exec, exec, s[6:7]
	s_and_saveexec_b64 s[6:7], s[4:5]
	s_cbranch_execz .LBB1_29097
; %bb.51027:
	s_getpc_b64 s[14:15]
.Lpost_getpc11177:
	s_add_u32 s14, s14, (.LBB1_851-.Lpost_getpc11177)&4294967295
	s_addc_u32 s15, s15, (.LBB1_851-.Lpost_getpc11177)>>32
	s_setpc_b64 s[14:15]
.LBB1_29097:
	s_getpc_b64 s[14:15]
.Lpost_getpc212:
	s_add_u32 s14, s14, (.LBB1_852-.Lpost_getpc212)&4294967295
	s_addc_u32 s15, s15, (.LBB1_852-.Lpost_getpc212)>>32
	s_setpc_b64 s[14:15]
.LBB1_15189:
	s_movk_i32 s4, 0x80
	v_cmp_eq_u16_e32 vcc, s4, v3
	s_mov_b64 s[4:5], -1
                                        ; implicit-def: $sgpr10
	s_and_saveexec_b64 s[8:9], vcc
; %bb.15190:
	s_mov_b32 s10, 0x7f800001
	s_xor_b64 s[4:5], exec, -1
; %bb.15191:
	s_or_b64 exec, exec, s[8:9]
	s_and_b64 s[4:5], s[4:5], exec
                                        ; implicit-def: $vgpr3
	s_or_saveexec_b64 s[6:7], s[6:7]
	v_mov_b32_e32 v6, s10
	s_xor_b64 exec, exec, s[6:7]
	s_cbranch_execnz .LBB1_15192
; %bb.51029:
	s_getpc_b64 s[14:15]
.Lpost_getpc11178:
	s_add_u32 s14, s14, (.LBB1_854-.Lpost_getpc11178)&4294967295
	s_addc_u32 s15, s15, (.LBB1_854-.Lpost_getpc11178)>>32
	s_setpc_b64 s[14:15]
.LBB1_15192:
	v_cmp_ne_u16_e32 vcc, 0, v3
	s_andn2_b64 s[4:5], s[4:5], exec
	s_and_b64 s[8:9], vcc, exec
	v_mov_b32_e32 v6, 0
	s_or_b64 s[4:5], s[4:5], s[8:9]
	s_or_b64 exec, exec, s[6:7]
	s_and_saveexec_b64 s[6:7], s[4:5]
	s_cbranch_execz .LBB1_29099
; %bb.51031:
	s_getpc_b64 s[14:15]
.Lpost_getpc11179:
	s_add_u32 s14, s14, (.LBB1_855-.Lpost_getpc11179)&4294967295
	s_addc_u32 s15, s15, (.LBB1_855-.Lpost_getpc11179)>>32
	s_setpc_b64 s[14:15]
.LBB1_29099:
	s_getpc_b64 s[14:15]
.Lpost_getpc213:
	s_add_u32 s14, s14, (.LBB1_856-.Lpost_getpc213)&4294967295
	s_addc_u32 s15, s15, (.LBB1_856-.Lpost_getpc213)>>32
	s_setpc_b64 s[14:15]
.LBB1_15193:
	s_movk_i32 s4, 0x80
	v_cmp_eq_u16_sdwa s[12:13], v8, s4 src0_sel:BYTE_3 src1_sel:DWORD
	s_mov_b64 s[4:5], -1
                                        ; implicit-def: $sgpr10
	s_and_saveexec_b64 s[8:9], s[12:13]
; %bb.15194:
	s_mov_b32 s10, 0x7f800001
	s_xor_b64 s[4:5], exec, -1
; %bb.15195:
	s_or_b64 exec, exec, s[8:9]
	s_and_b64 s[4:5], s[4:5], exec
	s_or_saveexec_b64 s[6:7], s[6:7]
	v_mov_b32_e32 v2, s10
	s_xor_b64 exec, exec, s[6:7]
	s_cbranch_execnz .LBB1_15196
; %bb.51033:
	s_getpc_b64 s[14:15]
.Lpost_getpc11180:
	s_add_u32 s14, s14, (.LBB1_858-.Lpost_getpc11180)&4294967295
	s_addc_u32 s15, s15, (.LBB1_858-.Lpost_getpc11180)>>32
	s_setpc_b64 s[14:15]
.LBB1_15196:
	v_mov_b32_e32 v2, 0
	v_cmp_ne_u16_sdwa s[8:9], v8, v2 src0_sel:BYTE_3 src1_sel:DWORD
	s_andn2_b64 s[4:5], s[4:5], exec
	s_and_b64 s[8:9], s[8:9], exec
	s_or_b64 s[4:5], s[4:5], s[8:9]
	s_or_b64 exec, exec, s[6:7]
	s_and_saveexec_b64 s[6:7], s[4:5]
	s_cbranch_execz .LBB1_29101
; %bb.51035:
	s_getpc_b64 s[14:15]
.Lpost_getpc11181:
	s_add_u32 s14, s14, (.LBB1_859-.Lpost_getpc11181)&4294967295
	s_addc_u32 s15, s15, (.LBB1_859-.Lpost_getpc11181)>>32
	s_setpc_b64 s[14:15]
.LBB1_29101:
	s_getpc_b64 s[14:15]
.Lpost_getpc214:
	s_add_u32 s14, s14, (.LBB1_860-.Lpost_getpc214)&4294967295
	s_addc_u32 s15, s15, (.LBB1_860-.Lpost_getpc214)>>32
	s_setpc_b64 s[14:15]
.LBB1_15197:
	s_movk_i32 s4, 0x80
	v_cmp_eq_u16_sdwa s[12:13], v4, s4 src0_sel:BYTE_3 src1_sel:DWORD
	s_mov_b64 s[4:5], -1
                                        ; implicit-def: $sgpr10
	s_and_saveexec_b64 s[8:9], s[12:13]
; %bb.15198:
	s_mov_b32 s10, 0x7f800001
	s_xor_b64 s[4:5], exec, -1
; %bb.15199:
	s_or_b64 exec, exec, s[8:9]
	s_and_b64 s[4:5], s[4:5], exec
	s_or_saveexec_b64 s[6:7], s[6:7]
	v_mov_b32_e32 v3, s10
	s_xor_b64 exec, exec, s[6:7]
	s_cbranch_execnz .LBB1_15200
; %bb.51037:
	s_getpc_b64 s[14:15]
.Lpost_getpc11182:
	s_add_u32 s14, s14, (.LBB1_862-.Lpost_getpc11182)&4294967295
	s_addc_u32 s15, s15, (.LBB1_862-.Lpost_getpc11182)>>32
	s_setpc_b64 s[14:15]
.LBB1_15200:
	v_mov_b32_e32 v3, 0
	v_cmp_ne_u16_sdwa s[8:9], v4, v3 src0_sel:BYTE_3 src1_sel:DWORD
	s_andn2_b64 s[4:5], s[4:5], exec
	s_and_b64 s[8:9], s[8:9], exec
	s_or_b64 s[4:5], s[4:5], s[8:9]
	s_or_b64 exec, exec, s[6:7]
	s_and_saveexec_b64 s[6:7], s[4:5]
	s_cbranch_execz .LBB1_29103
; %bb.51039:
	s_getpc_b64 s[14:15]
.Lpost_getpc11183:
	s_add_u32 s14, s14, (.LBB1_863-.Lpost_getpc11183)&4294967295
	s_addc_u32 s15, s15, (.LBB1_863-.Lpost_getpc11183)>>32
	s_setpc_b64 s[14:15]
.LBB1_29103:
	s_getpc_b64 s[14:15]
.Lpost_getpc215:
	s_add_u32 s14, s14, (.LBB1_864-.Lpost_getpc215)&4294967295
	s_addc_u32 s15, s15, (.LBB1_864-.Lpost_getpc215)>>32
	s_setpc_b64 s[14:15]
.LBB1_15201:
	s_movk_i32 s4, 0x80
	v_cmp_eq_u16_sdwa s[12:13], v9, s4 src0_sel:BYTE_0 src1_sel:DWORD
	s_mov_b64 s[4:5], -1
                                        ; implicit-def: $sgpr10
	s_and_saveexec_b64 s[8:9], s[12:13]
; %bb.15202:
	s_mov_b32 s10, 0x7f800001
	s_xor_b64 s[4:5], exec, -1
; %bb.15203:
	s_or_b64 exec, exec, s[8:9]
	s_and_b64 s[4:5], s[4:5], exec
	s_or_saveexec_b64 s[6:7], s[6:7]
	v_mov_b32_e32 v2, s10
	s_xor_b64 exec, exec, s[6:7]
	s_cbranch_execnz .LBB1_15204
; %bb.51041:
	s_getpc_b64 s[14:15]
.Lpost_getpc11184:
	s_add_u32 s14, s14, (.LBB1_866-.Lpost_getpc11184)&4294967295
	s_addc_u32 s15, s15, (.LBB1_866-.Lpost_getpc11184)>>32
	s_setpc_b64 s[14:15]
.LBB1_15204:
	v_mov_b32_e32 v2, 0
	v_cmp_ne_u16_sdwa s[8:9], v9, v2 src0_sel:BYTE_0 src1_sel:DWORD
	s_andn2_b64 s[4:5], s[4:5], exec
	s_and_b64 s[8:9], s[8:9], exec
	s_or_b64 s[4:5], s[4:5], s[8:9]
	s_or_b64 exec, exec, s[6:7]
	s_and_saveexec_b64 s[6:7], s[4:5]
	s_cbranch_execz .LBB1_29105
; %bb.51043:
	s_getpc_b64 s[14:15]
.Lpost_getpc11185:
	s_add_u32 s14, s14, (.LBB1_867-.Lpost_getpc11185)&4294967295
	s_addc_u32 s15, s15, (.LBB1_867-.Lpost_getpc11185)>>32
	s_setpc_b64 s[14:15]
.LBB1_29105:
	s_getpc_b64 s[14:15]
.Lpost_getpc216:
	s_add_u32 s14, s14, (.LBB1_868-.Lpost_getpc216)&4294967295
	s_addc_u32 s15, s15, (.LBB1_868-.Lpost_getpc216)>>32
	s_setpc_b64 s[14:15]
.LBB1_15205:
	s_movk_i32 s4, 0x80
	v_cmp_eq_u16_sdwa s[12:13], v5, s4 src0_sel:BYTE_0 src1_sel:DWORD
	s_mov_b64 s[4:5], -1
                                        ; implicit-def: $sgpr10
	s_and_saveexec_b64 s[8:9], s[12:13]
; %bb.15206:
	s_mov_b32 s10, 0x7f800001
	s_xor_b64 s[4:5], exec, -1
; %bb.15207:
	s_or_b64 exec, exec, s[8:9]
	s_and_b64 s[4:5], s[4:5], exec
	s_or_saveexec_b64 s[6:7], s[6:7]
	v_mov_b32_e32 v3, s10
	s_xor_b64 exec, exec, s[6:7]
	s_cbranch_execnz .LBB1_15208
; %bb.51045:
	s_getpc_b64 s[14:15]
.Lpost_getpc11186:
	s_add_u32 s14, s14, (.LBB1_870-.Lpost_getpc11186)&4294967295
	s_addc_u32 s15, s15, (.LBB1_870-.Lpost_getpc11186)>>32
	s_setpc_b64 s[14:15]
.LBB1_15208:
	v_mov_b32_e32 v3, 0
	v_cmp_ne_u16_sdwa s[8:9], v5, v3 src0_sel:BYTE_0 src1_sel:DWORD
	s_andn2_b64 s[4:5], s[4:5], exec
	s_and_b64 s[8:9], s[8:9], exec
	s_or_b64 s[4:5], s[4:5], s[8:9]
	s_or_b64 exec, exec, s[6:7]
	s_and_saveexec_b64 s[6:7], s[4:5]
	s_cbranch_execz .LBB1_29107
; %bb.51047:
	s_getpc_b64 s[14:15]
.Lpost_getpc11187:
	s_add_u32 s14, s14, (.LBB1_871-.Lpost_getpc11187)&4294967295
	s_addc_u32 s15, s15, (.LBB1_871-.Lpost_getpc11187)>>32
	s_setpc_b64 s[14:15]
.LBB1_29107:
	s_getpc_b64 s[14:15]
.Lpost_getpc217:
	s_add_u32 s14, s14, (.LBB1_872-.Lpost_getpc217)&4294967295
	s_addc_u32 s15, s15, (.LBB1_872-.Lpost_getpc217)>>32
	s_setpc_b64 s[14:15]
.LBB1_15209:
	s_movk_i32 s4, 0x80
	v_cmp_eq_u16_sdwa s[12:13], v3, s4 src0_sel:BYTE_0 src1_sel:DWORD
	s_mov_b64 s[4:5], -1
                                        ; implicit-def: $sgpr10
	s_and_saveexec_b64 s[8:9], s[12:13]
; %bb.15210:
	s_mov_b32 s10, 0x7f800001
	s_xor_b64 s[4:5], exec, -1
; %bb.15211:
	s_or_b64 exec, exec, s[8:9]
	s_and_b64 s[4:5], s[4:5], exec
	s_or_saveexec_b64 s[6:7], s[6:7]
	v_mov_b32_e32 v2, s10
	s_xor_b64 exec, exec, s[6:7]
	s_cbranch_execnz .LBB1_15212
; %bb.51049:
	s_getpc_b64 s[14:15]
.Lpost_getpc11188:
	s_add_u32 s14, s14, (.LBB1_874-.Lpost_getpc11188)&4294967295
	s_addc_u32 s15, s15, (.LBB1_874-.Lpost_getpc11188)>>32
	s_setpc_b64 s[14:15]
.LBB1_15212:
	v_mov_b32_e32 v2, 0
	v_cmp_ne_u16_sdwa s[8:9], v3, v2 src0_sel:BYTE_0 src1_sel:DWORD
	s_andn2_b64 s[4:5], s[4:5], exec
	s_and_b64 s[8:9], s[8:9], exec
	s_or_b64 s[4:5], s[4:5], s[8:9]
	s_or_b64 exec, exec, s[6:7]
	s_and_saveexec_b64 s[6:7], s[4:5]
	s_cbranch_execz .LBB1_29109
; %bb.51051:
	s_getpc_b64 s[14:15]
.Lpost_getpc11189:
	s_add_u32 s14, s14, (.LBB1_875-.Lpost_getpc11189)&4294967295
	s_addc_u32 s15, s15, (.LBB1_875-.Lpost_getpc11189)>>32
	s_setpc_b64 s[14:15]
.LBB1_29109:
	s_getpc_b64 s[14:15]
.Lpost_getpc218:
	s_add_u32 s14, s14, (.LBB1_876-.Lpost_getpc218)&4294967295
	s_addc_u32 s15, s15, (.LBB1_876-.Lpost_getpc218)>>32
	s_setpc_b64 s[14:15]
.LBB1_15213:
	s_movk_i32 s4, 0x80
	v_cmp_eq_u16_sdwa s[12:13], v3, s4 src0_sel:BYTE_0 src1_sel:DWORD
	s_mov_b64 s[4:5], -1
                                        ; implicit-def: $sgpr10
	s_and_saveexec_b64 s[8:9], s[12:13]
; %bb.15214:
	s_mov_b32 s10, 0x7f800001
	s_xor_b64 s[4:5], exec, -1
; %bb.15215:
	s_or_b64 exec, exec, s[8:9]
	s_and_b64 s[4:5], s[4:5], exec
	s_or_saveexec_b64 s[6:7], s[6:7]
	v_mov_b32_e32 v4, s10
	s_xor_b64 exec, exec, s[6:7]
	s_cbranch_execnz .LBB1_15216
; %bb.51053:
	s_getpc_b64 s[14:15]
.Lpost_getpc11190:
	s_add_u32 s14, s14, (.LBB1_878-.Lpost_getpc11190)&4294967295
	s_addc_u32 s15, s15, (.LBB1_878-.Lpost_getpc11190)>>32
	s_setpc_b64 s[14:15]
.LBB1_15216:
	v_mov_b32_e32 v4, 0
	v_cmp_ne_u16_sdwa s[8:9], v3, v4 src0_sel:BYTE_0 src1_sel:DWORD
	s_andn2_b64 s[4:5], s[4:5], exec
	s_and_b64 s[8:9], s[8:9], exec
	s_or_b64 s[4:5], s[4:5], s[8:9]
	s_or_b64 exec, exec, s[6:7]
	s_and_saveexec_b64 s[6:7], s[4:5]
	s_cbranch_execz .LBB1_29111
; %bb.51055:
	s_getpc_b64 s[14:15]
.Lpost_getpc11191:
	s_add_u32 s14, s14, (.LBB1_879-.Lpost_getpc11191)&4294967295
	s_addc_u32 s15, s15, (.LBB1_879-.Lpost_getpc11191)>>32
	s_setpc_b64 s[14:15]
.LBB1_29111:
	s_getpc_b64 s[14:15]
.Lpost_getpc219:
	s_add_u32 s14, s14, (.LBB1_880-.Lpost_getpc219)&4294967295
	s_addc_u32 s15, s15, (.LBB1_880-.Lpost_getpc219)>>32
	s_setpc_b64 s[14:15]
.LBB1_15217:
	s_movk_i32 s4, 0x80
	v_cmp_eq_u16_e32 vcc, s4, v3
	s_mov_b64 s[4:5], -1
                                        ; implicit-def: $sgpr10
	s_and_saveexec_b64 s[8:9], vcc
; %bb.15218:
	s_mov_b32 s10, 0x7f800001
	s_xor_b64 s[4:5], exec, -1
; %bb.15219:
	s_or_b64 exec, exec, s[8:9]
	s_and_b64 s[4:5], s[4:5], exec
                                        ; implicit-def: $vgpr3
	s_or_saveexec_b64 s[6:7], s[6:7]
	v_mov_b32_e32 v2, s10
	s_xor_b64 exec, exec, s[6:7]
	s_cbranch_execnz .LBB1_15220
; %bb.51057:
	s_getpc_b64 s[14:15]
.Lpost_getpc11192:
	s_add_u32 s14, s14, (.LBB1_882-.Lpost_getpc11192)&4294967295
	s_addc_u32 s15, s15, (.LBB1_882-.Lpost_getpc11192)>>32
	s_setpc_b64 s[14:15]
.LBB1_15220:
	v_cmp_ne_u16_e32 vcc, 0, v3
	s_andn2_b64 s[4:5], s[4:5], exec
	s_and_b64 s[8:9], vcc, exec
	v_mov_b32_e32 v2, 0
	s_or_b64 s[4:5], s[4:5], s[8:9]
	s_or_b64 exec, exec, s[6:7]
	s_and_saveexec_b64 s[6:7], s[4:5]
	s_cbranch_execz .LBB1_29113
; %bb.51059:
	s_getpc_b64 s[14:15]
.Lpost_getpc11193:
	s_add_u32 s14, s14, (.LBB1_883-.Lpost_getpc11193)&4294967295
	s_addc_u32 s15, s15, (.LBB1_883-.Lpost_getpc11193)>>32
	s_setpc_b64 s[14:15]
.LBB1_29113:
	s_getpc_b64 s[14:15]
.Lpost_getpc220:
	s_add_u32 s14, s14, (.LBB1_884-.Lpost_getpc220)&4294967295
	s_addc_u32 s15, s15, (.LBB1_884-.Lpost_getpc220)>>32
	s_setpc_b64 s[14:15]
.LBB1_15221:
	s_movk_i32 s4, 0x80
	v_cmp_eq_u16_e32 vcc, s4, v3
	s_mov_b64 s[4:5], -1
                                        ; implicit-def: $sgpr10
	s_and_saveexec_b64 s[8:9], vcc
; %bb.15222:
	s_mov_b32 s10, 0x7f800001
	s_xor_b64 s[4:5], exec, -1
; %bb.15223:
	s_or_b64 exec, exec, s[8:9]
	s_and_b64 s[4:5], s[4:5], exec
                                        ; implicit-def: $vgpr3
	s_or_saveexec_b64 s[6:7], s[6:7]
	v_mov_b32_e32 v4, s10
	s_xor_b64 exec, exec, s[6:7]
	s_cbranch_execnz .LBB1_15224
; %bb.51061:
	s_getpc_b64 s[14:15]
.Lpost_getpc11194:
	s_add_u32 s14, s14, (.LBB1_886-.Lpost_getpc11194)&4294967295
	s_addc_u32 s15, s15, (.LBB1_886-.Lpost_getpc11194)>>32
	s_setpc_b64 s[14:15]
.LBB1_15224:
	v_cmp_ne_u16_e32 vcc, 0, v3
	s_andn2_b64 s[4:5], s[4:5], exec
	s_and_b64 s[8:9], vcc, exec
	v_mov_b32_e32 v4, 0
	s_or_b64 s[4:5], s[4:5], s[8:9]
	s_or_b64 exec, exec, s[6:7]
	s_and_saveexec_b64 s[6:7], s[4:5]
	s_cbranch_execz .LBB1_29115
; %bb.51063:
	s_getpc_b64 s[14:15]
.Lpost_getpc11195:
	s_add_u32 s14, s14, (.LBB1_887-.Lpost_getpc11195)&4294967295
	s_addc_u32 s15, s15, (.LBB1_887-.Lpost_getpc11195)>>32
	s_setpc_b64 s[14:15]
.LBB1_29115:
	s_getpc_b64 s[14:15]
.Lpost_getpc221:
	s_add_u32 s14, s14, (.LBB1_888-.Lpost_getpc221)&4294967295
	s_addc_u32 s15, s15, (.LBB1_888-.Lpost_getpc221)>>32
	s_setpc_b64 s[14:15]
.LBB1_15225:
	s_movk_i32 s4, 0x80
	v_cmp_eq_u16_sdwa s[12:13], v9, s4 src0_sel:BYTE_3 src1_sel:DWORD
	s_mov_b64 s[4:5], -1
                                        ; implicit-def: $sgpr10
	s_and_saveexec_b64 s[8:9], s[12:13]
; %bb.15226:
	s_mov_b32 s10, 0x7f800001
	s_xor_b64 s[4:5], exec, -1
; %bb.15227:
	s_or_b64 exec, exec, s[8:9]
	s_and_b64 s[4:5], s[4:5], exec
	s_or_saveexec_b64 s[6:7], s[6:7]
	v_mov_b32_e32 v2, s10
	s_xor_b64 exec, exec, s[6:7]
	s_cbranch_execnz .LBB1_15228
; %bb.51065:
	s_getpc_b64 s[14:15]
.Lpost_getpc11196:
	s_add_u32 s14, s14, (.LBB1_890-.Lpost_getpc11196)&4294967295
	s_addc_u32 s15, s15, (.LBB1_890-.Lpost_getpc11196)>>32
	s_setpc_b64 s[14:15]
.LBB1_15228:
	v_mov_b32_e32 v2, 0
	v_cmp_ne_u16_sdwa s[8:9], v9, v2 src0_sel:BYTE_3 src1_sel:DWORD
	s_andn2_b64 s[4:5], s[4:5], exec
	s_and_b64 s[8:9], s[8:9], exec
	s_or_b64 s[4:5], s[4:5], s[8:9]
	s_or_b64 exec, exec, s[6:7]
	s_and_saveexec_b64 s[6:7], s[4:5]
	s_cbranch_execz .LBB1_29117
; %bb.51067:
	s_getpc_b64 s[14:15]
.Lpost_getpc11197:
	s_add_u32 s14, s14, (.LBB1_891-.Lpost_getpc11197)&4294967295
	s_addc_u32 s15, s15, (.LBB1_891-.Lpost_getpc11197)>>32
	s_setpc_b64 s[14:15]
.LBB1_29117:
	s_getpc_b64 s[14:15]
.Lpost_getpc222:
	s_add_u32 s14, s14, (.LBB1_892-.Lpost_getpc222)&4294967295
	s_addc_u32 s15, s15, (.LBB1_892-.Lpost_getpc222)>>32
	s_setpc_b64 s[14:15]
.LBB1_15229:
	s_movk_i32 s4, 0x80
	v_cmp_eq_u16_sdwa s[12:13], v5, s4 src0_sel:BYTE_3 src1_sel:DWORD
	s_mov_b64 s[4:5], -1
                                        ; implicit-def: $sgpr10
	s_and_saveexec_b64 s[8:9], s[12:13]
; %bb.15230:
	s_mov_b32 s10, 0x7f800001
	s_xor_b64 s[4:5], exec, -1
; %bb.15231:
	s_or_b64 exec, exec, s[8:9]
	s_and_b64 s[4:5], s[4:5], exec
	s_or_saveexec_b64 s[6:7], s[6:7]
	v_mov_b32_e32 v3, s10
	s_xor_b64 exec, exec, s[6:7]
	s_cbranch_execnz .LBB1_15232
; %bb.51069:
	s_getpc_b64 s[14:15]
.Lpost_getpc11198:
	s_add_u32 s14, s14, (.LBB1_894-.Lpost_getpc11198)&4294967295
	s_addc_u32 s15, s15, (.LBB1_894-.Lpost_getpc11198)>>32
	s_setpc_b64 s[14:15]
.LBB1_15232:
	v_mov_b32_e32 v3, 0
	v_cmp_ne_u16_sdwa s[8:9], v5, v3 src0_sel:BYTE_3 src1_sel:DWORD
	s_andn2_b64 s[4:5], s[4:5], exec
	s_and_b64 s[8:9], s[8:9], exec
	s_or_b64 s[4:5], s[4:5], s[8:9]
	s_or_b64 exec, exec, s[6:7]
	s_and_saveexec_b64 s[6:7], s[4:5]
	s_cbranch_execz .LBB1_29119
; %bb.51071:
	s_getpc_b64 s[14:15]
.Lpost_getpc11199:
	s_add_u32 s14, s14, (.LBB1_895-.Lpost_getpc11199)&4294967295
	s_addc_u32 s15, s15, (.LBB1_895-.Lpost_getpc11199)>>32
	s_setpc_b64 s[14:15]
.LBB1_29119:
	s_getpc_b64 s[14:15]
.Lpost_getpc223:
	s_add_u32 s14, s14, (.LBB1_896-.Lpost_getpc223)&4294967295
	s_addc_u32 s15, s15, (.LBB1_896-.Lpost_getpc223)>>32
	s_setpc_b64 s[14:15]
.LBB1_15233:
	s_movk_i32 s4, 0x80
	v_cmp_eq_u16_sdwa s[12:13], v6, s4 src0_sel:BYTE_0 src1_sel:DWORD
	s_mov_b64 s[4:5], -1
                                        ; implicit-def: $sgpr10
	s_and_saveexec_b64 s[8:9], s[12:13]
; %bb.15234:
	s_mov_b32 s10, 0x7f800001
	s_xor_b64 s[4:5], exec, -1
; %bb.15235:
	s_or_b64 exec, exec, s[8:9]
	s_and_b64 s[4:5], s[4:5], exec
	s_or_saveexec_b64 s[6:7], s[6:7]
	v_mov_b32_e32 v12, s10
	s_xor_b64 exec, exec, s[6:7]
	s_cbranch_execnz .LBB1_15236
; %bb.51073:
	s_getpc_b64 s[14:15]
.Lpost_getpc11200:
	s_add_u32 s14, s14, (.LBB1_898-.Lpost_getpc11200)&4294967295
	s_addc_u32 s15, s15, (.LBB1_898-.Lpost_getpc11200)>>32
	s_setpc_b64 s[14:15]
.LBB1_15236:
	v_mov_b32_e32 v12, 0
	v_cmp_ne_u16_sdwa s[8:9], v6, v12 src0_sel:BYTE_0 src1_sel:DWORD
	s_andn2_b64 s[4:5], s[4:5], exec
	s_and_b64 s[8:9], s[8:9], exec
	s_or_b64 s[4:5], s[4:5], s[8:9]
	s_or_b64 exec, exec, s[6:7]
	s_and_saveexec_b64 s[6:7], s[4:5]
	s_cbranch_execz .LBB1_29121
; %bb.51075:
	s_getpc_b64 s[14:15]
.Lpost_getpc11201:
	s_add_u32 s14, s14, (.LBB1_899-.Lpost_getpc11201)&4294967295
	s_addc_u32 s15, s15, (.LBB1_899-.Lpost_getpc11201)>>32
	s_setpc_b64 s[14:15]
.LBB1_29121:
	s_getpc_b64 s[14:15]
.Lpost_getpc224:
	s_add_u32 s14, s14, (.LBB1_900-.Lpost_getpc224)&4294967295
	s_addc_u32 s15, s15, (.LBB1_900-.Lpost_getpc224)>>32
	s_setpc_b64 s[14:15]
.LBB1_15237:
	s_movk_i32 s4, 0x80
	v_cmp_eq_u16_sdwa s[12:13], v2, s4 src0_sel:BYTE_0 src1_sel:DWORD
	s_mov_b64 s[4:5], -1
                                        ; implicit-def: $sgpr10
	s_and_saveexec_b64 s[8:9], s[12:13]
; %bb.15238:
	s_mov_b32 s10, 0x7f800001
	s_xor_b64 s[4:5], exec, -1
; %bb.15239:
	s_or_b64 exec, exec, s[8:9]
	s_and_b64 s[4:5], s[4:5], exec
	s_or_saveexec_b64 s[6:7], s[6:7]
	v_mov_b32_e32 v13, s10
	s_xor_b64 exec, exec, s[6:7]
	s_cbranch_execnz .LBB1_15240
; %bb.51077:
	s_getpc_b64 s[14:15]
.Lpost_getpc11202:
	s_add_u32 s14, s14, (.LBB1_902-.Lpost_getpc11202)&4294967295
	s_addc_u32 s15, s15, (.LBB1_902-.Lpost_getpc11202)>>32
	s_setpc_b64 s[14:15]
.LBB1_15240:
	v_mov_b32_e32 v13, 0
	v_cmp_ne_u16_sdwa s[8:9], v2, v13 src0_sel:BYTE_0 src1_sel:DWORD
	s_andn2_b64 s[4:5], s[4:5], exec
	s_and_b64 s[8:9], s[8:9], exec
	s_or_b64 s[4:5], s[4:5], s[8:9]
	s_or_b64 exec, exec, s[6:7]
	s_and_saveexec_b64 s[6:7], s[4:5]
	s_cbranch_execz .LBB1_29123
; %bb.51079:
	s_getpc_b64 s[14:15]
.Lpost_getpc11203:
	s_add_u32 s14, s14, (.LBB1_903-.Lpost_getpc11203)&4294967295
	s_addc_u32 s15, s15, (.LBB1_903-.Lpost_getpc11203)>>32
	s_setpc_b64 s[14:15]
.LBB1_29123:
	s_getpc_b64 s[14:15]
.Lpost_getpc225:
	s_add_u32 s14, s14, (.LBB1_904-.Lpost_getpc225)&4294967295
	s_addc_u32 s15, s15, (.LBB1_904-.Lpost_getpc225)>>32
	s_setpc_b64 s[14:15]
.LBB1_15241:
	s_movk_i32 s4, 0x80
	v_cmp_eq_u16_sdwa s[12:13], v13, s4 src0_sel:BYTE_0 src1_sel:DWORD
	s_mov_b64 s[4:5], -1
                                        ; implicit-def: $sgpr10
	s_and_saveexec_b64 s[8:9], s[12:13]
; %bb.15242:
	s_mov_b32 s10, 0x7f800001
	s_xor_b64 s[4:5], exec, -1
; %bb.15243:
	s_or_b64 exec, exec, s[8:9]
	s_and_b64 s[4:5], s[4:5], exec
	s_or_saveexec_b64 s[6:7], s[6:7]
	v_mov_b32_e32 v12, s10
	s_xor_b64 exec, exec, s[6:7]
	s_cbranch_execnz .LBB1_15244
; %bb.51081:
	s_getpc_b64 s[14:15]
.Lpost_getpc11204:
	s_add_u32 s14, s14, (.LBB1_906-.Lpost_getpc11204)&4294967295
	s_addc_u32 s15, s15, (.LBB1_906-.Lpost_getpc11204)>>32
	s_setpc_b64 s[14:15]
.LBB1_15244:
	v_mov_b32_e32 v12, 0
	v_cmp_ne_u16_sdwa s[8:9], v13, v12 src0_sel:BYTE_0 src1_sel:DWORD
	s_andn2_b64 s[4:5], s[4:5], exec
	s_and_b64 s[8:9], s[8:9], exec
	s_or_b64 s[4:5], s[4:5], s[8:9]
	s_or_b64 exec, exec, s[6:7]
	s_and_saveexec_b64 s[6:7], s[4:5]
	s_cbranch_execz .LBB1_29125
; %bb.51083:
	s_getpc_b64 s[14:15]
.Lpost_getpc11205:
	s_add_u32 s14, s14, (.LBB1_907-.Lpost_getpc11205)&4294967295
	s_addc_u32 s15, s15, (.LBB1_907-.Lpost_getpc11205)>>32
	s_setpc_b64 s[14:15]
.LBB1_29125:
	s_getpc_b64 s[14:15]
.Lpost_getpc226:
	s_add_u32 s14, s14, (.LBB1_908-.Lpost_getpc226)&4294967295
	s_addc_u32 s15, s15, (.LBB1_908-.Lpost_getpc226)>>32
	s_setpc_b64 s[14:15]
.LBB1_15245:
	s_movk_i32 s4, 0x80
	v_cmp_eq_u16_sdwa s[12:13], v13, s4 src0_sel:BYTE_0 src1_sel:DWORD
	s_mov_b64 s[4:5], -1
                                        ; implicit-def: $sgpr10
	s_and_saveexec_b64 s[8:9], s[12:13]
; %bb.15246:
	s_mov_b32 s10, 0x7f800001
	s_xor_b64 s[4:5], exec, -1
; %bb.15247:
	s_or_b64 exec, exec, s[8:9]
	s_and_b64 s[4:5], s[4:5], exec
	s_or_saveexec_b64 s[6:7], s[6:7]
	v_mov_b32_e32 v14, s10
	s_xor_b64 exec, exec, s[6:7]
	s_cbranch_execnz .LBB1_15248
; %bb.51085:
	s_getpc_b64 s[14:15]
.Lpost_getpc11206:
	s_add_u32 s14, s14, (.LBB1_910-.Lpost_getpc11206)&4294967295
	s_addc_u32 s15, s15, (.LBB1_910-.Lpost_getpc11206)>>32
	s_setpc_b64 s[14:15]
.LBB1_15248:
	v_mov_b32_e32 v14, 0
	v_cmp_ne_u16_sdwa s[8:9], v13, v14 src0_sel:BYTE_0 src1_sel:DWORD
	s_andn2_b64 s[4:5], s[4:5], exec
	s_and_b64 s[8:9], s[8:9], exec
	s_or_b64 s[4:5], s[4:5], s[8:9]
	s_or_b64 exec, exec, s[6:7]
	s_and_saveexec_b64 s[6:7], s[4:5]
	s_cbranch_execz .LBB1_29127
; %bb.51087:
	s_getpc_b64 s[14:15]
.Lpost_getpc11207:
	s_add_u32 s14, s14, (.LBB1_911-.Lpost_getpc11207)&4294967295
	s_addc_u32 s15, s15, (.LBB1_911-.Lpost_getpc11207)>>32
	s_setpc_b64 s[14:15]
.LBB1_29127:
	s_getpc_b64 s[14:15]
.Lpost_getpc227:
	s_add_u32 s14, s14, (.LBB1_912-.Lpost_getpc227)&4294967295
	s_addc_u32 s15, s15, (.LBB1_912-.Lpost_getpc227)>>32
	s_setpc_b64 s[14:15]
.LBB1_15249:
	s_movk_i32 s4, 0x80
	v_cmp_eq_u16_e32 vcc, s4, v13
	s_mov_b64 s[4:5], -1
                                        ; implicit-def: $sgpr10
	s_and_saveexec_b64 s[8:9], vcc
; %bb.15250:
	s_mov_b32 s10, 0x7f800001
	s_xor_b64 s[4:5], exec, -1
; %bb.15251:
	s_or_b64 exec, exec, s[8:9]
	s_and_b64 s[4:5], s[4:5], exec
                                        ; implicit-def: $vgpr13
	s_or_saveexec_b64 s[6:7], s[6:7]
	v_mov_b32_e32 v12, s10
	s_xor_b64 exec, exec, s[6:7]
	s_cbranch_execnz .LBB1_15252
; %bb.51089:
	s_getpc_b64 s[14:15]
.Lpost_getpc11208:
	s_add_u32 s14, s14, (.LBB1_914-.Lpost_getpc11208)&4294967295
	s_addc_u32 s15, s15, (.LBB1_914-.Lpost_getpc11208)>>32
	s_setpc_b64 s[14:15]
.LBB1_15252:
	v_cmp_ne_u16_e32 vcc, 0, v13
	s_andn2_b64 s[4:5], s[4:5], exec
	s_and_b64 s[8:9], vcc, exec
	v_mov_b32_e32 v12, 0
	s_or_b64 s[4:5], s[4:5], s[8:9]
	s_or_b64 exec, exec, s[6:7]
	s_and_saveexec_b64 s[6:7], s[4:5]
	s_cbranch_execz .LBB1_29129
; %bb.51091:
	s_getpc_b64 s[14:15]
.Lpost_getpc11209:
	s_add_u32 s14, s14, (.LBB1_915-.Lpost_getpc11209)&4294967295
	s_addc_u32 s15, s15, (.LBB1_915-.Lpost_getpc11209)>>32
	s_setpc_b64 s[14:15]
.LBB1_29129:
	s_getpc_b64 s[14:15]
.Lpost_getpc228:
	s_add_u32 s14, s14, (.LBB1_916-.Lpost_getpc228)&4294967295
	s_addc_u32 s15, s15, (.LBB1_916-.Lpost_getpc228)>>32
	s_setpc_b64 s[14:15]
.LBB1_15253:
	s_movk_i32 s4, 0x80
	v_cmp_eq_u16_e32 vcc, s4, v13
	s_mov_b64 s[4:5], -1
                                        ; implicit-def: $sgpr10
	s_and_saveexec_b64 s[8:9], vcc
; %bb.15254:
	s_mov_b32 s10, 0x7f800001
	s_xor_b64 s[4:5], exec, -1
; %bb.15255:
	s_or_b64 exec, exec, s[8:9]
	s_and_b64 s[4:5], s[4:5], exec
                                        ; implicit-def: $vgpr13
	s_or_saveexec_b64 s[6:7], s[6:7]
	v_mov_b32_e32 v14, s10
	s_xor_b64 exec, exec, s[6:7]
	s_cbranch_execnz .LBB1_15256
; %bb.51093:
	s_getpc_b64 s[14:15]
.Lpost_getpc11210:
	s_add_u32 s14, s14, (.LBB1_918-.Lpost_getpc11210)&4294967295
	s_addc_u32 s15, s15, (.LBB1_918-.Lpost_getpc11210)>>32
	s_setpc_b64 s[14:15]
.LBB1_15256:
	v_cmp_ne_u16_e32 vcc, 0, v13
	s_andn2_b64 s[4:5], s[4:5], exec
	s_and_b64 s[8:9], vcc, exec
	v_mov_b32_e32 v14, 0
	s_or_b64 s[4:5], s[4:5], s[8:9]
	s_or_b64 exec, exec, s[6:7]
	s_and_saveexec_b64 s[6:7], s[4:5]
	s_cbranch_execz .LBB1_29131
; %bb.51095:
	s_getpc_b64 s[14:15]
.Lpost_getpc11211:
	s_add_u32 s14, s14, (.LBB1_919-.Lpost_getpc11211)&4294967295
	s_addc_u32 s15, s15, (.LBB1_919-.Lpost_getpc11211)>>32
	s_setpc_b64 s[14:15]
.LBB1_29131:
	s_getpc_b64 s[14:15]
.Lpost_getpc229:
	s_add_u32 s14, s14, (.LBB1_920-.Lpost_getpc229)&4294967295
	s_addc_u32 s15, s15, (.LBB1_920-.Lpost_getpc229)>>32
	s_setpc_b64 s[14:15]
.LBB1_15257:
	s_movk_i32 s4, 0x80
	v_cmp_eq_u16_sdwa s[12:13], v6, s4 src0_sel:BYTE_3 src1_sel:DWORD
	s_mov_b64 s[4:5], -1
                                        ; implicit-def: $sgpr10
	s_and_saveexec_b64 s[8:9], s[12:13]
; %bb.15258:
	s_mov_b32 s10, 0x7f800001
	s_xor_b64 s[4:5], exec, -1
; %bb.15259:
	s_or_b64 exec, exec, s[8:9]
	s_and_b64 s[4:5], s[4:5], exec
	s_or_saveexec_b64 s[6:7], s[6:7]
	v_mov_b32_e32 v12, s10
	s_xor_b64 exec, exec, s[6:7]
	s_cbranch_execnz .LBB1_15260
; %bb.51097:
	s_getpc_b64 s[14:15]
.Lpost_getpc11212:
	s_add_u32 s14, s14, (.LBB1_922-.Lpost_getpc11212)&4294967295
	s_addc_u32 s15, s15, (.LBB1_922-.Lpost_getpc11212)>>32
	s_setpc_b64 s[14:15]
.LBB1_15260:
	v_mov_b32_e32 v12, 0
	v_cmp_ne_u16_sdwa s[8:9], v6, v12 src0_sel:BYTE_3 src1_sel:DWORD
	s_andn2_b64 s[4:5], s[4:5], exec
	s_and_b64 s[8:9], s[8:9], exec
	s_or_b64 s[4:5], s[4:5], s[8:9]
	s_or_b64 exec, exec, s[6:7]
	s_and_saveexec_b64 s[6:7], s[4:5]
	s_cbranch_execz .LBB1_29133
; %bb.51099:
	s_getpc_b64 s[14:15]
.Lpost_getpc11213:
	s_add_u32 s14, s14, (.LBB1_923-.Lpost_getpc11213)&4294967295
	s_addc_u32 s15, s15, (.LBB1_923-.Lpost_getpc11213)>>32
	s_setpc_b64 s[14:15]
.LBB1_29133:
	s_getpc_b64 s[14:15]
.Lpost_getpc230:
	s_add_u32 s14, s14, (.LBB1_924-.Lpost_getpc230)&4294967295
	s_addc_u32 s15, s15, (.LBB1_924-.Lpost_getpc230)>>32
	s_setpc_b64 s[14:15]
.LBB1_15261:
	s_movk_i32 s4, 0x80
	v_cmp_eq_u16_sdwa s[12:13], v2, s4 src0_sel:BYTE_3 src1_sel:DWORD
	s_mov_b64 s[4:5], -1
                                        ; implicit-def: $sgpr10
	s_and_saveexec_b64 s[8:9], s[12:13]
; %bb.15262:
	s_mov_b32 s10, 0x7f800001
	s_xor_b64 s[4:5], exec, -1
; %bb.15263:
	s_or_b64 exec, exec, s[8:9]
	s_and_b64 s[4:5], s[4:5], exec
	s_or_saveexec_b64 s[6:7], s[6:7]
	v_mov_b32_e32 v6, s10
	s_xor_b64 exec, exec, s[6:7]
	s_cbranch_execnz .LBB1_15264
; %bb.51101:
	s_getpc_b64 s[14:15]
.Lpost_getpc11214:
	s_add_u32 s14, s14, (.LBB1_926-.Lpost_getpc11214)&4294967295
	s_addc_u32 s15, s15, (.LBB1_926-.Lpost_getpc11214)>>32
	s_setpc_b64 s[14:15]
.LBB1_15264:
	v_mov_b32_e32 v6, 0
	v_cmp_ne_u16_sdwa s[8:9], v2, v6 src0_sel:BYTE_3 src1_sel:DWORD
	s_andn2_b64 s[4:5], s[4:5], exec
	s_and_b64 s[8:9], s[8:9], exec
	s_or_b64 s[4:5], s[4:5], s[8:9]
	s_or_b64 exec, exec, s[6:7]
	s_and_saveexec_b64 s[6:7], s[4:5]
	s_cbranch_execz .LBB1_29135
; %bb.51103:
	s_getpc_b64 s[14:15]
.Lpost_getpc11215:
	s_add_u32 s14, s14, (.LBB1_927-.Lpost_getpc11215)&4294967295
	s_addc_u32 s15, s15, (.LBB1_927-.Lpost_getpc11215)>>32
	s_setpc_b64 s[14:15]
.LBB1_29135:
	s_getpc_b64 s[14:15]
.Lpost_getpc231:
	s_add_u32 s14, s14, (.LBB1_928-.Lpost_getpc231)&4294967295
	s_addc_u32 s15, s15, (.LBB1_928-.Lpost_getpc231)>>32
	s_setpc_b64 s[14:15]
.LBB1_15265:
	s_movk_i32 s4, 0x80
	v_cmp_eq_u16_sdwa s[12:13], v7, s4 src0_sel:BYTE_0 src1_sel:DWORD
	s_mov_b64 s[4:5], -1
                                        ; implicit-def: $sgpr10
	s_and_saveexec_b64 s[8:9], s[12:13]
; %bb.15266:
	s_mov_b32 s10, 0x7f800001
	s_xor_b64 s[4:5], exec, -1
; %bb.15267:
	s_or_b64 exec, exec, s[8:9]
	s_and_b64 s[4:5], s[4:5], exec
	s_or_saveexec_b64 s[6:7], s[6:7]
	v_mov_b32_e32 v2, s10
	s_xor_b64 exec, exec, s[6:7]
	s_cbranch_execnz .LBB1_15268
; %bb.51105:
	s_getpc_b64 s[14:15]
.Lpost_getpc11216:
	s_add_u32 s14, s14, (.LBB1_930-.Lpost_getpc11216)&4294967295
	s_addc_u32 s15, s15, (.LBB1_930-.Lpost_getpc11216)>>32
	s_setpc_b64 s[14:15]
.LBB1_15268:
	v_mov_b32_e32 v2, 0
	v_cmp_ne_u16_sdwa s[8:9], v7, v2 src0_sel:BYTE_0 src1_sel:DWORD
	s_andn2_b64 s[4:5], s[4:5], exec
	s_and_b64 s[8:9], s[8:9], exec
	s_or_b64 s[4:5], s[4:5], s[8:9]
	s_or_b64 exec, exec, s[6:7]
	s_and_saveexec_b64 s[6:7], s[4:5]
	s_cbranch_execz .LBB1_29137
; %bb.51107:
	s_getpc_b64 s[14:15]
.Lpost_getpc11217:
	s_add_u32 s14, s14, (.LBB1_931-.Lpost_getpc11217)&4294967295
	s_addc_u32 s15, s15, (.LBB1_931-.Lpost_getpc11217)>>32
	s_setpc_b64 s[14:15]
.LBB1_29137:
	s_getpc_b64 s[14:15]
.Lpost_getpc232:
	s_add_u32 s14, s14, (.LBB1_932-.Lpost_getpc232)&4294967295
	s_addc_u32 s15, s15, (.LBB1_932-.Lpost_getpc232)>>32
	s_setpc_b64 s[14:15]
.LBB1_15269:
	s_movk_i32 s4, 0x80
	v_cmp_eq_u16_sdwa s[12:13], v3, s4 src0_sel:BYTE_0 src1_sel:DWORD
	s_mov_b64 s[4:5], -1
                                        ; implicit-def: $sgpr10
	s_and_saveexec_b64 s[8:9], s[12:13]
; %bb.15270:
	s_mov_b32 s10, 0x7f800001
	s_xor_b64 s[4:5], exec, -1
; %bb.15271:
	s_or_b64 exec, exec, s[8:9]
	s_and_b64 s[4:5], s[4:5], exec
	s_or_saveexec_b64 s[6:7], s[6:7]
	v_mov_b32_e32 v6, s10
	s_xor_b64 exec, exec, s[6:7]
	s_cbranch_execnz .LBB1_15272
; %bb.51109:
	s_getpc_b64 s[14:15]
.Lpost_getpc11218:
	s_add_u32 s14, s14, (.LBB1_934-.Lpost_getpc11218)&4294967295
	s_addc_u32 s15, s15, (.LBB1_934-.Lpost_getpc11218)>>32
	s_setpc_b64 s[14:15]
.LBB1_15272:
	v_mov_b32_e32 v6, 0
	v_cmp_ne_u16_sdwa s[8:9], v3, v6 src0_sel:BYTE_0 src1_sel:DWORD
	s_andn2_b64 s[4:5], s[4:5], exec
	s_and_b64 s[8:9], s[8:9], exec
	s_or_b64 s[4:5], s[4:5], s[8:9]
	s_or_b64 exec, exec, s[6:7]
	s_and_saveexec_b64 s[6:7], s[4:5]
	s_cbranch_execz .LBB1_29139
; %bb.51111:
	s_getpc_b64 s[14:15]
.Lpost_getpc11219:
	s_add_u32 s14, s14, (.LBB1_935-.Lpost_getpc11219)&4294967295
	s_addc_u32 s15, s15, (.LBB1_935-.Lpost_getpc11219)>>32
	s_setpc_b64 s[14:15]
.LBB1_29139:
	s_getpc_b64 s[14:15]
.Lpost_getpc233:
	s_add_u32 s14, s14, (.LBB1_936-.Lpost_getpc233)&4294967295
	s_addc_u32 s15, s15, (.LBB1_936-.Lpost_getpc233)>>32
	s_setpc_b64 s[14:15]
.LBB1_15273:
	s_movk_i32 s4, 0x80
	v_cmp_eq_u16_sdwa s[12:13], v6, s4 src0_sel:BYTE_0 src1_sel:DWORD
	s_mov_b64 s[4:5], -1
                                        ; implicit-def: $sgpr10
	s_and_saveexec_b64 s[8:9], s[12:13]
; %bb.15274:
	s_mov_b32 s10, 0x7f800001
	s_xor_b64 s[4:5], exec, -1
; %bb.15275:
	s_or_b64 exec, exec, s[8:9]
	s_and_b64 s[4:5], s[4:5], exec
	s_or_saveexec_b64 s[6:7], s[6:7]
	v_mov_b32_e32 v2, s10
	s_xor_b64 exec, exec, s[6:7]
	s_cbranch_execnz .LBB1_15276
; %bb.51113:
	s_getpc_b64 s[14:15]
.Lpost_getpc11220:
	s_add_u32 s14, s14, (.LBB1_938-.Lpost_getpc11220)&4294967295
	s_addc_u32 s15, s15, (.LBB1_938-.Lpost_getpc11220)>>32
	s_setpc_b64 s[14:15]
.LBB1_15276:
	v_mov_b32_e32 v2, 0
	v_cmp_ne_u16_sdwa s[8:9], v6, v2 src0_sel:BYTE_0 src1_sel:DWORD
	s_andn2_b64 s[4:5], s[4:5], exec
	s_and_b64 s[8:9], s[8:9], exec
	s_or_b64 s[4:5], s[4:5], s[8:9]
	s_or_b64 exec, exec, s[6:7]
	s_and_saveexec_b64 s[6:7], s[4:5]
	s_cbranch_execz .LBB1_29141
; %bb.51115:
	s_getpc_b64 s[14:15]
.Lpost_getpc11221:
	s_add_u32 s14, s14, (.LBB1_939-.Lpost_getpc11221)&4294967295
	s_addc_u32 s15, s15, (.LBB1_939-.Lpost_getpc11221)>>32
	s_setpc_b64 s[14:15]
.LBB1_29141:
	s_getpc_b64 s[14:15]
.Lpost_getpc234:
	s_add_u32 s14, s14, (.LBB1_940-.Lpost_getpc234)&4294967295
	s_addc_u32 s15, s15, (.LBB1_940-.Lpost_getpc234)>>32
	s_setpc_b64 s[14:15]
.LBB1_15277:
	s_movk_i32 s4, 0x80
	v_cmp_eq_u16_sdwa s[12:13], v6, s4 src0_sel:BYTE_0 src1_sel:DWORD
	s_mov_b64 s[4:5], -1
                                        ; implicit-def: $sgpr10
	s_and_saveexec_b64 s[8:9], s[12:13]
; %bb.15278:
	s_mov_b32 s10, 0x7f800001
	s_xor_b64 s[4:5], exec, -1
; %bb.15279:
	s_or_b64 exec, exec, s[8:9]
	s_and_b64 s[4:5], s[4:5], exec
	s_or_saveexec_b64 s[6:7], s[6:7]
	v_mov_b32_e32 v12, s10
	s_xor_b64 exec, exec, s[6:7]
	s_cbranch_execnz .LBB1_15280
; %bb.51117:
	s_getpc_b64 s[14:15]
.Lpost_getpc11222:
	s_add_u32 s14, s14, (.LBB1_942-.Lpost_getpc11222)&4294967295
	s_addc_u32 s15, s15, (.LBB1_942-.Lpost_getpc11222)>>32
	s_setpc_b64 s[14:15]
.LBB1_15280:
	v_mov_b32_e32 v12, 0
	v_cmp_ne_u16_sdwa s[8:9], v6, v12 src0_sel:BYTE_0 src1_sel:DWORD
	s_andn2_b64 s[4:5], s[4:5], exec
	s_and_b64 s[8:9], s[8:9], exec
	s_or_b64 s[4:5], s[4:5], s[8:9]
	s_or_b64 exec, exec, s[6:7]
	s_and_saveexec_b64 s[6:7], s[4:5]
	s_cbranch_execz .LBB1_29143
; %bb.51119:
	s_getpc_b64 s[14:15]
.Lpost_getpc11223:
	s_add_u32 s14, s14, (.LBB1_943-.Lpost_getpc11223)&4294967295
	s_addc_u32 s15, s15, (.LBB1_943-.Lpost_getpc11223)>>32
	s_setpc_b64 s[14:15]
.LBB1_29143:
	s_getpc_b64 s[14:15]
.Lpost_getpc235:
	s_add_u32 s14, s14, (.LBB1_944-.Lpost_getpc235)&4294967295
	s_addc_u32 s15, s15, (.LBB1_944-.Lpost_getpc235)>>32
	s_setpc_b64 s[14:15]
.LBB1_15281:
	s_movk_i32 s4, 0x80
	v_cmp_eq_u16_e32 vcc, s4, v6
	s_mov_b64 s[4:5], -1
                                        ; implicit-def: $sgpr10
	s_and_saveexec_b64 s[8:9], vcc
; %bb.15282:
	s_mov_b32 s10, 0x7f800001
	s_xor_b64 s[4:5], exec, -1
; %bb.15283:
	s_or_b64 exec, exec, s[8:9]
	s_and_b64 s[4:5], s[4:5], exec
                                        ; implicit-def: $vgpr6
	s_or_saveexec_b64 s[6:7], s[6:7]
	v_mov_b32_e32 v2, s10
	s_xor_b64 exec, exec, s[6:7]
	s_cbranch_execnz .LBB1_15284
; %bb.51121:
	s_getpc_b64 s[14:15]
.Lpost_getpc11224:
	s_add_u32 s14, s14, (.LBB1_946-.Lpost_getpc11224)&4294967295
	s_addc_u32 s15, s15, (.LBB1_946-.Lpost_getpc11224)>>32
	s_setpc_b64 s[14:15]
.LBB1_15284:
	v_cmp_ne_u16_e32 vcc, 0, v6
	s_andn2_b64 s[4:5], s[4:5], exec
	s_and_b64 s[8:9], vcc, exec
	v_mov_b32_e32 v2, 0
	s_or_b64 s[4:5], s[4:5], s[8:9]
	s_or_b64 exec, exec, s[6:7]
	s_and_saveexec_b64 s[6:7], s[4:5]
	s_cbranch_execz .LBB1_29145
; %bb.51123:
	s_getpc_b64 s[14:15]
.Lpost_getpc11225:
	s_add_u32 s14, s14, (.LBB1_947-.Lpost_getpc11225)&4294967295
	s_addc_u32 s15, s15, (.LBB1_947-.Lpost_getpc11225)>>32
	s_setpc_b64 s[14:15]
.LBB1_29145:
	s_getpc_b64 s[14:15]
.Lpost_getpc236:
	s_add_u32 s14, s14, (.LBB1_948-.Lpost_getpc236)&4294967295
	s_addc_u32 s15, s15, (.LBB1_948-.Lpost_getpc236)>>32
	s_setpc_b64 s[14:15]
.LBB1_15285:
	s_movk_i32 s4, 0x80
	v_cmp_eq_u16_e32 vcc, s4, v6
	s_mov_b64 s[4:5], -1
                                        ; implicit-def: $sgpr10
	s_and_saveexec_b64 s[8:9], vcc
; %bb.15286:
	s_mov_b32 s10, 0x7f800001
	s_xor_b64 s[4:5], exec, -1
; %bb.15287:
	s_or_b64 exec, exec, s[8:9]
	s_and_b64 s[4:5], s[4:5], exec
                                        ; implicit-def: $vgpr6
	s_or_saveexec_b64 s[6:7], s[6:7]
	v_mov_b32_e32 v12, s10
	s_xor_b64 exec, exec, s[6:7]
	s_cbranch_execnz .LBB1_15288
; %bb.51125:
	s_getpc_b64 s[14:15]
.Lpost_getpc11226:
	s_add_u32 s14, s14, (.LBB1_950-.Lpost_getpc11226)&4294967295
	s_addc_u32 s15, s15, (.LBB1_950-.Lpost_getpc11226)>>32
	s_setpc_b64 s[14:15]
.LBB1_15288:
	v_cmp_ne_u16_e32 vcc, 0, v6
	s_andn2_b64 s[4:5], s[4:5], exec
	s_and_b64 s[8:9], vcc, exec
	v_mov_b32_e32 v12, 0
	s_or_b64 s[4:5], s[4:5], s[8:9]
	s_or_b64 exec, exec, s[6:7]
	s_and_saveexec_b64 s[6:7], s[4:5]
	s_cbranch_execz .LBB1_29147
; %bb.51127:
	s_getpc_b64 s[14:15]
.Lpost_getpc11227:
	s_add_u32 s14, s14, (.LBB1_951-.Lpost_getpc11227)&4294967295
	s_addc_u32 s15, s15, (.LBB1_951-.Lpost_getpc11227)>>32
	s_setpc_b64 s[14:15]
.LBB1_29147:
	s_getpc_b64 s[14:15]
.Lpost_getpc237:
	s_add_u32 s14, s14, (.LBB1_952-.Lpost_getpc237)&4294967295
	s_addc_u32 s15, s15, (.LBB1_952-.Lpost_getpc237)>>32
	s_setpc_b64 s[14:15]
.LBB1_15289:
	s_movk_i32 s4, 0x80
	v_cmp_eq_u16_sdwa s[12:13], v7, s4 src0_sel:BYTE_3 src1_sel:DWORD
	s_mov_b64 s[4:5], -1
                                        ; implicit-def: $sgpr10
	s_and_saveexec_b64 s[8:9], s[12:13]
; %bb.15290:
	s_mov_b32 s10, 0x7f800001
	s_xor_b64 s[4:5], exec, -1
; %bb.15291:
	s_or_b64 exec, exec, s[8:9]
	s_and_b64 s[4:5], s[4:5], exec
	s_or_saveexec_b64 s[6:7], s[6:7]
	v_mov_b32_e32 v2, s10
	s_xor_b64 exec, exec, s[6:7]
	s_cbranch_execnz .LBB1_15292
; %bb.51129:
	s_getpc_b64 s[14:15]
.Lpost_getpc11228:
	s_add_u32 s14, s14, (.LBB1_954-.Lpost_getpc11228)&4294967295
	s_addc_u32 s15, s15, (.LBB1_954-.Lpost_getpc11228)>>32
	s_setpc_b64 s[14:15]
.LBB1_15292:
	v_mov_b32_e32 v2, 0
	v_cmp_ne_u16_sdwa s[8:9], v7, v2 src0_sel:BYTE_3 src1_sel:DWORD
	s_andn2_b64 s[4:5], s[4:5], exec
	s_and_b64 s[8:9], s[8:9], exec
	s_or_b64 s[4:5], s[4:5], s[8:9]
	s_or_b64 exec, exec, s[6:7]
	s_and_saveexec_b64 s[6:7], s[4:5]
	s_cbranch_execz .LBB1_29149
; %bb.51131:
	s_getpc_b64 s[14:15]
.Lpost_getpc11229:
	s_add_u32 s14, s14, (.LBB1_955-.Lpost_getpc11229)&4294967295
	s_addc_u32 s15, s15, (.LBB1_955-.Lpost_getpc11229)>>32
	s_setpc_b64 s[14:15]
.LBB1_29149:
	s_getpc_b64 s[14:15]
.Lpost_getpc238:
	s_add_u32 s14, s14, (.LBB1_956-.Lpost_getpc238)&4294967295
	s_addc_u32 s15, s15, (.LBB1_956-.Lpost_getpc238)>>32
	s_setpc_b64 s[14:15]
.LBB1_15293:
	s_movk_i32 s4, 0x80
	v_cmp_eq_u16_sdwa s[12:13], v3, s4 src0_sel:BYTE_3 src1_sel:DWORD
	s_mov_b64 s[4:5], -1
                                        ; implicit-def: $sgpr10
	s_and_saveexec_b64 s[8:9], s[12:13]
; %bb.15294:
	s_mov_b32 s10, 0x7f800001
	s_xor_b64 s[4:5], exec, -1
; %bb.15295:
	s_or_b64 exec, exec, s[8:9]
	s_and_b64 s[4:5], s[4:5], exec
	s_or_saveexec_b64 s[6:7], s[6:7]
	v_mov_b32_e32 v6, s10
	s_xor_b64 exec, exec, s[6:7]
	s_cbranch_execnz .LBB1_15296
; %bb.51133:
	s_getpc_b64 s[14:15]
.Lpost_getpc11230:
	s_add_u32 s14, s14, (.LBB1_958-.Lpost_getpc11230)&4294967295
	s_addc_u32 s15, s15, (.LBB1_958-.Lpost_getpc11230)>>32
	s_setpc_b64 s[14:15]
.LBB1_15296:
	v_mov_b32_e32 v6, 0
	v_cmp_ne_u16_sdwa s[8:9], v3, v6 src0_sel:BYTE_3 src1_sel:DWORD
	s_andn2_b64 s[4:5], s[4:5], exec
	s_and_b64 s[8:9], s[8:9], exec
	s_or_b64 s[4:5], s[4:5], s[8:9]
	s_or_b64 exec, exec, s[6:7]
	s_and_saveexec_b64 s[6:7], s[4:5]
	s_cbranch_execz .LBB1_29151
; %bb.51135:
	s_getpc_b64 s[14:15]
.Lpost_getpc11231:
	s_add_u32 s14, s14, (.LBB1_959-.Lpost_getpc11231)&4294967295
	s_addc_u32 s15, s15, (.LBB1_959-.Lpost_getpc11231)>>32
	s_setpc_b64 s[14:15]
.LBB1_29151:
	s_getpc_b64 s[14:15]
.Lpost_getpc239:
	s_add_u32 s14, s14, (.LBB1_960-.Lpost_getpc239)&4294967295
	s_addc_u32 s15, s15, (.LBB1_960-.Lpost_getpc239)>>32
	s_setpc_b64 s[14:15]
.LBB1_15297:
	s_movk_i32 s4, 0x80
	v_cmp_eq_u16_sdwa s[12:13], v8, s4 src0_sel:BYTE_0 src1_sel:DWORD
	s_mov_b64 s[4:5], -1
                                        ; implicit-def: $sgpr10
	s_and_saveexec_b64 s[8:9], s[12:13]
; %bb.15298:
	s_mov_b32 s10, 0x7f800001
	s_xor_b64 s[4:5], exec, -1
; %bb.15299:
	s_or_b64 exec, exec, s[8:9]
	s_and_b64 s[4:5], s[4:5], exec
	s_or_saveexec_b64 s[6:7], s[6:7]
	v_mov_b32_e32 v2, s10
	s_xor_b64 exec, exec, s[6:7]
	s_cbranch_execnz .LBB1_15300
; %bb.51137:
	s_getpc_b64 s[14:15]
.Lpost_getpc11232:
	s_add_u32 s14, s14, (.LBB1_962-.Lpost_getpc11232)&4294967295
	s_addc_u32 s15, s15, (.LBB1_962-.Lpost_getpc11232)>>32
	s_setpc_b64 s[14:15]
.LBB1_15300:
	v_mov_b32_e32 v2, 0
	v_cmp_ne_u16_sdwa s[8:9], v8, v2 src0_sel:BYTE_0 src1_sel:DWORD
	s_andn2_b64 s[4:5], s[4:5], exec
	s_and_b64 s[8:9], s[8:9], exec
	s_or_b64 s[4:5], s[4:5], s[8:9]
	s_or_b64 exec, exec, s[6:7]
	s_and_saveexec_b64 s[6:7], s[4:5]
	s_cbranch_execz .LBB1_29153
; %bb.51139:
	s_getpc_b64 s[14:15]
.Lpost_getpc11233:
	s_add_u32 s14, s14, (.LBB1_963-.Lpost_getpc11233)&4294967295
	s_addc_u32 s15, s15, (.LBB1_963-.Lpost_getpc11233)>>32
	s_setpc_b64 s[14:15]
.LBB1_29153:
	s_getpc_b64 s[14:15]
.Lpost_getpc240:
	s_add_u32 s14, s14, (.LBB1_964-.Lpost_getpc240)&4294967295
	s_addc_u32 s15, s15, (.LBB1_964-.Lpost_getpc240)>>32
	s_setpc_b64 s[14:15]
.LBB1_15301:
	s_movk_i32 s4, 0x80
	v_cmp_eq_u16_sdwa s[12:13], v4, s4 src0_sel:BYTE_0 src1_sel:DWORD
	s_mov_b64 s[4:5], -1
                                        ; implicit-def: $sgpr10
	s_and_saveexec_b64 s[8:9], s[12:13]
; %bb.15302:
	s_mov_b32 s10, 0x7f800001
	s_xor_b64 s[4:5], exec, -1
; %bb.15303:
	s_or_b64 exec, exec, s[8:9]
	s_and_b64 s[4:5], s[4:5], exec
	s_or_saveexec_b64 s[6:7], s[6:7]
	v_mov_b32_e32 v3, s10
	s_xor_b64 exec, exec, s[6:7]
	s_cbranch_execnz .LBB1_15304
; %bb.51141:
	s_getpc_b64 s[14:15]
.Lpost_getpc11234:
	s_add_u32 s14, s14, (.LBB1_966-.Lpost_getpc11234)&4294967295
	s_addc_u32 s15, s15, (.LBB1_966-.Lpost_getpc11234)>>32
	s_setpc_b64 s[14:15]
.LBB1_15304:
	v_mov_b32_e32 v3, 0
	v_cmp_ne_u16_sdwa s[8:9], v4, v3 src0_sel:BYTE_0 src1_sel:DWORD
	s_andn2_b64 s[4:5], s[4:5], exec
	s_and_b64 s[8:9], s[8:9], exec
	s_or_b64 s[4:5], s[4:5], s[8:9]
	s_or_b64 exec, exec, s[6:7]
	s_and_saveexec_b64 s[6:7], s[4:5]
	s_cbranch_execz .LBB1_29155
; %bb.51143:
	s_getpc_b64 s[14:15]
.Lpost_getpc11235:
	s_add_u32 s14, s14, (.LBB1_967-.Lpost_getpc11235)&4294967295
	s_addc_u32 s15, s15, (.LBB1_967-.Lpost_getpc11235)>>32
	s_setpc_b64 s[14:15]
.LBB1_29155:
	s_getpc_b64 s[14:15]
.Lpost_getpc241:
	s_add_u32 s14, s14, (.LBB1_968-.Lpost_getpc241)&4294967295
	s_addc_u32 s15, s15, (.LBB1_968-.Lpost_getpc241)>>32
	s_setpc_b64 s[14:15]
.LBB1_15305:
	s_movk_i32 s4, 0x80
	v_cmp_eq_u16_sdwa s[12:13], v3, s4 src0_sel:BYTE_0 src1_sel:DWORD
	s_mov_b64 s[4:5], -1
                                        ; implicit-def: $sgpr10
	s_and_saveexec_b64 s[8:9], s[12:13]
; %bb.15306:
	s_mov_b32 s10, 0x7f800001
	s_xor_b64 s[4:5], exec, -1
; %bb.15307:
	s_or_b64 exec, exec, s[8:9]
	s_and_b64 s[4:5], s[4:5], exec
	s_or_saveexec_b64 s[6:7], s[6:7]
	v_mov_b32_e32 v2, s10
	s_xor_b64 exec, exec, s[6:7]
	s_cbranch_execnz .LBB1_15308
; %bb.51145:
	s_getpc_b64 s[14:15]
.Lpost_getpc11236:
	s_add_u32 s14, s14, (.LBB1_970-.Lpost_getpc11236)&4294967295
	s_addc_u32 s15, s15, (.LBB1_970-.Lpost_getpc11236)>>32
	s_setpc_b64 s[14:15]
.LBB1_15308:
	v_mov_b32_e32 v2, 0
	v_cmp_ne_u16_sdwa s[8:9], v3, v2 src0_sel:BYTE_0 src1_sel:DWORD
	s_andn2_b64 s[4:5], s[4:5], exec
	s_and_b64 s[8:9], s[8:9], exec
	s_or_b64 s[4:5], s[4:5], s[8:9]
	s_or_b64 exec, exec, s[6:7]
	s_and_saveexec_b64 s[6:7], s[4:5]
	s_cbranch_execz .LBB1_29157
; %bb.51147:
	s_getpc_b64 s[14:15]
.Lpost_getpc11237:
	s_add_u32 s14, s14, (.LBB1_971-.Lpost_getpc11237)&4294967295
	s_addc_u32 s15, s15, (.LBB1_971-.Lpost_getpc11237)>>32
	s_setpc_b64 s[14:15]
.LBB1_29157:
	s_getpc_b64 s[14:15]
.Lpost_getpc242:
	s_add_u32 s14, s14, (.LBB1_972-.Lpost_getpc242)&4294967295
	s_addc_u32 s15, s15, (.LBB1_972-.Lpost_getpc242)>>32
	s_setpc_b64 s[14:15]
.LBB1_15309:
	s_movk_i32 s4, 0x80
	v_cmp_eq_u16_sdwa s[12:13], v3, s4 src0_sel:BYTE_0 src1_sel:DWORD
	s_mov_b64 s[4:5], -1
                                        ; implicit-def: $sgpr10
	s_and_saveexec_b64 s[8:9], s[12:13]
; %bb.15310:
	s_mov_b32 s10, 0x7f800001
	s_xor_b64 s[4:5], exec, -1
; %bb.15311:
	s_or_b64 exec, exec, s[8:9]
	s_and_b64 s[4:5], s[4:5], exec
	s_or_saveexec_b64 s[6:7], s[6:7]
	v_mov_b32_e32 v6, s10
	s_xor_b64 exec, exec, s[6:7]
	s_cbranch_execnz .LBB1_15312
; %bb.51149:
	s_getpc_b64 s[14:15]
.Lpost_getpc11238:
	s_add_u32 s14, s14, (.LBB1_974-.Lpost_getpc11238)&4294967295
	s_addc_u32 s15, s15, (.LBB1_974-.Lpost_getpc11238)>>32
	s_setpc_b64 s[14:15]
.LBB1_15312:
	v_mov_b32_e32 v6, 0
	v_cmp_ne_u16_sdwa s[8:9], v3, v6 src0_sel:BYTE_0 src1_sel:DWORD
	s_andn2_b64 s[4:5], s[4:5], exec
	s_and_b64 s[8:9], s[8:9], exec
	s_or_b64 s[4:5], s[4:5], s[8:9]
	s_or_b64 exec, exec, s[6:7]
	s_and_saveexec_b64 s[6:7], s[4:5]
	s_cbranch_execz .LBB1_29159
; %bb.51151:
	s_getpc_b64 s[14:15]
.Lpost_getpc11239:
	s_add_u32 s14, s14, (.LBB1_975-.Lpost_getpc11239)&4294967295
	s_addc_u32 s15, s15, (.LBB1_975-.Lpost_getpc11239)>>32
	s_setpc_b64 s[14:15]
.LBB1_29159:
	s_getpc_b64 s[14:15]
.Lpost_getpc243:
	s_add_u32 s14, s14, (.LBB1_976-.Lpost_getpc243)&4294967295
	s_addc_u32 s15, s15, (.LBB1_976-.Lpost_getpc243)>>32
	s_setpc_b64 s[14:15]
.LBB1_15313:
	s_movk_i32 s4, 0x80
	v_cmp_eq_u16_e32 vcc, s4, v3
	s_mov_b64 s[4:5], -1
                                        ; implicit-def: $sgpr10
	s_and_saveexec_b64 s[8:9], vcc
; %bb.15314:
	s_mov_b32 s10, 0x7f800001
	s_xor_b64 s[4:5], exec, -1
; %bb.15315:
	s_or_b64 exec, exec, s[8:9]
	s_and_b64 s[4:5], s[4:5], exec
                                        ; implicit-def: $vgpr3
	s_or_saveexec_b64 s[6:7], s[6:7]
	v_mov_b32_e32 v2, s10
	s_xor_b64 exec, exec, s[6:7]
	s_cbranch_execnz .LBB1_15316
; %bb.51153:
	s_getpc_b64 s[14:15]
.Lpost_getpc11240:
	s_add_u32 s14, s14, (.LBB1_978-.Lpost_getpc11240)&4294967295
	s_addc_u32 s15, s15, (.LBB1_978-.Lpost_getpc11240)>>32
	s_setpc_b64 s[14:15]
.LBB1_15316:
	v_cmp_ne_u16_e32 vcc, 0, v3
	s_andn2_b64 s[4:5], s[4:5], exec
	s_and_b64 s[8:9], vcc, exec
	v_mov_b32_e32 v2, 0
	s_or_b64 s[4:5], s[4:5], s[8:9]
	s_or_b64 exec, exec, s[6:7]
	s_and_saveexec_b64 s[6:7], s[4:5]
	s_cbranch_execz .LBB1_29161
; %bb.51155:
	s_getpc_b64 s[14:15]
.Lpost_getpc11241:
	s_add_u32 s14, s14, (.LBB1_979-.Lpost_getpc11241)&4294967295
	s_addc_u32 s15, s15, (.LBB1_979-.Lpost_getpc11241)>>32
	s_setpc_b64 s[14:15]
.LBB1_29161:
	s_getpc_b64 s[14:15]
.Lpost_getpc244:
	s_add_u32 s14, s14, (.LBB1_980-.Lpost_getpc244)&4294967295
	s_addc_u32 s15, s15, (.LBB1_980-.Lpost_getpc244)>>32
	s_setpc_b64 s[14:15]
.LBB1_15317:
	s_movk_i32 s4, 0x80
	v_cmp_eq_u16_e32 vcc, s4, v3
	s_mov_b64 s[4:5], -1
                                        ; implicit-def: $sgpr10
	s_and_saveexec_b64 s[8:9], vcc
; %bb.15318:
	s_mov_b32 s10, 0x7f800001
	s_xor_b64 s[4:5], exec, -1
; %bb.15319:
	s_or_b64 exec, exec, s[8:9]
	s_and_b64 s[4:5], s[4:5], exec
                                        ; implicit-def: $vgpr3
	s_or_saveexec_b64 s[6:7], s[6:7]
	v_mov_b32_e32 v6, s10
	s_xor_b64 exec, exec, s[6:7]
	s_cbranch_execnz .LBB1_15320
; %bb.51157:
	s_getpc_b64 s[14:15]
.Lpost_getpc11242:
	s_add_u32 s14, s14, (.LBB1_982-.Lpost_getpc11242)&4294967295
	s_addc_u32 s15, s15, (.LBB1_982-.Lpost_getpc11242)>>32
	s_setpc_b64 s[14:15]
.LBB1_15320:
	v_cmp_ne_u16_e32 vcc, 0, v3
	s_andn2_b64 s[4:5], s[4:5], exec
	s_and_b64 s[8:9], vcc, exec
	v_mov_b32_e32 v6, 0
	s_or_b64 s[4:5], s[4:5], s[8:9]
	s_or_b64 exec, exec, s[6:7]
	s_and_saveexec_b64 s[6:7], s[4:5]
	s_cbranch_execz .LBB1_29163
; %bb.51159:
	s_getpc_b64 s[14:15]
.Lpost_getpc11243:
	s_add_u32 s14, s14, (.LBB1_983-.Lpost_getpc11243)&4294967295
	s_addc_u32 s15, s15, (.LBB1_983-.Lpost_getpc11243)>>32
	s_setpc_b64 s[14:15]
.LBB1_29163:
	s_getpc_b64 s[14:15]
.Lpost_getpc245:
	s_add_u32 s14, s14, (.LBB1_984-.Lpost_getpc245)&4294967295
	s_addc_u32 s15, s15, (.LBB1_984-.Lpost_getpc245)>>32
	s_setpc_b64 s[14:15]
.LBB1_15321:
	s_movk_i32 s4, 0x80
	v_cmp_eq_u16_sdwa s[12:13], v8, s4 src0_sel:BYTE_3 src1_sel:DWORD
	s_mov_b64 s[4:5], -1
                                        ; implicit-def: $sgpr10
	s_and_saveexec_b64 s[8:9], s[12:13]
; %bb.15322:
	s_mov_b32 s10, 0x7f800001
	s_xor_b64 s[4:5], exec, -1
; %bb.15323:
	s_or_b64 exec, exec, s[8:9]
	s_and_b64 s[4:5], s[4:5], exec
	s_or_saveexec_b64 s[6:7], s[6:7]
	v_mov_b32_e32 v2, s10
	s_xor_b64 exec, exec, s[6:7]
	s_cbranch_execnz .LBB1_15324
; %bb.51161:
	s_getpc_b64 s[14:15]
.Lpost_getpc11244:
	s_add_u32 s14, s14, (.LBB1_986-.Lpost_getpc11244)&4294967295
	s_addc_u32 s15, s15, (.LBB1_986-.Lpost_getpc11244)>>32
	s_setpc_b64 s[14:15]
.LBB1_15324:
	v_mov_b32_e32 v2, 0
	v_cmp_ne_u16_sdwa s[8:9], v8, v2 src0_sel:BYTE_3 src1_sel:DWORD
	s_andn2_b64 s[4:5], s[4:5], exec
	s_and_b64 s[8:9], s[8:9], exec
	s_or_b64 s[4:5], s[4:5], s[8:9]
	s_or_b64 exec, exec, s[6:7]
	s_and_saveexec_b64 s[6:7], s[4:5]
	s_cbranch_execz .LBB1_29165
; %bb.51163:
	s_getpc_b64 s[14:15]
.Lpost_getpc11245:
	s_add_u32 s14, s14, (.LBB1_987-.Lpost_getpc11245)&4294967295
	s_addc_u32 s15, s15, (.LBB1_987-.Lpost_getpc11245)>>32
	s_setpc_b64 s[14:15]
.LBB1_29165:
	s_getpc_b64 s[14:15]
.Lpost_getpc246:
	s_add_u32 s14, s14, (.LBB1_988-.Lpost_getpc246)&4294967295
	s_addc_u32 s15, s15, (.LBB1_988-.Lpost_getpc246)>>32
	s_setpc_b64 s[14:15]
.LBB1_15325:
	s_movk_i32 s4, 0x80
	v_cmp_eq_u16_sdwa s[12:13], v4, s4 src0_sel:BYTE_3 src1_sel:DWORD
	s_mov_b64 s[4:5], -1
                                        ; implicit-def: $sgpr10
	s_and_saveexec_b64 s[8:9], s[12:13]
; %bb.15326:
	s_mov_b32 s10, 0x7f800001
	s_xor_b64 s[4:5], exec, -1
; %bb.15327:
	s_or_b64 exec, exec, s[8:9]
	s_and_b64 s[4:5], s[4:5], exec
	s_or_saveexec_b64 s[6:7], s[6:7]
	v_mov_b32_e32 v3, s10
	s_xor_b64 exec, exec, s[6:7]
	s_cbranch_execnz .LBB1_15328
; %bb.51165:
	s_getpc_b64 s[14:15]
.Lpost_getpc11246:
	s_add_u32 s14, s14, (.LBB1_990-.Lpost_getpc11246)&4294967295
	s_addc_u32 s15, s15, (.LBB1_990-.Lpost_getpc11246)>>32
	s_setpc_b64 s[14:15]
.LBB1_15328:
	v_mov_b32_e32 v3, 0
	v_cmp_ne_u16_sdwa s[8:9], v4, v3 src0_sel:BYTE_3 src1_sel:DWORD
	s_andn2_b64 s[4:5], s[4:5], exec
	s_and_b64 s[8:9], s[8:9], exec
	s_or_b64 s[4:5], s[4:5], s[8:9]
	s_or_b64 exec, exec, s[6:7]
	s_and_saveexec_b64 s[6:7], s[4:5]
	s_cbranch_execz .LBB1_29167
; %bb.51167:
	s_getpc_b64 s[14:15]
.Lpost_getpc11247:
	s_add_u32 s14, s14, (.LBB1_991-.Lpost_getpc11247)&4294967295
	s_addc_u32 s15, s15, (.LBB1_991-.Lpost_getpc11247)>>32
	s_setpc_b64 s[14:15]
.LBB1_29167:
	s_getpc_b64 s[14:15]
.Lpost_getpc247:
	s_add_u32 s14, s14, (.LBB1_992-.Lpost_getpc247)&4294967295
	s_addc_u32 s15, s15, (.LBB1_992-.Lpost_getpc247)>>32
	s_setpc_b64 s[14:15]
.LBB1_15329:
	s_movk_i32 s4, 0x80
	v_cmp_eq_u16_sdwa s[12:13], v9, s4 src0_sel:BYTE_0 src1_sel:DWORD
	s_mov_b64 s[4:5], -1
                                        ; implicit-def: $sgpr10
	s_and_saveexec_b64 s[8:9], s[12:13]
; %bb.15330:
	s_mov_b32 s10, 0x7f800001
	s_xor_b64 s[4:5], exec, -1
; %bb.15331:
	s_or_b64 exec, exec, s[8:9]
	s_and_b64 s[4:5], s[4:5], exec
	s_or_saveexec_b64 s[6:7], s[6:7]
	v_mov_b32_e32 v2, s10
	s_xor_b64 exec, exec, s[6:7]
	s_cbranch_execnz .LBB1_15332
; %bb.51169:
	s_getpc_b64 s[14:15]
.Lpost_getpc11248:
	s_add_u32 s14, s14, (.LBB1_994-.Lpost_getpc11248)&4294967295
	s_addc_u32 s15, s15, (.LBB1_994-.Lpost_getpc11248)>>32
	s_setpc_b64 s[14:15]
.LBB1_15332:
	v_mov_b32_e32 v2, 0
	v_cmp_ne_u16_sdwa s[8:9], v9, v2 src0_sel:BYTE_0 src1_sel:DWORD
	s_andn2_b64 s[4:5], s[4:5], exec
	s_and_b64 s[8:9], s[8:9], exec
	s_or_b64 s[4:5], s[4:5], s[8:9]
	s_or_b64 exec, exec, s[6:7]
	s_and_saveexec_b64 s[6:7], s[4:5]
	s_cbranch_execz .LBB1_29169
; %bb.51171:
	s_getpc_b64 s[14:15]
.Lpost_getpc11249:
	s_add_u32 s14, s14, (.LBB1_995-.Lpost_getpc11249)&4294967295
	s_addc_u32 s15, s15, (.LBB1_995-.Lpost_getpc11249)>>32
	s_setpc_b64 s[14:15]
.LBB1_29169:
	s_getpc_b64 s[14:15]
.Lpost_getpc248:
	s_add_u32 s14, s14, (.LBB1_996-.Lpost_getpc248)&4294967295
	s_addc_u32 s15, s15, (.LBB1_996-.Lpost_getpc248)>>32
	s_setpc_b64 s[14:15]
.LBB1_15333:
	s_movk_i32 s4, 0x80
	v_cmp_eq_u16_sdwa s[12:13], v5, s4 src0_sel:BYTE_0 src1_sel:DWORD
	s_mov_b64 s[4:5], -1
                                        ; implicit-def: $sgpr10
	s_and_saveexec_b64 s[8:9], s[12:13]
; %bb.15334:
	s_mov_b32 s10, 0x7f800001
	s_xor_b64 s[4:5], exec, -1
; %bb.15335:
	s_or_b64 exec, exec, s[8:9]
	s_and_b64 s[4:5], s[4:5], exec
	s_or_saveexec_b64 s[6:7], s[6:7]
	v_mov_b32_e32 v3, s10
	s_xor_b64 exec, exec, s[6:7]
	s_cbranch_execnz .LBB1_15336
; %bb.51173:
	s_getpc_b64 s[14:15]
.Lpost_getpc11250:
	s_add_u32 s14, s14, (.LBB1_998-.Lpost_getpc11250)&4294967295
	s_addc_u32 s15, s15, (.LBB1_998-.Lpost_getpc11250)>>32
	s_setpc_b64 s[14:15]
.LBB1_15336:
	v_mov_b32_e32 v3, 0
	v_cmp_ne_u16_sdwa s[8:9], v5, v3 src0_sel:BYTE_0 src1_sel:DWORD
	s_andn2_b64 s[4:5], s[4:5], exec
	s_and_b64 s[8:9], s[8:9], exec
	s_or_b64 s[4:5], s[4:5], s[8:9]
	s_or_b64 exec, exec, s[6:7]
	s_and_saveexec_b64 s[6:7], s[4:5]
	s_cbranch_execz .LBB1_29171
; %bb.51175:
	s_getpc_b64 s[14:15]
.Lpost_getpc11251:
	s_add_u32 s14, s14, (.LBB1_999-.Lpost_getpc11251)&4294967295
	s_addc_u32 s15, s15, (.LBB1_999-.Lpost_getpc11251)>>32
	s_setpc_b64 s[14:15]
.LBB1_29171:
	s_getpc_b64 s[14:15]
.Lpost_getpc249:
	s_add_u32 s14, s14, (.LBB1_1000-.Lpost_getpc249)&4294967295
	s_addc_u32 s15, s15, (.LBB1_1000-.Lpost_getpc249)>>32
	s_setpc_b64 s[14:15]
.LBB1_15337:
	s_movk_i32 s4, 0x80
	v_cmp_eq_u16_sdwa s[12:13], v3, s4 src0_sel:BYTE_0 src1_sel:DWORD
	s_mov_b64 s[4:5], -1
                                        ; implicit-def: $sgpr10
	s_and_saveexec_b64 s[8:9], s[12:13]
; %bb.15338:
	s_mov_b32 s10, 0x7f800001
	s_xor_b64 s[4:5], exec, -1
; %bb.15339:
	s_or_b64 exec, exec, s[8:9]
	s_and_b64 s[4:5], s[4:5], exec
	s_or_saveexec_b64 s[6:7], s[6:7]
	v_mov_b32_e32 v2, s10
	s_xor_b64 exec, exec, s[6:7]
	s_cbranch_execnz .LBB1_15340
; %bb.51177:
	s_getpc_b64 s[14:15]
.Lpost_getpc11252:
	s_add_u32 s14, s14, (.LBB1_1002-.Lpost_getpc11252)&4294967295
	s_addc_u32 s15, s15, (.LBB1_1002-.Lpost_getpc11252)>>32
	s_setpc_b64 s[14:15]
.LBB1_15340:
	v_mov_b32_e32 v2, 0
	v_cmp_ne_u16_sdwa s[8:9], v3, v2 src0_sel:BYTE_0 src1_sel:DWORD
	s_andn2_b64 s[4:5], s[4:5], exec
	s_and_b64 s[8:9], s[8:9], exec
	s_or_b64 s[4:5], s[4:5], s[8:9]
	s_or_b64 exec, exec, s[6:7]
	s_and_saveexec_b64 s[6:7], s[4:5]
	s_cbranch_execz .LBB1_29173
; %bb.51179:
	s_getpc_b64 s[14:15]
.Lpost_getpc11253:
	s_add_u32 s14, s14, (.LBB1_1003-.Lpost_getpc11253)&4294967295
	s_addc_u32 s15, s15, (.LBB1_1003-.Lpost_getpc11253)>>32
	s_setpc_b64 s[14:15]
.LBB1_29173:
	s_getpc_b64 s[14:15]
.Lpost_getpc250:
	s_add_u32 s14, s14, (.LBB1_1004-.Lpost_getpc250)&4294967295
	s_addc_u32 s15, s15, (.LBB1_1004-.Lpost_getpc250)>>32
	s_setpc_b64 s[14:15]
.LBB1_15341:
	s_movk_i32 s4, 0x80
	v_cmp_eq_u16_sdwa s[12:13], v3, s4 src0_sel:BYTE_0 src1_sel:DWORD
	s_mov_b64 s[4:5], -1
                                        ; implicit-def: $sgpr10
	s_and_saveexec_b64 s[8:9], s[12:13]
; %bb.15342:
	s_mov_b32 s10, 0x7f800001
	s_xor_b64 s[4:5], exec, -1
; %bb.15343:
	s_or_b64 exec, exec, s[8:9]
	s_and_b64 s[4:5], s[4:5], exec
	s_or_saveexec_b64 s[6:7], s[6:7]
	v_mov_b32_e32 v4, s10
	s_xor_b64 exec, exec, s[6:7]
	s_cbranch_execnz .LBB1_15344
; %bb.51181:
	s_getpc_b64 s[14:15]
.Lpost_getpc11254:
	s_add_u32 s14, s14, (.LBB1_1006-.Lpost_getpc11254)&4294967295
	s_addc_u32 s15, s15, (.LBB1_1006-.Lpost_getpc11254)>>32
	s_setpc_b64 s[14:15]
.LBB1_15344:
	v_mov_b32_e32 v4, 0
	v_cmp_ne_u16_sdwa s[8:9], v3, v4 src0_sel:BYTE_0 src1_sel:DWORD
	s_andn2_b64 s[4:5], s[4:5], exec
	s_and_b64 s[8:9], s[8:9], exec
	s_or_b64 s[4:5], s[4:5], s[8:9]
	s_or_b64 exec, exec, s[6:7]
	s_and_saveexec_b64 s[6:7], s[4:5]
	s_cbranch_execz .LBB1_29175
; %bb.51183:
	s_getpc_b64 s[14:15]
.Lpost_getpc11255:
	s_add_u32 s14, s14, (.LBB1_1007-.Lpost_getpc11255)&4294967295
	s_addc_u32 s15, s15, (.LBB1_1007-.Lpost_getpc11255)>>32
	s_setpc_b64 s[14:15]
.LBB1_29175:
	s_getpc_b64 s[14:15]
.Lpost_getpc251:
	s_add_u32 s14, s14, (.LBB1_1008-.Lpost_getpc251)&4294967295
	s_addc_u32 s15, s15, (.LBB1_1008-.Lpost_getpc251)>>32
	s_setpc_b64 s[14:15]
.LBB1_15345:
	s_movk_i32 s4, 0x80
	v_cmp_eq_u16_e32 vcc, s4, v3
	s_mov_b64 s[4:5], -1
                                        ; implicit-def: $sgpr10
	s_and_saveexec_b64 s[8:9], vcc
; %bb.15346:
	s_mov_b32 s10, 0x7f800001
	s_xor_b64 s[4:5], exec, -1
; %bb.15347:
	s_or_b64 exec, exec, s[8:9]
	s_and_b64 s[4:5], s[4:5], exec
                                        ; implicit-def: $vgpr3
	s_or_saveexec_b64 s[6:7], s[6:7]
	v_mov_b32_e32 v2, s10
	s_xor_b64 exec, exec, s[6:7]
	s_cbranch_execnz .LBB1_15348
; %bb.51185:
	s_getpc_b64 s[14:15]
.Lpost_getpc11256:
	s_add_u32 s14, s14, (.LBB1_1010-.Lpost_getpc11256)&4294967295
	s_addc_u32 s15, s15, (.LBB1_1010-.Lpost_getpc11256)>>32
	s_setpc_b64 s[14:15]
.LBB1_15348:
	v_cmp_ne_u16_e32 vcc, 0, v3
	s_andn2_b64 s[4:5], s[4:5], exec
	s_and_b64 s[8:9], vcc, exec
	v_mov_b32_e32 v2, 0
	s_or_b64 s[4:5], s[4:5], s[8:9]
	s_or_b64 exec, exec, s[6:7]
	s_and_saveexec_b64 s[6:7], s[4:5]
	s_cbranch_execz .LBB1_29177
; %bb.51187:
	s_getpc_b64 s[14:15]
.Lpost_getpc11257:
	s_add_u32 s14, s14, (.LBB1_1011-.Lpost_getpc11257)&4294967295
	s_addc_u32 s15, s15, (.LBB1_1011-.Lpost_getpc11257)>>32
	s_setpc_b64 s[14:15]
.LBB1_29177:
	s_getpc_b64 s[14:15]
.Lpost_getpc252:
	s_add_u32 s14, s14, (.LBB1_1012-.Lpost_getpc252)&4294967295
	s_addc_u32 s15, s15, (.LBB1_1012-.Lpost_getpc252)>>32
	s_setpc_b64 s[14:15]
.LBB1_15349:
	s_movk_i32 s4, 0x80
	v_cmp_eq_u16_e32 vcc, s4, v3
	s_mov_b64 s[4:5], -1
                                        ; implicit-def: $sgpr10
	s_and_saveexec_b64 s[8:9], vcc
; %bb.15350:
	s_mov_b32 s10, 0x7f800001
	s_xor_b64 s[4:5], exec, -1
; %bb.15351:
	s_or_b64 exec, exec, s[8:9]
	s_and_b64 s[4:5], s[4:5], exec
                                        ; implicit-def: $vgpr3
	s_or_saveexec_b64 s[6:7], s[6:7]
	v_mov_b32_e32 v4, s10
	s_xor_b64 exec, exec, s[6:7]
	s_cbranch_execnz .LBB1_15352
; %bb.51189:
	s_getpc_b64 s[14:15]
.Lpost_getpc11258:
	s_add_u32 s14, s14, (.LBB1_1014-.Lpost_getpc11258)&4294967295
	s_addc_u32 s15, s15, (.LBB1_1014-.Lpost_getpc11258)>>32
	s_setpc_b64 s[14:15]
.LBB1_15352:
	v_cmp_ne_u16_e32 vcc, 0, v3
	s_andn2_b64 s[4:5], s[4:5], exec
	s_and_b64 s[8:9], vcc, exec
	v_mov_b32_e32 v4, 0
	s_or_b64 s[4:5], s[4:5], s[8:9]
	s_or_b64 exec, exec, s[6:7]
	s_and_saveexec_b64 s[6:7], s[4:5]
	s_cbranch_execz .LBB1_29179
; %bb.51191:
	s_getpc_b64 s[14:15]
.Lpost_getpc11259:
	s_add_u32 s14, s14, (.LBB1_1015-.Lpost_getpc11259)&4294967295
	s_addc_u32 s15, s15, (.LBB1_1015-.Lpost_getpc11259)>>32
	s_setpc_b64 s[14:15]
.LBB1_29179:
	s_getpc_b64 s[14:15]
.Lpost_getpc253:
	s_add_u32 s14, s14, (.LBB1_1016-.Lpost_getpc253)&4294967295
	s_addc_u32 s15, s15, (.LBB1_1016-.Lpost_getpc253)>>32
	s_setpc_b64 s[14:15]
.LBB1_15353:
	s_movk_i32 s4, 0x80
	v_cmp_eq_u16_sdwa s[12:13], v9, s4 src0_sel:BYTE_3 src1_sel:DWORD
	s_mov_b64 s[4:5], -1
                                        ; implicit-def: $sgpr10
	s_and_saveexec_b64 s[8:9], s[12:13]
; %bb.15354:
	s_mov_b32 s10, 0x7f800001
	s_xor_b64 s[4:5], exec, -1
; %bb.15355:
	s_or_b64 exec, exec, s[8:9]
	s_and_b64 s[4:5], s[4:5], exec
	s_or_saveexec_b64 s[6:7], s[6:7]
	v_mov_b32_e32 v2, s10
	s_xor_b64 exec, exec, s[6:7]
	s_cbranch_execnz .LBB1_15356
; %bb.51193:
	s_getpc_b64 s[14:15]
.Lpost_getpc11260:
	s_add_u32 s14, s14, (.LBB1_1018-.Lpost_getpc11260)&4294967295
	s_addc_u32 s15, s15, (.LBB1_1018-.Lpost_getpc11260)>>32
	s_setpc_b64 s[14:15]
.LBB1_15356:
	v_mov_b32_e32 v2, 0
	v_cmp_ne_u16_sdwa s[8:9], v9, v2 src0_sel:BYTE_3 src1_sel:DWORD
	s_andn2_b64 s[4:5], s[4:5], exec
	s_and_b64 s[8:9], s[8:9], exec
	s_or_b64 s[4:5], s[4:5], s[8:9]
	s_or_b64 exec, exec, s[6:7]
	s_and_saveexec_b64 s[6:7], s[4:5]
	s_cbranch_execz .LBB1_29181
; %bb.51195:
	s_getpc_b64 s[14:15]
.Lpost_getpc11261:
	s_add_u32 s14, s14, (.LBB1_1019-.Lpost_getpc11261)&4294967295
	s_addc_u32 s15, s15, (.LBB1_1019-.Lpost_getpc11261)>>32
	s_setpc_b64 s[14:15]
.LBB1_29181:
	s_getpc_b64 s[14:15]
.Lpost_getpc254:
	s_add_u32 s14, s14, (.LBB1_1020-.Lpost_getpc254)&4294967295
	s_addc_u32 s15, s15, (.LBB1_1020-.Lpost_getpc254)>>32
	s_setpc_b64 s[14:15]
.LBB1_15357:
	s_movk_i32 s4, 0x80
	v_cmp_eq_u16_sdwa s[12:13], v5, s4 src0_sel:BYTE_3 src1_sel:DWORD
	s_mov_b64 s[4:5], -1
                                        ; implicit-def: $sgpr10
	s_and_saveexec_b64 s[8:9], s[12:13]
; %bb.15358:
	s_mov_b32 s10, 0x7f800001
	s_xor_b64 s[4:5], exec, -1
; %bb.15359:
	s_or_b64 exec, exec, s[8:9]
	s_and_b64 s[4:5], s[4:5], exec
	s_or_saveexec_b64 s[6:7], s[6:7]
	v_mov_b32_e32 v3, s10
	s_xor_b64 exec, exec, s[6:7]
	s_cbranch_execnz .LBB1_15360
; %bb.51197:
	s_getpc_b64 s[14:15]
.Lpost_getpc11262:
	s_add_u32 s14, s14, (.LBB1_1022-.Lpost_getpc11262)&4294967295
	s_addc_u32 s15, s15, (.LBB1_1022-.Lpost_getpc11262)>>32
	s_setpc_b64 s[14:15]
.LBB1_15360:
	v_mov_b32_e32 v3, 0
	v_cmp_ne_u16_sdwa s[8:9], v5, v3 src0_sel:BYTE_3 src1_sel:DWORD
	s_andn2_b64 s[4:5], s[4:5], exec
	s_and_b64 s[8:9], s[8:9], exec
	s_or_b64 s[4:5], s[4:5], s[8:9]
	s_or_b64 exec, exec, s[6:7]
	s_and_saveexec_b64 s[6:7], s[4:5]
	s_cbranch_execz .LBB1_29183
; %bb.51199:
	s_getpc_b64 s[14:15]
.Lpost_getpc11263:
	s_add_u32 s14, s14, (.LBB1_1023-.Lpost_getpc11263)&4294967295
	s_addc_u32 s15, s15, (.LBB1_1023-.Lpost_getpc11263)>>32
	s_setpc_b64 s[14:15]
.LBB1_29183:
	s_getpc_b64 s[14:15]
.Lpost_getpc255:
	s_add_u32 s14, s14, (.LBB1_1024-.Lpost_getpc255)&4294967295
	s_addc_u32 s15, s15, (.LBB1_1024-.Lpost_getpc255)>>32
	s_setpc_b64 s[14:15]
.LBB1_15361:
	s_movk_i32 s4, 0x80
	v_cmp_eq_u16_sdwa s[12:13], v6, s4 src0_sel:BYTE_0 src1_sel:DWORD
	s_mov_b64 s[4:5], -1
                                        ; implicit-def: $sgpr10
	s_and_saveexec_b64 s[8:9], s[12:13]
; %bb.15362:
	s_mov_b32 s10, 0x7f800001
	s_xor_b64 s[4:5], exec, -1
; %bb.15363:
	s_or_b64 exec, exec, s[8:9]
	s_and_b64 s[4:5], s[4:5], exec
	s_or_saveexec_b64 s[6:7], s[6:7]
	v_mov_b32_e32 v12, s10
	s_xor_b64 exec, exec, s[6:7]
	s_cbranch_execnz .LBB1_15364
; %bb.51201:
	s_getpc_b64 s[14:15]
.Lpost_getpc11264:
	s_add_u32 s14, s14, (.LBB1_1026-.Lpost_getpc11264)&4294967295
	s_addc_u32 s15, s15, (.LBB1_1026-.Lpost_getpc11264)>>32
	s_setpc_b64 s[14:15]
.LBB1_15364:
	v_mov_b32_e32 v12, 0
	v_cmp_ne_u16_sdwa s[8:9], v6, v12 src0_sel:BYTE_0 src1_sel:DWORD
	s_andn2_b64 s[4:5], s[4:5], exec
	s_and_b64 s[8:9], s[8:9], exec
	s_or_b64 s[4:5], s[4:5], s[8:9]
	s_or_b64 exec, exec, s[6:7]
	s_and_saveexec_b64 s[6:7], s[4:5]
	s_cbranch_execz .LBB1_29185
; %bb.51203:
	s_getpc_b64 s[14:15]
.Lpost_getpc11265:
	s_add_u32 s14, s14, (.LBB1_1027-.Lpost_getpc11265)&4294967295
	s_addc_u32 s15, s15, (.LBB1_1027-.Lpost_getpc11265)>>32
	s_setpc_b64 s[14:15]
.LBB1_29185:
	s_getpc_b64 s[14:15]
.Lpost_getpc256:
	s_add_u32 s14, s14, (.LBB1_1028-.Lpost_getpc256)&4294967295
	s_addc_u32 s15, s15, (.LBB1_1028-.Lpost_getpc256)>>32
	s_setpc_b64 s[14:15]
.LBB1_15365:
	s_movk_i32 s4, 0x80
	v_cmp_eq_u16_sdwa s[12:13], v2, s4 src0_sel:BYTE_0 src1_sel:DWORD
	s_mov_b64 s[4:5], -1
                                        ; implicit-def: $sgpr10
	s_and_saveexec_b64 s[8:9], s[12:13]
; %bb.15366:
	s_mov_b32 s10, 0x7f800001
	s_xor_b64 s[4:5], exec, -1
; %bb.15367:
	s_or_b64 exec, exec, s[8:9]
	s_and_b64 s[4:5], s[4:5], exec
	s_or_saveexec_b64 s[6:7], s[6:7]
	v_mov_b32_e32 v13, s10
	s_xor_b64 exec, exec, s[6:7]
	s_cbranch_execnz .LBB1_15368
; %bb.51205:
	s_getpc_b64 s[14:15]
.Lpost_getpc11266:
	s_add_u32 s14, s14, (.LBB1_1030-.Lpost_getpc11266)&4294967295
	s_addc_u32 s15, s15, (.LBB1_1030-.Lpost_getpc11266)>>32
	s_setpc_b64 s[14:15]
.LBB1_15368:
	v_mov_b32_e32 v13, 0
	v_cmp_ne_u16_sdwa s[8:9], v2, v13 src0_sel:BYTE_0 src1_sel:DWORD
	s_andn2_b64 s[4:5], s[4:5], exec
	s_and_b64 s[8:9], s[8:9], exec
	s_or_b64 s[4:5], s[4:5], s[8:9]
	s_or_b64 exec, exec, s[6:7]
	s_and_saveexec_b64 s[6:7], s[4:5]
	s_cbranch_execz .LBB1_29187
; %bb.51207:
	s_getpc_b64 s[14:15]
.Lpost_getpc11267:
	s_add_u32 s14, s14, (.LBB1_1031-.Lpost_getpc11267)&4294967295
	s_addc_u32 s15, s15, (.LBB1_1031-.Lpost_getpc11267)>>32
	s_setpc_b64 s[14:15]
.LBB1_29187:
	s_getpc_b64 s[14:15]
.Lpost_getpc257:
	s_add_u32 s14, s14, (.LBB1_1032-.Lpost_getpc257)&4294967295
	s_addc_u32 s15, s15, (.LBB1_1032-.Lpost_getpc257)>>32
	s_setpc_b64 s[14:15]
.LBB1_15369:
	s_movk_i32 s4, 0x80
	v_cmp_eq_u16_sdwa s[12:13], v13, s4 src0_sel:BYTE_0 src1_sel:DWORD
	s_mov_b64 s[4:5], -1
                                        ; implicit-def: $sgpr10
	s_and_saveexec_b64 s[8:9], s[12:13]
; %bb.15370:
	s_mov_b32 s10, 0x7f800001
	s_xor_b64 s[4:5], exec, -1
; %bb.15371:
	s_or_b64 exec, exec, s[8:9]
	s_and_b64 s[4:5], s[4:5], exec
	s_or_saveexec_b64 s[6:7], s[6:7]
	v_mov_b32_e32 v12, s10
	s_xor_b64 exec, exec, s[6:7]
	s_cbranch_execnz .LBB1_15372
; %bb.51209:
	s_getpc_b64 s[14:15]
.Lpost_getpc11268:
	s_add_u32 s14, s14, (.LBB1_1034-.Lpost_getpc11268)&4294967295
	s_addc_u32 s15, s15, (.LBB1_1034-.Lpost_getpc11268)>>32
	s_setpc_b64 s[14:15]
.LBB1_15372:
	v_mov_b32_e32 v12, 0
	v_cmp_ne_u16_sdwa s[8:9], v13, v12 src0_sel:BYTE_0 src1_sel:DWORD
	s_andn2_b64 s[4:5], s[4:5], exec
	s_and_b64 s[8:9], s[8:9], exec
	s_or_b64 s[4:5], s[4:5], s[8:9]
	s_or_b64 exec, exec, s[6:7]
	s_and_saveexec_b64 s[6:7], s[4:5]
	s_cbranch_execz .LBB1_29189
; %bb.51211:
	s_getpc_b64 s[14:15]
.Lpost_getpc11269:
	s_add_u32 s14, s14, (.LBB1_1035-.Lpost_getpc11269)&4294967295
	s_addc_u32 s15, s15, (.LBB1_1035-.Lpost_getpc11269)>>32
	s_setpc_b64 s[14:15]
.LBB1_29189:
	s_getpc_b64 s[14:15]
.Lpost_getpc258:
	s_add_u32 s14, s14, (.LBB1_1036-.Lpost_getpc258)&4294967295
	s_addc_u32 s15, s15, (.LBB1_1036-.Lpost_getpc258)>>32
	s_setpc_b64 s[14:15]
.LBB1_15373:
	s_movk_i32 s4, 0x80
	v_cmp_eq_u16_sdwa s[12:13], v13, s4 src0_sel:BYTE_0 src1_sel:DWORD
	s_mov_b64 s[4:5], -1
                                        ; implicit-def: $sgpr10
	s_and_saveexec_b64 s[8:9], s[12:13]
; %bb.15374:
	s_mov_b32 s10, 0x7f800001
	s_xor_b64 s[4:5], exec, -1
; %bb.15375:
	s_or_b64 exec, exec, s[8:9]
	s_and_b64 s[4:5], s[4:5], exec
	s_or_saveexec_b64 s[6:7], s[6:7]
	v_mov_b32_e32 v14, s10
	s_xor_b64 exec, exec, s[6:7]
	s_cbranch_execnz .LBB1_15376
; %bb.51213:
	s_getpc_b64 s[14:15]
.Lpost_getpc11270:
	s_add_u32 s14, s14, (.LBB1_1038-.Lpost_getpc11270)&4294967295
	s_addc_u32 s15, s15, (.LBB1_1038-.Lpost_getpc11270)>>32
	s_setpc_b64 s[14:15]
.LBB1_15376:
	v_mov_b32_e32 v14, 0
	v_cmp_ne_u16_sdwa s[8:9], v13, v14 src0_sel:BYTE_0 src1_sel:DWORD
	s_andn2_b64 s[4:5], s[4:5], exec
	s_and_b64 s[8:9], s[8:9], exec
	s_or_b64 s[4:5], s[4:5], s[8:9]
	s_or_b64 exec, exec, s[6:7]
	s_and_saveexec_b64 s[6:7], s[4:5]
	s_cbranch_execz .LBB1_29191
; %bb.51215:
	s_getpc_b64 s[14:15]
.Lpost_getpc11271:
	s_add_u32 s14, s14, (.LBB1_1039-.Lpost_getpc11271)&4294967295
	s_addc_u32 s15, s15, (.LBB1_1039-.Lpost_getpc11271)>>32
	s_setpc_b64 s[14:15]
.LBB1_29191:
	s_getpc_b64 s[14:15]
.Lpost_getpc259:
	s_add_u32 s14, s14, (.LBB1_1040-.Lpost_getpc259)&4294967295
	s_addc_u32 s15, s15, (.LBB1_1040-.Lpost_getpc259)>>32
	s_setpc_b64 s[14:15]
.LBB1_15377:
	s_movk_i32 s4, 0x80
	v_cmp_eq_u16_e32 vcc, s4, v13
	s_mov_b64 s[4:5], -1
                                        ; implicit-def: $sgpr10
	s_and_saveexec_b64 s[8:9], vcc
; %bb.15378:
	s_mov_b32 s10, 0x7f800001
	s_xor_b64 s[4:5], exec, -1
; %bb.15379:
	s_or_b64 exec, exec, s[8:9]
	s_and_b64 s[4:5], s[4:5], exec
                                        ; implicit-def: $vgpr13
	s_or_saveexec_b64 s[6:7], s[6:7]
	v_mov_b32_e32 v12, s10
	s_xor_b64 exec, exec, s[6:7]
	s_cbranch_execnz .LBB1_15380
; %bb.51217:
	s_getpc_b64 s[14:15]
.Lpost_getpc11272:
	s_add_u32 s14, s14, (.LBB1_1042-.Lpost_getpc11272)&4294967295
	s_addc_u32 s15, s15, (.LBB1_1042-.Lpost_getpc11272)>>32
	s_setpc_b64 s[14:15]
.LBB1_15380:
	v_cmp_ne_u16_e32 vcc, 0, v13
	s_andn2_b64 s[4:5], s[4:5], exec
	s_and_b64 s[8:9], vcc, exec
	v_mov_b32_e32 v12, 0
	s_or_b64 s[4:5], s[4:5], s[8:9]
	s_or_b64 exec, exec, s[6:7]
	s_and_saveexec_b64 s[6:7], s[4:5]
	s_cbranch_execz .LBB1_29193
; %bb.51219:
	s_getpc_b64 s[14:15]
.Lpost_getpc11273:
	s_add_u32 s14, s14, (.LBB1_1043-.Lpost_getpc11273)&4294967295
	s_addc_u32 s15, s15, (.LBB1_1043-.Lpost_getpc11273)>>32
	s_setpc_b64 s[14:15]
.LBB1_29193:
	s_getpc_b64 s[14:15]
.Lpost_getpc260:
	s_add_u32 s14, s14, (.LBB1_1044-.Lpost_getpc260)&4294967295
	s_addc_u32 s15, s15, (.LBB1_1044-.Lpost_getpc260)>>32
	s_setpc_b64 s[14:15]
.LBB1_15381:
	s_movk_i32 s4, 0x80
	v_cmp_eq_u16_e32 vcc, s4, v13
	s_mov_b64 s[4:5], -1
                                        ; implicit-def: $sgpr10
	s_and_saveexec_b64 s[8:9], vcc
; %bb.15382:
	s_mov_b32 s10, 0x7f800001
	s_xor_b64 s[4:5], exec, -1
; %bb.15383:
	s_or_b64 exec, exec, s[8:9]
	s_and_b64 s[4:5], s[4:5], exec
                                        ; implicit-def: $vgpr13
	s_or_saveexec_b64 s[6:7], s[6:7]
	v_mov_b32_e32 v14, s10
	s_xor_b64 exec, exec, s[6:7]
	s_cbranch_execnz .LBB1_15384
; %bb.51221:
	s_getpc_b64 s[14:15]
.Lpost_getpc11274:
	s_add_u32 s14, s14, (.LBB1_1046-.Lpost_getpc11274)&4294967295
	s_addc_u32 s15, s15, (.LBB1_1046-.Lpost_getpc11274)>>32
	s_setpc_b64 s[14:15]
.LBB1_15384:
	v_cmp_ne_u16_e32 vcc, 0, v13
	s_andn2_b64 s[4:5], s[4:5], exec
	s_and_b64 s[8:9], vcc, exec
	v_mov_b32_e32 v14, 0
	s_or_b64 s[4:5], s[4:5], s[8:9]
	s_or_b64 exec, exec, s[6:7]
	s_and_saveexec_b64 s[6:7], s[4:5]
	s_cbranch_execz .LBB1_29195
; %bb.51223:
	s_getpc_b64 s[14:15]
.Lpost_getpc11275:
	s_add_u32 s14, s14, (.LBB1_1047-.Lpost_getpc11275)&4294967295
	s_addc_u32 s15, s15, (.LBB1_1047-.Lpost_getpc11275)>>32
	s_setpc_b64 s[14:15]
.LBB1_29195:
	s_getpc_b64 s[14:15]
.Lpost_getpc261:
	s_add_u32 s14, s14, (.LBB1_1048-.Lpost_getpc261)&4294967295
	s_addc_u32 s15, s15, (.LBB1_1048-.Lpost_getpc261)>>32
	s_setpc_b64 s[14:15]
.LBB1_15385:
	s_movk_i32 s4, 0x80
	v_cmp_eq_u16_sdwa s[12:13], v6, s4 src0_sel:BYTE_3 src1_sel:DWORD
	s_mov_b64 s[4:5], -1
                                        ; implicit-def: $sgpr10
	s_and_saveexec_b64 s[8:9], s[12:13]
; %bb.15386:
	s_mov_b32 s10, 0x7f800001
	s_xor_b64 s[4:5], exec, -1
; %bb.15387:
	s_or_b64 exec, exec, s[8:9]
	s_and_b64 s[4:5], s[4:5], exec
	s_or_saveexec_b64 s[6:7], s[6:7]
	v_mov_b32_e32 v12, s10
	s_xor_b64 exec, exec, s[6:7]
	s_cbranch_execnz .LBB1_15388
; %bb.51225:
	s_getpc_b64 s[14:15]
.Lpost_getpc11276:
	s_add_u32 s14, s14, (.LBB1_1050-.Lpost_getpc11276)&4294967295
	s_addc_u32 s15, s15, (.LBB1_1050-.Lpost_getpc11276)>>32
	s_setpc_b64 s[14:15]
.LBB1_15388:
	v_mov_b32_e32 v12, 0
	v_cmp_ne_u16_sdwa s[8:9], v6, v12 src0_sel:BYTE_3 src1_sel:DWORD
	s_andn2_b64 s[4:5], s[4:5], exec
	s_and_b64 s[8:9], s[8:9], exec
	s_or_b64 s[4:5], s[4:5], s[8:9]
	s_or_b64 exec, exec, s[6:7]
	s_and_saveexec_b64 s[6:7], s[4:5]
	s_cbranch_execz .LBB1_29197
; %bb.51227:
	s_getpc_b64 s[14:15]
.Lpost_getpc11277:
	s_add_u32 s14, s14, (.LBB1_1051-.Lpost_getpc11277)&4294967295
	s_addc_u32 s15, s15, (.LBB1_1051-.Lpost_getpc11277)>>32
	s_setpc_b64 s[14:15]
.LBB1_29197:
	s_getpc_b64 s[14:15]
.Lpost_getpc262:
	s_add_u32 s14, s14, (.LBB1_1052-.Lpost_getpc262)&4294967295
	s_addc_u32 s15, s15, (.LBB1_1052-.Lpost_getpc262)>>32
	s_setpc_b64 s[14:15]
.LBB1_15389:
	s_movk_i32 s4, 0x80
	v_cmp_eq_u16_sdwa s[12:13], v2, s4 src0_sel:BYTE_3 src1_sel:DWORD
	s_mov_b64 s[4:5], -1
                                        ; implicit-def: $sgpr10
	s_and_saveexec_b64 s[8:9], s[12:13]
; %bb.15390:
	s_mov_b32 s10, 0x7f800001
	s_xor_b64 s[4:5], exec, -1
; %bb.15391:
	s_or_b64 exec, exec, s[8:9]
	s_and_b64 s[4:5], s[4:5], exec
	s_or_saveexec_b64 s[6:7], s[6:7]
	v_mov_b32_e32 v6, s10
	s_xor_b64 exec, exec, s[6:7]
	s_cbranch_execnz .LBB1_15392
; %bb.51229:
	s_getpc_b64 s[14:15]
.Lpost_getpc11278:
	s_add_u32 s14, s14, (.LBB1_1054-.Lpost_getpc11278)&4294967295
	s_addc_u32 s15, s15, (.LBB1_1054-.Lpost_getpc11278)>>32
	s_setpc_b64 s[14:15]
.LBB1_15392:
	v_mov_b32_e32 v6, 0
	v_cmp_ne_u16_sdwa s[8:9], v2, v6 src0_sel:BYTE_3 src1_sel:DWORD
	s_andn2_b64 s[4:5], s[4:5], exec
	s_and_b64 s[8:9], s[8:9], exec
	s_or_b64 s[4:5], s[4:5], s[8:9]
	s_or_b64 exec, exec, s[6:7]
	s_and_saveexec_b64 s[6:7], s[4:5]
	s_cbranch_execz .LBB1_29199
; %bb.51231:
	s_getpc_b64 s[14:15]
.Lpost_getpc11279:
	s_add_u32 s14, s14, (.LBB1_1055-.Lpost_getpc11279)&4294967295
	s_addc_u32 s15, s15, (.LBB1_1055-.Lpost_getpc11279)>>32
	s_setpc_b64 s[14:15]
.LBB1_29199:
	s_getpc_b64 s[14:15]
.Lpost_getpc263:
	s_add_u32 s14, s14, (.LBB1_1056-.Lpost_getpc263)&4294967295
	s_addc_u32 s15, s15, (.LBB1_1056-.Lpost_getpc263)>>32
	s_setpc_b64 s[14:15]
.LBB1_15393:
	s_movk_i32 s4, 0x80
	v_cmp_eq_u16_sdwa s[12:13], v7, s4 src0_sel:BYTE_0 src1_sel:DWORD
	s_mov_b64 s[4:5], -1
                                        ; implicit-def: $sgpr10
	s_and_saveexec_b64 s[8:9], s[12:13]
; %bb.15394:
	s_mov_b32 s10, 0x7f800001
	s_xor_b64 s[4:5], exec, -1
; %bb.15395:
	s_or_b64 exec, exec, s[8:9]
	s_and_b64 s[4:5], s[4:5], exec
	s_or_saveexec_b64 s[6:7], s[6:7]
	v_mov_b32_e32 v2, s10
	s_xor_b64 exec, exec, s[6:7]
	s_cbranch_execnz .LBB1_15396
; %bb.51233:
	s_getpc_b64 s[14:15]
.Lpost_getpc11280:
	s_add_u32 s14, s14, (.LBB1_1058-.Lpost_getpc11280)&4294967295
	s_addc_u32 s15, s15, (.LBB1_1058-.Lpost_getpc11280)>>32
	s_setpc_b64 s[14:15]
.LBB1_15396:
	v_mov_b32_e32 v2, 0
	v_cmp_ne_u16_sdwa s[8:9], v7, v2 src0_sel:BYTE_0 src1_sel:DWORD
	s_andn2_b64 s[4:5], s[4:5], exec
	s_and_b64 s[8:9], s[8:9], exec
	s_or_b64 s[4:5], s[4:5], s[8:9]
	s_or_b64 exec, exec, s[6:7]
	s_and_saveexec_b64 s[6:7], s[4:5]
	s_cbranch_execz .LBB1_29201
; %bb.51235:
	s_getpc_b64 s[14:15]
.Lpost_getpc11281:
	s_add_u32 s14, s14, (.LBB1_1059-.Lpost_getpc11281)&4294967295
	s_addc_u32 s15, s15, (.LBB1_1059-.Lpost_getpc11281)>>32
	s_setpc_b64 s[14:15]
.LBB1_29201:
	s_getpc_b64 s[14:15]
.Lpost_getpc264:
	s_add_u32 s14, s14, (.LBB1_1060-.Lpost_getpc264)&4294967295
	s_addc_u32 s15, s15, (.LBB1_1060-.Lpost_getpc264)>>32
	s_setpc_b64 s[14:15]
.LBB1_15397:
	s_movk_i32 s4, 0x80
	v_cmp_eq_u16_sdwa s[12:13], v3, s4 src0_sel:BYTE_0 src1_sel:DWORD
	s_mov_b64 s[4:5], -1
                                        ; implicit-def: $sgpr10
	s_and_saveexec_b64 s[8:9], s[12:13]
; %bb.15398:
	s_mov_b32 s10, 0x7f800001
	s_xor_b64 s[4:5], exec, -1
; %bb.15399:
	s_or_b64 exec, exec, s[8:9]
	s_and_b64 s[4:5], s[4:5], exec
	s_or_saveexec_b64 s[6:7], s[6:7]
	v_mov_b32_e32 v6, s10
	s_xor_b64 exec, exec, s[6:7]
	s_cbranch_execnz .LBB1_15400
; %bb.51237:
	s_getpc_b64 s[14:15]
.Lpost_getpc11282:
	s_add_u32 s14, s14, (.LBB1_1062-.Lpost_getpc11282)&4294967295
	s_addc_u32 s15, s15, (.LBB1_1062-.Lpost_getpc11282)>>32
	s_setpc_b64 s[14:15]
.LBB1_15400:
	v_mov_b32_e32 v6, 0
	v_cmp_ne_u16_sdwa s[8:9], v3, v6 src0_sel:BYTE_0 src1_sel:DWORD
	s_andn2_b64 s[4:5], s[4:5], exec
	s_and_b64 s[8:9], s[8:9], exec
	s_or_b64 s[4:5], s[4:5], s[8:9]
	s_or_b64 exec, exec, s[6:7]
	s_and_saveexec_b64 s[6:7], s[4:5]
	s_cbranch_execz .LBB1_29203
; %bb.51239:
	s_getpc_b64 s[14:15]
.Lpost_getpc11283:
	s_add_u32 s14, s14, (.LBB1_1063-.Lpost_getpc11283)&4294967295
	s_addc_u32 s15, s15, (.LBB1_1063-.Lpost_getpc11283)>>32
	s_setpc_b64 s[14:15]
.LBB1_29203:
	s_getpc_b64 s[14:15]
.Lpost_getpc265:
	s_add_u32 s14, s14, (.LBB1_1064-.Lpost_getpc265)&4294967295
	s_addc_u32 s15, s15, (.LBB1_1064-.Lpost_getpc265)>>32
	s_setpc_b64 s[14:15]
.LBB1_15401:
	s_movk_i32 s4, 0x80
	v_cmp_eq_u16_sdwa s[12:13], v6, s4 src0_sel:BYTE_0 src1_sel:DWORD
	s_mov_b64 s[4:5], -1
                                        ; implicit-def: $sgpr10
	s_and_saveexec_b64 s[8:9], s[12:13]
; %bb.15402:
	s_mov_b32 s10, 0x7f800001
	s_xor_b64 s[4:5], exec, -1
; %bb.15403:
	s_or_b64 exec, exec, s[8:9]
	s_and_b64 s[4:5], s[4:5], exec
	s_or_saveexec_b64 s[6:7], s[6:7]
	v_mov_b32_e32 v2, s10
	s_xor_b64 exec, exec, s[6:7]
	s_cbranch_execnz .LBB1_15404
; %bb.51241:
	s_getpc_b64 s[14:15]
.Lpost_getpc11284:
	s_add_u32 s14, s14, (.LBB1_1066-.Lpost_getpc11284)&4294967295
	s_addc_u32 s15, s15, (.LBB1_1066-.Lpost_getpc11284)>>32
	s_setpc_b64 s[14:15]
.LBB1_15404:
	v_mov_b32_e32 v2, 0
	v_cmp_ne_u16_sdwa s[8:9], v6, v2 src0_sel:BYTE_0 src1_sel:DWORD
	s_andn2_b64 s[4:5], s[4:5], exec
	s_and_b64 s[8:9], s[8:9], exec
	s_or_b64 s[4:5], s[4:5], s[8:9]
	s_or_b64 exec, exec, s[6:7]
	s_and_saveexec_b64 s[6:7], s[4:5]
	s_cbranch_execz .LBB1_29205
; %bb.51243:
	s_getpc_b64 s[14:15]
.Lpost_getpc11285:
	s_add_u32 s14, s14, (.LBB1_1067-.Lpost_getpc11285)&4294967295
	s_addc_u32 s15, s15, (.LBB1_1067-.Lpost_getpc11285)>>32
	s_setpc_b64 s[14:15]
.LBB1_29205:
	s_getpc_b64 s[14:15]
.Lpost_getpc266:
	s_add_u32 s14, s14, (.LBB1_1068-.Lpost_getpc266)&4294967295
	s_addc_u32 s15, s15, (.LBB1_1068-.Lpost_getpc266)>>32
	s_setpc_b64 s[14:15]
.LBB1_15405:
	s_movk_i32 s4, 0x80
	v_cmp_eq_u16_sdwa s[12:13], v6, s4 src0_sel:BYTE_0 src1_sel:DWORD
	s_mov_b64 s[4:5], -1
                                        ; implicit-def: $sgpr10
	s_and_saveexec_b64 s[8:9], s[12:13]
; %bb.15406:
	s_mov_b32 s10, 0x7f800001
	s_xor_b64 s[4:5], exec, -1
; %bb.15407:
	s_or_b64 exec, exec, s[8:9]
	s_and_b64 s[4:5], s[4:5], exec
	s_or_saveexec_b64 s[6:7], s[6:7]
	v_mov_b32_e32 v12, s10
	s_xor_b64 exec, exec, s[6:7]
	s_cbranch_execnz .LBB1_15408
; %bb.51245:
	s_getpc_b64 s[14:15]
.Lpost_getpc11286:
	s_add_u32 s14, s14, (.LBB1_1070-.Lpost_getpc11286)&4294967295
	s_addc_u32 s15, s15, (.LBB1_1070-.Lpost_getpc11286)>>32
	s_setpc_b64 s[14:15]
.LBB1_15408:
	v_mov_b32_e32 v12, 0
	v_cmp_ne_u16_sdwa s[8:9], v6, v12 src0_sel:BYTE_0 src1_sel:DWORD
	s_andn2_b64 s[4:5], s[4:5], exec
	s_and_b64 s[8:9], s[8:9], exec
	s_or_b64 s[4:5], s[4:5], s[8:9]
	s_or_b64 exec, exec, s[6:7]
	s_and_saveexec_b64 s[6:7], s[4:5]
	s_cbranch_execz .LBB1_29207
; %bb.51247:
	s_getpc_b64 s[14:15]
.Lpost_getpc11287:
	s_add_u32 s14, s14, (.LBB1_1071-.Lpost_getpc11287)&4294967295
	s_addc_u32 s15, s15, (.LBB1_1071-.Lpost_getpc11287)>>32
	s_setpc_b64 s[14:15]
.LBB1_29207:
	s_getpc_b64 s[14:15]
.Lpost_getpc267:
	s_add_u32 s14, s14, (.LBB1_1072-.Lpost_getpc267)&4294967295
	s_addc_u32 s15, s15, (.LBB1_1072-.Lpost_getpc267)>>32
	s_setpc_b64 s[14:15]
.LBB1_15409:
	s_movk_i32 s4, 0x80
	v_cmp_eq_u16_e32 vcc, s4, v6
	s_mov_b64 s[4:5], -1
                                        ; implicit-def: $sgpr10
	s_and_saveexec_b64 s[8:9], vcc
; %bb.15410:
	s_mov_b32 s10, 0x7f800001
	s_xor_b64 s[4:5], exec, -1
; %bb.15411:
	s_or_b64 exec, exec, s[8:9]
	s_and_b64 s[4:5], s[4:5], exec
                                        ; implicit-def: $vgpr6
	s_or_saveexec_b64 s[6:7], s[6:7]
	v_mov_b32_e32 v2, s10
	s_xor_b64 exec, exec, s[6:7]
	s_cbranch_execnz .LBB1_15412
; %bb.51249:
	s_getpc_b64 s[14:15]
.Lpost_getpc11288:
	s_add_u32 s14, s14, (.LBB1_1074-.Lpost_getpc11288)&4294967295
	s_addc_u32 s15, s15, (.LBB1_1074-.Lpost_getpc11288)>>32
	s_setpc_b64 s[14:15]
.LBB1_15412:
	v_cmp_ne_u16_e32 vcc, 0, v6
	s_andn2_b64 s[4:5], s[4:5], exec
	s_and_b64 s[8:9], vcc, exec
	v_mov_b32_e32 v2, 0
	s_or_b64 s[4:5], s[4:5], s[8:9]
	s_or_b64 exec, exec, s[6:7]
	s_and_saveexec_b64 s[6:7], s[4:5]
	s_cbranch_execz .LBB1_29209
; %bb.51251:
	s_getpc_b64 s[14:15]
.Lpost_getpc11289:
	s_add_u32 s14, s14, (.LBB1_1075-.Lpost_getpc11289)&4294967295
	s_addc_u32 s15, s15, (.LBB1_1075-.Lpost_getpc11289)>>32
	s_setpc_b64 s[14:15]
.LBB1_29209:
	s_getpc_b64 s[14:15]
.Lpost_getpc268:
	s_add_u32 s14, s14, (.LBB1_1076-.Lpost_getpc268)&4294967295
	s_addc_u32 s15, s15, (.LBB1_1076-.Lpost_getpc268)>>32
	s_setpc_b64 s[14:15]
.LBB1_15413:
	s_movk_i32 s4, 0x80
	v_cmp_eq_u16_e32 vcc, s4, v6
	s_mov_b64 s[4:5], -1
                                        ; implicit-def: $sgpr10
	s_and_saveexec_b64 s[8:9], vcc
; %bb.15414:
	s_mov_b32 s10, 0x7f800001
	s_xor_b64 s[4:5], exec, -1
; %bb.15415:
	s_or_b64 exec, exec, s[8:9]
	s_and_b64 s[4:5], s[4:5], exec
                                        ; implicit-def: $vgpr6
	s_or_saveexec_b64 s[6:7], s[6:7]
	v_mov_b32_e32 v12, s10
	s_xor_b64 exec, exec, s[6:7]
	s_cbranch_execnz .LBB1_15416
; %bb.51253:
	s_getpc_b64 s[14:15]
.Lpost_getpc11290:
	s_add_u32 s14, s14, (.LBB1_1078-.Lpost_getpc11290)&4294967295
	s_addc_u32 s15, s15, (.LBB1_1078-.Lpost_getpc11290)>>32
	s_setpc_b64 s[14:15]
.LBB1_15416:
	v_cmp_ne_u16_e32 vcc, 0, v6
	s_andn2_b64 s[4:5], s[4:5], exec
	s_and_b64 s[8:9], vcc, exec
	v_mov_b32_e32 v12, 0
	s_or_b64 s[4:5], s[4:5], s[8:9]
	s_or_b64 exec, exec, s[6:7]
	s_and_saveexec_b64 s[6:7], s[4:5]
	s_cbranch_execz .LBB1_29211
; %bb.51255:
	s_getpc_b64 s[14:15]
.Lpost_getpc11291:
	s_add_u32 s14, s14, (.LBB1_1079-.Lpost_getpc11291)&4294967295
	s_addc_u32 s15, s15, (.LBB1_1079-.Lpost_getpc11291)>>32
	s_setpc_b64 s[14:15]
.LBB1_29211:
	s_getpc_b64 s[14:15]
.Lpost_getpc269:
	s_add_u32 s14, s14, (.LBB1_1080-.Lpost_getpc269)&4294967295
	s_addc_u32 s15, s15, (.LBB1_1080-.Lpost_getpc269)>>32
	s_setpc_b64 s[14:15]
.LBB1_15417:
	s_movk_i32 s4, 0x80
	v_cmp_eq_u16_sdwa s[12:13], v7, s4 src0_sel:BYTE_3 src1_sel:DWORD
	s_mov_b64 s[4:5], -1
                                        ; implicit-def: $sgpr10
	s_and_saveexec_b64 s[8:9], s[12:13]
; %bb.15418:
	s_mov_b32 s10, 0x7f800001
	s_xor_b64 s[4:5], exec, -1
; %bb.15419:
	s_or_b64 exec, exec, s[8:9]
	s_and_b64 s[4:5], s[4:5], exec
	s_or_saveexec_b64 s[6:7], s[6:7]
	v_mov_b32_e32 v2, s10
	s_xor_b64 exec, exec, s[6:7]
	s_cbranch_execnz .LBB1_15420
; %bb.51257:
	s_getpc_b64 s[14:15]
.Lpost_getpc11292:
	s_add_u32 s14, s14, (.LBB1_1082-.Lpost_getpc11292)&4294967295
	s_addc_u32 s15, s15, (.LBB1_1082-.Lpost_getpc11292)>>32
	s_setpc_b64 s[14:15]
.LBB1_15420:
	v_mov_b32_e32 v2, 0
	v_cmp_ne_u16_sdwa s[8:9], v7, v2 src0_sel:BYTE_3 src1_sel:DWORD
	s_andn2_b64 s[4:5], s[4:5], exec
	s_and_b64 s[8:9], s[8:9], exec
	s_or_b64 s[4:5], s[4:5], s[8:9]
	s_or_b64 exec, exec, s[6:7]
	s_and_saveexec_b64 s[6:7], s[4:5]
	s_cbranch_execz .LBB1_29213
; %bb.51259:
	s_getpc_b64 s[14:15]
.Lpost_getpc11293:
	s_add_u32 s14, s14, (.LBB1_1083-.Lpost_getpc11293)&4294967295
	s_addc_u32 s15, s15, (.LBB1_1083-.Lpost_getpc11293)>>32
	s_setpc_b64 s[14:15]
.LBB1_29213:
	s_getpc_b64 s[14:15]
.Lpost_getpc270:
	s_add_u32 s14, s14, (.LBB1_1084-.Lpost_getpc270)&4294967295
	s_addc_u32 s15, s15, (.LBB1_1084-.Lpost_getpc270)>>32
	s_setpc_b64 s[14:15]
.LBB1_15421:
	s_movk_i32 s4, 0x80
	v_cmp_eq_u16_sdwa s[12:13], v3, s4 src0_sel:BYTE_3 src1_sel:DWORD
	s_mov_b64 s[4:5], -1
                                        ; implicit-def: $sgpr10
	s_and_saveexec_b64 s[8:9], s[12:13]
; %bb.15422:
	s_mov_b32 s10, 0x7f800001
	s_xor_b64 s[4:5], exec, -1
; %bb.15423:
	s_or_b64 exec, exec, s[8:9]
	s_and_b64 s[4:5], s[4:5], exec
	s_or_saveexec_b64 s[6:7], s[6:7]
	v_mov_b32_e32 v6, s10
	s_xor_b64 exec, exec, s[6:7]
	s_cbranch_execnz .LBB1_15424
; %bb.51261:
	s_getpc_b64 s[14:15]
.Lpost_getpc11294:
	s_add_u32 s14, s14, (.LBB1_1086-.Lpost_getpc11294)&4294967295
	s_addc_u32 s15, s15, (.LBB1_1086-.Lpost_getpc11294)>>32
	s_setpc_b64 s[14:15]
.LBB1_15424:
	v_mov_b32_e32 v6, 0
	v_cmp_ne_u16_sdwa s[8:9], v3, v6 src0_sel:BYTE_3 src1_sel:DWORD
	s_andn2_b64 s[4:5], s[4:5], exec
	s_and_b64 s[8:9], s[8:9], exec
	s_or_b64 s[4:5], s[4:5], s[8:9]
	s_or_b64 exec, exec, s[6:7]
	s_and_saveexec_b64 s[6:7], s[4:5]
	s_cbranch_execz .LBB1_29215
; %bb.51263:
	s_getpc_b64 s[14:15]
.Lpost_getpc11295:
	s_add_u32 s14, s14, (.LBB1_1087-.Lpost_getpc11295)&4294967295
	s_addc_u32 s15, s15, (.LBB1_1087-.Lpost_getpc11295)>>32
	s_setpc_b64 s[14:15]
.LBB1_29215:
	s_getpc_b64 s[14:15]
.Lpost_getpc271:
	s_add_u32 s14, s14, (.LBB1_1088-.Lpost_getpc271)&4294967295
	s_addc_u32 s15, s15, (.LBB1_1088-.Lpost_getpc271)>>32
	s_setpc_b64 s[14:15]
.LBB1_15425:
	s_movk_i32 s4, 0x80
	v_cmp_eq_u16_sdwa s[12:13], v8, s4 src0_sel:BYTE_0 src1_sel:DWORD
	s_mov_b64 s[4:5], -1
                                        ; implicit-def: $sgpr10
	s_and_saveexec_b64 s[8:9], s[12:13]
; %bb.15426:
	s_mov_b32 s10, 0x7f800001
	s_xor_b64 s[4:5], exec, -1
; %bb.15427:
	s_or_b64 exec, exec, s[8:9]
	s_and_b64 s[4:5], s[4:5], exec
	s_or_saveexec_b64 s[6:7], s[6:7]
	v_mov_b32_e32 v2, s10
	s_xor_b64 exec, exec, s[6:7]
	s_cbranch_execnz .LBB1_15428
; %bb.51265:
	s_getpc_b64 s[14:15]
.Lpost_getpc11296:
	s_add_u32 s14, s14, (.LBB1_1090-.Lpost_getpc11296)&4294967295
	s_addc_u32 s15, s15, (.LBB1_1090-.Lpost_getpc11296)>>32
	s_setpc_b64 s[14:15]
.LBB1_15428:
	v_mov_b32_e32 v2, 0
	v_cmp_ne_u16_sdwa s[8:9], v8, v2 src0_sel:BYTE_0 src1_sel:DWORD
	s_andn2_b64 s[4:5], s[4:5], exec
	s_and_b64 s[8:9], s[8:9], exec
	s_or_b64 s[4:5], s[4:5], s[8:9]
	s_or_b64 exec, exec, s[6:7]
	s_and_saveexec_b64 s[6:7], s[4:5]
	s_cbranch_execz .LBB1_29217
; %bb.51267:
	s_getpc_b64 s[14:15]
.Lpost_getpc11297:
	s_add_u32 s14, s14, (.LBB1_1091-.Lpost_getpc11297)&4294967295
	s_addc_u32 s15, s15, (.LBB1_1091-.Lpost_getpc11297)>>32
	s_setpc_b64 s[14:15]
.LBB1_29217:
	s_getpc_b64 s[14:15]
.Lpost_getpc272:
	s_add_u32 s14, s14, (.LBB1_1092-.Lpost_getpc272)&4294967295
	s_addc_u32 s15, s15, (.LBB1_1092-.Lpost_getpc272)>>32
	s_setpc_b64 s[14:15]
.LBB1_15429:
	s_movk_i32 s4, 0x80
	v_cmp_eq_u16_sdwa s[12:13], v4, s4 src0_sel:BYTE_0 src1_sel:DWORD
	s_mov_b64 s[4:5], -1
                                        ; implicit-def: $sgpr10
	s_and_saveexec_b64 s[8:9], s[12:13]
; %bb.15430:
	s_mov_b32 s10, 0x7f800001
	s_xor_b64 s[4:5], exec, -1
; %bb.15431:
	s_or_b64 exec, exec, s[8:9]
	s_and_b64 s[4:5], s[4:5], exec
	s_or_saveexec_b64 s[6:7], s[6:7]
	v_mov_b32_e32 v3, s10
	s_xor_b64 exec, exec, s[6:7]
	s_cbranch_execnz .LBB1_15432
; %bb.51269:
	s_getpc_b64 s[14:15]
.Lpost_getpc11298:
	s_add_u32 s14, s14, (.LBB1_1094-.Lpost_getpc11298)&4294967295
	s_addc_u32 s15, s15, (.LBB1_1094-.Lpost_getpc11298)>>32
	s_setpc_b64 s[14:15]
.LBB1_15432:
	v_mov_b32_e32 v3, 0
	v_cmp_ne_u16_sdwa s[8:9], v4, v3 src0_sel:BYTE_0 src1_sel:DWORD
	s_andn2_b64 s[4:5], s[4:5], exec
	s_and_b64 s[8:9], s[8:9], exec
	s_or_b64 s[4:5], s[4:5], s[8:9]
	s_or_b64 exec, exec, s[6:7]
	s_and_saveexec_b64 s[6:7], s[4:5]
	s_cbranch_execz .LBB1_29219
; %bb.51271:
	s_getpc_b64 s[14:15]
.Lpost_getpc11299:
	s_add_u32 s14, s14, (.LBB1_1095-.Lpost_getpc11299)&4294967295
	s_addc_u32 s15, s15, (.LBB1_1095-.Lpost_getpc11299)>>32
	s_setpc_b64 s[14:15]
.LBB1_29219:
	s_getpc_b64 s[14:15]
.Lpost_getpc273:
	s_add_u32 s14, s14, (.LBB1_1096-.Lpost_getpc273)&4294967295
	s_addc_u32 s15, s15, (.LBB1_1096-.Lpost_getpc273)>>32
	s_setpc_b64 s[14:15]
.LBB1_15433:
	s_movk_i32 s4, 0x80
	v_cmp_eq_u16_sdwa s[12:13], v3, s4 src0_sel:BYTE_0 src1_sel:DWORD
	s_mov_b64 s[4:5], -1
                                        ; implicit-def: $sgpr10
	s_and_saveexec_b64 s[8:9], s[12:13]
; %bb.15434:
	s_mov_b32 s10, 0x7f800001
	s_xor_b64 s[4:5], exec, -1
; %bb.15435:
	s_or_b64 exec, exec, s[8:9]
	s_and_b64 s[4:5], s[4:5], exec
	s_or_saveexec_b64 s[6:7], s[6:7]
	v_mov_b32_e32 v2, s10
	s_xor_b64 exec, exec, s[6:7]
	s_cbranch_execnz .LBB1_15436
; %bb.51273:
	s_getpc_b64 s[14:15]
.Lpost_getpc11300:
	s_add_u32 s14, s14, (.LBB1_1098-.Lpost_getpc11300)&4294967295
	s_addc_u32 s15, s15, (.LBB1_1098-.Lpost_getpc11300)>>32
	s_setpc_b64 s[14:15]
.LBB1_15436:
	v_mov_b32_e32 v2, 0
	v_cmp_ne_u16_sdwa s[8:9], v3, v2 src0_sel:BYTE_0 src1_sel:DWORD
	s_andn2_b64 s[4:5], s[4:5], exec
	s_and_b64 s[8:9], s[8:9], exec
	s_or_b64 s[4:5], s[4:5], s[8:9]
	s_or_b64 exec, exec, s[6:7]
	s_and_saveexec_b64 s[6:7], s[4:5]
	s_cbranch_execz .LBB1_29221
; %bb.51275:
	s_getpc_b64 s[14:15]
.Lpost_getpc11301:
	s_add_u32 s14, s14, (.LBB1_1099-.Lpost_getpc11301)&4294967295
	s_addc_u32 s15, s15, (.LBB1_1099-.Lpost_getpc11301)>>32
	s_setpc_b64 s[14:15]
.LBB1_29221:
	s_getpc_b64 s[14:15]
.Lpost_getpc274:
	s_add_u32 s14, s14, (.LBB1_1100-.Lpost_getpc274)&4294967295
	s_addc_u32 s15, s15, (.LBB1_1100-.Lpost_getpc274)>>32
	s_setpc_b64 s[14:15]
.LBB1_15437:
	s_movk_i32 s4, 0x80
	v_cmp_eq_u16_sdwa s[12:13], v3, s4 src0_sel:BYTE_0 src1_sel:DWORD
	s_mov_b64 s[4:5], -1
                                        ; implicit-def: $sgpr10
	s_and_saveexec_b64 s[8:9], s[12:13]
; %bb.15438:
	s_mov_b32 s10, 0x7f800001
	s_xor_b64 s[4:5], exec, -1
; %bb.15439:
	s_or_b64 exec, exec, s[8:9]
	s_and_b64 s[4:5], s[4:5], exec
	s_or_saveexec_b64 s[6:7], s[6:7]
	v_mov_b32_e32 v6, s10
	s_xor_b64 exec, exec, s[6:7]
	s_cbranch_execnz .LBB1_15440
; %bb.51277:
	s_getpc_b64 s[14:15]
.Lpost_getpc11302:
	s_add_u32 s14, s14, (.LBB1_1102-.Lpost_getpc11302)&4294967295
	s_addc_u32 s15, s15, (.LBB1_1102-.Lpost_getpc11302)>>32
	s_setpc_b64 s[14:15]
.LBB1_15440:
	v_mov_b32_e32 v6, 0
	v_cmp_ne_u16_sdwa s[8:9], v3, v6 src0_sel:BYTE_0 src1_sel:DWORD
	s_andn2_b64 s[4:5], s[4:5], exec
	s_and_b64 s[8:9], s[8:9], exec
	s_or_b64 s[4:5], s[4:5], s[8:9]
	s_or_b64 exec, exec, s[6:7]
	s_and_saveexec_b64 s[6:7], s[4:5]
	s_cbranch_execz .LBB1_29223
; %bb.51279:
	s_getpc_b64 s[14:15]
.Lpost_getpc11303:
	s_add_u32 s14, s14, (.LBB1_1103-.Lpost_getpc11303)&4294967295
	s_addc_u32 s15, s15, (.LBB1_1103-.Lpost_getpc11303)>>32
	s_setpc_b64 s[14:15]
.LBB1_29223:
	s_getpc_b64 s[14:15]
.Lpost_getpc275:
	s_add_u32 s14, s14, (.LBB1_1104-.Lpost_getpc275)&4294967295
	s_addc_u32 s15, s15, (.LBB1_1104-.Lpost_getpc275)>>32
	s_setpc_b64 s[14:15]
.LBB1_15441:
	s_movk_i32 s4, 0x80
	v_cmp_eq_u16_e32 vcc, s4, v3
	s_mov_b64 s[4:5], -1
                                        ; implicit-def: $sgpr10
	s_and_saveexec_b64 s[8:9], vcc
; %bb.15442:
	s_mov_b32 s10, 0x7f800001
	s_xor_b64 s[4:5], exec, -1
; %bb.15443:
	s_or_b64 exec, exec, s[8:9]
	s_and_b64 s[4:5], s[4:5], exec
                                        ; implicit-def: $vgpr3
	s_or_saveexec_b64 s[6:7], s[6:7]
	v_mov_b32_e32 v2, s10
	s_xor_b64 exec, exec, s[6:7]
	s_cbranch_execnz .LBB1_15444
; %bb.51281:
	s_getpc_b64 s[14:15]
.Lpost_getpc11304:
	s_add_u32 s14, s14, (.LBB1_1106-.Lpost_getpc11304)&4294967295
	s_addc_u32 s15, s15, (.LBB1_1106-.Lpost_getpc11304)>>32
	s_setpc_b64 s[14:15]
.LBB1_15444:
	v_cmp_ne_u16_e32 vcc, 0, v3
	s_andn2_b64 s[4:5], s[4:5], exec
	s_and_b64 s[8:9], vcc, exec
	v_mov_b32_e32 v2, 0
	s_or_b64 s[4:5], s[4:5], s[8:9]
	s_or_b64 exec, exec, s[6:7]
	s_and_saveexec_b64 s[6:7], s[4:5]
	s_cbranch_execz .LBB1_29225
; %bb.51283:
	s_getpc_b64 s[14:15]
.Lpost_getpc11305:
	s_add_u32 s14, s14, (.LBB1_1107-.Lpost_getpc11305)&4294967295
	s_addc_u32 s15, s15, (.LBB1_1107-.Lpost_getpc11305)>>32
	s_setpc_b64 s[14:15]
.LBB1_29225:
	s_getpc_b64 s[14:15]
.Lpost_getpc276:
	s_add_u32 s14, s14, (.LBB1_1108-.Lpost_getpc276)&4294967295
	s_addc_u32 s15, s15, (.LBB1_1108-.Lpost_getpc276)>>32
	s_setpc_b64 s[14:15]
.LBB1_15445:
	s_movk_i32 s4, 0x80
	v_cmp_eq_u16_e32 vcc, s4, v3
	s_mov_b64 s[4:5], -1
                                        ; implicit-def: $sgpr10
	s_and_saveexec_b64 s[8:9], vcc
; %bb.15446:
	s_mov_b32 s10, 0x7f800001
	s_xor_b64 s[4:5], exec, -1
; %bb.15447:
	s_or_b64 exec, exec, s[8:9]
	s_and_b64 s[4:5], s[4:5], exec
                                        ; implicit-def: $vgpr3
	s_or_saveexec_b64 s[6:7], s[6:7]
	v_mov_b32_e32 v6, s10
	s_xor_b64 exec, exec, s[6:7]
	s_cbranch_execnz .LBB1_15448
; %bb.51285:
	s_getpc_b64 s[14:15]
.Lpost_getpc11306:
	s_add_u32 s14, s14, (.LBB1_1110-.Lpost_getpc11306)&4294967295
	s_addc_u32 s15, s15, (.LBB1_1110-.Lpost_getpc11306)>>32
	s_setpc_b64 s[14:15]
.LBB1_15448:
	v_cmp_ne_u16_e32 vcc, 0, v3
	s_andn2_b64 s[4:5], s[4:5], exec
	s_and_b64 s[8:9], vcc, exec
	v_mov_b32_e32 v6, 0
	s_or_b64 s[4:5], s[4:5], s[8:9]
	s_or_b64 exec, exec, s[6:7]
	s_and_saveexec_b64 s[6:7], s[4:5]
	s_cbranch_execz .LBB1_29227
; %bb.51287:
	s_getpc_b64 s[14:15]
.Lpost_getpc11307:
	s_add_u32 s14, s14, (.LBB1_1111-.Lpost_getpc11307)&4294967295
	s_addc_u32 s15, s15, (.LBB1_1111-.Lpost_getpc11307)>>32
	s_setpc_b64 s[14:15]
.LBB1_29227:
	s_getpc_b64 s[14:15]
.Lpost_getpc277:
	s_add_u32 s14, s14, (.LBB1_1112-.Lpost_getpc277)&4294967295
	s_addc_u32 s15, s15, (.LBB1_1112-.Lpost_getpc277)>>32
	s_setpc_b64 s[14:15]
.LBB1_15449:
	s_movk_i32 s4, 0x80
	v_cmp_eq_u16_sdwa s[12:13], v8, s4 src0_sel:BYTE_3 src1_sel:DWORD
	s_mov_b64 s[4:5], -1
                                        ; implicit-def: $sgpr10
	s_and_saveexec_b64 s[8:9], s[12:13]
; %bb.15450:
	s_mov_b32 s10, 0x7f800001
	s_xor_b64 s[4:5], exec, -1
; %bb.15451:
	s_or_b64 exec, exec, s[8:9]
	s_and_b64 s[4:5], s[4:5], exec
	s_or_saveexec_b64 s[6:7], s[6:7]
	v_mov_b32_e32 v2, s10
	s_xor_b64 exec, exec, s[6:7]
	s_cbranch_execnz .LBB1_15452
; %bb.51289:
	s_getpc_b64 s[14:15]
.Lpost_getpc11308:
	s_add_u32 s14, s14, (.LBB1_1114-.Lpost_getpc11308)&4294967295
	s_addc_u32 s15, s15, (.LBB1_1114-.Lpost_getpc11308)>>32
	s_setpc_b64 s[14:15]
.LBB1_15452:
	v_mov_b32_e32 v2, 0
	v_cmp_ne_u16_sdwa s[8:9], v8, v2 src0_sel:BYTE_3 src1_sel:DWORD
	s_andn2_b64 s[4:5], s[4:5], exec
	s_and_b64 s[8:9], s[8:9], exec
	s_or_b64 s[4:5], s[4:5], s[8:9]
	s_or_b64 exec, exec, s[6:7]
	s_and_saveexec_b64 s[6:7], s[4:5]
	s_cbranch_execz .LBB1_29229
; %bb.51291:
	s_getpc_b64 s[14:15]
.Lpost_getpc11309:
	s_add_u32 s14, s14, (.LBB1_1115-.Lpost_getpc11309)&4294967295
	s_addc_u32 s15, s15, (.LBB1_1115-.Lpost_getpc11309)>>32
	s_setpc_b64 s[14:15]
.LBB1_29229:
	s_getpc_b64 s[14:15]
.Lpost_getpc278:
	s_add_u32 s14, s14, (.LBB1_1116-.Lpost_getpc278)&4294967295
	s_addc_u32 s15, s15, (.LBB1_1116-.Lpost_getpc278)>>32
	s_setpc_b64 s[14:15]
.LBB1_15453:
	s_movk_i32 s4, 0x80
	v_cmp_eq_u16_sdwa s[12:13], v4, s4 src0_sel:BYTE_3 src1_sel:DWORD
	s_mov_b64 s[4:5], -1
                                        ; implicit-def: $sgpr10
	s_and_saveexec_b64 s[8:9], s[12:13]
; %bb.15454:
	s_mov_b32 s10, 0x7f800001
	s_xor_b64 s[4:5], exec, -1
; %bb.15455:
	s_or_b64 exec, exec, s[8:9]
	s_and_b64 s[4:5], s[4:5], exec
	s_or_saveexec_b64 s[6:7], s[6:7]
	v_mov_b32_e32 v3, s10
	s_xor_b64 exec, exec, s[6:7]
	s_cbranch_execnz .LBB1_15456
; %bb.51293:
	s_getpc_b64 s[14:15]
.Lpost_getpc11310:
	s_add_u32 s14, s14, (.LBB1_1118-.Lpost_getpc11310)&4294967295
	s_addc_u32 s15, s15, (.LBB1_1118-.Lpost_getpc11310)>>32
	s_setpc_b64 s[14:15]
.LBB1_15456:
	v_mov_b32_e32 v3, 0
	v_cmp_ne_u16_sdwa s[8:9], v4, v3 src0_sel:BYTE_3 src1_sel:DWORD
	s_andn2_b64 s[4:5], s[4:5], exec
	s_and_b64 s[8:9], s[8:9], exec
	s_or_b64 s[4:5], s[4:5], s[8:9]
	s_or_b64 exec, exec, s[6:7]
	s_and_saveexec_b64 s[6:7], s[4:5]
	s_cbranch_execz .LBB1_29231
; %bb.51295:
	s_getpc_b64 s[14:15]
.Lpost_getpc11311:
	s_add_u32 s14, s14, (.LBB1_1119-.Lpost_getpc11311)&4294967295
	s_addc_u32 s15, s15, (.LBB1_1119-.Lpost_getpc11311)>>32
	s_setpc_b64 s[14:15]
.LBB1_29231:
	s_getpc_b64 s[14:15]
.Lpost_getpc279:
	s_add_u32 s14, s14, (.LBB1_1120-.Lpost_getpc279)&4294967295
	s_addc_u32 s15, s15, (.LBB1_1120-.Lpost_getpc279)>>32
	s_setpc_b64 s[14:15]
.LBB1_15457:
	s_movk_i32 s4, 0x80
	v_cmp_eq_u16_sdwa s[12:13], v9, s4 src0_sel:BYTE_0 src1_sel:DWORD
	s_mov_b64 s[4:5], -1
                                        ; implicit-def: $sgpr10
	s_and_saveexec_b64 s[8:9], s[12:13]
; %bb.15458:
	s_mov_b32 s10, 0x7f800001
	s_xor_b64 s[4:5], exec, -1
; %bb.15459:
	s_or_b64 exec, exec, s[8:9]
	s_and_b64 s[4:5], s[4:5], exec
	s_or_saveexec_b64 s[6:7], s[6:7]
	v_mov_b32_e32 v2, s10
	s_xor_b64 exec, exec, s[6:7]
	s_cbranch_execnz .LBB1_15460
; %bb.51297:
	s_getpc_b64 s[14:15]
.Lpost_getpc11312:
	s_add_u32 s14, s14, (.LBB1_1122-.Lpost_getpc11312)&4294967295
	s_addc_u32 s15, s15, (.LBB1_1122-.Lpost_getpc11312)>>32
	s_setpc_b64 s[14:15]
.LBB1_15460:
	v_mov_b32_e32 v2, 0
	v_cmp_ne_u16_sdwa s[8:9], v9, v2 src0_sel:BYTE_0 src1_sel:DWORD
	s_andn2_b64 s[4:5], s[4:5], exec
	s_and_b64 s[8:9], s[8:9], exec
	s_or_b64 s[4:5], s[4:5], s[8:9]
	s_or_b64 exec, exec, s[6:7]
	s_and_saveexec_b64 s[6:7], s[4:5]
	s_cbranch_execz .LBB1_29233
; %bb.51299:
	s_getpc_b64 s[14:15]
.Lpost_getpc11313:
	s_add_u32 s14, s14, (.LBB1_1123-.Lpost_getpc11313)&4294967295
	s_addc_u32 s15, s15, (.LBB1_1123-.Lpost_getpc11313)>>32
	s_setpc_b64 s[14:15]
.LBB1_29233:
	s_getpc_b64 s[14:15]
.Lpost_getpc280:
	s_add_u32 s14, s14, (.LBB1_1124-.Lpost_getpc280)&4294967295
	s_addc_u32 s15, s15, (.LBB1_1124-.Lpost_getpc280)>>32
	s_setpc_b64 s[14:15]
.LBB1_15461:
	s_movk_i32 s4, 0x80
	v_cmp_eq_u16_sdwa s[12:13], v5, s4 src0_sel:BYTE_0 src1_sel:DWORD
	s_mov_b64 s[4:5], -1
                                        ; implicit-def: $sgpr10
	s_and_saveexec_b64 s[8:9], s[12:13]
; %bb.15462:
	s_mov_b32 s10, 0x7f800001
	s_xor_b64 s[4:5], exec, -1
; %bb.15463:
	s_or_b64 exec, exec, s[8:9]
	s_and_b64 s[4:5], s[4:5], exec
	s_or_saveexec_b64 s[6:7], s[6:7]
	v_mov_b32_e32 v3, s10
	s_xor_b64 exec, exec, s[6:7]
	s_cbranch_execnz .LBB1_15464
; %bb.51301:
	s_getpc_b64 s[14:15]
.Lpost_getpc11314:
	s_add_u32 s14, s14, (.LBB1_1126-.Lpost_getpc11314)&4294967295
	s_addc_u32 s15, s15, (.LBB1_1126-.Lpost_getpc11314)>>32
	s_setpc_b64 s[14:15]
.LBB1_15464:
	v_mov_b32_e32 v3, 0
	v_cmp_ne_u16_sdwa s[8:9], v5, v3 src0_sel:BYTE_0 src1_sel:DWORD
	s_andn2_b64 s[4:5], s[4:5], exec
	s_and_b64 s[8:9], s[8:9], exec
	s_or_b64 s[4:5], s[4:5], s[8:9]
	s_or_b64 exec, exec, s[6:7]
	s_and_saveexec_b64 s[6:7], s[4:5]
	s_cbranch_execz .LBB1_29235
; %bb.51303:
	s_getpc_b64 s[14:15]
.Lpost_getpc11315:
	s_add_u32 s14, s14, (.LBB1_1127-.Lpost_getpc11315)&4294967295
	s_addc_u32 s15, s15, (.LBB1_1127-.Lpost_getpc11315)>>32
	s_setpc_b64 s[14:15]
.LBB1_29235:
	s_getpc_b64 s[14:15]
.Lpost_getpc281:
	s_add_u32 s14, s14, (.LBB1_1128-.Lpost_getpc281)&4294967295
	s_addc_u32 s15, s15, (.LBB1_1128-.Lpost_getpc281)>>32
	s_setpc_b64 s[14:15]
.LBB1_15465:
	s_movk_i32 s4, 0x80
	v_cmp_eq_u16_sdwa s[12:13], v3, s4 src0_sel:BYTE_0 src1_sel:DWORD
	s_mov_b64 s[4:5], -1
                                        ; implicit-def: $sgpr10
	s_and_saveexec_b64 s[8:9], s[12:13]
; %bb.15466:
	s_mov_b32 s10, 0x7f800001
	s_xor_b64 s[4:5], exec, -1
; %bb.15467:
	s_or_b64 exec, exec, s[8:9]
	s_and_b64 s[4:5], s[4:5], exec
	s_or_saveexec_b64 s[6:7], s[6:7]
	v_mov_b32_e32 v2, s10
	s_xor_b64 exec, exec, s[6:7]
	s_cbranch_execnz .LBB1_15468
; %bb.51305:
	s_getpc_b64 s[14:15]
.Lpost_getpc11316:
	s_add_u32 s14, s14, (.LBB1_1130-.Lpost_getpc11316)&4294967295
	s_addc_u32 s15, s15, (.LBB1_1130-.Lpost_getpc11316)>>32
	s_setpc_b64 s[14:15]
.LBB1_15468:
	v_mov_b32_e32 v2, 0
	v_cmp_ne_u16_sdwa s[8:9], v3, v2 src0_sel:BYTE_0 src1_sel:DWORD
	s_andn2_b64 s[4:5], s[4:5], exec
	s_and_b64 s[8:9], s[8:9], exec
	s_or_b64 s[4:5], s[4:5], s[8:9]
	s_or_b64 exec, exec, s[6:7]
	s_and_saveexec_b64 s[6:7], s[4:5]
	s_cbranch_execz .LBB1_29237
; %bb.51307:
	s_getpc_b64 s[14:15]
.Lpost_getpc11317:
	s_add_u32 s14, s14, (.LBB1_1131-.Lpost_getpc11317)&4294967295
	s_addc_u32 s15, s15, (.LBB1_1131-.Lpost_getpc11317)>>32
	s_setpc_b64 s[14:15]
.LBB1_29237:
	s_getpc_b64 s[14:15]
.Lpost_getpc282:
	s_add_u32 s14, s14, (.LBB1_1132-.Lpost_getpc282)&4294967295
	s_addc_u32 s15, s15, (.LBB1_1132-.Lpost_getpc282)>>32
	s_setpc_b64 s[14:15]
.LBB1_15469:
	s_movk_i32 s4, 0x80
	v_cmp_eq_u16_sdwa s[12:13], v3, s4 src0_sel:BYTE_0 src1_sel:DWORD
	s_mov_b64 s[4:5], -1
                                        ; implicit-def: $sgpr10
	s_and_saveexec_b64 s[8:9], s[12:13]
; %bb.15470:
	s_mov_b32 s10, 0x7f800001
	s_xor_b64 s[4:5], exec, -1
; %bb.15471:
	s_or_b64 exec, exec, s[8:9]
	s_and_b64 s[4:5], s[4:5], exec
	s_or_saveexec_b64 s[6:7], s[6:7]
	v_mov_b32_e32 v4, s10
	s_xor_b64 exec, exec, s[6:7]
	s_cbranch_execnz .LBB1_15472
; %bb.51309:
	s_getpc_b64 s[14:15]
.Lpost_getpc11318:
	s_add_u32 s14, s14, (.LBB1_1134-.Lpost_getpc11318)&4294967295
	s_addc_u32 s15, s15, (.LBB1_1134-.Lpost_getpc11318)>>32
	s_setpc_b64 s[14:15]
.LBB1_15472:
	v_mov_b32_e32 v4, 0
	v_cmp_ne_u16_sdwa s[8:9], v3, v4 src0_sel:BYTE_0 src1_sel:DWORD
	s_andn2_b64 s[4:5], s[4:5], exec
	s_and_b64 s[8:9], s[8:9], exec
	s_or_b64 s[4:5], s[4:5], s[8:9]
	s_or_b64 exec, exec, s[6:7]
	s_and_saveexec_b64 s[6:7], s[4:5]
	s_cbranch_execz .LBB1_29239
; %bb.51311:
	s_getpc_b64 s[14:15]
.Lpost_getpc11319:
	s_add_u32 s14, s14, (.LBB1_1135-.Lpost_getpc11319)&4294967295
	s_addc_u32 s15, s15, (.LBB1_1135-.Lpost_getpc11319)>>32
	s_setpc_b64 s[14:15]
.LBB1_29239:
	s_getpc_b64 s[14:15]
.Lpost_getpc283:
	s_add_u32 s14, s14, (.LBB1_1136-.Lpost_getpc283)&4294967295
	s_addc_u32 s15, s15, (.LBB1_1136-.Lpost_getpc283)>>32
	s_setpc_b64 s[14:15]
.LBB1_15473:
	s_movk_i32 s4, 0x80
	v_cmp_eq_u16_e32 vcc, s4, v3
	s_mov_b64 s[4:5], -1
                                        ; implicit-def: $sgpr10
	s_and_saveexec_b64 s[8:9], vcc
; %bb.15474:
	s_mov_b32 s10, 0x7f800001
	s_xor_b64 s[4:5], exec, -1
; %bb.15475:
	s_or_b64 exec, exec, s[8:9]
	s_and_b64 s[4:5], s[4:5], exec
                                        ; implicit-def: $vgpr3
	s_or_saveexec_b64 s[6:7], s[6:7]
	v_mov_b32_e32 v2, s10
	s_xor_b64 exec, exec, s[6:7]
	s_cbranch_execnz .LBB1_15476
; %bb.51313:
	s_getpc_b64 s[14:15]
.Lpost_getpc11320:
	s_add_u32 s14, s14, (.LBB1_1138-.Lpost_getpc11320)&4294967295
	s_addc_u32 s15, s15, (.LBB1_1138-.Lpost_getpc11320)>>32
	s_setpc_b64 s[14:15]
.LBB1_15476:
	v_cmp_ne_u16_e32 vcc, 0, v3
	s_andn2_b64 s[4:5], s[4:5], exec
	s_and_b64 s[8:9], vcc, exec
	v_mov_b32_e32 v2, 0
	s_or_b64 s[4:5], s[4:5], s[8:9]
	s_or_b64 exec, exec, s[6:7]
	s_and_saveexec_b64 s[6:7], s[4:5]
	s_cbranch_execz .LBB1_29241
; %bb.51315:
	s_getpc_b64 s[14:15]
.Lpost_getpc11321:
	s_add_u32 s14, s14, (.LBB1_1139-.Lpost_getpc11321)&4294967295
	s_addc_u32 s15, s15, (.LBB1_1139-.Lpost_getpc11321)>>32
	s_setpc_b64 s[14:15]
.LBB1_29241:
	s_getpc_b64 s[14:15]
.Lpost_getpc284:
	s_add_u32 s14, s14, (.LBB1_1140-.Lpost_getpc284)&4294967295
	s_addc_u32 s15, s15, (.LBB1_1140-.Lpost_getpc284)>>32
	s_setpc_b64 s[14:15]
.LBB1_15477:
	s_movk_i32 s4, 0x80
	v_cmp_eq_u16_e32 vcc, s4, v3
	s_mov_b64 s[4:5], -1
                                        ; implicit-def: $sgpr10
	s_and_saveexec_b64 s[8:9], vcc
; %bb.15478:
	s_mov_b32 s10, 0x7f800001
	s_xor_b64 s[4:5], exec, -1
; %bb.15479:
	s_or_b64 exec, exec, s[8:9]
	s_and_b64 s[4:5], s[4:5], exec
                                        ; implicit-def: $vgpr3
	s_or_saveexec_b64 s[6:7], s[6:7]
	v_mov_b32_e32 v4, s10
	s_xor_b64 exec, exec, s[6:7]
	s_cbranch_execnz .LBB1_15480
; %bb.51317:
	s_getpc_b64 s[14:15]
.Lpost_getpc11322:
	s_add_u32 s14, s14, (.LBB1_1142-.Lpost_getpc11322)&4294967295
	s_addc_u32 s15, s15, (.LBB1_1142-.Lpost_getpc11322)>>32
	s_setpc_b64 s[14:15]
.LBB1_15480:
	v_cmp_ne_u16_e32 vcc, 0, v3
	s_andn2_b64 s[4:5], s[4:5], exec
	s_and_b64 s[8:9], vcc, exec
	v_mov_b32_e32 v4, 0
	s_or_b64 s[4:5], s[4:5], s[8:9]
	s_or_b64 exec, exec, s[6:7]
	s_and_saveexec_b64 s[6:7], s[4:5]
	s_cbranch_execz .LBB1_29243
; %bb.51319:
	s_getpc_b64 s[14:15]
.Lpost_getpc11323:
	s_add_u32 s14, s14, (.LBB1_1143-.Lpost_getpc11323)&4294967295
	s_addc_u32 s15, s15, (.LBB1_1143-.Lpost_getpc11323)>>32
	s_setpc_b64 s[14:15]
.LBB1_29243:
	s_getpc_b64 s[14:15]
.Lpost_getpc285:
	s_add_u32 s14, s14, (.LBB1_1144-.Lpost_getpc285)&4294967295
	s_addc_u32 s15, s15, (.LBB1_1144-.Lpost_getpc285)>>32
	s_setpc_b64 s[14:15]
.LBB1_15481:
	s_movk_i32 s4, 0x80
	v_cmp_eq_u16_sdwa s[12:13], v9, s4 src0_sel:BYTE_3 src1_sel:DWORD
	s_mov_b64 s[4:5], -1
                                        ; implicit-def: $sgpr10
	s_and_saveexec_b64 s[8:9], s[12:13]
; %bb.15482:
	s_mov_b32 s10, 0x7f800001
	s_xor_b64 s[4:5], exec, -1
; %bb.15483:
	s_or_b64 exec, exec, s[8:9]
	s_and_b64 s[4:5], s[4:5], exec
	s_or_saveexec_b64 s[6:7], s[6:7]
	v_mov_b32_e32 v2, s10
	s_xor_b64 exec, exec, s[6:7]
	s_cbranch_execnz .LBB1_15484
; %bb.51321:
	s_getpc_b64 s[14:15]
.Lpost_getpc11324:
	s_add_u32 s14, s14, (.LBB1_1146-.Lpost_getpc11324)&4294967295
	s_addc_u32 s15, s15, (.LBB1_1146-.Lpost_getpc11324)>>32
	s_setpc_b64 s[14:15]
.LBB1_15484:
	v_mov_b32_e32 v2, 0
	v_cmp_ne_u16_sdwa s[8:9], v9, v2 src0_sel:BYTE_3 src1_sel:DWORD
	s_andn2_b64 s[4:5], s[4:5], exec
	s_and_b64 s[8:9], s[8:9], exec
	s_or_b64 s[4:5], s[4:5], s[8:9]
	s_or_b64 exec, exec, s[6:7]
	s_and_saveexec_b64 s[6:7], s[4:5]
	s_cbranch_execz .LBB1_29245
; %bb.51323:
	s_getpc_b64 s[14:15]
.Lpost_getpc11325:
	s_add_u32 s14, s14, (.LBB1_1147-.Lpost_getpc11325)&4294967295
	s_addc_u32 s15, s15, (.LBB1_1147-.Lpost_getpc11325)>>32
	s_setpc_b64 s[14:15]
.LBB1_29245:
	s_getpc_b64 s[14:15]
.Lpost_getpc286:
	s_add_u32 s14, s14, (.LBB1_1148-.Lpost_getpc286)&4294967295
	s_addc_u32 s15, s15, (.LBB1_1148-.Lpost_getpc286)>>32
	s_setpc_b64 s[14:15]
.LBB1_15485:
	s_movk_i32 s4, 0x80
	v_cmp_eq_u16_sdwa s[12:13], v5, s4 src0_sel:BYTE_3 src1_sel:DWORD
	s_mov_b64 s[4:5], -1
                                        ; implicit-def: $sgpr10
	s_and_saveexec_b64 s[8:9], s[12:13]
; %bb.15486:
	s_mov_b32 s10, 0x7f800001
	s_xor_b64 s[4:5], exec, -1
; %bb.15487:
	s_or_b64 exec, exec, s[8:9]
	s_and_b64 s[4:5], s[4:5], exec
	s_or_saveexec_b64 s[6:7], s[6:7]
	v_mov_b32_e32 v3, s10
	s_xor_b64 exec, exec, s[6:7]
	s_cbranch_execnz .LBB1_15488
; %bb.51325:
	s_getpc_b64 s[14:15]
.Lpost_getpc11326:
	s_add_u32 s14, s14, (.LBB1_1150-.Lpost_getpc11326)&4294967295
	s_addc_u32 s15, s15, (.LBB1_1150-.Lpost_getpc11326)>>32
	s_setpc_b64 s[14:15]
.LBB1_15488:
	v_mov_b32_e32 v3, 0
	v_cmp_ne_u16_sdwa s[8:9], v5, v3 src0_sel:BYTE_3 src1_sel:DWORD
	s_andn2_b64 s[4:5], s[4:5], exec
	s_and_b64 s[8:9], s[8:9], exec
	s_or_b64 s[4:5], s[4:5], s[8:9]
	s_or_b64 exec, exec, s[6:7]
	s_and_saveexec_b64 s[6:7], s[4:5]
	s_cbranch_execz .LBB1_29247
; %bb.51327:
	s_getpc_b64 s[14:15]
.Lpost_getpc11327:
	s_add_u32 s14, s14, (.LBB1_1151-.Lpost_getpc11327)&4294967295
	s_addc_u32 s15, s15, (.LBB1_1151-.Lpost_getpc11327)>>32
	s_setpc_b64 s[14:15]
.LBB1_29247:
	s_getpc_b64 s[14:15]
.Lpost_getpc287:
	s_add_u32 s14, s14, (.LBB1_1152-.Lpost_getpc287)&4294967295
	s_addc_u32 s15, s15, (.LBB1_1152-.Lpost_getpc287)>>32
	s_setpc_b64 s[14:15]
.LBB1_15489:
	s_movk_i32 s4, 0x80
	v_cmp_eq_u16_sdwa s[12:13], v6, s4 src0_sel:BYTE_0 src1_sel:DWORD
	s_mov_b64 s[4:5], -1
                                        ; implicit-def: $sgpr10
	s_and_saveexec_b64 s[8:9], s[12:13]
; %bb.15490:
	s_mov_b32 s10, 0x7f800001
	s_xor_b64 s[4:5], exec, -1
; %bb.15491:
	s_or_b64 exec, exec, s[8:9]
	s_and_b64 s[4:5], s[4:5], exec
	s_or_saveexec_b64 s[6:7], s[6:7]
	v_mov_b32_e32 v12, s10
	s_xor_b64 exec, exec, s[6:7]
	s_cbranch_execnz .LBB1_15492
; %bb.51329:
	s_getpc_b64 s[14:15]
.Lpost_getpc11328:
	s_add_u32 s14, s14, (.LBB1_1154-.Lpost_getpc11328)&4294967295
	s_addc_u32 s15, s15, (.LBB1_1154-.Lpost_getpc11328)>>32
	s_setpc_b64 s[14:15]
.LBB1_15492:
	v_mov_b32_e32 v12, 0
	v_cmp_ne_u16_sdwa s[8:9], v6, v12 src0_sel:BYTE_0 src1_sel:DWORD
	s_andn2_b64 s[4:5], s[4:5], exec
	s_and_b64 s[8:9], s[8:9], exec
	s_or_b64 s[4:5], s[4:5], s[8:9]
	s_or_b64 exec, exec, s[6:7]
	s_and_saveexec_b64 s[6:7], s[4:5]
	s_cbranch_execz .LBB1_29249
; %bb.51331:
	s_getpc_b64 s[14:15]
.Lpost_getpc11329:
	s_add_u32 s14, s14, (.LBB1_1155-.Lpost_getpc11329)&4294967295
	s_addc_u32 s15, s15, (.LBB1_1155-.Lpost_getpc11329)>>32
	s_setpc_b64 s[14:15]
.LBB1_29249:
	s_getpc_b64 s[14:15]
.Lpost_getpc288:
	s_add_u32 s14, s14, (.LBB1_1156-.Lpost_getpc288)&4294967295
	s_addc_u32 s15, s15, (.LBB1_1156-.Lpost_getpc288)>>32
	s_setpc_b64 s[14:15]
.LBB1_15493:
	s_movk_i32 s4, 0x80
	v_cmp_eq_u16_sdwa s[12:13], v2, s4 src0_sel:BYTE_0 src1_sel:DWORD
	s_mov_b64 s[4:5], -1
                                        ; implicit-def: $sgpr10
	s_and_saveexec_b64 s[8:9], s[12:13]
; %bb.15494:
	s_mov_b32 s10, 0x7f800001
	s_xor_b64 s[4:5], exec, -1
; %bb.15495:
	s_or_b64 exec, exec, s[8:9]
	s_and_b64 s[4:5], s[4:5], exec
	s_or_saveexec_b64 s[6:7], s[6:7]
	v_mov_b32_e32 v13, s10
	s_xor_b64 exec, exec, s[6:7]
	s_cbranch_execnz .LBB1_15496
; %bb.51333:
	s_getpc_b64 s[14:15]
.Lpost_getpc11330:
	s_add_u32 s14, s14, (.LBB1_1158-.Lpost_getpc11330)&4294967295
	s_addc_u32 s15, s15, (.LBB1_1158-.Lpost_getpc11330)>>32
	s_setpc_b64 s[14:15]
.LBB1_15496:
	v_mov_b32_e32 v13, 0
	v_cmp_ne_u16_sdwa s[8:9], v2, v13 src0_sel:BYTE_0 src1_sel:DWORD
	s_andn2_b64 s[4:5], s[4:5], exec
	s_and_b64 s[8:9], s[8:9], exec
	s_or_b64 s[4:5], s[4:5], s[8:9]
	s_or_b64 exec, exec, s[6:7]
	s_and_saveexec_b64 s[6:7], s[4:5]
	s_cbranch_execz .LBB1_29251
; %bb.51335:
	s_getpc_b64 s[14:15]
.Lpost_getpc11331:
	s_add_u32 s14, s14, (.LBB1_1159-.Lpost_getpc11331)&4294967295
	s_addc_u32 s15, s15, (.LBB1_1159-.Lpost_getpc11331)>>32
	s_setpc_b64 s[14:15]
.LBB1_29251:
	s_getpc_b64 s[14:15]
.Lpost_getpc289:
	s_add_u32 s14, s14, (.LBB1_1160-.Lpost_getpc289)&4294967295
	s_addc_u32 s15, s15, (.LBB1_1160-.Lpost_getpc289)>>32
	s_setpc_b64 s[14:15]
.LBB1_15497:
	s_movk_i32 s4, 0x80
	v_cmp_eq_u16_sdwa s[12:13], v13, s4 src0_sel:BYTE_0 src1_sel:DWORD
	s_mov_b64 s[4:5], -1
                                        ; implicit-def: $sgpr10
	s_and_saveexec_b64 s[8:9], s[12:13]
; %bb.15498:
	s_mov_b32 s10, 0x7f800001
	s_xor_b64 s[4:5], exec, -1
; %bb.15499:
	s_or_b64 exec, exec, s[8:9]
	s_and_b64 s[4:5], s[4:5], exec
	s_or_saveexec_b64 s[6:7], s[6:7]
	v_mov_b32_e32 v12, s10
	s_xor_b64 exec, exec, s[6:7]
	s_cbranch_execnz .LBB1_15500
; %bb.51337:
	s_getpc_b64 s[14:15]
.Lpost_getpc11332:
	s_add_u32 s14, s14, (.LBB1_1162-.Lpost_getpc11332)&4294967295
	s_addc_u32 s15, s15, (.LBB1_1162-.Lpost_getpc11332)>>32
	s_setpc_b64 s[14:15]
.LBB1_15500:
	v_mov_b32_e32 v12, 0
	v_cmp_ne_u16_sdwa s[8:9], v13, v12 src0_sel:BYTE_0 src1_sel:DWORD
	s_andn2_b64 s[4:5], s[4:5], exec
	s_and_b64 s[8:9], s[8:9], exec
	s_or_b64 s[4:5], s[4:5], s[8:9]
	s_or_b64 exec, exec, s[6:7]
	s_and_saveexec_b64 s[6:7], s[4:5]
	s_cbranch_execz .LBB1_29253
; %bb.51339:
	s_getpc_b64 s[14:15]
.Lpost_getpc11333:
	s_add_u32 s14, s14, (.LBB1_1163-.Lpost_getpc11333)&4294967295
	s_addc_u32 s15, s15, (.LBB1_1163-.Lpost_getpc11333)>>32
	s_setpc_b64 s[14:15]
.LBB1_29253:
	s_getpc_b64 s[14:15]
.Lpost_getpc290:
	s_add_u32 s14, s14, (.LBB1_1164-.Lpost_getpc290)&4294967295
	s_addc_u32 s15, s15, (.LBB1_1164-.Lpost_getpc290)>>32
	s_setpc_b64 s[14:15]
.LBB1_15501:
	s_movk_i32 s4, 0x80
	v_cmp_eq_u16_sdwa s[12:13], v13, s4 src0_sel:BYTE_0 src1_sel:DWORD
	s_mov_b64 s[4:5], -1
                                        ; implicit-def: $sgpr10
	s_and_saveexec_b64 s[8:9], s[12:13]
; %bb.15502:
	s_mov_b32 s10, 0x7f800001
	s_xor_b64 s[4:5], exec, -1
; %bb.15503:
	s_or_b64 exec, exec, s[8:9]
	s_and_b64 s[4:5], s[4:5], exec
	s_or_saveexec_b64 s[6:7], s[6:7]
	v_mov_b32_e32 v14, s10
	s_xor_b64 exec, exec, s[6:7]
	s_cbranch_execnz .LBB1_15504
; %bb.51341:
	s_getpc_b64 s[14:15]
.Lpost_getpc11334:
	s_add_u32 s14, s14, (.LBB1_1166-.Lpost_getpc11334)&4294967295
	s_addc_u32 s15, s15, (.LBB1_1166-.Lpost_getpc11334)>>32
	s_setpc_b64 s[14:15]
.LBB1_15504:
	v_mov_b32_e32 v14, 0
	v_cmp_ne_u16_sdwa s[8:9], v13, v14 src0_sel:BYTE_0 src1_sel:DWORD
	s_andn2_b64 s[4:5], s[4:5], exec
	s_and_b64 s[8:9], s[8:9], exec
	s_or_b64 s[4:5], s[4:5], s[8:9]
	s_or_b64 exec, exec, s[6:7]
	s_and_saveexec_b64 s[6:7], s[4:5]
	s_cbranch_execz .LBB1_29255
; %bb.51343:
	s_getpc_b64 s[14:15]
.Lpost_getpc11335:
	s_add_u32 s14, s14, (.LBB1_1167-.Lpost_getpc11335)&4294967295
	s_addc_u32 s15, s15, (.LBB1_1167-.Lpost_getpc11335)>>32
	s_setpc_b64 s[14:15]
.LBB1_29255:
	s_getpc_b64 s[14:15]
.Lpost_getpc291:
	s_add_u32 s14, s14, (.LBB1_1168-.Lpost_getpc291)&4294967295
	s_addc_u32 s15, s15, (.LBB1_1168-.Lpost_getpc291)>>32
	s_setpc_b64 s[14:15]
.LBB1_15505:
	s_movk_i32 s4, 0x80
	v_cmp_eq_u16_e32 vcc, s4, v13
	s_mov_b64 s[4:5], -1
                                        ; implicit-def: $sgpr10
	s_and_saveexec_b64 s[8:9], vcc
; %bb.15506:
	s_mov_b32 s10, 0x7f800001
	s_xor_b64 s[4:5], exec, -1
; %bb.15507:
	s_or_b64 exec, exec, s[8:9]
	s_and_b64 s[4:5], s[4:5], exec
                                        ; implicit-def: $vgpr13
	s_or_saveexec_b64 s[6:7], s[6:7]
	v_mov_b32_e32 v12, s10
	s_xor_b64 exec, exec, s[6:7]
	s_cbranch_execnz .LBB1_15508
; %bb.51345:
	s_getpc_b64 s[14:15]
.Lpost_getpc11336:
	s_add_u32 s14, s14, (.LBB1_1170-.Lpost_getpc11336)&4294967295
	s_addc_u32 s15, s15, (.LBB1_1170-.Lpost_getpc11336)>>32
	s_setpc_b64 s[14:15]
.LBB1_15508:
	v_cmp_ne_u16_e32 vcc, 0, v13
	s_andn2_b64 s[4:5], s[4:5], exec
	s_and_b64 s[8:9], vcc, exec
	v_mov_b32_e32 v12, 0
	s_or_b64 s[4:5], s[4:5], s[8:9]
	s_or_b64 exec, exec, s[6:7]
	s_and_saveexec_b64 s[6:7], s[4:5]
	s_cbranch_execz .LBB1_29257
; %bb.51347:
	s_getpc_b64 s[14:15]
.Lpost_getpc11337:
	s_add_u32 s14, s14, (.LBB1_1171-.Lpost_getpc11337)&4294967295
	s_addc_u32 s15, s15, (.LBB1_1171-.Lpost_getpc11337)>>32
	s_setpc_b64 s[14:15]
.LBB1_29257:
	s_getpc_b64 s[14:15]
.Lpost_getpc292:
	s_add_u32 s14, s14, (.LBB1_1172-.Lpost_getpc292)&4294967295
	s_addc_u32 s15, s15, (.LBB1_1172-.Lpost_getpc292)>>32
	s_setpc_b64 s[14:15]
.LBB1_15509:
	s_movk_i32 s4, 0x80
	v_cmp_eq_u16_e32 vcc, s4, v13
	s_mov_b64 s[4:5], -1
                                        ; implicit-def: $sgpr10
	s_and_saveexec_b64 s[8:9], vcc
; %bb.15510:
	s_mov_b32 s10, 0x7f800001
	s_xor_b64 s[4:5], exec, -1
; %bb.15511:
	s_or_b64 exec, exec, s[8:9]
	s_and_b64 s[4:5], s[4:5], exec
                                        ; implicit-def: $vgpr13
	s_or_saveexec_b64 s[6:7], s[6:7]
	v_mov_b32_e32 v14, s10
	s_xor_b64 exec, exec, s[6:7]
	s_cbranch_execnz .LBB1_15512
; %bb.51349:
	s_getpc_b64 s[14:15]
.Lpost_getpc11338:
	s_add_u32 s14, s14, (.LBB1_1174-.Lpost_getpc11338)&4294967295
	s_addc_u32 s15, s15, (.LBB1_1174-.Lpost_getpc11338)>>32
	s_setpc_b64 s[14:15]
.LBB1_15512:
	v_cmp_ne_u16_e32 vcc, 0, v13
	s_andn2_b64 s[4:5], s[4:5], exec
	s_and_b64 s[8:9], vcc, exec
	v_mov_b32_e32 v14, 0
	s_or_b64 s[4:5], s[4:5], s[8:9]
	s_or_b64 exec, exec, s[6:7]
	s_and_saveexec_b64 s[6:7], s[4:5]
	s_cbranch_execz .LBB1_29259
; %bb.51351:
	s_getpc_b64 s[14:15]
.Lpost_getpc11339:
	s_add_u32 s14, s14, (.LBB1_1175-.Lpost_getpc11339)&4294967295
	s_addc_u32 s15, s15, (.LBB1_1175-.Lpost_getpc11339)>>32
	s_setpc_b64 s[14:15]
.LBB1_29259:
	s_getpc_b64 s[14:15]
.Lpost_getpc293:
	s_add_u32 s14, s14, (.LBB1_1176-.Lpost_getpc293)&4294967295
	s_addc_u32 s15, s15, (.LBB1_1176-.Lpost_getpc293)>>32
	s_setpc_b64 s[14:15]
.LBB1_15513:
	s_movk_i32 s4, 0x80
	v_cmp_eq_u16_sdwa s[12:13], v6, s4 src0_sel:BYTE_3 src1_sel:DWORD
	s_mov_b64 s[4:5], -1
                                        ; implicit-def: $sgpr10
	s_and_saveexec_b64 s[8:9], s[12:13]
; %bb.15514:
	s_mov_b32 s10, 0x7f800001
	s_xor_b64 s[4:5], exec, -1
; %bb.15515:
	s_or_b64 exec, exec, s[8:9]
	s_and_b64 s[4:5], s[4:5], exec
	s_or_saveexec_b64 s[6:7], s[6:7]
	v_mov_b32_e32 v12, s10
	s_xor_b64 exec, exec, s[6:7]
	s_cbranch_execnz .LBB1_15516
; %bb.51353:
	s_getpc_b64 s[14:15]
.Lpost_getpc11340:
	s_add_u32 s14, s14, (.LBB1_1178-.Lpost_getpc11340)&4294967295
	s_addc_u32 s15, s15, (.LBB1_1178-.Lpost_getpc11340)>>32
	s_setpc_b64 s[14:15]
.LBB1_15516:
	v_mov_b32_e32 v12, 0
	v_cmp_ne_u16_sdwa s[8:9], v6, v12 src0_sel:BYTE_3 src1_sel:DWORD
	s_andn2_b64 s[4:5], s[4:5], exec
	s_and_b64 s[8:9], s[8:9], exec
	s_or_b64 s[4:5], s[4:5], s[8:9]
	s_or_b64 exec, exec, s[6:7]
	s_and_saveexec_b64 s[6:7], s[4:5]
	s_cbranch_execz .LBB1_29261
; %bb.51355:
	s_getpc_b64 s[14:15]
.Lpost_getpc11341:
	s_add_u32 s14, s14, (.LBB1_1179-.Lpost_getpc11341)&4294967295
	s_addc_u32 s15, s15, (.LBB1_1179-.Lpost_getpc11341)>>32
	s_setpc_b64 s[14:15]
.LBB1_29261:
	s_getpc_b64 s[14:15]
.Lpost_getpc294:
	s_add_u32 s14, s14, (.LBB1_1180-.Lpost_getpc294)&4294967295
	s_addc_u32 s15, s15, (.LBB1_1180-.Lpost_getpc294)>>32
	s_setpc_b64 s[14:15]
.LBB1_15517:
	s_movk_i32 s4, 0x80
	v_cmp_eq_u16_sdwa s[12:13], v2, s4 src0_sel:BYTE_3 src1_sel:DWORD
	s_mov_b64 s[4:5], -1
                                        ; implicit-def: $sgpr10
	s_and_saveexec_b64 s[8:9], s[12:13]
; %bb.15518:
	s_mov_b32 s10, 0x7f800001
	s_xor_b64 s[4:5], exec, -1
; %bb.15519:
	s_or_b64 exec, exec, s[8:9]
	s_and_b64 s[4:5], s[4:5], exec
	s_or_saveexec_b64 s[6:7], s[6:7]
	v_mov_b32_e32 v6, s10
	s_xor_b64 exec, exec, s[6:7]
	s_cbranch_execnz .LBB1_15520
; %bb.51357:
	s_getpc_b64 s[14:15]
.Lpost_getpc11342:
	s_add_u32 s14, s14, (.LBB1_1182-.Lpost_getpc11342)&4294967295
	s_addc_u32 s15, s15, (.LBB1_1182-.Lpost_getpc11342)>>32
	s_setpc_b64 s[14:15]
.LBB1_15520:
	v_mov_b32_e32 v6, 0
	v_cmp_ne_u16_sdwa s[8:9], v2, v6 src0_sel:BYTE_3 src1_sel:DWORD
	s_andn2_b64 s[4:5], s[4:5], exec
	s_and_b64 s[8:9], s[8:9], exec
	s_or_b64 s[4:5], s[4:5], s[8:9]
	s_or_b64 exec, exec, s[6:7]
	s_and_saveexec_b64 s[6:7], s[4:5]
	s_cbranch_execz .LBB1_29263
; %bb.51359:
	s_getpc_b64 s[14:15]
.Lpost_getpc11343:
	s_add_u32 s14, s14, (.LBB1_1183-.Lpost_getpc11343)&4294967295
	s_addc_u32 s15, s15, (.LBB1_1183-.Lpost_getpc11343)>>32
	s_setpc_b64 s[14:15]
.LBB1_29263:
	s_getpc_b64 s[14:15]
.Lpost_getpc295:
	s_add_u32 s14, s14, (.LBB1_1184-.Lpost_getpc295)&4294967295
	s_addc_u32 s15, s15, (.LBB1_1184-.Lpost_getpc295)>>32
	s_setpc_b64 s[14:15]
.LBB1_15521:
	s_movk_i32 s4, 0x80
	v_cmp_eq_u16_sdwa s[12:13], v7, s4 src0_sel:BYTE_0 src1_sel:DWORD
	s_mov_b64 s[4:5], -1
                                        ; implicit-def: $sgpr10
	s_and_saveexec_b64 s[8:9], s[12:13]
; %bb.15522:
	s_mov_b32 s10, 0x7f800001
	s_xor_b64 s[4:5], exec, -1
; %bb.15523:
	s_or_b64 exec, exec, s[8:9]
	s_and_b64 s[4:5], s[4:5], exec
	s_or_saveexec_b64 s[6:7], s[6:7]
	v_mov_b32_e32 v2, s10
	s_xor_b64 exec, exec, s[6:7]
	s_cbranch_execnz .LBB1_15524
; %bb.51361:
	s_getpc_b64 s[14:15]
.Lpost_getpc11344:
	s_add_u32 s14, s14, (.LBB1_1186-.Lpost_getpc11344)&4294967295
	s_addc_u32 s15, s15, (.LBB1_1186-.Lpost_getpc11344)>>32
	s_setpc_b64 s[14:15]
.LBB1_15524:
	v_mov_b32_e32 v2, 0
	v_cmp_ne_u16_sdwa s[8:9], v7, v2 src0_sel:BYTE_0 src1_sel:DWORD
	s_andn2_b64 s[4:5], s[4:5], exec
	s_and_b64 s[8:9], s[8:9], exec
	s_or_b64 s[4:5], s[4:5], s[8:9]
	s_or_b64 exec, exec, s[6:7]
	s_and_saveexec_b64 s[6:7], s[4:5]
	s_cbranch_execz .LBB1_29265
; %bb.51363:
	s_getpc_b64 s[14:15]
.Lpost_getpc11345:
	s_add_u32 s14, s14, (.LBB1_1187-.Lpost_getpc11345)&4294967295
	s_addc_u32 s15, s15, (.LBB1_1187-.Lpost_getpc11345)>>32
	s_setpc_b64 s[14:15]
.LBB1_29265:
	s_getpc_b64 s[14:15]
.Lpost_getpc296:
	s_add_u32 s14, s14, (.LBB1_1188-.Lpost_getpc296)&4294967295
	s_addc_u32 s15, s15, (.LBB1_1188-.Lpost_getpc296)>>32
	s_setpc_b64 s[14:15]
.LBB1_15525:
	s_movk_i32 s4, 0x80
	v_cmp_eq_u16_sdwa s[12:13], v3, s4 src0_sel:BYTE_0 src1_sel:DWORD
	s_mov_b64 s[4:5], -1
                                        ; implicit-def: $sgpr10
	s_and_saveexec_b64 s[8:9], s[12:13]
; %bb.15526:
	s_mov_b32 s10, 0x7f800001
	s_xor_b64 s[4:5], exec, -1
; %bb.15527:
	s_or_b64 exec, exec, s[8:9]
	s_and_b64 s[4:5], s[4:5], exec
	s_or_saveexec_b64 s[6:7], s[6:7]
	v_mov_b32_e32 v6, s10
	s_xor_b64 exec, exec, s[6:7]
	s_cbranch_execnz .LBB1_15528
; %bb.51365:
	s_getpc_b64 s[14:15]
.Lpost_getpc11346:
	s_add_u32 s14, s14, (.LBB1_1190-.Lpost_getpc11346)&4294967295
	s_addc_u32 s15, s15, (.LBB1_1190-.Lpost_getpc11346)>>32
	s_setpc_b64 s[14:15]
.LBB1_15528:
	v_mov_b32_e32 v6, 0
	v_cmp_ne_u16_sdwa s[8:9], v3, v6 src0_sel:BYTE_0 src1_sel:DWORD
	s_andn2_b64 s[4:5], s[4:5], exec
	s_and_b64 s[8:9], s[8:9], exec
	s_or_b64 s[4:5], s[4:5], s[8:9]
	s_or_b64 exec, exec, s[6:7]
	s_and_saveexec_b64 s[6:7], s[4:5]
	s_cbranch_execz .LBB1_29267
; %bb.51367:
	s_getpc_b64 s[14:15]
.Lpost_getpc11347:
	s_add_u32 s14, s14, (.LBB1_1191-.Lpost_getpc11347)&4294967295
	s_addc_u32 s15, s15, (.LBB1_1191-.Lpost_getpc11347)>>32
	s_setpc_b64 s[14:15]
.LBB1_29267:
	s_getpc_b64 s[14:15]
.Lpost_getpc297:
	s_add_u32 s14, s14, (.LBB1_1192-.Lpost_getpc297)&4294967295
	s_addc_u32 s15, s15, (.LBB1_1192-.Lpost_getpc297)>>32
	s_setpc_b64 s[14:15]
.LBB1_15529:
	s_movk_i32 s4, 0x80
	v_cmp_eq_u16_sdwa s[12:13], v6, s4 src0_sel:BYTE_0 src1_sel:DWORD
	s_mov_b64 s[4:5], -1
                                        ; implicit-def: $sgpr10
	s_and_saveexec_b64 s[8:9], s[12:13]
; %bb.15530:
	s_mov_b32 s10, 0x7f800001
	s_xor_b64 s[4:5], exec, -1
; %bb.15531:
	s_or_b64 exec, exec, s[8:9]
	s_and_b64 s[4:5], s[4:5], exec
	s_or_saveexec_b64 s[6:7], s[6:7]
	v_mov_b32_e32 v2, s10
	s_xor_b64 exec, exec, s[6:7]
	s_cbranch_execnz .LBB1_15532
; %bb.51369:
	s_getpc_b64 s[14:15]
.Lpost_getpc11348:
	s_add_u32 s14, s14, (.LBB1_1194-.Lpost_getpc11348)&4294967295
	s_addc_u32 s15, s15, (.LBB1_1194-.Lpost_getpc11348)>>32
	s_setpc_b64 s[14:15]
.LBB1_15532:
	v_mov_b32_e32 v2, 0
	v_cmp_ne_u16_sdwa s[8:9], v6, v2 src0_sel:BYTE_0 src1_sel:DWORD
	s_andn2_b64 s[4:5], s[4:5], exec
	s_and_b64 s[8:9], s[8:9], exec
	s_or_b64 s[4:5], s[4:5], s[8:9]
	s_or_b64 exec, exec, s[6:7]
	s_and_saveexec_b64 s[6:7], s[4:5]
	s_cbranch_execz .LBB1_29269
; %bb.51371:
	s_getpc_b64 s[14:15]
.Lpost_getpc11349:
	s_add_u32 s14, s14, (.LBB1_1195-.Lpost_getpc11349)&4294967295
	s_addc_u32 s15, s15, (.LBB1_1195-.Lpost_getpc11349)>>32
	s_setpc_b64 s[14:15]
.LBB1_29269:
	s_getpc_b64 s[14:15]
.Lpost_getpc298:
	s_add_u32 s14, s14, (.LBB1_1196-.Lpost_getpc298)&4294967295
	s_addc_u32 s15, s15, (.LBB1_1196-.Lpost_getpc298)>>32
	s_setpc_b64 s[14:15]
.LBB1_15533:
	s_movk_i32 s4, 0x80
	v_cmp_eq_u16_sdwa s[12:13], v6, s4 src0_sel:BYTE_0 src1_sel:DWORD
	s_mov_b64 s[4:5], -1
                                        ; implicit-def: $sgpr10
	s_and_saveexec_b64 s[8:9], s[12:13]
; %bb.15534:
	s_mov_b32 s10, 0x7f800001
	s_xor_b64 s[4:5], exec, -1
; %bb.15535:
	s_or_b64 exec, exec, s[8:9]
	s_and_b64 s[4:5], s[4:5], exec
	s_or_saveexec_b64 s[6:7], s[6:7]
	v_mov_b32_e32 v12, s10
	s_xor_b64 exec, exec, s[6:7]
	s_cbranch_execnz .LBB1_15536
; %bb.51373:
	s_getpc_b64 s[14:15]
.Lpost_getpc11350:
	s_add_u32 s14, s14, (.LBB1_1198-.Lpost_getpc11350)&4294967295
	s_addc_u32 s15, s15, (.LBB1_1198-.Lpost_getpc11350)>>32
	s_setpc_b64 s[14:15]
.LBB1_15536:
	v_mov_b32_e32 v12, 0
	v_cmp_ne_u16_sdwa s[8:9], v6, v12 src0_sel:BYTE_0 src1_sel:DWORD
	s_andn2_b64 s[4:5], s[4:5], exec
	s_and_b64 s[8:9], s[8:9], exec
	s_or_b64 s[4:5], s[4:5], s[8:9]
	s_or_b64 exec, exec, s[6:7]
	s_and_saveexec_b64 s[6:7], s[4:5]
	s_cbranch_execz .LBB1_29271
; %bb.51375:
	s_getpc_b64 s[14:15]
.Lpost_getpc11351:
	s_add_u32 s14, s14, (.LBB1_1199-.Lpost_getpc11351)&4294967295
	s_addc_u32 s15, s15, (.LBB1_1199-.Lpost_getpc11351)>>32
	s_setpc_b64 s[14:15]
.LBB1_29271:
	s_getpc_b64 s[14:15]
.Lpost_getpc299:
	s_add_u32 s14, s14, (.LBB1_1200-.Lpost_getpc299)&4294967295
	s_addc_u32 s15, s15, (.LBB1_1200-.Lpost_getpc299)>>32
	s_setpc_b64 s[14:15]
.LBB1_15537:
	s_movk_i32 s4, 0x80
	v_cmp_eq_u16_e32 vcc, s4, v6
	s_mov_b64 s[4:5], -1
                                        ; implicit-def: $sgpr10
	s_and_saveexec_b64 s[8:9], vcc
; %bb.15538:
	s_mov_b32 s10, 0x7f800001
	s_xor_b64 s[4:5], exec, -1
; %bb.15539:
	s_or_b64 exec, exec, s[8:9]
	s_and_b64 s[4:5], s[4:5], exec
                                        ; implicit-def: $vgpr6
	s_or_saveexec_b64 s[6:7], s[6:7]
	v_mov_b32_e32 v2, s10
	s_xor_b64 exec, exec, s[6:7]
	s_cbranch_execnz .LBB1_15540
; %bb.51377:
	s_getpc_b64 s[14:15]
.Lpost_getpc11352:
	s_add_u32 s14, s14, (.LBB1_1202-.Lpost_getpc11352)&4294967295
	s_addc_u32 s15, s15, (.LBB1_1202-.Lpost_getpc11352)>>32
	s_setpc_b64 s[14:15]
.LBB1_15540:
	v_cmp_ne_u16_e32 vcc, 0, v6
	s_andn2_b64 s[4:5], s[4:5], exec
	s_and_b64 s[8:9], vcc, exec
	v_mov_b32_e32 v2, 0
	s_or_b64 s[4:5], s[4:5], s[8:9]
	s_or_b64 exec, exec, s[6:7]
	s_and_saveexec_b64 s[6:7], s[4:5]
	s_cbranch_execz .LBB1_29273
; %bb.51379:
	s_getpc_b64 s[14:15]
.Lpost_getpc11353:
	s_add_u32 s14, s14, (.LBB1_1203-.Lpost_getpc11353)&4294967295
	s_addc_u32 s15, s15, (.LBB1_1203-.Lpost_getpc11353)>>32
	s_setpc_b64 s[14:15]
.LBB1_29273:
	s_getpc_b64 s[14:15]
.Lpost_getpc300:
	s_add_u32 s14, s14, (.LBB1_1204-.Lpost_getpc300)&4294967295
	s_addc_u32 s15, s15, (.LBB1_1204-.Lpost_getpc300)>>32
	s_setpc_b64 s[14:15]
.LBB1_15541:
	s_movk_i32 s4, 0x80
	v_cmp_eq_u16_e32 vcc, s4, v6
	s_mov_b64 s[4:5], -1
                                        ; implicit-def: $sgpr10
	s_and_saveexec_b64 s[8:9], vcc
; %bb.15542:
	s_mov_b32 s10, 0x7f800001
	s_xor_b64 s[4:5], exec, -1
; %bb.15543:
	s_or_b64 exec, exec, s[8:9]
	s_and_b64 s[4:5], s[4:5], exec
                                        ; implicit-def: $vgpr6
	s_or_saveexec_b64 s[6:7], s[6:7]
	v_mov_b32_e32 v12, s10
	s_xor_b64 exec, exec, s[6:7]
	s_cbranch_execnz .LBB1_15544
; %bb.51381:
	s_getpc_b64 s[14:15]
.Lpost_getpc11354:
	s_add_u32 s14, s14, (.LBB1_1206-.Lpost_getpc11354)&4294967295
	s_addc_u32 s15, s15, (.LBB1_1206-.Lpost_getpc11354)>>32
	s_setpc_b64 s[14:15]
.LBB1_15544:
	v_cmp_ne_u16_e32 vcc, 0, v6
	s_andn2_b64 s[4:5], s[4:5], exec
	s_and_b64 s[8:9], vcc, exec
	v_mov_b32_e32 v12, 0
	s_or_b64 s[4:5], s[4:5], s[8:9]
	s_or_b64 exec, exec, s[6:7]
	s_and_saveexec_b64 s[6:7], s[4:5]
	s_cbranch_execz .LBB1_29275
; %bb.51383:
	s_getpc_b64 s[14:15]
.Lpost_getpc11355:
	s_add_u32 s14, s14, (.LBB1_1207-.Lpost_getpc11355)&4294967295
	s_addc_u32 s15, s15, (.LBB1_1207-.Lpost_getpc11355)>>32
	s_setpc_b64 s[14:15]
.LBB1_29275:
	s_getpc_b64 s[14:15]
.Lpost_getpc301:
	s_add_u32 s14, s14, (.LBB1_1208-.Lpost_getpc301)&4294967295
	s_addc_u32 s15, s15, (.LBB1_1208-.Lpost_getpc301)>>32
	s_setpc_b64 s[14:15]
.LBB1_15545:
	s_movk_i32 s4, 0x80
	v_cmp_eq_u16_sdwa s[12:13], v7, s4 src0_sel:BYTE_3 src1_sel:DWORD
	s_mov_b64 s[4:5], -1
                                        ; implicit-def: $sgpr10
	s_and_saveexec_b64 s[8:9], s[12:13]
; %bb.15546:
	s_mov_b32 s10, 0x7f800001
	s_xor_b64 s[4:5], exec, -1
; %bb.15547:
	s_or_b64 exec, exec, s[8:9]
	s_and_b64 s[4:5], s[4:5], exec
	s_or_saveexec_b64 s[6:7], s[6:7]
	v_mov_b32_e32 v2, s10
	s_xor_b64 exec, exec, s[6:7]
	s_cbranch_execnz .LBB1_15548
; %bb.51385:
	s_getpc_b64 s[14:15]
.Lpost_getpc11356:
	s_add_u32 s14, s14, (.LBB1_1210-.Lpost_getpc11356)&4294967295
	s_addc_u32 s15, s15, (.LBB1_1210-.Lpost_getpc11356)>>32
	s_setpc_b64 s[14:15]
.LBB1_15548:
	v_mov_b32_e32 v2, 0
	v_cmp_ne_u16_sdwa s[8:9], v7, v2 src0_sel:BYTE_3 src1_sel:DWORD
	s_andn2_b64 s[4:5], s[4:5], exec
	s_and_b64 s[8:9], s[8:9], exec
	s_or_b64 s[4:5], s[4:5], s[8:9]
	s_or_b64 exec, exec, s[6:7]
	s_and_saveexec_b64 s[6:7], s[4:5]
	s_cbranch_execz .LBB1_29277
; %bb.51387:
	s_getpc_b64 s[14:15]
.Lpost_getpc11357:
	s_add_u32 s14, s14, (.LBB1_1211-.Lpost_getpc11357)&4294967295
	s_addc_u32 s15, s15, (.LBB1_1211-.Lpost_getpc11357)>>32
	s_setpc_b64 s[14:15]
.LBB1_29277:
	s_getpc_b64 s[14:15]
.Lpost_getpc302:
	s_add_u32 s14, s14, (.LBB1_1212-.Lpost_getpc302)&4294967295
	s_addc_u32 s15, s15, (.LBB1_1212-.Lpost_getpc302)>>32
	s_setpc_b64 s[14:15]
.LBB1_15549:
	s_movk_i32 s4, 0x80
	v_cmp_eq_u16_sdwa s[12:13], v3, s4 src0_sel:BYTE_3 src1_sel:DWORD
	s_mov_b64 s[4:5], -1
                                        ; implicit-def: $sgpr10
	s_and_saveexec_b64 s[8:9], s[12:13]
; %bb.15550:
	s_mov_b32 s10, 0x7f800001
	s_xor_b64 s[4:5], exec, -1
; %bb.15551:
	s_or_b64 exec, exec, s[8:9]
	s_and_b64 s[4:5], s[4:5], exec
	s_or_saveexec_b64 s[6:7], s[6:7]
	v_mov_b32_e32 v6, s10
	s_xor_b64 exec, exec, s[6:7]
	s_cbranch_execnz .LBB1_15552
; %bb.51389:
	s_getpc_b64 s[14:15]
.Lpost_getpc11358:
	s_add_u32 s14, s14, (.LBB1_1214-.Lpost_getpc11358)&4294967295
	s_addc_u32 s15, s15, (.LBB1_1214-.Lpost_getpc11358)>>32
	s_setpc_b64 s[14:15]
.LBB1_15552:
	v_mov_b32_e32 v6, 0
	v_cmp_ne_u16_sdwa s[8:9], v3, v6 src0_sel:BYTE_3 src1_sel:DWORD
	s_andn2_b64 s[4:5], s[4:5], exec
	s_and_b64 s[8:9], s[8:9], exec
	s_or_b64 s[4:5], s[4:5], s[8:9]
	s_or_b64 exec, exec, s[6:7]
	s_and_saveexec_b64 s[6:7], s[4:5]
	s_cbranch_execz .LBB1_29279
; %bb.51391:
	s_getpc_b64 s[14:15]
.Lpost_getpc11359:
	s_add_u32 s14, s14, (.LBB1_1215-.Lpost_getpc11359)&4294967295
	s_addc_u32 s15, s15, (.LBB1_1215-.Lpost_getpc11359)>>32
	s_setpc_b64 s[14:15]
.LBB1_29279:
	s_getpc_b64 s[14:15]
.Lpost_getpc303:
	s_add_u32 s14, s14, (.LBB1_1216-.Lpost_getpc303)&4294967295
	s_addc_u32 s15, s15, (.LBB1_1216-.Lpost_getpc303)>>32
	s_setpc_b64 s[14:15]
.LBB1_15553:
	s_movk_i32 s4, 0x80
	v_cmp_eq_u16_sdwa s[12:13], v8, s4 src0_sel:BYTE_0 src1_sel:DWORD
	s_mov_b64 s[4:5], -1
                                        ; implicit-def: $sgpr10
	s_and_saveexec_b64 s[8:9], s[12:13]
; %bb.15554:
	s_mov_b32 s10, 0x7f800001
	s_xor_b64 s[4:5], exec, -1
; %bb.15555:
	s_or_b64 exec, exec, s[8:9]
	s_and_b64 s[4:5], s[4:5], exec
	s_or_saveexec_b64 s[6:7], s[6:7]
	v_mov_b32_e32 v2, s10
	s_xor_b64 exec, exec, s[6:7]
	s_cbranch_execnz .LBB1_15556
; %bb.51393:
	s_getpc_b64 s[14:15]
.Lpost_getpc11360:
	s_add_u32 s14, s14, (.LBB1_1218-.Lpost_getpc11360)&4294967295
	s_addc_u32 s15, s15, (.LBB1_1218-.Lpost_getpc11360)>>32
	s_setpc_b64 s[14:15]
.LBB1_15556:
	v_mov_b32_e32 v2, 0
	v_cmp_ne_u16_sdwa s[8:9], v8, v2 src0_sel:BYTE_0 src1_sel:DWORD
	s_andn2_b64 s[4:5], s[4:5], exec
	s_and_b64 s[8:9], s[8:9], exec
	s_or_b64 s[4:5], s[4:5], s[8:9]
	s_or_b64 exec, exec, s[6:7]
	s_and_saveexec_b64 s[6:7], s[4:5]
	s_cbranch_execz .LBB1_29281
; %bb.51395:
	s_getpc_b64 s[14:15]
.Lpost_getpc11361:
	s_add_u32 s14, s14, (.LBB1_1219-.Lpost_getpc11361)&4294967295
	s_addc_u32 s15, s15, (.LBB1_1219-.Lpost_getpc11361)>>32
	s_setpc_b64 s[14:15]
.LBB1_29281:
	s_getpc_b64 s[14:15]
.Lpost_getpc304:
	s_add_u32 s14, s14, (.LBB1_1220-.Lpost_getpc304)&4294967295
	s_addc_u32 s15, s15, (.LBB1_1220-.Lpost_getpc304)>>32
	s_setpc_b64 s[14:15]
.LBB1_15557:
	s_movk_i32 s4, 0x80
	v_cmp_eq_u16_sdwa s[12:13], v4, s4 src0_sel:BYTE_0 src1_sel:DWORD
	s_mov_b64 s[4:5], -1
                                        ; implicit-def: $sgpr10
	s_and_saveexec_b64 s[8:9], s[12:13]
; %bb.15558:
	s_mov_b32 s10, 0x7f800001
	s_xor_b64 s[4:5], exec, -1
; %bb.15559:
	s_or_b64 exec, exec, s[8:9]
	s_and_b64 s[4:5], s[4:5], exec
	s_or_saveexec_b64 s[6:7], s[6:7]
	v_mov_b32_e32 v3, s10
	s_xor_b64 exec, exec, s[6:7]
	s_cbranch_execnz .LBB1_15560
; %bb.51397:
	s_getpc_b64 s[14:15]
.Lpost_getpc11362:
	s_add_u32 s14, s14, (.LBB1_1222-.Lpost_getpc11362)&4294967295
	s_addc_u32 s15, s15, (.LBB1_1222-.Lpost_getpc11362)>>32
	s_setpc_b64 s[14:15]
.LBB1_15560:
	v_mov_b32_e32 v3, 0
	v_cmp_ne_u16_sdwa s[8:9], v4, v3 src0_sel:BYTE_0 src1_sel:DWORD
	s_andn2_b64 s[4:5], s[4:5], exec
	s_and_b64 s[8:9], s[8:9], exec
	s_or_b64 s[4:5], s[4:5], s[8:9]
	s_or_b64 exec, exec, s[6:7]
	s_and_saveexec_b64 s[6:7], s[4:5]
	s_cbranch_execz .LBB1_29283
; %bb.51399:
	s_getpc_b64 s[14:15]
.Lpost_getpc11363:
	s_add_u32 s14, s14, (.LBB1_1223-.Lpost_getpc11363)&4294967295
	s_addc_u32 s15, s15, (.LBB1_1223-.Lpost_getpc11363)>>32
	s_setpc_b64 s[14:15]
.LBB1_29283:
	s_getpc_b64 s[14:15]
.Lpost_getpc305:
	s_add_u32 s14, s14, (.LBB1_1224-.Lpost_getpc305)&4294967295
	s_addc_u32 s15, s15, (.LBB1_1224-.Lpost_getpc305)>>32
	s_setpc_b64 s[14:15]
.LBB1_15561:
	s_movk_i32 s4, 0x80
	v_cmp_eq_u16_sdwa s[12:13], v3, s4 src0_sel:BYTE_0 src1_sel:DWORD
	s_mov_b64 s[4:5], -1
                                        ; implicit-def: $sgpr10
	s_and_saveexec_b64 s[8:9], s[12:13]
; %bb.15562:
	s_mov_b32 s10, 0x7f800001
	s_xor_b64 s[4:5], exec, -1
; %bb.15563:
	s_or_b64 exec, exec, s[8:9]
	s_and_b64 s[4:5], s[4:5], exec
	s_or_saveexec_b64 s[6:7], s[6:7]
	v_mov_b32_e32 v2, s10
	s_xor_b64 exec, exec, s[6:7]
	s_cbranch_execnz .LBB1_15564
; %bb.51401:
	s_getpc_b64 s[14:15]
.Lpost_getpc11364:
	s_add_u32 s14, s14, (.LBB1_1226-.Lpost_getpc11364)&4294967295
	s_addc_u32 s15, s15, (.LBB1_1226-.Lpost_getpc11364)>>32
	s_setpc_b64 s[14:15]
.LBB1_15564:
	v_mov_b32_e32 v2, 0
	v_cmp_ne_u16_sdwa s[8:9], v3, v2 src0_sel:BYTE_0 src1_sel:DWORD
	s_andn2_b64 s[4:5], s[4:5], exec
	s_and_b64 s[8:9], s[8:9], exec
	s_or_b64 s[4:5], s[4:5], s[8:9]
	s_or_b64 exec, exec, s[6:7]
	s_and_saveexec_b64 s[6:7], s[4:5]
	s_cbranch_execz .LBB1_29285
; %bb.51403:
	s_getpc_b64 s[14:15]
.Lpost_getpc11365:
	s_add_u32 s14, s14, (.LBB1_1227-.Lpost_getpc11365)&4294967295
	s_addc_u32 s15, s15, (.LBB1_1227-.Lpost_getpc11365)>>32
	s_setpc_b64 s[14:15]
.LBB1_29285:
	s_getpc_b64 s[14:15]
.Lpost_getpc306:
	s_add_u32 s14, s14, (.LBB1_1228-.Lpost_getpc306)&4294967295
	s_addc_u32 s15, s15, (.LBB1_1228-.Lpost_getpc306)>>32
	s_setpc_b64 s[14:15]
.LBB1_15565:
	s_movk_i32 s4, 0x80
	v_cmp_eq_u16_sdwa s[12:13], v3, s4 src0_sel:BYTE_0 src1_sel:DWORD
	s_mov_b64 s[4:5], -1
                                        ; implicit-def: $sgpr10
	s_and_saveexec_b64 s[8:9], s[12:13]
; %bb.15566:
	s_mov_b32 s10, 0x7f800001
	s_xor_b64 s[4:5], exec, -1
; %bb.15567:
	s_or_b64 exec, exec, s[8:9]
	s_and_b64 s[4:5], s[4:5], exec
	s_or_saveexec_b64 s[6:7], s[6:7]
	v_mov_b32_e32 v6, s10
	s_xor_b64 exec, exec, s[6:7]
	s_cbranch_execnz .LBB1_15568
; %bb.51405:
	s_getpc_b64 s[14:15]
.Lpost_getpc11366:
	s_add_u32 s14, s14, (.LBB1_1230-.Lpost_getpc11366)&4294967295
	s_addc_u32 s15, s15, (.LBB1_1230-.Lpost_getpc11366)>>32
	s_setpc_b64 s[14:15]
.LBB1_15568:
	v_mov_b32_e32 v6, 0
	v_cmp_ne_u16_sdwa s[8:9], v3, v6 src0_sel:BYTE_0 src1_sel:DWORD
	s_andn2_b64 s[4:5], s[4:5], exec
	s_and_b64 s[8:9], s[8:9], exec
	s_or_b64 s[4:5], s[4:5], s[8:9]
	s_or_b64 exec, exec, s[6:7]
	s_and_saveexec_b64 s[6:7], s[4:5]
	s_cbranch_execz .LBB1_29287
; %bb.51407:
	s_getpc_b64 s[14:15]
.Lpost_getpc11367:
	s_add_u32 s14, s14, (.LBB1_1231-.Lpost_getpc11367)&4294967295
	s_addc_u32 s15, s15, (.LBB1_1231-.Lpost_getpc11367)>>32
	s_setpc_b64 s[14:15]
.LBB1_29287:
	s_getpc_b64 s[14:15]
.Lpost_getpc307:
	s_add_u32 s14, s14, (.LBB1_1232-.Lpost_getpc307)&4294967295
	s_addc_u32 s15, s15, (.LBB1_1232-.Lpost_getpc307)>>32
	s_setpc_b64 s[14:15]
.LBB1_15569:
	s_movk_i32 s4, 0x80
	v_cmp_eq_u16_e32 vcc, s4, v3
	s_mov_b64 s[4:5], -1
                                        ; implicit-def: $sgpr10
	s_and_saveexec_b64 s[8:9], vcc
; %bb.15570:
	s_mov_b32 s10, 0x7f800001
	s_xor_b64 s[4:5], exec, -1
; %bb.15571:
	s_or_b64 exec, exec, s[8:9]
	s_and_b64 s[4:5], s[4:5], exec
                                        ; implicit-def: $vgpr3
	s_or_saveexec_b64 s[6:7], s[6:7]
	v_mov_b32_e32 v2, s10
	s_xor_b64 exec, exec, s[6:7]
	s_cbranch_execnz .LBB1_15572
; %bb.51409:
	s_getpc_b64 s[14:15]
.Lpost_getpc11368:
	s_add_u32 s14, s14, (.LBB1_1234-.Lpost_getpc11368)&4294967295
	s_addc_u32 s15, s15, (.LBB1_1234-.Lpost_getpc11368)>>32
	s_setpc_b64 s[14:15]
.LBB1_15572:
	v_cmp_ne_u16_e32 vcc, 0, v3
	s_andn2_b64 s[4:5], s[4:5], exec
	s_and_b64 s[8:9], vcc, exec
	v_mov_b32_e32 v2, 0
	s_or_b64 s[4:5], s[4:5], s[8:9]
	s_or_b64 exec, exec, s[6:7]
	s_and_saveexec_b64 s[6:7], s[4:5]
	s_cbranch_execz .LBB1_29289
; %bb.51411:
	s_getpc_b64 s[14:15]
.Lpost_getpc11369:
	s_add_u32 s14, s14, (.LBB1_1235-.Lpost_getpc11369)&4294967295
	s_addc_u32 s15, s15, (.LBB1_1235-.Lpost_getpc11369)>>32
	s_setpc_b64 s[14:15]
.LBB1_29289:
	s_getpc_b64 s[14:15]
.Lpost_getpc308:
	s_add_u32 s14, s14, (.LBB1_1236-.Lpost_getpc308)&4294967295
	s_addc_u32 s15, s15, (.LBB1_1236-.Lpost_getpc308)>>32
	s_setpc_b64 s[14:15]
.LBB1_15573:
	s_movk_i32 s4, 0x80
	v_cmp_eq_u16_e32 vcc, s4, v3
	s_mov_b64 s[4:5], -1
                                        ; implicit-def: $sgpr10
	s_and_saveexec_b64 s[8:9], vcc
; %bb.15574:
	s_mov_b32 s10, 0x7f800001
	s_xor_b64 s[4:5], exec, -1
; %bb.15575:
	s_or_b64 exec, exec, s[8:9]
	s_and_b64 s[4:5], s[4:5], exec
                                        ; implicit-def: $vgpr3
	s_or_saveexec_b64 s[6:7], s[6:7]
	v_mov_b32_e32 v6, s10
	s_xor_b64 exec, exec, s[6:7]
	s_cbranch_execnz .LBB1_15576
; %bb.51413:
	s_getpc_b64 s[14:15]
.Lpost_getpc11370:
	s_add_u32 s14, s14, (.LBB1_1238-.Lpost_getpc11370)&4294967295
	s_addc_u32 s15, s15, (.LBB1_1238-.Lpost_getpc11370)>>32
	s_setpc_b64 s[14:15]
.LBB1_15576:
	v_cmp_ne_u16_e32 vcc, 0, v3
	s_andn2_b64 s[4:5], s[4:5], exec
	s_and_b64 s[8:9], vcc, exec
	v_mov_b32_e32 v6, 0
	s_or_b64 s[4:5], s[4:5], s[8:9]
	s_or_b64 exec, exec, s[6:7]
	s_and_saveexec_b64 s[6:7], s[4:5]
	s_cbranch_execz .LBB1_29291
; %bb.51415:
	s_getpc_b64 s[14:15]
.Lpost_getpc11371:
	s_add_u32 s14, s14, (.LBB1_1239-.Lpost_getpc11371)&4294967295
	s_addc_u32 s15, s15, (.LBB1_1239-.Lpost_getpc11371)>>32
	s_setpc_b64 s[14:15]
.LBB1_29291:
	s_getpc_b64 s[14:15]
.Lpost_getpc309:
	s_add_u32 s14, s14, (.LBB1_1240-.Lpost_getpc309)&4294967295
	s_addc_u32 s15, s15, (.LBB1_1240-.Lpost_getpc309)>>32
	s_setpc_b64 s[14:15]
.LBB1_15577:
	s_movk_i32 s4, 0x80
	v_cmp_eq_u16_sdwa s[12:13], v8, s4 src0_sel:BYTE_3 src1_sel:DWORD
	s_mov_b64 s[4:5], -1
                                        ; implicit-def: $sgpr10
	s_and_saveexec_b64 s[8:9], s[12:13]
; %bb.15578:
	s_mov_b32 s10, 0x7f800001
	s_xor_b64 s[4:5], exec, -1
; %bb.15579:
	s_or_b64 exec, exec, s[8:9]
	s_and_b64 s[4:5], s[4:5], exec
	s_or_saveexec_b64 s[6:7], s[6:7]
	v_mov_b32_e32 v2, s10
	s_xor_b64 exec, exec, s[6:7]
	s_cbranch_execnz .LBB1_15580
; %bb.51417:
	s_getpc_b64 s[14:15]
.Lpost_getpc11372:
	s_add_u32 s14, s14, (.LBB1_1242-.Lpost_getpc11372)&4294967295
	s_addc_u32 s15, s15, (.LBB1_1242-.Lpost_getpc11372)>>32
	s_setpc_b64 s[14:15]
.LBB1_15580:
	v_mov_b32_e32 v2, 0
	v_cmp_ne_u16_sdwa s[8:9], v8, v2 src0_sel:BYTE_3 src1_sel:DWORD
	s_andn2_b64 s[4:5], s[4:5], exec
	s_and_b64 s[8:9], s[8:9], exec
	s_or_b64 s[4:5], s[4:5], s[8:9]
	s_or_b64 exec, exec, s[6:7]
	s_and_saveexec_b64 s[6:7], s[4:5]
	s_cbranch_execz .LBB1_29293
; %bb.51419:
	s_getpc_b64 s[14:15]
.Lpost_getpc11373:
	s_add_u32 s14, s14, (.LBB1_1243-.Lpost_getpc11373)&4294967295
	s_addc_u32 s15, s15, (.LBB1_1243-.Lpost_getpc11373)>>32
	s_setpc_b64 s[14:15]
.LBB1_29293:
	s_getpc_b64 s[14:15]
.Lpost_getpc310:
	s_add_u32 s14, s14, (.LBB1_1244-.Lpost_getpc310)&4294967295
	s_addc_u32 s15, s15, (.LBB1_1244-.Lpost_getpc310)>>32
	s_setpc_b64 s[14:15]
.LBB1_15581:
	s_movk_i32 s4, 0x80
	v_cmp_eq_u16_sdwa s[12:13], v4, s4 src0_sel:BYTE_3 src1_sel:DWORD
	s_mov_b64 s[4:5], -1
                                        ; implicit-def: $sgpr10
	s_and_saveexec_b64 s[8:9], s[12:13]
; %bb.15582:
	s_mov_b32 s10, 0x7f800001
	s_xor_b64 s[4:5], exec, -1
; %bb.15583:
	s_or_b64 exec, exec, s[8:9]
	s_and_b64 s[4:5], s[4:5], exec
	s_or_saveexec_b64 s[6:7], s[6:7]
	v_mov_b32_e32 v3, s10
	s_xor_b64 exec, exec, s[6:7]
	s_cbranch_execnz .LBB1_15584
; %bb.51421:
	s_getpc_b64 s[14:15]
.Lpost_getpc11374:
	s_add_u32 s14, s14, (.LBB1_1246-.Lpost_getpc11374)&4294967295
	s_addc_u32 s15, s15, (.LBB1_1246-.Lpost_getpc11374)>>32
	s_setpc_b64 s[14:15]
.LBB1_15584:
	v_mov_b32_e32 v3, 0
	v_cmp_ne_u16_sdwa s[8:9], v4, v3 src0_sel:BYTE_3 src1_sel:DWORD
	s_andn2_b64 s[4:5], s[4:5], exec
	s_and_b64 s[8:9], s[8:9], exec
	s_or_b64 s[4:5], s[4:5], s[8:9]
	s_or_b64 exec, exec, s[6:7]
	s_and_saveexec_b64 s[6:7], s[4:5]
	s_cbranch_execz .LBB1_29295
; %bb.51423:
	s_getpc_b64 s[14:15]
.Lpost_getpc11375:
	s_add_u32 s14, s14, (.LBB1_1247-.Lpost_getpc11375)&4294967295
	s_addc_u32 s15, s15, (.LBB1_1247-.Lpost_getpc11375)>>32
	s_setpc_b64 s[14:15]
.LBB1_29295:
	s_getpc_b64 s[14:15]
.Lpost_getpc311:
	s_add_u32 s14, s14, (.LBB1_1248-.Lpost_getpc311)&4294967295
	s_addc_u32 s15, s15, (.LBB1_1248-.Lpost_getpc311)>>32
	s_setpc_b64 s[14:15]
.LBB1_15585:
	s_movk_i32 s4, 0x80
	v_cmp_eq_u16_sdwa s[12:13], v9, s4 src0_sel:BYTE_0 src1_sel:DWORD
	s_mov_b64 s[4:5], -1
                                        ; implicit-def: $sgpr10
	s_and_saveexec_b64 s[8:9], s[12:13]
; %bb.15586:
	s_mov_b32 s10, 0x7f800001
	s_xor_b64 s[4:5], exec, -1
; %bb.15587:
	s_or_b64 exec, exec, s[8:9]
	s_and_b64 s[4:5], s[4:5], exec
	s_or_saveexec_b64 s[6:7], s[6:7]
	v_mov_b32_e32 v2, s10
	s_xor_b64 exec, exec, s[6:7]
	s_cbranch_execnz .LBB1_15588
; %bb.51425:
	s_getpc_b64 s[14:15]
.Lpost_getpc11376:
	s_add_u32 s14, s14, (.LBB1_1250-.Lpost_getpc11376)&4294967295
	s_addc_u32 s15, s15, (.LBB1_1250-.Lpost_getpc11376)>>32
	s_setpc_b64 s[14:15]
.LBB1_15588:
	v_mov_b32_e32 v2, 0
	v_cmp_ne_u16_sdwa s[8:9], v9, v2 src0_sel:BYTE_0 src1_sel:DWORD
	s_andn2_b64 s[4:5], s[4:5], exec
	s_and_b64 s[8:9], s[8:9], exec
	s_or_b64 s[4:5], s[4:5], s[8:9]
	s_or_b64 exec, exec, s[6:7]
	s_and_saveexec_b64 s[6:7], s[4:5]
	s_cbranch_execz .LBB1_29297
; %bb.51427:
	s_getpc_b64 s[14:15]
.Lpost_getpc11377:
	s_add_u32 s14, s14, (.LBB1_1251-.Lpost_getpc11377)&4294967295
	s_addc_u32 s15, s15, (.LBB1_1251-.Lpost_getpc11377)>>32
	s_setpc_b64 s[14:15]
.LBB1_29297:
	s_getpc_b64 s[14:15]
.Lpost_getpc312:
	s_add_u32 s14, s14, (.LBB1_1252-.Lpost_getpc312)&4294967295
	s_addc_u32 s15, s15, (.LBB1_1252-.Lpost_getpc312)>>32
	s_setpc_b64 s[14:15]
.LBB1_15589:
	s_movk_i32 s4, 0x80
	v_cmp_eq_u16_sdwa s[12:13], v5, s4 src0_sel:BYTE_0 src1_sel:DWORD
	s_mov_b64 s[4:5], -1
                                        ; implicit-def: $sgpr10
	s_and_saveexec_b64 s[8:9], s[12:13]
; %bb.15590:
	s_mov_b32 s10, 0x7f800001
	s_xor_b64 s[4:5], exec, -1
; %bb.15591:
	s_or_b64 exec, exec, s[8:9]
	s_and_b64 s[4:5], s[4:5], exec
	s_or_saveexec_b64 s[6:7], s[6:7]
	v_mov_b32_e32 v3, s10
	s_xor_b64 exec, exec, s[6:7]
	s_cbranch_execnz .LBB1_15592
; %bb.51429:
	s_getpc_b64 s[14:15]
.Lpost_getpc11378:
	s_add_u32 s14, s14, (.LBB1_1254-.Lpost_getpc11378)&4294967295
	s_addc_u32 s15, s15, (.LBB1_1254-.Lpost_getpc11378)>>32
	s_setpc_b64 s[14:15]
.LBB1_15592:
	v_mov_b32_e32 v3, 0
	v_cmp_ne_u16_sdwa s[8:9], v5, v3 src0_sel:BYTE_0 src1_sel:DWORD
	s_andn2_b64 s[4:5], s[4:5], exec
	s_and_b64 s[8:9], s[8:9], exec
	s_or_b64 s[4:5], s[4:5], s[8:9]
	s_or_b64 exec, exec, s[6:7]
	s_and_saveexec_b64 s[6:7], s[4:5]
	s_cbranch_execz .LBB1_29299
; %bb.51431:
	s_getpc_b64 s[14:15]
.Lpost_getpc11379:
	s_add_u32 s14, s14, (.LBB1_1255-.Lpost_getpc11379)&4294967295
	s_addc_u32 s15, s15, (.LBB1_1255-.Lpost_getpc11379)>>32
	s_setpc_b64 s[14:15]
.LBB1_29299:
	s_getpc_b64 s[14:15]
.Lpost_getpc313:
	s_add_u32 s14, s14, (.LBB1_1256-.Lpost_getpc313)&4294967295
	s_addc_u32 s15, s15, (.LBB1_1256-.Lpost_getpc313)>>32
	s_setpc_b64 s[14:15]
.LBB1_15593:
	s_movk_i32 s4, 0x80
	v_cmp_eq_u16_sdwa s[12:13], v3, s4 src0_sel:BYTE_0 src1_sel:DWORD
	s_mov_b64 s[4:5], -1
                                        ; implicit-def: $sgpr10
	s_and_saveexec_b64 s[8:9], s[12:13]
; %bb.15594:
	s_mov_b32 s10, 0x7f800001
	s_xor_b64 s[4:5], exec, -1
; %bb.15595:
	s_or_b64 exec, exec, s[8:9]
	s_and_b64 s[4:5], s[4:5], exec
	s_or_saveexec_b64 s[6:7], s[6:7]
	v_mov_b32_e32 v2, s10
	s_xor_b64 exec, exec, s[6:7]
	s_cbranch_execnz .LBB1_15596
; %bb.51433:
	s_getpc_b64 s[14:15]
.Lpost_getpc11380:
	s_add_u32 s14, s14, (.LBB1_1258-.Lpost_getpc11380)&4294967295
	s_addc_u32 s15, s15, (.LBB1_1258-.Lpost_getpc11380)>>32
	s_setpc_b64 s[14:15]
.LBB1_15596:
	v_mov_b32_e32 v2, 0
	v_cmp_ne_u16_sdwa s[8:9], v3, v2 src0_sel:BYTE_0 src1_sel:DWORD
	s_andn2_b64 s[4:5], s[4:5], exec
	s_and_b64 s[8:9], s[8:9], exec
	s_or_b64 s[4:5], s[4:5], s[8:9]
	s_or_b64 exec, exec, s[6:7]
	s_and_saveexec_b64 s[6:7], s[4:5]
	s_cbranch_execz .LBB1_29301
; %bb.51435:
	s_getpc_b64 s[14:15]
.Lpost_getpc11381:
	s_add_u32 s14, s14, (.LBB1_1259-.Lpost_getpc11381)&4294967295
	s_addc_u32 s15, s15, (.LBB1_1259-.Lpost_getpc11381)>>32
	s_setpc_b64 s[14:15]
.LBB1_29301:
	s_getpc_b64 s[14:15]
.Lpost_getpc314:
	s_add_u32 s14, s14, (.LBB1_1260-.Lpost_getpc314)&4294967295
	s_addc_u32 s15, s15, (.LBB1_1260-.Lpost_getpc314)>>32
	s_setpc_b64 s[14:15]
.LBB1_15597:
	s_movk_i32 s4, 0x80
	v_cmp_eq_u16_sdwa s[12:13], v3, s4 src0_sel:BYTE_0 src1_sel:DWORD
	s_mov_b64 s[4:5], -1
                                        ; implicit-def: $sgpr10
	s_and_saveexec_b64 s[8:9], s[12:13]
; %bb.15598:
	s_mov_b32 s10, 0x7f800001
	s_xor_b64 s[4:5], exec, -1
; %bb.15599:
	s_or_b64 exec, exec, s[8:9]
	s_and_b64 s[4:5], s[4:5], exec
	s_or_saveexec_b64 s[6:7], s[6:7]
	v_mov_b32_e32 v4, s10
	s_xor_b64 exec, exec, s[6:7]
	s_cbranch_execnz .LBB1_15600
; %bb.51437:
	s_getpc_b64 s[14:15]
.Lpost_getpc11382:
	s_add_u32 s14, s14, (.LBB1_1262-.Lpost_getpc11382)&4294967295
	s_addc_u32 s15, s15, (.LBB1_1262-.Lpost_getpc11382)>>32
	s_setpc_b64 s[14:15]
.LBB1_15600:
	v_mov_b32_e32 v4, 0
	v_cmp_ne_u16_sdwa s[8:9], v3, v4 src0_sel:BYTE_0 src1_sel:DWORD
	s_andn2_b64 s[4:5], s[4:5], exec
	s_and_b64 s[8:9], s[8:9], exec
	s_or_b64 s[4:5], s[4:5], s[8:9]
	s_or_b64 exec, exec, s[6:7]
	s_and_saveexec_b64 s[6:7], s[4:5]
	s_cbranch_execz .LBB1_29303
; %bb.51439:
	s_getpc_b64 s[14:15]
.Lpost_getpc11383:
	s_add_u32 s14, s14, (.LBB1_1263-.Lpost_getpc11383)&4294967295
	s_addc_u32 s15, s15, (.LBB1_1263-.Lpost_getpc11383)>>32
	s_setpc_b64 s[14:15]
.LBB1_29303:
	s_getpc_b64 s[14:15]
.Lpost_getpc315:
	s_add_u32 s14, s14, (.LBB1_1264-.Lpost_getpc315)&4294967295
	s_addc_u32 s15, s15, (.LBB1_1264-.Lpost_getpc315)>>32
	s_setpc_b64 s[14:15]
.LBB1_15601:
	s_movk_i32 s4, 0x80
	v_cmp_eq_u16_e32 vcc, s4, v3
	s_mov_b64 s[4:5], -1
                                        ; implicit-def: $sgpr10
	s_and_saveexec_b64 s[8:9], vcc
; %bb.15602:
	s_mov_b32 s10, 0x7f800001
	s_xor_b64 s[4:5], exec, -1
; %bb.15603:
	s_or_b64 exec, exec, s[8:9]
	s_and_b64 s[4:5], s[4:5], exec
                                        ; implicit-def: $vgpr3
	s_or_saveexec_b64 s[6:7], s[6:7]
	v_mov_b32_e32 v2, s10
	s_xor_b64 exec, exec, s[6:7]
	s_cbranch_execnz .LBB1_15604
; %bb.51441:
	s_getpc_b64 s[14:15]
.Lpost_getpc11384:
	s_add_u32 s14, s14, (.LBB1_1266-.Lpost_getpc11384)&4294967295
	s_addc_u32 s15, s15, (.LBB1_1266-.Lpost_getpc11384)>>32
	s_setpc_b64 s[14:15]
.LBB1_15604:
	v_cmp_ne_u16_e32 vcc, 0, v3
	s_andn2_b64 s[4:5], s[4:5], exec
	s_and_b64 s[8:9], vcc, exec
	v_mov_b32_e32 v2, 0
	s_or_b64 s[4:5], s[4:5], s[8:9]
	s_or_b64 exec, exec, s[6:7]
	s_and_saveexec_b64 s[6:7], s[4:5]
	s_cbranch_execz .LBB1_29305
; %bb.51443:
	s_getpc_b64 s[14:15]
.Lpost_getpc11385:
	s_add_u32 s14, s14, (.LBB1_1267-.Lpost_getpc11385)&4294967295
	s_addc_u32 s15, s15, (.LBB1_1267-.Lpost_getpc11385)>>32
	s_setpc_b64 s[14:15]
.LBB1_29305:
	s_getpc_b64 s[14:15]
.Lpost_getpc316:
	s_add_u32 s14, s14, (.LBB1_1268-.Lpost_getpc316)&4294967295
	s_addc_u32 s15, s15, (.LBB1_1268-.Lpost_getpc316)>>32
	s_setpc_b64 s[14:15]
.LBB1_15605:
	s_movk_i32 s4, 0x80
	v_cmp_eq_u16_e32 vcc, s4, v3
	s_mov_b64 s[4:5], -1
                                        ; implicit-def: $sgpr10
	s_and_saveexec_b64 s[8:9], vcc
; %bb.15606:
	s_mov_b32 s10, 0x7f800001
	s_xor_b64 s[4:5], exec, -1
; %bb.15607:
	s_or_b64 exec, exec, s[8:9]
	s_and_b64 s[4:5], s[4:5], exec
                                        ; implicit-def: $vgpr3
	s_or_saveexec_b64 s[6:7], s[6:7]
	v_mov_b32_e32 v4, s10
	s_xor_b64 exec, exec, s[6:7]
	s_cbranch_execnz .LBB1_15608
; %bb.51445:
	s_getpc_b64 s[14:15]
.Lpost_getpc11386:
	s_add_u32 s14, s14, (.LBB1_1270-.Lpost_getpc11386)&4294967295
	s_addc_u32 s15, s15, (.LBB1_1270-.Lpost_getpc11386)>>32
	s_setpc_b64 s[14:15]
.LBB1_15608:
	v_cmp_ne_u16_e32 vcc, 0, v3
	s_andn2_b64 s[4:5], s[4:5], exec
	s_and_b64 s[8:9], vcc, exec
	v_mov_b32_e32 v4, 0
	s_or_b64 s[4:5], s[4:5], s[8:9]
	s_or_b64 exec, exec, s[6:7]
	s_and_saveexec_b64 s[6:7], s[4:5]
	s_cbranch_execz .LBB1_29307
; %bb.51447:
	s_getpc_b64 s[14:15]
.Lpost_getpc11387:
	s_add_u32 s14, s14, (.LBB1_1271-.Lpost_getpc11387)&4294967295
	s_addc_u32 s15, s15, (.LBB1_1271-.Lpost_getpc11387)>>32
	s_setpc_b64 s[14:15]
.LBB1_29307:
	s_getpc_b64 s[14:15]
.Lpost_getpc317:
	s_add_u32 s14, s14, (.LBB1_1272-.Lpost_getpc317)&4294967295
	s_addc_u32 s15, s15, (.LBB1_1272-.Lpost_getpc317)>>32
	s_setpc_b64 s[14:15]
.LBB1_15609:
	s_movk_i32 s4, 0x80
	v_cmp_eq_u16_sdwa s[12:13], v9, s4 src0_sel:BYTE_3 src1_sel:DWORD
	s_mov_b64 s[4:5], -1
                                        ; implicit-def: $sgpr10
	s_and_saveexec_b64 s[8:9], s[12:13]
; %bb.15610:
	s_mov_b32 s10, 0x7f800001
	s_xor_b64 s[4:5], exec, -1
; %bb.15611:
	s_or_b64 exec, exec, s[8:9]
	s_and_b64 s[4:5], s[4:5], exec
	s_or_saveexec_b64 s[6:7], s[6:7]
	v_mov_b32_e32 v2, s10
	s_xor_b64 exec, exec, s[6:7]
	s_cbranch_execnz .LBB1_15612
; %bb.51449:
	s_getpc_b64 s[14:15]
.Lpost_getpc11388:
	s_add_u32 s14, s14, (.LBB1_1274-.Lpost_getpc11388)&4294967295
	s_addc_u32 s15, s15, (.LBB1_1274-.Lpost_getpc11388)>>32
	s_setpc_b64 s[14:15]
.LBB1_15612:
	v_mov_b32_e32 v2, 0
	v_cmp_ne_u16_sdwa s[8:9], v9, v2 src0_sel:BYTE_3 src1_sel:DWORD
	s_andn2_b64 s[4:5], s[4:5], exec
	s_and_b64 s[8:9], s[8:9], exec
	s_or_b64 s[4:5], s[4:5], s[8:9]
	s_or_b64 exec, exec, s[6:7]
	s_and_saveexec_b64 s[6:7], s[4:5]
	s_cbranch_execz .LBB1_29309
; %bb.51451:
	s_getpc_b64 s[14:15]
.Lpost_getpc11389:
	s_add_u32 s14, s14, (.LBB1_1275-.Lpost_getpc11389)&4294967295
	s_addc_u32 s15, s15, (.LBB1_1275-.Lpost_getpc11389)>>32
	s_setpc_b64 s[14:15]
.LBB1_29309:
	s_getpc_b64 s[14:15]
.Lpost_getpc318:
	s_add_u32 s14, s14, (.LBB1_1276-.Lpost_getpc318)&4294967295
	s_addc_u32 s15, s15, (.LBB1_1276-.Lpost_getpc318)>>32
	s_setpc_b64 s[14:15]
.LBB1_15613:
	s_movk_i32 s4, 0x80
	v_cmp_eq_u16_sdwa s[12:13], v5, s4 src0_sel:BYTE_3 src1_sel:DWORD
	s_mov_b64 s[4:5], -1
                                        ; implicit-def: $sgpr10
	s_and_saveexec_b64 s[8:9], s[12:13]
; %bb.15614:
	s_mov_b32 s10, 0x7f800001
	s_xor_b64 s[4:5], exec, -1
; %bb.15615:
	s_or_b64 exec, exec, s[8:9]
	s_and_b64 s[4:5], s[4:5], exec
	s_or_saveexec_b64 s[6:7], s[6:7]
	v_mov_b32_e32 v3, s10
	s_xor_b64 exec, exec, s[6:7]
	s_cbranch_execnz .LBB1_15616
; %bb.51453:
	s_getpc_b64 s[14:15]
.Lpost_getpc11390:
	s_add_u32 s14, s14, (.LBB1_1278-.Lpost_getpc11390)&4294967295
	s_addc_u32 s15, s15, (.LBB1_1278-.Lpost_getpc11390)>>32
	s_setpc_b64 s[14:15]
.LBB1_15616:
	v_mov_b32_e32 v3, 0
	v_cmp_ne_u16_sdwa s[8:9], v5, v3 src0_sel:BYTE_3 src1_sel:DWORD
	s_andn2_b64 s[4:5], s[4:5], exec
	s_and_b64 s[8:9], s[8:9], exec
	s_or_b64 s[4:5], s[4:5], s[8:9]
	s_or_b64 exec, exec, s[6:7]
	s_and_saveexec_b64 s[6:7], s[4:5]
	s_cbranch_execz .LBB1_29311
; %bb.51455:
	s_getpc_b64 s[14:15]
.Lpost_getpc11391:
	s_add_u32 s14, s14, (.LBB1_1279-.Lpost_getpc11391)&4294967295
	s_addc_u32 s15, s15, (.LBB1_1279-.Lpost_getpc11391)>>32
	s_setpc_b64 s[14:15]
.LBB1_29311:
	s_getpc_b64 s[14:15]
.Lpost_getpc319:
	s_add_u32 s14, s14, (.LBB1_1280-.Lpost_getpc319)&4294967295
	s_addc_u32 s15, s15, (.LBB1_1280-.Lpost_getpc319)>>32
	s_setpc_b64 s[14:15]
.LBB1_15617:
	s_movk_i32 s4, 0x80
	v_cmp_eq_u16_sdwa s[12:13], v6, s4 src0_sel:BYTE_0 src1_sel:DWORD
	s_mov_b64 s[4:5], -1
                                        ; implicit-def: $sgpr10
	s_and_saveexec_b64 s[8:9], s[12:13]
; %bb.15618:
	s_mov_b32 s10, 0x7f800001
	s_xor_b64 s[4:5], exec, -1
; %bb.15619:
	s_or_b64 exec, exec, s[8:9]
	s_and_b64 s[4:5], s[4:5], exec
	s_or_saveexec_b64 s[6:7], s[6:7]
	v_mov_b32_e32 v12, s10
	s_xor_b64 exec, exec, s[6:7]
	s_cbranch_execnz .LBB1_15620
; %bb.51457:
	s_getpc_b64 s[14:15]
.Lpost_getpc11392:
	s_add_u32 s14, s14, (.LBB1_1282-.Lpost_getpc11392)&4294967295
	s_addc_u32 s15, s15, (.LBB1_1282-.Lpost_getpc11392)>>32
	s_setpc_b64 s[14:15]
.LBB1_15620:
	v_mov_b32_e32 v12, 0
	v_cmp_ne_u16_sdwa s[8:9], v6, v12 src0_sel:BYTE_0 src1_sel:DWORD
	s_andn2_b64 s[4:5], s[4:5], exec
	s_and_b64 s[8:9], s[8:9], exec
	s_or_b64 s[4:5], s[4:5], s[8:9]
	s_or_b64 exec, exec, s[6:7]
	s_and_saveexec_b64 s[6:7], s[4:5]
	s_cbranch_execz .LBB1_29313
; %bb.51459:
	s_getpc_b64 s[14:15]
.Lpost_getpc11393:
	s_add_u32 s14, s14, (.LBB1_1283-.Lpost_getpc11393)&4294967295
	s_addc_u32 s15, s15, (.LBB1_1283-.Lpost_getpc11393)>>32
	s_setpc_b64 s[14:15]
.LBB1_29313:
	s_getpc_b64 s[14:15]
.Lpost_getpc320:
	s_add_u32 s14, s14, (.LBB1_1284-.Lpost_getpc320)&4294967295
	s_addc_u32 s15, s15, (.LBB1_1284-.Lpost_getpc320)>>32
	s_setpc_b64 s[14:15]
.LBB1_15621:
	s_movk_i32 s4, 0x80
	v_cmp_eq_u16_sdwa s[12:13], v2, s4 src0_sel:BYTE_0 src1_sel:DWORD
	s_mov_b64 s[4:5], -1
                                        ; implicit-def: $sgpr10
	s_and_saveexec_b64 s[8:9], s[12:13]
; %bb.15622:
	s_mov_b32 s10, 0x7f800001
	s_xor_b64 s[4:5], exec, -1
; %bb.15623:
	s_or_b64 exec, exec, s[8:9]
	s_and_b64 s[4:5], s[4:5], exec
	s_or_saveexec_b64 s[6:7], s[6:7]
	v_mov_b32_e32 v13, s10
	s_xor_b64 exec, exec, s[6:7]
	s_cbranch_execnz .LBB1_15624
; %bb.51461:
	s_getpc_b64 s[14:15]
.Lpost_getpc11394:
	s_add_u32 s14, s14, (.LBB1_1286-.Lpost_getpc11394)&4294967295
	s_addc_u32 s15, s15, (.LBB1_1286-.Lpost_getpc11394)>>32
	s_setpc_b64 s[14:15]
.LBB1_15624:
	v_mov_b32_e32 v13, 0
	v_cmp_ne_u16_sdwa s[8:9], v2, v13 src0_sel:BYTE_0 src1_sel:DWORD
	s_andn2_b64 s[4:5], s[4:5], exec
	s_and_b64 s[8:9], s[8:9], exec
	s_or_b64 s[4:5], s[4:5], s[8:9]
	s_or_b64 exec, exec, s[6:7]
	s_and_saveexec_b64 s[6:7], s[4:5]
	s_cbranch_execz .LBB1_29315
; %bb.51463:
	s_getpc_b64 s[14:15]
.Lpost_getpc11395:
	s_add_u32 s14, s14, (.LBB1_1287-.Lpost_getpc11395)&4294967295
	s_addc_u32 s15, s15, (.LBB1_1287-.Lpost_getpc11395)>>32
	s_setpc_b64 s[14:15]
.LBB1_29315:
	s_getpc_b64 s[14:15]
.Lpost_getpc321:
	s_add_u32 s14, s14, (.LBB1_1288-.Lpost_getpc321)&4294967295
	s_addc_u32 s15, s15, (.LBB1_1288-.Lpost_getpc321)>>32
	s_setpc_b64 s[14:15]
.LBB1_15625:
	s_movk_i32 s4, 0x80
	v_cmp_eq_u16_sdwa s[12:13], v13, s4 src0_sel:BYTE_0 src1_sel:DWORD
	s_mov_b64 s[4:5], -1
                                        ; implicit-def: $sgpr10
	s_and_saveexec_b64 s[8:9], s[12:13]
; %bb.15626:
	s_mov_b32 s10, 0x7f800001
	s_xor_b64 s[4:5], exec, -1
; %bb.15627:
	s_or_b64 exec, exec, s[8:9]
	s_and_b64 s[4:5], s[4:5], exec
	s_or_saveexec_b64 s[6:7], s[6:7]
	v_mov_b32_e32 v12, s10
	s_xor_b64 exec, exec, s[6:7]
	s_cbranch_execnz .LBB1_15628
; %bb.51465:
	s_getpc_b64 s[14:15]
.Lpost_getpc11396:
	s_add_u32 s14, s14, (.LBB1_1290-.Lpost_getpc11396)&4294967295
	s_addc_u32 s15, s15, (.LBB1_1290-.Lpost_getpc11396)>>32
	s_setpc_b64 s[14:15]
.LBB1_15628:
	v_mov_b32_e32 v12, 0
	v_cmp_ne_u16_sdwa s[8:9], v13, v12 src0_sel:BYTE_0 src1_sel:DWORD
	s_andn2_b64 s[4:5], s[4:5], exec
	s_and_b64 s[8:9], s[8:9], exec
	s_or_b64 s[4:5], s[4:5], s[8:9]
	s_or_b64 exec, exec, s[6:7]
	s_and_saveexec_b64 s[6:7], s[4:5]
	s_cbranch_execz .LBB1_29317
; %bb.51467:
	s_getpc_b64 s[14:15]
.Lpost_getpc11397:
	s_add_u32 s14, s14, (.LBB1_1291-.Lpost_getpc11397)&4294967295
	s_addc_u32 s15, s15, (.LBB1_1291-.Lpost_getpc11397)>>32
	s_setpc_b64 s[14:15]
.LBB1_29317:
	s_getpc_b64 s[14:15]
.Lpost_getpc322:
	s_add_u32 s14, s14, (.LBB1_1292-.Lpost_getpc322)&4294967295
	s_addc_u32 s15, s15, (.LBB1_1292-.Lpost_getpc322)>>32
	s_setpc_b64 s[14:15]
.LBB1_15629:
	s_movk_i32 s4, 0x80
	v_cmp_eq_u16_sdwa s[12:13], v13, s4 src0_sel:BYTE_0 src1_sel:DWORD
	s_mov_b64 s[4:5], -1
                                        ; implicit-def: $sgpr10
	s_and_saveexec_b64 s[8:9], s[12:13]
; %bb.15630:
	s_mov_b32 s10, 0x7f800001
	s_xor_b64 s[4:5], exec, -1
; %bb.15631:
	s_or_b64 exec, exec, s[8:9]
	s_and_b64 s[4:5], s[4:5], exec
	s_or_saveexec_b64 s[6:7], s[6:7]
	v_mov_b32_e32 v14, s10
	s_xor_b64 exec, exec, s[6:7]
	s_cbranch_execnz .LBB1_15632
; %bb.51469:
	s_getpc_b64 s[14:15]
.Lpost_getpc11398:
	s_add_u32 s14, s14, (.LBB1_1294-.Lpost_getpc11398)&4294967295
	s_addc_u32 s15, s15, (.LBB1_1294-.Lpost_getpc11398)>>32
	s_setpc_b64 s[14:15]
.LBB1_15632:
	v_mov_b32_e32 v14, 0
	v_cmp_ne_u16_sdwa s[8:9], v13, v14 src0_sel:BYTE_0 src1_sel:DWORD
	s_andn2_b64 s[4:5], s[4:5], exec
	s_and_b64 s[8:9], s[8:9], exec
	s_or_b64 s[4:5], s[4:5], s[8:9]
	s_or_b64 exec, exec, s[6:7]
	s_and_saveexec_b64 s[6:7], s[4:5]
	s_cbranch_execz .LBB1_29319
; %bb.51471:
	s_getpc_b64 s[14:15]
.Lpost_getpc11399:
	s_add_u32 s14, s14, (.LBB1_1295-.Lpost_getpc11399)&4294967295
	s_addc_u32 s15, s15, (.LBB1_1295-.Lpost_getpc11399)>>32
	s_setpc_b64 s[14:15]
.LBB1_29319:
	s_getpc_b64 s[14:15]
.Lpost_getpc323:
	s_add_u32 s14, s14, (.LBB1_1296-.Lpost_getpc323)&4294967295
	s_addc_u32 s15, s15, (.LBB1_1296-.Lpost_getpc323)>>32
	s_setpc_b64 s[14:15]
.LBB1_15633:
	s_movk_i32 s4, 0x80
	v_cmp_eq_u16_e32 vcc, s4, v13
	s_mov_b64 s[4:5], -1
                                        ; implicit-def: $sgpr10
	s_and_saveexec_b64 s[8:9], vcc
; %bb.15634:
	s_mov_b32 s10, 0x7f800001
	s_xor_b64 s[4:5], exec, -1
; %bb.15635:
	s_or_b64 exec, exec, s[8:9]
	s_and_b64 s[4:5], s[4:5], exec
                                        ; implicit-def: $vgpr13
	s_or_saveexec_b64 s[6:7], s[6:7]
	v_mov_b32_e32 v12, s10
	s_xor_b64 exec, exec, s[6:7]
	s_cbranch_execnz .LBB1_15636
; %bb.51473:
	s_getpc_b64 s[14:15]
.Lpost_getpc11400:
	s_add_u32 s14, s14, (.LBB1_1298-.Lpost_getpc11400)&4294967295
	s_addc_u32 s15, s15, (.LBB1_1298-.Lpost_getpc11400)>>32
	s_setpc_b64 s[14:15]
.LBB1_15636:
	v_cmp_ne_u16_e32 vcc, 0, v13
	s_andn2_b64 s[4:5], s[4:5], exec
	s_and_b64 s[8:9], vcc, exec
	v_mov_b32_e32 v12, 0
	s_or_b64 s[4:5], s[4:5], s[8:9]
	s_or_b64 exec, exec, s[6:7]
	s_and_saveexec_b64 s[6:7], s[4:5]
	s_cbranch_execz .LBB1_29321
; %bb.51475:
	s_getpc_b64 s[14:15]
.Lpost_getpc11401:
	s_add_u32 s14, s14, (.LBB1_1299-.Lpost_getpc11401)&4294967295
	s_addc_u32 s15, s15, (.LBB1_1299-.Lpost_getpc11401)>>32
	s_setpc_b64 s[14:15]
.LBB1_29321:
	s_getpc_b64 s[14:15]
.Lpost_getpc324:
	s_add_u32 s14, s14, (.LBB1_1300-.Lpost_getpc324)&4294967295
	s_addc_u32 s15, s15, (.LBB1_1300-.Lpost_getpc324)>>32
	s_setpc_b64 s[14:15]
.LBB1_15637:
	s_movk_i32 s4, 0x80
	v_cmp_eq_u16_e32 vcc, s4, v13
	s_mov_b64 s[4:5], -1
                                        ; implicit-def: $sgpr10
	s_and_saveexec_b64 s[8:9], vcc
; %bb.15638:
	s_mov_b32 s10, 0x7f800001
	s_xor_b64 s[4:5], exec, -1
; %bb.15639:
	s_or_b64 exec, exec, s[8:9]
	s_and_b64 s[4:5], s[4:5], exec
                                        ; implicit-def: $vgpr13
	s_or_saveexec_b64 s[6:7], s[6:7]
	v_mov_b32_e32 v14, s10
	s_xor_b64 exec, exec, s[6:7]
	s_cbranch_execnz .LBB1_15640
; %bb.51477:
	s_getpc_b64 s[14:15]
.Lpost_getpc11402:
	s_add_u32 s14, s14, (.LBB1_1302-.Lpost_getpc11402)&4294967295
	s_addc_u32 s15, s15, (.LBB1_1302-.Lpost_getpc11402)>>32
	s_setpc_b64 s[14:15]
.LBB1_15640:
	v_cmp_ne_u16_e32 vcc, 0, v13
	s_andn2_b64 s[4:5], s[4:5], exec
	s_and_b64 s[8:9], vcc, exec
	v_mov_b32_e32 v14, 0
	s_or_b64 s[4:5], s[4:5], s[8:9]
	s_or_b64 exec, exec, s[6:7]
	s_and_saveexec_b64 s[6:7], s[4:5]
	s_cbranch_execz .LBB1_29323
; %bb.51479:
	s_getpc_b64 s[14:15]
.Lpost_getpc11403:
	s_add_u32 s14, s14, (.LBB1_1303-.Lpost_getpc11403)&4294967295
	s_addc_u32 s15, s15, (.LBB1_1303-.Lpost_getpc11403)>>32
	s_setpc_b64 s[14:15]
.LBB1_29323:
	s_getpc_b64 s[14:15]
.Lpost_getpc325:
	s_add_u32 s14, s14, (.LBB1_1304-.Lpost_getpc325)&4294967295
	s_addc_u32 s15, s15, (.LBB1_1304-.Lpost_getpc325)>>32
	s_setpc_b64 s[14:15]
.LBB1_15641:
	s_movk_i32 s4, 0x80
	v_cmp_eq_u16_sdwa s[12:13], v6, s4 src0_sel:BYTE_3 src1_sel:DWORD
	s_mov_b64 s[4:5], -1
                                        ; implicit-def: $sgpr10
	s_and_saveexec_b64 s[8:9], s[12:13]
; %bb.15642:
	s_mov_b32 s10, 0x7f800001
	s_xor_b64 s[4:5], exec, -1
; %bb.15643:
	s_or_b64 exec, exec, s[8:9]
	s_and_b64 s[4:5], s[4:5], exec
	s_or_saveexec_b64 s[6:7], s[6:7]
	v_mov_b32_e32 v12, s10
	s_xor_b64 exec, exec, s[6:7]
	s_cbranch_execnz .LBB1_15644
; %bb.51481:
	s_getpc_b64 s[14:15]
.Lpost_getpc11404:
	s_add_u32 s14, s14, (.LBB1_1306-.Lpost_getpc11404)&4294967295
	s_addc_u32 s15, s15, (.LBB1_1306-.Lpost_getpc11404)>>32
	s_setpc_b64 s[14:15]
.LBB1_15644:
	v_mov_b32_e32 v12, 0
	v_cmp_ne_u16_sdwa s[8:9], v6, v12 src0_sel:BYTE_3 src1_sel:DWORD
	s_andn2_b64 s[4:5], s[4:5], exec
	s_and_b64 s[8:9], s[8:9], exec
	s_or_b64 s[4:5], s[4:5], s[8:9]
	s_or_b64 exec, exec, s[6:7]
	s_and_saveexec_b64 s[6:7], s[4:5]
	s_cbranch_execz .LBB1_29325
; %bb.51483:
	s_getpc_b64 s[14:15]
.Lpost_getpc11405:
	s_add_u32 s14, s14, (.LBB1_1307-.Lpost_getpc11405)&4294967295
	s_addc_u32 s15, s15, (.LBB1_1307-.Lpost_getpc11405)>>32
	s_setpc_b64 s[14:15]
.LBB1_29325:
	s_getpc_b64 s[14:15]
.Lpost_getpc326:
	s_add_u32 s14, s14, (.LBB1_1308-.Lpost_getpc326)&4294967295
	s_addc_u32 s15, s15, (.LBB1_1308-.Lpost_getpc326)>>32
	s_setpc_b64 s[14:15]
.LBB1_15645:
	s_movk_i32 s4, 0x80
	v_cmp_eq_u16_sdwa s[12:13], v2, s4 src0_sel:BYTE_3 src1_sel:DWORD
	s_mov_b64 s[4:5], -1
                                        ; implicit-def: $sgpr10
	s_and_saveexec_b64 s[8:9], s[12:13]
; %bb.15646:
	s_mov_b32 s10, 0x7f800001
	s_xor_b64 s[4:5], exec, -1
; %bb.15647:
	s_or_b64 exec, exec, s[8:9]
	s_and_b64 s[4:5], s[4:5], exec
	s_or_saveexec_b64 s[6:7], s[6:7]
	v_mov_b32_e32 v6, s10
	s_xor_b64 exec, exec, s[6:7]
	s_cbranch_execnz .LBB1_15648
; %bb.51485:
	s_getpc_b64 s[14:15]
.Lpost_getpc11406:
	s_add_u32 s14, s14, (.LBB1_1310-.Lpost_getpc11406)&4294967295
	s_addc_u32 s15, s15, (.LBB1_1310-.Lpost_getpc11406)>>32
	s_setpc_b64 s[14:15]
.LBB1_15648:
	v_mov_b32_e32 v6, 0
	v_cmp_ne_u16_sdwa s[8:9], v2, v6 src0_sel:BYTE_3 src1_sel:DWORD
	s_andn2_b64 s[4:5], s[4:5], exec
	s_and_b64 s[8:9], s[8:9], exec
	s_or_b64 s[4:5], s[4:5], s[8:9]
	s_or_b64 exec, exec, s[6:7]
	s_and_saveexec_b64 s[6:7], s[4:5]
	s_cbranch_execz .LBB1_29327
; %bb.51487:
	s_getpc_b64 s[14:15]
.Lpost_getpc11407:
	s_add_u32 s14, s14, (.LBB1_1311-.Lpost_getpc11407)&4294967295
	s_addc_u32 s15, s15, (.LBB1_1311-.Lpost_getpc11407)>>32
	s_setpc_b64 s[14:15]
.LBB1_29327:
	s_getpc_b64 s[14:15]
.Lpost_getpc327:
	s_add_u32 s14, s14, (.LBB1_1312-.Lpost_getpc327)&4294967295
	s_addc_u32 s15, s15, (.LBB1_1312-.Lpost_getpc327)>>32
	s_setpc_b64 s[14:15]
.LBB1_15649:
	s_movk_i32 s4, 0x80
	v_cmp_eq_u16_sdwa s[12:13], v7, s4 src0_sel:BYTE_0 src1_sel:DWORD
	s_mov_b64 s[4:5], -1
                                        ; implicit-def: $sgpr10
	s_and_saveexec_b64 s[8:9], s[12:13]
; %bb.15650:
	s_mov_b32 s10, 0x7f800001
	s_xor_b64 s[4:5], exec, -1
; %bb.15651:
	s_or_b64 exec, exec, s[8:9]
	s_and_b64 s[4:5], s[4:5], exec
	s_or_saveexec_b64 s[6:7], s[6:7]
	v_mov_b32_e32 v2, s10
	s_xor_b64 exec, exec, s[6:7]
	s_cbranch_execnz .LBB1_15652
; %bb.51489:
	s_getpc_b64 s[14:15]
.Lpost_getpc11408:
	s_add_u32 s14, s14, (.LBB1_1314-.Lpost_getpc11408)&4294967295
	s_addc_u32 s15, s15, (.LBB1_1314-.Lpost_getpc11408)>>32
	s_setpc_b64 s[14:15]
.LBB1_15652:
	v_mov_b32_e32 v2, 0
	v_cmp_ne_u16_sdwa s[8:9], v7, v2 src0_sel:BYTE_0 src1_sel:DWORD
	s_andn2_b64 s[4:5], s[4:5], exec
	s_and_b64 s[8:9], s[8:9], exec
	s_or_b64 s[4:5], s[4:5], s[8:9]
	s_or_b64 exec, exec, s[6:7]
	s_and_saveexec_b64 s[6:7], s[4:5]
	s_cbranch_execz .LBB1_29329
; %bb.51491:
	s_getpc_b64 s[14:15]
.Lpost_getpc11409:
	s_add_u32 s14, s14, (.LBB1_1315-.Lpost_getpc11409)&4294967295
	s_addc_u32 s15, s15, (.LBB1_1315-.Lpost_getpc11409)>>32
	s_setpc_b64 s[14:15]
.LBB1_29329:
	s_getpc_b64 s[14:15]
.Lpost_getpc328:
	s_add_u32 s14, s14, (.LBB1_1316-.Lpost_getpc328)&4294967295
	s_addc_u32 s15, s15, (.LBB1_1316-.Lpost_getpc328)>>32
	s_setpc_b64 s[14:15]
.LBB1_15653:
	s_movk_i32 s4, 0x80
	v_cmp_eq_u16_sdwa s[12:13], v3, s4 src0_sel:BYTE_0 src1_sel:DWORD
	s_mov_b64 s[4:5], -1
                                        ; implicit-def: $sgpr10
	s_and_saveexec_b64 s[8:9], s[12:13]
; %bb.15654:
	s_mov_b32 s10, 0x7f800001
	s_xor_b64 s[4:5], exec, -1
; %bb.15655:
	s_or_b64 exec, exec, s[8:9]
	s_and_b64 s[4:5], s[4:5], exec
	s_or_saveexec_b64 s[6:7], s[6:7]
	v_mov_b32_e32 v6, s10
	s_xor_b64 exec, exec, s[6:7]
	s_cbranch_execnz .LBB1_15656
; %bb.51493:
	s_getpc_b64 s[14:15]
.Lpost_getpc11410:
	s_add_u32 s14, s14, (.LBB1_1318-.Lpost_getpc11410)&4294967295
	s_addc_u32 s15, s15, (.LBB1_1318-.Lpost_getpc11410)>>32
	s_setpc_b64 s[14:15]
.LBB1_15656:
	v_mov_b32_e32 v6, 0
	v_cmp_ne_u16_sdwa s[8:9], v3, v6 src0_sel:BYTE_0 src1_sel:DWORD
	s_andn2_b64 s[4:5], s[4:5], exec
	s_and_b64 s[8:9], s[8:9], exec
	s_or_b64 s[4:5], s[4:5], s[8:9]
	s_or_b64 exec, exec, s[6:7]
	s_and_saveexec_b64 s[6:7], s[4:5]
	s_cbranch_execz .LBB1_29331
; %bb.51495:
	s_getpc_b64 s[14:15]
.Lpost_getpc11411:
	s_add_u32 s14, s14, (.LBB1_1319-.Lpost_getpc11411)&4294967295
	s_addc_u32 s15, s15, (.LBB1_1319-.Lpost_getpc11411)>>32
	s_setpc_b64 s[14:15]
.LBB1_29331:
	s_getpc_b64 s[14:15]
.Lpost_getpc329:
	s_add_u32 s14, s14, (.LBB1_1320-.Lpost_getpc329)&4294967295
	s_addc_u32 s15, s15, (.LBB1_1320-.Lpost_getpc329)>>32
	s_setpc_b64 s[14:15]
.LBB1_15657:
	s_movk_i32 s4, 0x80
	v_cmp_eq_u16_sdwa s[12:13], v6, s4 src0_sel:BYTE_0 src1_sel:DWORD
	s_mov_b64 s[4:5], -1
                                        ; implicit-def: $sgpr10
	s_and_saveexec_b64 s[8:9], s[12:13]
; %bb.15658:
	s_mov_b32 s10, 0x7f800001
	s_xor_b64 s[4:5], exec, -1
; %bb.15659:
	s_or_b64 exec, exec, s[8:9]
	s_and_b64 s[4:5], s[4:5], exec
	s_or_saveexec_b64 s[6:7], s[6:7]
	v_mov_b32_e32 v2, s10
	s_xor_b64 exec, exec, s[6:7]
	s_cbranch_execnz .LBB1_15660
; %bb.51497:
	s_getpc_b64 s[14:15]
.Lpost_getpc11412:
	s_add_u32 s14, s14, (.LBB1_1322-.Lpost_getpc11412)&4294967295
	s_addc_u32 s15, s15, (.LBB1_1322-.Lpost_getpc11412)>>32
	s_setpc_b64 s[14:15]
.LBB1_15660:
	v_mov_b32_e32 v2, 0
	v_cmp_ne_u16_sdwa s[8:9], v6, v2 src0_sel:BYTE_0 src1_sel:DWORD
	s_andn2_b64 s[4:5], s[4:5], exec
	s_and_b64 s[8:9], s[8:9], exec
	s_or_b64 s[4:5], s[4:5], s[8:9]
	s_or_b64 exec, exec, s[6:7]
	s_and_saveexec_b64 s[6:7], s[4:5]
	s_cbranch_execz .LBB1_29333
; %bb.51499:
	s_getpc_b64 s[14:15]
.Lpost_getpc11413:
	s_add_u32 s14, s14, (.LBB1_1323-.Lpost_getpc11413)&4294967295
	s_addc_u32 s15, s15, (.LBB1_1323-.Lpost_getpc11413)>>32
	s_setpc_b64 s[14:15]
.LBB1_29333:
	s_getpc_b64 s[14:15]
.Lpost_getpc330:
	s_add_u32 s14, s14, (.LBB1_1324-.Lpost_getpc330)&4294967295
	s_addc_u32 s15, s15, (.LBB1_1324-.Lpost_getpc330)>>32
	s_setpc_b64 s[14:15]
.LBB1_15661:
	s_movk_i32 s4, 0x80
	v_cmp_eq_u16_sdwa s[12:13], v6, s4 src0_sel:BYTE_0 src1_sel:DWORD
	s_mov_b64 s[4:5], -1
                                        ; implicit-def: $sgpr10
	s_and_saveexec_b64 s[8:9], s[12:13]
; %bb.15662:
	s_mov_b32 s10, 0x7f800001
	s_xor_b64 s[4:5], exec, -1
; %bb.15663:
	s_or_b64 exec, exec, s[8:9]
	s_and_b64 s[4:5], s[4:5], exec
	s_or_saveexec_b64 s[6:7], s[6:7]
	v_mov_b32_e32 v12, s10
	s_xor_b64 exec, exec, s[6:7]
	s_cbranch_execnz .LBB1_15664
; %bb.51501:
	s_getpc_b64 s[14:15]
.Lpost_getpc11414:
	s_add_u32 s14, s14, (.LBB1_1326-.Lpost_getpc11414)&4294967295
	s_addc_u32 s15, s15, (.LBB1_1326-.Lpost_getpc11414)>>32
	s_setpc_b64 s[14:15]
.LBB1_15664:
	v_mov_b32_e32 v12, 0
	v_cmp_ne_u16_sdwa s[8:9], v6, v12 src0_sel:BYTE_0 src1_sel:DWORD
	s_andn2_b64 s[4:5], s[4:5], exec
	s_and_b64 s[8:9], s[8:9], exec
	s_or_b64 s[4:5], s[4:5], s[8:9]
	s_or_b64 exec, exec, s[6:7]
	s_and_saveexec_b64 s[6:7], s[4:5]
	s_cbranch_execz .LBB1_29335
; %bb.51503:
	s_getpc_b64 s[14:15]
.Lpost_getpc11415:
	s_add_u32 s14, s14, (.LBB1_1327-.Lpost_getpc11415)&4294967295
	s_addc_u32 s15, s15, (.LBB1_1327-.Lpost_getpc11415)>>32
	s_setpc_b64 s[14:15]
.LBB1_29335:
	s_getpc_b64 s[14:15]
.Lpost_getpc331:
	s_add_u32 s14, s14, (.LBB1_1328-.Lpost_getpc331)&4294967295
	s_addc_u32 s15, s15, (.LBB1_1328-.Lpost_getpc331)>>32
	s_setpc_b64 s[14:15]
.LBB1_15665:
	s_movk_i32 s4, 0x80
	v_cmp_eq_u16_e32 vcc, s4, v6
	s_mov_b64 s[4:5], -1
                                        ; implicit-def: $sgpr10
	s_and_saveexec_b64 s[8:9], vcc
; %bb.15666:
	s_mov_b32 s10, 0x7f800001
	s_xor_b64 s[4:5], exec, -1
; %bb.15667:
	s_or_b64 exec, exec, s[8:9]
	s_and_b64 s[4:5], s[4:5], exec
                                        ; implicit-def: $vgpr6
	s_or_saveexec_b64 s[6:7], s[6:7]
	v_mov_b32_e32 v2, s10
	s_xor_b64 exec, exec, s[6:7]
	s_cbranch_execnz .LBB1_15668
; %bb.51505:
	s_getpc_b64 s[14:15]
.Lpost_getpc11416:
	s_add_u32 s14, s14, (.LBB1_1330-.Lpost_getpc11416)&4294967295
	s_addc_u32 s15, s15, (.LBB1_1330-.Lpost_getpc11416)>>32
	s_setpc_b64 s[14:15]
.LBB1_15668:
	v_cmp_ne_u16_e32 vcc, 0, v6
	s_andn2_b64 s[4:5], s[4:5], exec
	s_and_b64 s[8:9], vcc, exec
	v_mov_b32_e32 v2, 0
	s_or_b64 s[4:5], s[4:5], s[8:9]
	s_or_b64 exec, exec, s[6:7]
	s_and_saveexec_b64 s[6:7], s[4:5]
	s_cbranch_execz .LBB1_29337
; %bb.51507:
	s_getpc_b64 s[14:15]
.Lpost_getpc11417:
	s_add_u32 s14, s14, (.LBB1_1331-.Lpost_getpc11417)&4294967295
	s_addc_u32 s15, s15, (.LBB1_1331-.Lpost_getpc11417)>>32
	s_setpc_b64 s[14:15]
.LBB1_29337:
	s_getpc_b64 s[14:15]
.Lpost_getpc332:
	s_add_u32 s14, s14, (.LBB1_1332-.Lpost_getpc332)&4294967295
	s_addc_u32 s15, s15, (.LBB1_1332-.Lpost_getpc332)>>32
	s_setpc_b64 s[14:15]
.LBB1_15669:
	s_movk_i32 s4, 0x80
	v_cmp_eq_u16_e32 vcc, s4, v6
	s_mov_b64 s[4:5], -1
                                        ; implicit-def: $sgpr10
	s_and_saveexec_b64 s[8:9], vcc
; %bb.15670:
	s_mov_b32 s10, 0x7f800001
	s_xor_b64 s[4:5], exec, -1
; %bb.15671:
	s_or_b64 exec, exec, s[8:9]
	s_and_b64 s[4:5], s[4:5], exec
                                        ; implicit-def: $vgpr6
	s_or_saveexec_b64 s[6:7], s[6:7]
	v_mov_b32_e32 v12, s10
	s_xor_b64 exec, exec, s[6:7]
	s_cbranch_execnz .LBB1_15672
; %bb.51509:
	s_getpc_b64 s[14:15]
.Lpost_getpc11418:
	s_add_u32 s14, s14, (.LBB1_1334-.Lpost_getpc11418)&4294967295
	s_addc_u32 s15, s15, (.LBB1_1334-.Lpost_getpc11418)>>32
	s_setpc_b64 s[14:15]
.LBB1_15672:
	v_cmp_ne_u16_e32 vcc, 0, v6
	s_andn2_b64 s[4:5], s[4:5], exec
	s_and_b64 s[8:9], vcc, exec
	v_mov_b32_e32 v12, 0
	s_or_b64 s[4:5], s[4:5], s[8:9]
	s_or_b64 exec, exec, s[6:7]
	s_and_saveexec_b64 s[6:7], s[4:5]
	s_cbranch_execz .LBB1_29339
; %bb.51511:
	s_getpc_b64 s[14:15]
.Lpost_getpc11419:
	s_add_u32 s14, s14, (.LBB1_1335-.Lpost_getpc11419)&4294967295
	s_addc_u32 s15, s15, (.LBB1_1335-.Lpost_getpc11419)>>32
	s_setpc_b64 s[14:15]
.LBB1_29339:
	s_getpc_b64 s[14:15]
.Lpost_getpc333:
	s_add_u32 s14, s14, (.LBB1_1336-.Lpost_getpc333)&4294967295
	s_addc_u32 s15, s15, (.LBB1_1336-.Lpost_getpc333)>>32
	s_setpc_b64 s[14:15]
.LBB1_15673:
	s_movk_i32 s4, 0x80
	v_cmp_eq_u16_sdwa s[12:13], v7, s4 src0_sel:BYTE_3 src1_sel:DWORD
	s_mov_b64 s[4:5], -1
                                        ; implicit-def: $sgpr10
	s_and_saveexec_b64 s[8:9], s[12:13]
; %bb.15674:
	s_mov_b32 s10, 0x7f800001
	s_xor_b64 s[4:5], exec, -1
; %bb.15675:
	s_or_b64 exec, exec, s[8:9]
	s_and_b64 s[4:5], s[4:5], exec
	s_or_saveexec_b64 s[6:7], s[6:7]
	v_mov_b32_e32 v2, s10
	s_xor_b64 exec, exec, s[6:7]
	s_cbranch_execnz .LBB1_15676
; %bb.51513:
	s_getpc_b64 s[14:15]
.Lpost_getpc11420:
	s_add_u32 s14, s14, (.LBB1_1338-.Lpost_getpc11420)&4294967295
	s_addc_u32 s15, s15, (.LBB1_1338-.Lpost_getpc11420)>>32
	s_setpc_b64 s[14:15]
.LBB1_15676:
	v_mov_b32_e32 v2, 0
	v_cmp_ne_u16_sdwa s[8:9], v7, v2 src0_sel:BYTE_3 src1_sel:DWORD
	s_andn2_b64 s[4:5], s[4:5], exec
	s_and_b64 s[8:9], s[8:9], exec
	s_or_b64 s[4:5], s[4:5], s[8:9]
	s_or_b64 exec, exec, s[6:7]
	s_and_saveexec_b64 s[6:7], s[4:5]
	s_cbranch_execz .LBB1_29341
; %bb.51515:
	s_getpc_b64 s[14:15]
.Lpost_getpc11421:
	s_add_u32 s14, s14, (.LBB1_1339-.Lpost_getpc11421)&4294967295
	s_addc_u32 s15, s15, (.LBB1_1339-.Lpost_getpc11421)>>32
	s_setpc_b64 s[14:15]
.LBB1_29341:
	s_getpc_b64 s[14:15]
.Lpost_getpc334:
	s_add_u32 s14, s14, (.LBB1_1340-.Lpost_getpc334)&4294967295
	s_addc_u32 s15, s15, (.LBB1_1340-.Lpost_getpc334)>>32
	s_setpc_b64 s[14:15]
.LBB1_15677:
	s_movk_i32 s4, 0x80
	v_cmp_eq_u16_sdwa s[12:13], v3, s4 src0_sel:BYTE_3 src1_sel:DWORD
	s_mov_b64 s[4:5], -1
                                        ; implicit-def: $sgpr10
	s_and_saveexec_b64 s[8:9], s[12:13]
; %bb.15678:
	s_mov_b32 s10, 0x7f800001
	s_xor_b64 s[4:5], exec, -1
; %bb.15679:
	s_or_b64 exec, exec, s[8:9]
	s_and_b64 s[4:5], s[4:5], exec
	s_or_saveexec_b64 s[6:7], s[6:7]
	v_mov_b32_e32 v6, s10
	s_xor_b64 exec, exec, s[6:7]
	s_cbranch_execnz .LBB1_15680
; %bb.51517:
	s_getpc_b64 s[14:15]
.Lpost_getpc11422:
	s_add_u32 s14, s14, (.LBB1_1342-.Lpost_getpc11422)&4294967295
	s_addc_u32 s15, s15, (.LBB1_1342-.Lpost_getpc11422)>>32
	s_setpc_b64 s[14:15]
.LBB1_15680:
	v_mov_b32_e32 v6, 0
	v_cmp_ne_u16_sdwa s[8:9], v3, v6 src0_sel:BYTE_3 src1_sel:DWORD
	s_andn2_b64 s[4:5], s[4:5], exec
	s_and_b64 s[8:9], s[8:9], exec
	s_or_b64 s[4:5], s[4:5], s[8:9]
	s_or_b64 exec, exec, s[6:7]
	s_and_saveexec_b64 s[6:7], s[4:5]
	s_cbranch_execz .LBB1_29343
; %bb.51519:
	s_getpc_b64 s[14:15]
.Lpost_getpc11423:
	s_add_u32 s14, s14, (.LBB1_1343-.Lpost_getpc11423)&4294967295
	s_addc_u32 s15, s15, (.LBB1_1343-.Lpost_getpc11423)>>32
	s_setpc_b64 s[14:15]
.LBB1_29343:
	s_getpc_b64 s[14:15]
.Lpost_getpc335:
	s_add_u32 s14, s14, (.LBB1_1344-.Lpost_getpc335)&4294967295
	s_addc_u32 s15, s15, (.LBB1_1344-.Lpost_getpc335)>>32
	s_setpc_b64 s[14:15]
.LBB1_15681:
	s_movk_i32 s4, 0x80
	v_cmp_eq_u16_sdwa s[12:13], v8, s4 src0_sel:BYTE_0 src1_sel:DWORD
	s_mov_b64 s[4:5], -1
                                        ; implicit-def: $sgpr10
	s_and_saveexec_b64 s[8:9], s[12:13]
; %bb.15682:
	s_mov_b32 s10, 0x7f800001
	s_xor_b64 s[4:5], exec, -1
; %bb.15683:
	s_or_b64 exec, exec, s[8:9]
	s_and_b64 s[4:5], s[4:5], exec
	s_or_saveexec_b64 s[6:7], s[6:7]
	v_mov_b32_e32 v2, s10
	s_xor_b64 exec, exec, s[6:7]
	s_cbranch_execnz .LBB1_15684
; %bb.51521:
	s_getpc_b64 s[14:15]
.Lpost_getpc11424:
	s_add_u32 s14, s14, (.LBB1_1346-.Lpost_getpc11424)&4294967295
	s_addc_u32 s15, s15, (.LBB1_1346-.Lpost_getpc11424)>>32
	s_setpc_b64 s[14:15]
.LBB1_15684:
	v_mov_b32_e32 v2, 0
	v_cmp_ne_u16_sdwa s[8:9], v8, v2 src0_sel:BYTE_0 src1_sel:DWORD
	s_andn2_b64 s[4:5], s[4:5], exec
	s_and_b64 s[8:9], s[8:9], exec
	s_or_b64 s[4:5], s[4:5], s[8:9]
	s_or_b64 exec, exec, s[6:7]
	s_and_saveexec_b64 s[6:7], s[4:5]
	s_cbranch_execz .LBB1_29345
; %bb.51523:
	s_getpc_b64 s[14:15]
.Lpost_getpc11425:
	s_add_u32 s14, s14, (.LBB1_1347-.Lpost_getpc11425)&4294967295
	s_addc_u32 s15, s15, (.LBB1_1347-.Lpost_getpc11425)>>32
	s_setpc_b64 s[14:15]
.LBB1_29345:
	s_getpc_b64 s[14:15]
.Lpost_getpc336:
	s_add_u32 s14, s14, (.LBB1_1348-.Lpost_getpc336)&4294967295
	s_addc_u32 s15, s15, (.LBB1_1348-.Lpost_getpc336)>>32
	s_setpc_b64 s[14:15]
.LBB1_15685:
	s_movk_i32 s4, 0x80
	v_cmp_eq_u16_sdwa s[12:13], v4, s4 src0_sel:BYTE_0 src1_sel:DWORD
	s_mov_b64 s[4:5], -1
                                        ; implicit-def: $sgpr10
	s_and_saveexec_b64 s[8:9], s[12:13]
; %bb.15686:
	s_mov_b32 s10, 0x7f800001
	s_xor_b64 s[4:5], exec, -1
; %bb.15687:
	s_or_b64 exec, exec, s[8:9]
	s_and_b64 s[4:5], s[4:5], exec
	s_or_saveexec_b64 s[6:7], s[6:7]
	v_mov_b32_e32 v3, s10
	s_xor_b64 exec, exec, s[6:7]
	s_cbranch_execnz .LBB1_15688
; %bb.51525:
	s_getpc_b64 s[14:15]
.Lpost_getpc11426:
	s_add_u32 s14, s14, (.LBB1_1350-.Lpost_getpc11426)&4294967295
	s_addc_u32 s15, s15, (.LBB1_1350-.Lpost_getpc11426)>>32
	s_setpc_b64 s[14:15]
.LBB1_15688:
	v_mov_b32_e32 v3, 0
	v_cmp_ne_u16_sdwa s[8:9], v4, v3 src0_sel:BYTE_0 src1_sel:DWORD
	s_andn2_b64 s[4:5], s[4:5], exec
	s_and_b64 s[8:9], s[8:9], exec
	s_or_b64 s[4:5], s[4:5], s[8:9]
	s_or_b64 exec, exec, s[6:7]
	s_and_saveexec_b64 s[6:7], s[4:5]
	s_cbranch_execz .LBB1_29347
; %bb.51527:
	s_getpc_b64 s[14:15]
.Lpost_getpc11427:
	s_add_u32 s14, s14, (.LBB1_1351-.Lpost_getpc11427)&4294967295
	s_addc_u32 s15, s15, (.LBB1_1351-.Lpost_getpc11427)>>32
	s_setpc_b64 s[14:15]
.LBB1_29347:
	s_getpc_b64 s[14:15]
.Lpost_getpc337:
	s_add_u32 s14, s14, (.LBB1_1352-.Lpost_getpc337)&4294967295
	s_addc_u32 s15, s15, (.LBB1_1352-.Lpost_getpc337)>>32
	s_setpc_b64 s[14:15]
.LBB1_15689:
	s_movk_i32 s4, 0x80
	v_cmp_eq_u16_sdwa s[12:13], v3, s4 src0_sel:BYTE_0 src1_sel:DWORD
	s_mov_b64 s[4:5], -1
                                        ; implicit-def: $sgpr10
	s_and_saveexec_b64 s[8:9], s[12:13]
; %bb.15690:
	s_mov_b32 s10, 0x7f800001
	s_xor_b64 s[4:5], exec, -1
; %bb.15691:
	s_or_b64 exec, exec, s[8:9]
	s_and_b64 s[4:5], s[4:5], exec
	s_or_saveexec_b64 s[6:7], s[6:7]
	v_mov_b32_e32 v2, s10
	s_xor_b64 exec, exec, s[6:7]
	s_cbranch_execnz .LBB1_15692
; %bb.51529:
	s_getpc_b64 s[14:15]
.Lpost_getpc11428:
	s_add_u32 s14, s14, (.LBB1_1354-.Lpost_getpc11428)&4294967295
	s_addc_u32 s15, s15, (.LBB1_1354-.Lpost_getpc11428)>>32
	s_setpc_b64 s[14:15]
.LBB1_15692:
	v_mov_b32_e32 v2, 0
	v_cmp_ne_u16_sdwa s[8:9], v3, v2 src0_sel:BYTE_0 src1_sel:DWORD
	s_andn2_b64 s[4:5], s[4:5], exec
	s_and_b64 s[8:9], s[8:9], exec
	s_or_b64 s[4:5], s[4:5], s[8:9]
	s_or_b64 exec, exec, s[6:7]
	s_and_saveexec_b64 s[6:7], s[4:5]
	s_cbranch_execz .LBB1_29349
; %bb.51531:
	s_getpc_b64 s[14:15]
.Lpost_getpc11429:
	s_add_u32 s14, s14, (.LBB1_1355-.Lpost_getpc11429)&4294967295
	s_addc_u32 s15, s15, (.LBB1_1355-.Lpost_getpc11429)>>32
	s_setpc_b64 s[14:15]
.LBB1_29349:
	s_getpc_b64 s[14:15]
.Lpost_getpc338:
	s_add_u32 s14, s14, (.LBB1_1356-.Lpost_getpc338)&4294967295
	s_addc_u32 s15, s15, (.LBB1_1356-.Lpost_getpc338)>>32
	s_setpc_b64 s[14:15]
.LBB1_15693:
	s_movk_i32 s4, 0x80
	v_cmp_eq_u16_sdwa s[12:13], v3, s4 src0_sel:BYTE_0 src1_sel:DWORD
	s_mov_b64 s[4:5], -1
                                        ; implicit-def: $sgpr10
	s_and_saveexec_b64 s[8:9], s[12:13]
; %bb.15694:
	s_mov_b32 s10, 0x7f800001
	s_xor_b64 s[4:5], exec, -1
; %bb.15695:
	s_or_b64 exec, exec, s[8:9]
	s_and_b64 s[4:5], s[4:5], exec
	s_or_saveexec_b64 s[6:7], s[6:7]
	v_mov_b32_e32 v6, s10
	s_xor_b64 exec, exec, s[6:7]
	s_cbranch_execnz .LBB1_15696
; %bb.51533:
	s_getpc_b64 s[14:15]
.Lpost_getpc11430:
	s_add_u32 s14, s14, (.LBB1_1358-.Lpost_getpc11430)&4294967295
	s_addc_u32 s15, s15, (.LBB1_1358-.Lpost_getpc11430)>>32
	s_setpc_b64 s[14:15]
.LBB1_15696:
	v_mov_b32_e32 v6, 0
	v_cmp_ne_u16_sdwa s[8:9], v3, v6 src0_sel:BYTE_0 src1_sel:DWORD
	s_andn2_b64 s[4:5], s[4:5], exec
	s_and_b64 s[8:9], s[8:9], exec
	s_or_b64 s[4:5], s[4:5], s[8:9]
	s_or_b64 exec, exec, s[6:7]
	s_and_saveexec_b64 s[6:7], s[4:5]
	s_cbranch_execz .LBB1_29351
; %bb.51535:
	s_getpc_b64 s[14:15]
.Lpost_getpc11431:
	s_add_u32 s14, s14, (.LBB1_1359-.Lpost_getpc11431)&4294967295
	s_addc_u32 s15, s15, (.LBB1_1359-.Lpost_getpc11431)>>32
	s_setpc_b64 s[14:15]
.LBB1_29351:
	s_getpc_b64 s[14:15]
.Lpost_getpc339:
	s_add_u32 s14, s14, (.LBB1_1360-.Lpost_getpc339)&4294967295
	s_addc_u32 s15, s15, (.LBB1_1360-.Lpost_getpc339)>>32
	s_setpc_b64 s[14:15]
.LBB1_15697:
	s_movk_i32 s4, 0x80
	v_cmp_eq_u16_e32 vcc, s4, v3
	s_mov_b64 s[4:5], -1
                                        ; implicit-def: $sgpr10
	s_and_saveexec_b64 s[8:9], vcc
; %bb.15698:
	s_mov_b32 s10, 0x7f800001
	s_xor_b64 s[4:5], exec, -1
; %bb.15699:
	s_or_b64 exec, exec, s[8:9]
	s_and_b64 s[4:5], s[4:5], exec
                                        ; implicit-def: $vgpr3
	s_or_saveexec_b64 s[6:7], s[6:7]
	v_mov_b32_e32 v2, s10
	s_xor_b64 exec, exec, s[6:7]
	s_cbranch_execnz .LBB1_15700
; %bb.51537:
	s_getpc_b64 s[14:15]
.Lpost_getpc11432:
	s_add_u32 s14, s14, (.LBB1_1362-.Lpost_getpc11432)&4294967295
	s_addc_u32 s15, s15, (.LBB1_1362-.Lpost_getpc11432)>>32
	s_setpc_b64 s[14:15]
.LBB1_15700:
	v_cmp_ne_u16_e32 vcc, 0, v3
	s_andn2_b64 s[4:5], s[4:5], exec
	s_and_b64 s[8:9], vcc, exec
	v_mov_b32_e32 v2, 0
	s_or_b64 s[4:5], s[4:5], s[8:9]
	s_or_b64 exec, exec, s[6:7]
	s_and_saveexec_b64 s[6:7], s[4:5]
	s_cbranch_execz .LBB1_29353
; %bb.51539:
	s_getpc_b64 s[14:15]
.Lpost_getpc11433:
	s_add_u32 s14, s14, (.LBB1_1363-.Lpost_getpc11433)&4294967295
	s_addc_u32 s15, s15, (.LBB1_1363-.Lpost_getpc11433)>>32
	s_setpc_b64 s[14:15]
.LBB1_29353:
	s_getpc_b64 s[14:15]
.Lpost_getpc340:
	s_add_u32 s14, s14, (.LBB1_1364-.Lpost_getpc340)&4294967295
	s_addc_u32 s15, s15, (.LBB1_1364-.Lpost_getpc340)>>32
	s_setpc_b64 s[14:15]
.LBB1_15701:
	s_movk_i32 s4, 0x80
	v_cmp_eq_u16_e32 vcc, s4, v3
	s_mov_b64 s[4:5], -1
                                        ; implicit-def: $sgpr10
	s_and_saveexec_b64 s[8:9], vcc
; %bb.15702:
	s_mov_b32 s10, 0x7f800001
	s_xor_b64 s[4:5], exec, -1
; %bb.15703:
	s_or_b64 exec, exec, s[8:9]
	s_and_b64 s[4:5], s[4:5], exec
                                        ; implicit-def: $vgpr3
	s_or_saveexec_b64 s[6:7], s[6:7]
	v_mov_b32_e32 v6, s10
	s_xor_b64 exec, exec, s[6:7]
	s_cbranch_execnz .LBB1_15704
; %bb.51541:
	s_getpc_b64 s[14:15]
.Lpost_getpc11434:
	s_add_u32 s14, s14, (.LBB1_1366-.Lpost_getpc11434)&4294967295
	s_addc_u32 s15, s15, (.LBB1_1366-.Lpost_getpc11434)>>32
	s_setpc_b64 s[14:15]
.LBB1_15704:
	v_cmp_ne_u16_e32 vcc, 0, v3
	s_andn2_b64 s[4:5], s[4:5], exec
	s_and_b64 s[8:9], vcc, exec
	v_mov_b32_e32 v6, 0
	s_or_b64 s[4:5], s[4:5], s[8:9]
	s_or_b64 exec, exec, s[6:7]
	s_and_saveexec_b64 s[6:7], s[4:5]
	s_cbranch_execz .LBB1_29355
; %bb.51543:
	s_getpc_b64 s[14:15]
.Lpost_getpc11435:
	s_add_u32 s14, s14, (.LBB1_1367-.Lpost_getpc11435)&4294967295
	s_addc_u32 s15, s15, (.LBB1_1367-.Lpost_getpc11435)>>32
	s_setpc_b64 s[14:15]
.LBB1_29355:
	s_getpc_b64 s[14:15]
.Lpost_getpc341:
	s_add_u32 s14, s14, (.LBB1_1368-.Lpost_getpc341)&4294967295
	s_addc_u32 s15, s15, (.LBB1_1368-.Lpost_getpc341)>>32
	s_setpc_b64 s[14:15]
.LBB1_15705:
	s_movk_i32 s4, 0x80
	v_cmp_eq_u16_sdwa s[12:13], v8, s4 src0_sel:BYTE_3 src1_sel:DWORD
	s_mov_b64 s[4:5], -1
                                        ; implicit-def: $sgpr10
	s_and_saveexec_b64 s[8:9], s[12:13]
; %bb.15706:
	s_mov_b32 s10, 0x7f800001
	s_xor_b64 s[4:5], exec, -1
; %bb.15707:
	s_or_b64 exec, exec, s[8:9]
	s_and_b64 s[4:5], s[4:5], exec
	s_or_saveexec_b64 s[6:7], s[6:7]
	v_mov_b32_e32 v2, s10
	s_xor_b64 exec, exec, s[6:7]
	s_cbranch_execnz .LBB1_15708
; %bb.51545:
	s_getpc_b64 s[14:15]
.Lpost_getpc11436:
	s_add_u32 s14, s14, (.LBB1_1370-.Lpost_getpc11436)&4294967295
	s_addc_u32 s15, s15, (.LBB1_1370-.Lpost_getpc11436)>>32
	s_setpc_b64 s[14:15]
.LBB1_15708:
	v_mov_b32_e32 v2, 0
	v_cmp_ne_u16_sdwa s[8:9], v8, v2 src0_sel:BYTE_3 src1_sel:DWORD
	s_andn2_b64 s[4:5], s[4:5], exec
	s_and_b64 s[8:9], s[8:9], exec
	s_or_b64 s[4:5], s[4:5], s[8:9]
	s_or_b64 exec, exec, s[6:7]
	s_and_saveexec_b64 s[6:7], s[4:5]
	s_cbranch_execz .LBB1_29357
; %bb.51547:
	s_getpc_b64 s[14:15]
.Lpost_getpc11437:
	s_add_u32 s14, s14, (.LBB1_1371-.Lpost_getpc11437)&4294967295
	s_addc_u32 s15, s15, (.LBB1_1371-.Lpost_getpc11437)>>32
	s_setpc_b64 s[14:15]
.LBB1_29357:
	s_getpc_b64 s[14:15]
.Lpost_getpc342:
	s_add_u32 s14, s14, (.LBB1_1372-.Lpost_getpc342)&4294967295
	s_addc_u32 s15, s15, (.LBB1_1372-.Lpost_getpc342)>>32
	s_setpc_b64 s[14:15]
.LBB1_15709:
	s_movk_i32 s4, 0x80
	v_cmp_eq_u16_sdwa s[12:13], v4, s4 src0_sel:BYTE_3 src1_sel:DWORD
	s_mov_b64 s[4:5], -1
                                        ; implicit-def: $sgpr10
	s_and_saveexec_b64 s[8:9], s[12:13]
; %bb.15710:
	s_mov_b32 s10, 0x7f800001
	s_xor_b64 s[4:5], exec, -1
; %bb.15711:
	s_or_b64 exec, exec, s[8:9]
	s_and_b64 s[4:5], s[4:5], exec
	s_or_saveexec_b64 s[6:7], s[6:7]
	v_mov_b32_e32 v3, s10
	s_xor_b64 exec, exec, s[6:7]
	s_cbranch_execnz .LBB1_15712
; %bb.51549:
	s_getpc_b64 s[14:15]
.Lpost_getpc11438:
	s_add_u32 s14, s14, (.LBB1_1374-.Lpost_getpc11438)&4294967295
	s_addc_u32 s15, s15, (.LBB1_1374-.Lpost_getpc11438)>>32
	s_setpc_b64 s[14:15]
.LBB1_15712:
	v_mov_b32_e32 v3, 0
	v_cmp_ne_u16_sdwa s[8:9], v4, v3 src0_sel:BYTE_3 src1_sel:DWORD
	s_andn2_b64 s[4:5], s[4:5], exec
	s_and_b64 s[8:9], s[8:9], exec
	s_or_b64 s[4:5], s[4:5], s[8:9]
	s_or_b64 exec, exec, s[6:7]
	s_and_saveexec_b64 s[6:7], s[4:5]
	s_cbranch_execz .LBB1_29359
; %bb.51551:
	s_getpc_b64 s[14:15]
.Lpost_getpc11439:
	s_add_u32 s14, s14, (.LBB1_1375-.Lpost_getpc11439)&4294967295
	s_addc_u32 s15, s15, (.LBB1_1375-.Lpost_getpc11439)>>32
	s_setpc_b64 s[14:15]
.LBB1_29359:
	s_getpc_b64 s[14:15]
.Lpost_getpc343:
	s_add_u32 s14, s14, (.LBB1_1376-.Lpost_getpc343)&4294967295
	s_addc_u32 s15, s15, (.LBB1_1376-.Lpost_getpc343)>>32
	s_setpc_b64 s[14:15]
.LBB1_15713:
	s_movk_i32 s4, 0x80
	v_cmp_eq_u16_sdwa s[12:13], v9, s4 src0_sel:BYTE_0 src1_sel:DWORD
	s_mov_b64 s[4:5], -1
                                        ; implicit-def: $sgpr10
	s_and_saveexec_b64 s[8:9], s[12:13]
; %bb.15714:
	s_mov_b32 s10, 0x7f800001
	s_xor_b64 s[4:5], exec, -1
; %bb.15715:
	s_or_b64 exec, exec, s[8:9]
	s_and_b64 s[4:5], s[4:5], exec
	s_or_saveexec_b64 s[6:7], s[6:7]
	v_mov_b32_e32 v2, s10
	s_xor_b64 exec, exec, s[6:7]
	s_cbranch_execnz .LBB1_15716
; %bb.51553:
	s_getpc_b64 s[14:15]
.Lpost_getpc11440:
	s_add_u32 s14, s14, (.LBB1_1378-.Lpost_getpc11440)&4294967295
	s_addc_u32 s15, s15, (.LBB1_1378-.Lpost_getpc11440)>>32
	s_setpc_b64 s[14:15]
.LBB1_15716:
	v_mov_b32_e32 v2, 0
	v_cmp_ne_u16_sdwa s[8:9], v9, v2 src0_sel:BYTE_0 src1_sel:DWORD
	s_andn2_b64 s[4:5], s[4:5], exec
	s_and_b64 s[8:9], s[8:9], exec
	s_or_b64 s[4:5], s[4:5], s[8:9]
	s_or_b64 exec, exec, s[6:7]
	s_and_saveexec_b64 s[6:7], s[4:5]
	s_cbranch_execz .LBB1_29361
; %bb.51555:
	s_getpc_b64 s[14:15]
.Lpost_getpc11441:
	s_add_u32 s14, s14, (.LBB1_1379-.Lpost_getpc11441)&4294967295
	s_addc_u32 s15, s15, (.LBB1_1379-.Lpost_getpc11441)>>32
	s_setpc_b64 s[14:15]
.LBB1_29361:
	s_getpc_b64 s[14:15]
.Lpost_getpc344:
	s_add_u32 s14, s14, (.LBB1_1380-.Lpost_getpc344)&4294967295
	s_addc_u32 s15, s15, (.LBB1_1380-.Lpost_getpc344)>>32
	s_setpc_b64 s[14:15]
.LBB1_15717:
	s_movk_i32 s4, 0x80
	v_cmp_eq_u16_sdwa s[12:13], v5, s4 src0_sel:BYTE_0 src1_sel:DWORD
	s_mov_b64 s[4:5], -1
                                        ; implicit-def: $sgpr10
	s_and_saveexec_b64 s[8:9], s[12:13]
; %bb.15718:
	s_mov_b32 s10, 0x7f800001
	s_xor_b64 s[4:5], exec, -1
; %bb.15719:
	s_or_b64 exec, exec, s[8:9]
	s_and_b64 s[4:5], s[4:5], exec
	s_or_saveexec_b64 s[6:7], s[6:7]
	v_mov_b32_e32 v3, s10
	s_xor_b64 exec, exec, s[6:7]
	s_cbranch_execnz .LBB1_15720
; %bb.51557:
	s_getpc_b64 s[14:15]
.Lpost_getpc11442:
	s_add_u32 s14, s14, (.LBB1_1382-.Lpost_getpc11442)&4294967295
	s_addc_u32 s15, s15, (.LBB1_1382-.Lpost_getpc11442)>>32
	s_setpc_b64 s[14:15]
.LBB1_15720:
	v_mov_b32_e32 v3, 0
	v_cmp_ne_u16_sdwa s[8:9], v5, v3 src0_sel:BYTE_0 src1_sel:DWORD
	s_andn2_b64 s[4:5], s[4:5], exec
	s_and_b64 s[8:9], s[8:9], exec
	s_or_b64 s[4:5], s[4:5], s[8:9]
	s_or_b64 exec, exec, s[6:7]
	s_and_saveexec_b64 s[6:7], s[4:5]
	s_cbranch_execz .LBB1_29363
; %bb.51559:
	s_getpc_b64 s[14:15]
.Lpost_getpc11443:
	s_add_u32 s14, s14, (.LBB1_1383-.Lpost_getpc11443)&4294967295
	s_addc_u32 s15, s15, (.LBB1_1383-.Lpost_getpc11443)>>32
	s_setpc_b64 s[14:15]
.LBB1_29363:
	s_getpc_b64 s[14:15]
.Lpost_getpc345:
	s_add_u32 s14, s14, (.LBB1_1384-.Lpost_getpc345)&4294967295
	s_addc_u32 s15, s15, (.LBB1_1384-.Lpost_getpc345)>>32
	s_setpc_b64 s[14:15]
.LBB1_15721:
	s_movk_i32 s4, 0x80
	v_cmp_eq_u16_sdwa s[12:13], v3, s4 src0_sel:BYTE_0 src1_sel:DWORD
	s_mov_b64 s[4:5], -1
                                        ; implicit-def: $sgpr10
	s_and_saveexec_b64 s[8:9], s[12:13]
; %bb.15722:
	s_mov_b32 s10, 0x7f800001
	s_xor_b64 s[4:5], exec, -1
; %bb.15723:
	s_or_b64 exec, exec, s[8:9]
	s_and_b64 s[4:5], s[4:5], exec
	s_or_saveexec_b64 s[6:7], s[6:7]
	v_mov_b32_e32 v2, s10
	s_xor_b64 exec, exec, s[6:7]
	s_cbranch_execnz .LBB1_15724
; %bb.51561:
	s_getpc_b64 s[14:15]
.Lpost_getpc11444:
	s_add_u32 s14, s14, (.LBB1_1386-.Lpost_getpc11444)&4294967295
	s_addc_u32 s15, s15, (.LBB1_1386-.Lpost_getpc11444)>>32
	s_setpc_b64 s[14:15]
.LBB1_15724:
	v_mov_b32_e32 v2, 0
	v_cmp_ne_u16_sdwa s[8:9], v3, v2 src0_sel:BYTE_0 src1_sel:DWORD
	s_andn2_b64 s[4:5], s[4:5], exec
	s_and_b64 s[8:9], s[8:9], exec
	s_or_b64 s[4:5], s[4:5], s[8:9]
	s_or_b64 exec, exec, s[6:7]
	s_and_saveexec_b64 s[6:7], s[4:5]
	s_cbranch_execz .LBB1_29365
; %bb.51563:
	s_getpc_b64 s[14:15]
.Lpost_getpc11445:
	s_add_u32 s14, s14, (.LBB1_1387-.Lpost_getpc11445)&4294967295
	s_addc_u32 s15, s15, (.LBB1_1387-.Lpost_getpc11445)>>32
	s_setpc_b64 s[14:15]
.LBB1_29365:
	s_getpc_b64 s[14:15]
.Lpost_getpc346:
	s_add_u32 s14, s14, (.LBB1_1388-.Lpost_getpc346)&4294967295
	s_addc_u32 s15, s15, (.LBB1_1388-.Lpost_getpc346)>>32
	s_setpc_b64 s[14:15]
.LBB1_15725:
	s_movk_i32 s4, 0x80
	v_cmp_eq_u16_sdwa s[12:13], v3, s4 src0_sel:BYTE_0 src1_sel:DWORD
	s_mov_b64 s[4:5], -1
                                        ; implicit-def: $sgpr10
	s_and_saveexec_b64 s[8:9], s[12:13]
; %bb.15726:
	s_mov_b32 s10, 0x7f800001
	s_xor_b64 s[4:5], exec, -1
; %bb.15727:
	s_or_b64 exec, exec, s[8:9]
	s_and_b64 s[4:5], s[4:5], exec
	s_or_saveexec_b64 s[6:7], s[6:7]
	v_mov_b32_e32 v4, s10
	s_xor_b64 exec, exec, s[6:7]
	s_cbranch_execnz .LBB1_15728
; %bb.51565:
	s_getpc_b64 s[14:15]
.Lpost_getpc11446:
	s_add_u32 s14, s14, (.LBB1_1390-.Lpost_getpc11446)&4294967295
	s_addc_u32 s15, s15, (.LBB1_1390-.Lpost_getpc11446)>>32
	s_setpc_b64 s[14:15]
.LBB1_15728:
	v_mov_b32_e32 v4, 0
	v_cmp_ne_u16_sdwa s[8:9], v3, v4 src0_sel:BYTE_0 src1_sel:DWORD
	s_andn2_b64 s[4:5], s[4:5], exec
	s_and_b64 s[8:9], s[8:9], exec
	s_or_b64 s[4:5], s[4:5], s[8:9]
	s_or_b64 exec, exec, s[6:7]
	s_and_saveexec_b64 s[6:7], s[4:5]
	s_cbranch_execz .LBB1_29367
; %bb.51567:
	s_getpc_b64 s[14:15]
.Lpost_getpc11447:
	s_add_u32 s14, s14, (.LBB1_1391-.Lpost_getpc11447)&4294967295
	s_addc_u32 s15, s15, (.LBB1_1391-.Lpost_getpc11447)>>32
	s_setpc_b64 s[14:15]
.LBB1_29367:
	s_getpc_b64 s[14:15]
.Lpost_getpc347:
	s_add_u32 s14, s14, (.LBB1_1392-.Lpost_getpc347)&4294967295
	s_addc_u32 s15, s15, (.LBB1_1392-.Lpost_getpc347)>>32
	s_setpc_b64 s[14:15]
.LBB1_15729:
	s_movk_i32 s4, 0x80
	v_cmp_eq_u16_e32 vcc, s4, v3
	s_mov_b64 s[4:5], -1
                                        ; implicit-def: $sgpr10
	s_and_saveexec_b64 s[8:9], vcc
; %bb.15730:
	s_mov_b32 s10, 0x7f800001
	s_xor_b64 s[4:5], exec, -1
; %bb.15731:
	s_or_b64 exec, exec, s[8:9]
	s_and_b64 s[4:5], s[4:5], exec
                                        ; implicit-def: $vgpr3
	s_or_saveexec_b64 s[6:7], s[6:7]
	v_mov_b32_e32 v2, s10
	s_xor_b64 exec, exec, s[6:7]
	s_cbranch_execnz .LBB1_15732
; %bb.51569:
	s_getpc_b64 s[14:15]
.Lpost_getpc11448:
	s_add_u32 s14, s14, (.LBB1_1394-.Lpost_getpc11448)&4294967295
	s_addc_u32 s15, s15, (.LBB1_1394-.Lpost_getpc11448)>>32
	s_setpc_b64 s[14:15]
.LBB1_15732:
	v_cmp_ne_u16_e32 vcc, 0, v3
	s_andn2_b64 s[4:5], s[4:5], exec
	s_and_b64 s[8:9], vcc, exec
	v_mov_b32_e32 v2, 0
	s_or_b64 s[4:5], s[4:5], s[8:9]
	s_or_b64 exec, exec, s[6:7]
	s_and_saveexec_b64 s[6:7], s[4:5]
	s_cbranch_execz .LBB1_29369
; %bb.51571:
	s_getpc_b64 s[14:15]
.Lpost_getpc11449:
	s_add_u32 s14, s14, (.LBB1_1395-.Lpost_getpc11449)&4294967295
	s_addc_u32 s15, s15, (.LBB1_1395-.Lpost_getpc11449)>>32
	s_setpc_b64 s[14:15]
.LBB1_29369:
	s_getpc_b64 s[14:15]
.Lpost_getpc348:
	s_add_u32 s14, s14, (.LBB1_1396-.Lpost_getpc348)&4294967295
	s_addc_u32 s15, s15, (.LBB1_1396-.Lpost_getpc348)>>32
	s_setpc_b64 s[14:15]
.LBB1_15733:
	s_movk_i32 s4, 0x80
	v_cmp_eq_u16_e32 vcc, s4, v3
	s_mov_b64 s[4:5], -1
                                        ; implicit-def: $sgpr10
	s_and_saveexec_b64 s[8:9], vcc
; %bb.15734:
	s_mov_b32 s10, 0x7f800001
	s_xor_b64 s[4:5], exec, -1
; %bb.15735:
	s_or_b64 exec, exec, s[8:9]
	s_and_b64 s[4:5], s[4:5], exec
                                        ; implicit-def: $vgpr3
	s_or_saveexec_b64 s[6:7], s[6:7]
	v_mov_b32_e32 v4, s10
	s_xor_b64 exec, exec, s[6:7]
	s_cbranch_execnz .LBB1_15736
; %bb.51573:
	s_getpc_b64 s[14:15]
.Lpost_getpc11450:
	s_add_u32 s14, s14, (.LBB1_1398-.Lpost_getpc11450)&4294967295
	s_addc_u32 s15, s15, (.LBB1_1398-.Lpost_getpc11450)>>32
	s_setpc_b64 s[14:15]
.LBB1_15736:
	v_cmp_ne_u16_e32 vcc, 0, v3
	s_andn2_b64 s[4:5], s[4:5], exec
	s_and_b64 s[8:9], vcc, exec
	v_mov_b32_e32 v4, 0
	s_or_b64 s[4:5], s[4:5], s[8:9]
	s_or_b64 exec, exec, s[6:7]
	s_and_saveexec_b64 s[6:7], s[4:5]
	s_cbranch_execz .LBB1_29371
; %bb.51575:
	s_getpc_b64 s[14:15]
.Lpost_getpc11451:
	s_add_u32 s14, s14, (.LBB1_1399-.Lpost_getpc11451)&4294967295
	s_addc_u32 s15, s15, (.LBB1_1399-.Lpost_getpc11451)>>32
	s_setpc_b64 s[14:15]
.LBB1_29371:
	s_getpc_b64 s[14:15]
.Lpost_getpc349:
	s_add_u32 s14, s14, (.LBB1_1400-.Lpost_getpc349)&4294967295
	s_addc_u32 s15, s15, (.LBB1_1400-.Lpost_getpc349)>>32
	s_setpc_b64 s[14:15]
.LBB1_15737:
	s_movk_i32 s4, 0x80
	v_cmp_eq_u16_sdwa s[12:13], v9, s4 src0_sel:BYTE_3 src1_sel:DWORD
	s_mov_b64 s[4:5], -1
                                        ; implicit-def: $sgpr10
	s_and_saveexec_b64 s[8:9], s[12:13]
; %bb.15738:
	s_mov_b32 s10, 0x7f800001
	s_xor_b64 s[4:5], exec, -1
; %bb.15739:
	s_or_b64 exec, exec, s[8:9]
	s_and_b64 s[4:5], s[4:5], exec
	s_or_saveexec_b64 s[6:7], s[6:7]
	v_mov_b32_e32 v2, s10
	s_xor_b64 exec, exec, s[6:7]
	s_cbranch_execnz .LBB1_15740
; %bb.51577:
	s_getpc_b64 s[14:15]
.Lpost_getpc11452:
	s_add_u32 s14, s14, (.LBB1_1402-.Lpost_getpc11452)&4294967295
	s_addc_u32 s15, s15, (.LBB1_1402-.Lpost_getpc11452)>>32
	s_setpc_b64 s[14:15]
.LBB1_15740:
	v_mov_b32_e32 v2, 0
	v_cmp_ne_u16_sdwa s[8:9], v9, v2 src0_sel:BYTE_3 src1_sel:DWORD
	s_andn2_b64 s[4:5], s[4:5], exec
	s_and_b64 s[8:9], s[8:9], exec
	s_or_b64 s[4:5], s[4:5], s[8:9]
	s_or_b64 exec, exec, s[6:7]
	s_and_saveexec_b64 s[6:7], s[4:5]
	s_cbranch_execz .LBB1_29373
; %bb.51579:
	s_getpc_b64 s[14:15]
.Lpost_getpc11453:
	s_add_u32 s14, s14, (.LBB1_1403-.Lpost_getpc11453)&4294967295
	s_addc_u32 s15, s15, (.LBB1_1403-.Lpost_getpc11453)>>32
	s_setpc_b64 s[14:15]
.LBB1_29373:
	s_getpc_b64 s[14:15]
.Lpost_getpc350:
	s_add_u32 s14, s14, (.LBB1_1404-.Lpost_getpc350)&4294967295
	s_addc_u32 s15, s15, (.LBB1_1404-.Lpost_getpc350)>>32
	s_setpc_b64 s[14:15]
.LBB1_15741:
	s_movk_i32 s4, 0x80
	v_cmp_eq_u16_sdwa s[12:13], v5, s4 src0_sel:BYTE_3 src1_sel:DWORD
	s_mov_b64 s[4:5], -1
                                        ; implicit-def: $sgpr10
	s_and_saveexec_b64 s[8:9], s[12:13]
; %bb.15742:
	s_mov_b32 s10, 0x7f800001
	s_xor_b64 s[4:5], exec, -1
; %bb.15743:
	s_or_b64 exec, exec, s[8:9]
	s_and_b64 s[4:5], s[4:5], exec
	s_or_saveexec_b64 s[6:7], s[6:7]
	v_mov_b32_e32 v3, s10
	s_xor_b64 exec, exec, s[6:7]
	s_cbranch_execnz .LBB1_15744
; %bb.51581:
	s_getpc_b64 s[14:15]
.Lpost_getpc11454:
	s_add_u32 s14, s14, (.LBB1_1406-.Lpost_getpc11454)&4294967295
	s_addc_u32 s15, s15, (.LBB1_1406-.Lpost_getpc11454)>>32
	s_setpc_b64 s[14:15]
.LBB1_15744:
	v_mov_b32_e32 v3, 0
	v_cmp_ne_u16_sdwa s[8:9], v5, v3 src0_sel:BYTE_3 src1_sel:DWORD
	s_andn2_b64 s[4:5], s[4:5], exec
	s_and_b64 s[8:9], s[8:9], exec
	s_or_b64 s[4:5], s[4:5], s[8:9]
	s_or_b64 exec, exec, s[6:7]
	s_and_saveexec_b64 s[6:7], s[4:5]
	s_cbranch_execz .LBB1_29375
; %bb.51583:
	s_getpc_b64 s[14:15]
.Lpost_getpc11455:
	s_add_u32 s14, s14, (.LBB1_1407-.Lpost_getpc11455)&4294967295
	s_addc_u32 s15, s15, (.LBB1_1407-.Lpost_getpc11455)>>32
	s_setpc_b64 s[14:15]
.LBB1_29375:
	s_getpc_b64 s[14:15]
.Lpost_getpc351:
	s_add_u32 s14, s14, (.LBB1_1408-.Lpost_getpc351)&4294967295
	s_addc_u32 s15, s15, (.LBB1_1408-.Lpost_getpc351)>>32
	s_setpc_b64 s[14:15]
.LBB1_15745:
	s_movk_i32 s4, 0x80
	v_cmp_eq_u16_sdwa s[12:13], v6, s4 src0_sel:BYTE_0 src1_sel:DWORD
	s_mov_b64 s[4:5], -1
                                        ; implicit-def: $sgpr10
	s_and_saveexec_b64 s[8:9], s[12:13]
; %bb.15746:
	s_mov_b32 s10, 0x7f800001
	s_xor_b64 s[4:5], exec, -1
; %bb.15747:
	s_or_b64 exec, exec, s[8:9]
	s_and_b64 s[4:5], s[4:5], exec
	s_or_saveexec_b64 s[6:7], s[6:7]
	v_mov_b32_e32 v12, s10
	s_xor_b64 exec, exec, s[6:7]
	s_cbranch_execnz .LBB1_15748
; %bb.51585:
	s_getpc_b64 s[14:15]
.Lpost_getpc11456:
	s_add_u32 s14, s14, (.LBB1_1410-.Lpost_getpc11456)&4294967295
	s_addc_u32 s15, s15, (.LBB1_1410-.Lpost_getpc11456)>>32
	s_setpc_b64 s[14:15]
.LBB1_15748:
	v_mov_b32_e32 v12, 0
	v_cmp_ne_u16_sdwa s[8:9], v6, v12 src0_sel:BYTE_0 src1_sel:DWORD
	s_andn2_b64 s[4:5], s[4:5], exec
	s_and_b64 s[8:9], s[8:9], exec
	s_or_b64 s[4:5], s[4:5], s[8:9]
	s_or_b64 exec, exec, s[6:7]
	s_and_saveexec_b64 s[6:7], s[4:5]
	s_cbranch_execz .LBB1_29377
; %bb.51587:
	s_getpc_b64 s[14:15]
.Lpost_getpc11457:
	s_add_u32 s14, s14, (.LBB1_1411-.Lpost_getpc11457)&4294967295
	s_addc_u32 s15, s15, (.LBB1_1411-.Lpost_getpc11457)>>32
	s_setpc_b64 s[14:15]
.LBB1_29377:
	s_getpc_b64 s[14:15]
.Lpost_getpc352:
	s_add_u32 s14, s14, (.LBB1_1412-.Lpost_getpc352)&4294967295
	s_addc_u32 s15, s15, (.LBB1_1412-.Lpost_getpc352)>>32
	s_setpc_b64 s[14:15]
.LBB1_15749:
	s_movk_i32 s4, 0x80
	v_cmp_eq_u16_sdwa s[12:13], v2, s4 src0_sel:BYTE_0 src1_sel:DWORD
	s_mov_b64 s[4:5], -1
                                        ; implicit-def: $sgpr10
	s_and_saveexec_b64 s[8:9], s[12:13]
; %bb.15750:
	s_mov_b32 s10, 0x7f800001
	s_xor_b64 s[4:5], exec, -1
; %bb.15751:
	s_or_b64 exec, exec, s[8:9]
	s_and_b64 s[4:5], s[4:5], exec
	s_or_saveexec_b64 s[6:7], s[6:7]
	v_mov_b32_e32 v13, s10
	s_xor_b64 exec, exec, s[6:7]
	s_cbranch_execnz .LBB1_15752
; %bb.51589:
	s_getpc_b64 s[14:15]
.Lpost_getpc11458:
	s_add_u32 s14, s14, (.LBB1_1414-.Lpost_getpc11458)&4294967295
	s_addc_u32 s15, s15, (.LBB1_1414-.Lpost_getpc11458)>>32
	s_setpc_b64 s[14:15]
.LBB1_15752:
	v_mov_b32_e32 v13, 0
	v_cmp_ne_u16_sdwa s[8:9], v2, v13 src0_sel:BYTE_0 src1_sel:DWORD
	s_andn2_b64 s[4:5], s[4:5], exec
	s_and_b64 s[8:9], s[8:9], exec
	s_or_b64 s[4:5], s[4:5], s[8:9]
	s_or_b64 exec, exec, s[6:7]
	s_and_saveexec_b64 s[6:7], s[4:5]
	s_cbranch_execz .LBB1_29379
; %bb.51591:
	s_getpc_b64 s[14:15]
.Lpost_getpc11459:
	s_add_u32 s14, s14, (.LBB1_1415-.Lpost_getpc11459)&4294967295
	s_addc_u32 s15, s15, (.LBB1_1415-.Lpost_getpc11459)>>32
	s_setpc_b64 s[14:15]
.LBB1_29379:
	s_getpc_b64 s[14:15]
.Lpost_getpc353:
	s_add_u32 s14, s14, (.LBB1_1416-.Lpost_getpc353)&4294967295
	s_addc_u32 s15, s15, (.LBB1_1416-.Lpost_getpc353)>>32
	s_setpc_b64 s[14:15]
.LBB1_15753:
	s_movk_i32 s4, 0x80
	v_cmp_eq_u16_sdwa s[12:13], v13, s4 src0_sel:BYTE_0 src1_sel:DWORD
	s_mov_b64 s[4:5], -1
                                        ; implicit-def: $sgpr10
	s_and_saveexec_b64 s[8:9], s[12:13]
; %bb.15754:
	s_mov_b32 s10, 0x7f800001
	s_xor_b64 s[4:5], exec, -1
; %bb.15755:
	s_or_b64 exec, exec, s[8:9]
	s_and_b64 s[4:5], s[4:5], exec
	s_or_saveexec_b64 s[6:7], s[6:7]
	v_mov_b32_e32 v12, s10
	s_xor_b64 exec, exec, s[6:7]
	s_cbranch_execnz .LBB1_15756
; %bb.51593:
	s_getpc_b64 s[14:15]
.Lpost_getpc11460:
	s_add_u32 s14, s14, (.LBB1_1418-.Lpost_getpc11460)&4294967295
	s_addc_u32 s15, s15, (.LBB1_1418-.Lpost_getpc11460)>>32
	s_setpc_b64 s[14:15]
.LBB1_15756:
	v_mov_b32_e32 v12, 0
	v_cmp_ne_u16_sdwa s[8:9], v13, v12 src0_sel:BYTE_0 src1_sel:DWORD
	s_andn2_b64 s[4:5], s[4:5], exec
	s_and_b64 s[8:9], s[8:9], exec
	s_or_b64 s[4:5], s[4:5], s[8:9]
	s_or_b64 exec, exec, s[6:7]
	s_and_saveexec_b64 s[6:7], s[4:5]
	s_cbranch_execz .LBB1_29381
; %bb.51595:
	s_getpc_b64 s[14:15]
.Lpost_getpc11461:
	s_add_u32 s14, s14, (.LBB1_1419-.Lpost_getpc11461)&4294967295
	s_addc_u32 s15, s15, (.LBB1_1419-.Lpost_getpc11461)>>32
	s_setpc_b64 s[14:15]
.LBB1_29381:
	s_getpc_b64 s[14:15]
.Lpost_getpc354:
	s_add_u32 s14, s14, (.LBB1_1420-.Lpost_getpc354)&4294967295
	s_addc_u32 s15, s15, (.LBB1_1420-.Lpost_getpc354)>>32
	s_setpc_b64 s[14:15]
.LBB1_15757:
	s_movk_i32 s4, 0x80
	v_cmp_eq_u16_sdwa s[12:13], v13, s4 src0_sel:BYTE_0 src1_sel:DWORD
	s_mov_b64 s[4:5], -1
                                        ; implicit-def: $sgpr10
	s_and_saveexec_b64 s[8:9], s[12:13]
; %bb.15758:
	s_mov_b32 s10, 0x7f800001
	s_xor_b64 s[4:5], exec, -1
; %bb.15759:
	s_or_b64 exec, exec, s[8:9]
	s_and_b64 s[4:5], s[4:5], exec
	s_or_saveexec_b64 s[6:7], s[6:7]
	v_mov_b32_e32 v14, s10
	s_xor_b64 exec, exec, s[6:7]
	s_cbranch_execnz .LBB1_15760
; %bb.51597:
	s_getpc_b64 s[14:15]
.Lpost_getpc11462:
	s_add_u32 s14, s14, (.LBB1_1422-.Lpost_getpc11462)&4294967295
	s_addc_u32 s15, s15, (.LBB1_1422-.Lpost_getpc11462)>>32
	s_setpc_b64 s[14:15]
.LBB1_15760:
	v_mov_b32_e32 v14, 0
	v_cmp_ne_u16_sdwa s[8:9], v13, v14 src0_sel:BYTE_0 src1_sel:DWORD
	s_andn2_b64 s[4:5], s[4:5], exec
	s_and_b64 s[8:9], s[8:9], exec
	s_or_b64 s[4:5], s[4:5], s[8:9]
	s_or_b64 exec, exec, s[6:7]
	s_and_saveexec_b64 s[6:7], s[4:5]
	s_cbranch_execz .LBB1_29383
; %bb.51599:
	s_getpc_b64 s[14:15]
.Lpost_getpc11463:
	s_add_u32 s14, s14, (.LBB1_1423-.Lpost_getpc11463)&4294967295
	s_addc_u32 s15, s15, (.LBB1_1423-.Lpost_getpc11463)>>32
	s_setpc_b64 s[14:15]
.LBB1_29383:
	s_getpc_b64 s[14:15]
.Lpost_getpc355:
	s_add_u32 s14, s14, (.LBB1_1424-.Lpost_getpc355)&4294967295
	s_addc_u32 s15, s15, (.LBB1_1424-.Lpost_getpc355)>>32
	s_setpc_b64 s[14:15]
.LBB1_15761:
	s_movk_i32 s4, 0x80
	v_cmp_eq_u16_e32 vcc, s4, v13
	s_mov_b64 s[4:5], -1
                                        ; implicit-def: $sgpr10
	s_and_saveexec_b64 s[8:9], vcc
; %bb.15762:
	s_mov_b32 s10, 0x7f800001
	s_xor_b64 s[4:5], exec, -1
; %bb.15763:
	s_or_b64 exec, exec, s[8:9]
	s_and_b64 s[4:5], s[4:5], exec
                                        ; implicit-def: $vgpr13
	s_or_saveexec_b64 s[6:7], s[6:7]
	v_mov_b32_e32 v12, s10
	s_xor_b64 exec, exec, s[6:7]
	s_cbranch_execnz .LBB1_15764
; %bb.51601:
	s_getpc_b64 s[14:15]
.Lpost_getpc11464:
	s_add_u32 s14, s14, (.LBB1_1426-.Lpost_getpc11464)&4294967295
	s_addc_u32 s15, s15, (.LBB1_1426-.Lpost_getpc11464)>>32
	s_setpc_b64 s[14:15]
.LBB1_15764:
	v_cmp_ne_u16_e32 vcc, 0, v13
	s_andn2_b64 s[4:5], s[4:5], exec
	s_and_b64 s[8:9], vcc, exec
	v_mov_b32_e32 v12, 0
	s_or_b64 s[4:5], s[4:5], s[8:9]
	s_or_b64 exec, exec, s[6:7]
	s_and_saveexec_b64 s[6:7], s[4:5]
	s_cbranch_execz .LBB1_29385
; %bb.51603:
	s_getpc_b64 s[14:15]
.Lpost_getpc11465:
	s_add_u32 s14, s14, (.LBB1_1427-.Lpost_getpc11465)&4294967295
	s_addc_u32 s15, s15, (.LBB1_1427-.Lpost_getpc11465)>>32
	s_setpc_b64 s[14:15]
.LBB1_29385:
	s_getpc_b64 s[14:15]
.Lpost_getpc356:
	s_add_u32 s14, s14, (.LBB1_1428-.Lpost_getpc356)&4294967295
	s_addc_u32 s15, s15, (.LBB1_1428-.Lpost_getpc356)>>32
	s_setpc_b64 s[14:15]
.LBB1_15765:
	s_movk_i32 s4, 0x80
	v_cmp_eq_u16_e32 vcc, s4, v13
	s_mov_b64 s[4:5], -1
                                        ; implicit-def: $sgpr10
	s_and_saveexec_b64 s[8:9], vcc
; %bb.15766:
	s_mov_b32 s10, 0x7f800001
	s_xor_b64 s[4:5], exec, -1
; %bb.15767:
	s_or_b64 exec, exec, s[8:9]
	s_and_b64 s[4:5], s[4:5], exec
                                        ; implicit-def: $vgpr13
	s_or_saveexec_b64 s[6:7], s[6:7]
	v_mov_b32_e32 v14, s10
	s_xor_b64 exec, exec, s[6:7]
	s_cbranch_execnz .LBB1_15768
; %bb.51605:
	s_getpc_b64 s[14:15]
.Lpost_getpc11466:
	s_add_u32 s14, s14, (.LBB1_1430-.Lpost_getpc11466)&4294967295
	s_addc_u32 s15, s15, (.LBB1_1430-.Lpost_getpc11466)>>32
	s_setpc_b64 s[14:15]
.LBB1_15768:
	v_cmp_ne_u16_e32 vcc, 0, v13
	s_andn2_b64 s[4:5], s[4:5], exec
	s_and_b64 s[8:9], vcc, exec
	v_mov_b32_e32 v14, 0
	s_or_b64 s[4:5], s[4:5], s[8:9]
	s_or_b64 exec, exec, s[6:7]
	s_and_saveexec_b64 s[6:7], s[4:5]
	s_cbranch_execz .LBB1_29387
; %bb.51607:
	s_getpc_b64 s[14:15]
.Lpost_getpc11467:
	s_add_u32 s14, s14, (.LBB1_1431-.Lpost_getpc11467)&4294967295
	s_addc_u32 s15, s15, (.LBB1_1431-.Lpost_getpc11467)>>32
	s_setpc_b64 s[14:15]
.LBB1_29387:
	s_getpc_b64 s[14:15]
.Lpost_getpc357:
	s_add_u32 s14, s14, (.LBB1_1432-.Lpost_getpc357)&4294967295
	s_addc_u32 s15, s15, (.LBB1_1432-.Lpost_getpc357)>>32
	s_setpc_b64 s[14:15]
.LBB1_15769:
	s_movk_i32 s4, 0x80
	v_cmp_eq_u16_sdwa s[12:13], v6, s4 src0_sel:BYTE_3 src1_sel:DWORD
	s_mov_b64 s[4:5], -1
                                        ; implicit-def: $sgpr10
	s_and_saveexec_b64 s[8:9], s[12:13]
; %bb.15770:
	s_mov_b32 s10, 0x7f800001
	s_xor_b64 s[4:5], exec, -1
; %bb.15771:
	s_or_b64 exec, exec, s[8:9]
	s_and_b64 s[4:5], s[4:5], exec
	s_or_saveexec_b64 s[6:7], s[6:7]
	v_mov_b32_e32 v12, s10
	s_xor_b64 exec, exec, s[6:7]
	s_cbranch_execnz .LBB1_15772
; %bb.51609:
	s_getpc_b64 s[14:15]
.Lpost_getpc11468:
	s_add_u32 s14, s14, (.LBB1_1434-.Lpost_getpc11468)&4294967295
	s_addc_u32 s15, s15, (.LBB1_1434-.Lpost_getpc11468)>>32
	s_setpc_b64 s[14:15]
.LBB1_15772:
	v_mov_b32_e32 v12, 0
	v_cmp_ne_u16_sdwa s[8:9], v6, v12 src0_sel:BYTE_3 src1_sel:DWORD
	s_andn2_b64 s[4:5], s[4:5], exec
	s_and_b64 s[8:9], s[8:9], exec
	s_or_b64 s[4:5], s[4:5], s[8:9]
	s_or_b64 exec, exec, s[6:7]
	s_and_saveexec_b64 s[6:7], s[4:5]
	s_cbranch_execz .LBB1_29389
; %bb.51611:
	s_getpc_b64 s[14:15]
.Lpost_getpc11469:
	s_add_u32 s14, s14, (.LBB1_1435-.Lpost_getpc11469)&4294967295
	s_addc_u32 s15, s15, (.LBB1_1435-.Lpost_getpc11469)>>32
	s_setpc_b64 s[14:15]
.LBB1_29389:
	s_getpc_b64 s[14:15]
.Lpost_getpc358:
	s_add_u32 s14, s14, (.LBB1_1436-.Lpost_getpc358)&4294967295
	s_addc_u32 s15, s15, (.LBB1_1436-.Lpost_getpc358)>>32
	s_setpc_b64 s[14:15]
.LBB1_15773:
	s_movk_i32 s4, 0x80
	v_cmp_eq_u16_sdwa s[12:13], v2, s4 src0_sel:BYTE_3 src1_sel:DWORD
	s_mov_b64 s[4:5], -1
                                        ; implicit-def: $sgpr10
	s_and_saveexec_b64 s[8:9], s[12:13]
; %bb.15774:
	s_mov_b32 s10, 0x7f800001
	s_xor_b64 s[4:5], exec, -1
; %bb.15775:
	s_or_b64 exec, exec, s[8:9]
	s_and_b64 s[4:5], s[4:5], exec
	s_or_saveexec_b64 s[6:7], s[6:7]
	v_mov_b32_e32 v6, s10
	s_xor_b64 exec, exec, s[6:7]
	s_cbranch_execnz .LBB1_15776
; %bb.51613:
	s_getpc_b64 s[14:15]
.Lpost_getpc11470:
	s_add_u32 s14, s14, (.LBB1_1438-.Lpost_getpc11470)&4294967295
	s_addc_u32 s15, s15, (.LBB1_1438-.Lpost_getpc11470)>>32
	s_setpc_b64 s[14:15]
.LBB1_15776:
	v_mov_b32_e32 v6, 0
	v_cmp_ne_u16_sdwa s[8:9], v2, v6 src0_sel:BYTE_3 src1_sel:DWORD
	s_andn2_b64 s[4:5], s[4:5], exec
	s_and_b64 s[8:9], s[8:9], exec
	s_or_b64 s[4:5], s[4:5], s[8:9]
	s_or_b64 exec, exec, s[6:7]
	s_and_saveexec_b64 s[6:7], s[4:5]
	s_cbranch_execz .LBB1_29391
; %bb.51615:
	s_getpc_b64 s[14:15]
.Lpost_getpc11471:
	s_add_u32 s14, s14, (.LBB1_1439-.Lpost_getpc11471)&4294967295
	s_addc_u32 s15, s15, (.LBB1_1439-.Lpost_getpc11471)>>32
	s_setpc_b64 s[14:15]
.LBB1_29391:
	s_getpc_b64 s[14:15]
.Lpost_getpc359:
	s_add_u32 s14, s14, (.LBB1_1440-.Lpost_getpc359)&4294967295
	s_addc_u32 s15, s15, (.LBB1_1440-.Lpost_getpc359)>>32
	s_setpc_b64 s[14:15]
.LBB1_15777:
	s_movk_i32 s4, 0x80
	v_cmp_eq_u16_sdwa s[12:13], v7, s4 src0_sel:BYTE_0 src1_sel:DWORD
	s_mov_b64 s[4:5], -1
                                        ; implicit-def: $sgpr10
	s_and_saveexec_b64 s[8:9], s[12:13]
; %bb.15778:
	s_mov_b32 s10, 0x7f800001
	s_xor_b64 s[4:5], exec, -1
; %bb.15779:
	s_or_b64 exec, exec, s[8:9]
	s_and_b64 s[4:5], s[4:5], exec
	s_or_saveexec_b64 s[6:7], s[6:7]
	v_mov_b32_e32 v2, s10
	s_xor_b64 exec, exec, s[6:7]
	s_cbranch_execnz .LBB1_15780
; %bb.51617:
	s_getpc_b64 s[14:15]
.Lpost_getpc11472:
	s_add_u32 s14, s14, (.LBB1_1442-.Lpost_getpc11472)&4294967295
	s_addc_u32 s15, s15, (.LBB1_1442-.Lpost_getpc11472)>>32
	s_setpc_b64 s[14:15]
.LBB1_15780:
	v_mov_b32_e32 v2, 0
	v_cmp_ne_u16_sdwa s[8:9], v7, v2 src0_sel:BYTE_0 src1_sel:DWORD
	s_andn2_b64 s[4:5], s[4:5], exec
	s_and_b64 s[8:9], s[8:9], exec
	s_or_b64 s[4:5], s[4:5], s[8:9]
	s_or_b64 exec, exec, s[6:7]
	s_and_saveexec_b64 s[6:7], s[4:5]
	s_cbranch_execz .LBB1_29393
; %bb.51619:
	s_getpc_b64 s[14:15]
.Lpost_getpc11473:
	s_add_u32 s14, s14, (.LBB1_1443-.Lpost_getpc11473)&4294967295
	s_addc_u32 s15, s15, (.LBB1_1443-.Lpost_getpc11473)>>32
	s_setpc_b64 s[14:15]
.LBB1_29393:
	s_getpc_b64 s[14:15]
.Lpost_getpc360:
	s_add_u32 s14, s14, (.LBB1_1444-.Lpost_getpc360)&4294967295
	s_addc_u32 s15, s15, (.LBB1_1444-.Lpost_getpc360)>>32
	s_setpc_b64 s[14:15]
.LBB1_15781:
	s_movk_i32 s4, 0x80
	v_cmp_eq_u16_sdwa s[12:13], v3, s4 src0_sel:BYTE_0 src1_sel:DWORD
	s_mov_b64 s[4:5], -1
                                        ; implicit-def: $sgpr10
	s_and_saveexec_b64 s[8:9], s[12:13]
; %bb.15782:
	s_mov_b32 s10, 0x7f800001
	s_xor_b64 s[4:5], exec, -1
; %bb.15783:
	s_or_b64 exec, exec, s[8:9]
	s_and_b64 s[4:5], s[4:5], exec
	s_or_saveexec_b64 s[6:7], s[6:7]
	v_mov_b32_e32 v6, s10
	s_xor_b64 exec, exec, s[6:7]
	s_cbranch_execnz .LBB1_15784
; %bb.51621:
	s_getpc_b64 s[14:15]
.Lpost_getpc11474:
	s_add_u32 s14, s14, (.LBB1_1446-.Lpost_getpc11474)&4294967295
	s_addc_u32 s15, s15, (.LBB1_1446-.Lpost_getpc11474)>>32
	s_setpc_b64 s[14:15]
.LBB1_15784:
	v_mov_b32_e32 v6, 0
	v_cmp_ne_u16_sdwa s[8:9], v3, v6 src0_sel:BYTE_0 src1_sel:DWORD
	s_andn2_b64 s[4:5], s[4:5], exec
	s_and_b64 s[8:9], s[8:9], exec
	s_or_b64 s[4:5], s[4:5], s[8:9]
	s_or_b64 exec, exec, s[6:7]
	s_and_saveexec_b64 s[6:7], s[4:5]
	s_cbranch_execz .LBB1_29395
; %bb.51623:
	s_getpc_b64 s[14:15]
.Lpost_getpc11475:
	s_add_u32 s14, s14, (.LBB1_1447-.Lpost_getpc11475)&4294967295
	s_addc_u32 s15, s15, (.LBB1_1447-.Lpost_getpc11475)>>32
	s_setpc_b64 s[14:15]
.LBB1_29395:
	s_getpc_b64 s[14:15]
.Lpost_getpc361:
	s_add_u32 s14, s14, (.LBB1_1448-.Lpost_getpc361)&4294967295
	s_addc_u32 s15, s15, (.LBB1_1448-.Lpost_getpc361)>>32
	s_setpc_b64 s[14:15]
.LBB1_15785:
	s_movk_i32 s4, 0x80
	v_cmp_eq_u16_sdwa s[12:13], v6, s4 src0_sel:BYTE_0 src1_sel:DWORD
	s_mov_b64 s[4:5], -1
                                        ; implicit-def: $sgpr10
	s_and_saveexec_b64 s[8:9], s[12:13]
; %bb.15786:
	s_mov_b32 s10, 0x7f800001
	s_xor_b64 s[4:5], exec, -1
; %bb.15787:
	s_or_b64 exec, exec, s[8:9]
	s_and_b64 s[4:5], s[4:5], exec
	s_or_saveexec_b64 s[6:7], s[6:7]
	v_mov_b32_e32 v2, s10
	s_xor_b64 exec, exec, s[6:7]
	s_cbranch_execnz .LBB1_15788
; %bb.51625:
	s_getpc_b64 s[14:15]
.Lpost_getpc11476:
	s_add_u32 s14, s14, (.LBB1_1450-.Lpost_getpc11476)&4294967295
	s_addc_u32 s15, s15, (.LBB1_1450-.Lpost_getpc11476)>>32
	s_setpc_b64 s[14:15]
.LBB1_15788:
	v_mov_b32_e32 v2, 0
	v_cmp_ne_u16_sdwa s[8:9], v6, v2 src0_sel:BYTE_0 src1_sel:DWORD
	s_andn2_b64 s[4:5], s[4:5], exec
	s_and_b64 s[8:9], s[8:9], exec
	s_or_b64 s[4:5], s[4:5], s[8:9]
	s_or_b64 exec, exec, s[6:7]
	s_and_saveexec_b64 s[6:7], s[4:5]
	s_cbranch_execz .LBB1_29397
; %bb.51627:
	s_getpc_b64 s[14:15]
.Lpost_getpc11477:
	s_add_u32 s14, s14, (.LBB1_1451-.Lpost_getpc11477)&4294967295
	s_addc_u32 s15, s15, (.LBB1_1451-.Lpost_getpc11477)>>32
	s_setpc_b64 s[14:15]
.LBB1_29397:
	s_getpc_b64 s[14:15]
.Lpost_getpc362:
	s_add_u32 s14, s14, (.LBB1_1452-.Lpost_getpc362)&4294967295
	s_addc_u32 s15, s15, (.LBB1_1452-.Lpost_getpc362)>>32
	s_setpc_b64 s[14:15]
.LBB1_15789:
	s_movk_i32 s4, 0x80
	v_cmp_eq_u16_sdwa s[12:13], v6, s4 src0_sel:BYTE_0 src1_sel:DWORD
	s_mov_b64 s[4:5], -1
                                        ; implicit-def: $sgpr10
	s_and_saveexec_b64 s[8:9], s[12:13]
; %bb.15790:
	s_mov_b32 s10, 0x7f800001
	s_xor_b64 s[4:5], exec, -1
; %bb.15791:
	s_or_b64 exec, exec, s[8:9]
	s_and_b64 s[4:5], s[4:5], exec
	s_or_saveexec_b64 s[6:7], s[6:7]
	v_mov_b32_e32 v12, s10
	s_xor_b64 exec, exec, s[6:7]
	s_cbranch_execnz .LBB1_15792
; %bb.51629:
	s_getpc_b64 s[14:15]
.Lpost_getpc11478:
	s_add_u32 s14, s14, (.LBB1_1454-.Lpost_getpc11478)&4294967295
	s_addc_u32 s15, s15, (.LBB1_1454-.Lpost_getpc11478)>>32
	s_setpc_b64 s[14:15]
.LBB1_15792:
	v_mov_b32_e32 v12, 0
	v_cmp_ne_u16_sdwa s[8:9], v6, v12 src0_sel:BYTE_0 src1_sel:DWORD
	s_andn2_b64 s[4:5], s[4:5], exec
	s_and_b64 s[8:9], s[8:9], exec
	s_or_b64 s[4:5], s[4:5], s[8:9]
	s_or_b64 exec, exec, s[6:7]
	s_and_saveexec_b64 s[6:7], s[4:5]
	s_cbranch_execz .LBB1_29399
; %bb.51631:
	s_getpc_b64 s[14:15]
.Lpost_getpc11479:
	s_add_u32 s14, s14, (.LBB1_1455-.Lpost_getpc11479)&4294967295
	s_addc_u32 s15, s15, (.LBB1_1455-.Lpost_getpc11479)>>32
	s_setpc_b64 s[14:15]
.LBB1_29399:
	s_getpc_b64 s[14:15]
.Lpost_getpc363:
	s_add_u32 s14, s14, (.LBB1_1456-.Lpost_getpc363)&4294967295
	s_addc_u32 s15, s15, (.LBB1_1456-.Lpost_getpc363)>>32
	s_setpc_b64 s[14:15]
.LBB1_15793:
	s_movk_i32 s4, 0x80
	v_cmp_eq_u16_e32 vcc, s4, v6
	s_mov_b64 s[4:5], -1
                                        ; implicit-def: $sgpr10
	s_and_saveexec_b64 s[8:9], vcc
; %bb.15794:
	s_mov_b32 s10, 0x7f800001
	s_xor_b64 s[4:5], exec, -1
; %bb.15795:
	s_or_b64 exec, exec, s[8:9]
	s_and_b64 s[4:5], s[4:5], exec
                                        ; implicit-def: $vgpr6
	s_or_saveexec_b64 s[6:7], s[6:7]
	v_mov_b32_e32 v2, s10
	s_xor_b64 exec, exec, s[6:7]
	s_cbranch_execnz .LBB1_15796
; %bb.51633:
	s_getpc_b64 s[14:15]
.Lpost_getpc11480:
	s_add_u32 s14, s14, (.LBB1_1458-.Lpost_getpc11480)&4294967295
	s_addc_u32 s15, s15, (.LBB1_1458-.Lpost_getpc11480)>>32
	s_setpc_b64 s[14:15]
.LBB1_15796:
	v_cmp_ne_u16_e32 vcc, 0, v6
	s_andn2_b64 s[4:5], s[4:5], exec
	s_and_b64 s[8:9], vcc, exec
	v_mov_b32_e32 v2, 0
	s_or_b64 s[4:5], s[4:5], s[8:9]
	s_or_b64 exec, exec, s[6:7]
	s_and_saveexec_b64 s[6:7], s[4:5]
	s_cbranch_execz .LBB1_29401
; %bb.51635:
	s_getpc_b64 s[14:15]
.Lpost_getpc11481:
	s_add_u32 s14, s14, (.LBB1_1459-.Lpost_getpc11481)&4294967295
	s_addc_u32 s15, s15, (.LBB1_1459-.Lpost_getpc11481)>>32
	s_setpc_b64 s[14:15]
.LBB1_29401:
	s_getpc_b64 s[14:15]
.Lpost_getpc364:
	s_add_u32 s14, s14, (.LBB1_1460-.Lpost_getpc364)&4294967295
	s_addc_u32 s15, s15, (.LBB1_1460-.Lpost_getpc364)>>32
	s_setpc_b64 s[14:15]
.LBB1_15797:
	s_movk_i32 s4, 0x80
	v_cmp_eq_u16_e32 vcc, s4, v6
	s_mov_b64 s[4:5], -1
                                        ; implicit-def: $sgpr10
	s_and_saveexec_b64 s[8:9], vcc
; %bb.15798:
	s_mov_b32 s10, 0x7f800001
	s_xor_b64 s[4:5], exec, -1
; %bb.15799:
	s_or_b64 exec, exec, s[8:9]
	s_and_b64 s[4:5], s[4:5], exec
                                        ; implicit-def: $vgpr6
	s_or_saveexec_b64 s[6:7], s[6:7]
	v_mov_b32_e32 v12, s10
	s_xor_b64 exec, exec, s[6:7]
	s_cbranch_execnz .LBB1_15800
; %bb.51637:
	s_getpc_b64 s[14:15]
.Lpost_getpc11482:
	s_add_u32 s14, s14, (.LBB1_1462-.Lpost_getpc11482)&4294967295
	s_addc_u32 s15, s15, (.LBB1_1462-.Lpost_getpc11482)>>32
	s_setpc_b64 s[14:15]
.LBB1_15800:
	v_cmp_ne_u16_e32 vcc, 0, v6
	s_andn2_b64 s[4:5], s[4:5], exec
	s_and_b64 s[8:9], vcc, exec
	v_mov_b32_e32 v12, 0
	s_or_b64 s[4:5], s[4:5], s[8:9]
	s_or_b64 exec, exec, s[6:7]
	s_and_saveexec_b64 s[6:7], s[4:5]
	s_cbranch_execz .LBB1_29403
; %bb.51639:
	s_getpc_b64 s[14:15]
.Lpost_getpc11483:
	s_add_u32 s14, s14, (.LBB1_1463-.Lpost_getpc11483)&4294967295
	s_addc_u32 s15, s15, (.LBB1_1463-.Lpost_getpc11483)>>32
	s_setpc_b64 s[14:15]
.LBB1_29403:
	s_getpc_b64 s[14:15]
.Lpost_getpc365:
	s_add_u32 s14, s14, (.LBB1_1464-.Lpost_getpc365)&4294967295
	s_addc_u32 s15, s15, (.LBB1_1464-.Lpost_getpc365)>>32
	s_setpc_b64 s[14:15]
.LBB1_15801:
	s_movk_i32 s4, 0x80
	v_cmp_eq_u16_sdwa s[12:13], v7, s4 src0_sel:BYTE_3 src1_sel:DWORD
	s_mov_b64 s[4:5], -1
                                        ; implicit-def: $sgpr10
	s_and_saveexec_b64 s[8:9], s[12:13]
; %bb.15802:
	s_mov_b32 s10, 0x7f800001
	s_xor_b64 s[4:5], exec, -1
; %bb.15803:
	s_or_b64 exec, exec, s[8:9]
	s_and_b64 s[4:5], s[4:5], exec
	s_or_saveexec_b64 s[6:7], s[6:7]
	v_mov_b32_e32 v2, s10
	s_xor_b64 exec, exec, s[6:7]
	s_cbranch_execnz .LBB1_15804
; %bb.51641:
	s_getpc_b64 s[14:15]
.Lpost_getpc11484:
	s_add_u32 s14, s14, (.LBB1_1466-.Lpost_getpc11484)&4294967295
	s_addc_u32 s15, s15, (.LBB1_1466-.Lpost_getpc11484)>>32
	s_setpc_b64 s[14:15]
.LBB1_15804:
	v_mov_b32_e32 v2, 0
	v_cmp_ne_u16_sdwa s[8:9], v7, v2 src0_sel:BYTE_3 src1_sel:DWORD
	s_andn2_b64 s[4:5], s[4:5], exec
	s_and_b64 s[8:9], s[8:9], exec
	s_or_b64 s[4:5], s[4:5], s[8:9]
	s_or_b64 exec, exec, s[6:7]
	s_and_saveexec_b64 s[6:7], s[4:5]
	s_cbranch_execz .LBB1_29405
; %bb.51643:
	s_getpc_b64 s[14:15]
.Lpost_getpc11485:
	s_add_u32 s14, s14, (.LBB1_1467-.Lpost_getpc11485)&4294967295
	s_addc_u32 s15, s15, (.LBB1_1467-.Lpost_getpc11485)>>32
	s_setpc_b64 s[14:15]
.LBB1_29405:
	s_getpc_b64 s[14:15]
.Lpost_getpc366:
	s_add_u32 s14, s14, (.LBB1_1468-.Lpost_getpc366)&4294967295
	s_addc_u32 s15, s15, (.LBB1_1468-.Lpost_getpc366)>>32
	s_setpc_b64 s[14:15]
.LBB1_15805:
	s_movk_i32 s4, 0x80
	v_cmp_eq_u16_sdwa s[12:13], v3, s4 src0_sel:BYTE_3 src1_sel:DWORD
	s_mov_b64 s[4:5], -1
                                        ; implicit-def: $sgpr10
	s_and_saveexec_b64 s[8:9], s[12:13]
; %bb.15806:
	s_mov_b32 s10, 0x7f800001
	s_xor_b64 s[4:5], exec, -1
; %bb.15807:
	s_or_b64 exec, exec, s[8:9]
	s_and_b64 s[4:5], s[4:5], exec
	s_or_saveexec_b64 s[6:7], s[6:7]
	v_mov_b32_e32 v6, s10
	s_xor_b64 exec, exec, s[6:7]
	s_cbranch_execnz .LBB1_15808
; %bb.51645:
	s_getpc_b64 s[14:15]
.Lpost_getpc11486:
	s_add_u32 s14, s14, (.LBB1_1470-.Lpost_getpc11486)&4294967295
	s_addc_u32 s15, s15, (.LBB1_1470-.Lpost_getpc11486)>>32
	s_setpc_b64 s[14:15]
.LBB1_15808:
	v_mov_b32_e32 v6, 0
	v_cmp_ne_u16_sdwa s[8:9], v3, v6 src0_sel:BYTE_3 src1_sel:DWORD
	s_andn2_b64 s[4:5], s[4:5], exec
	s_and_b64 s[8:9], s[8:9], exec
	s_or_b64 s[4:5], s[4:5], s[8:9]
	s_or_b64 exec, exec, s[6:7]
	s_and_saveexec_b64 s[6:7], s[4:5]
	s_cbranch_execz .LBB1_29407
; %bb.51647:
	s_getpc_b64 s[14:15]
.Lpost_getpc11487:
	s_add_u32 s14, s14, (.LBB1_1471-.Lpost_getpc11487)&4294967295
	s_addc_u32 s15, s15, (.LBB1_1471-.Lpost_getpc11487)>>32
	s_setpc_b64 s[14:15]
.LBB1_29407:
	s_getpc_b64 s[14:15]
.Lpost_getpc367:
	s_add_u32 s14, s14, (.LBB1_1472-.Lpost_getpc367)&4294967295
	s_addc_u32 s15, s15, (.LBB1_1472-.Lpost_getpc367)>>32
	s_setpc_b64 s[14:15]
.LBB1_15809:
	s_movk_i32 s4, 0x80
	v_cmp_eq_u16_sdwa s[12:13], v8, s4 src0_sel:BYTE_0 src1_sel:DWORD
	s_mov_b64 s[4:5], -1
                                        ; implicit-def: $sgpr10
	s_and_saveexec_b64 s[8:9], s[12:13]
; %bb.15810:
	s_mov_b32 s10, 0x7f800001
	s_xor_b64 s[4:5], exec, -1
; %bb.15811:
	s_or_b64 exec, exec, s[8:9]
	s_and_b64 s[4:5], s[4:5], exec
	s_or_saveexec_b64 s[6:7], s[6:7]
	v_mov_b32_e32 v2, s10
	s_xor_b64 exec, exec, s[6:7]
	s_cbranch_execnz .LBB1_15812
; %bb.51649:
	s_getpc_b64 s[14:15]
.Lpost_getpc11488:
	s_add_u32 s14, s14, (.LBB1_1474-.Lpost_getpc11488)&4294967295
	s_addc_u32 s15, s15, (.LBB1_1474-.Lpost_getpc11488)>>32
	s_setpc_b64 s[14:15]
.LBB1_15812:
	v_mov_b32_e32 v2, 0
	v_cmp_ne_u16_sdwa s[8:9], v8, v2 src0_sel:BYTE_0 src1_sel:DWORD
	s_andn2_b64 s[4:5], s[4:5], exec
	s_and_b64 s[8:9], s[8:9], exec
	s_or_b64 s[4:5], s[4:5], s[8:9]
	s_or_b64 exec, exec, s[6:7]
	s_and_saveexec_b64 s[6:7], s[4:5]
	s_cbranch_execz .LBB1_29409
; %bb.51651:
	s_getpc_b64 s[14:15]
.Lpost_getpc11489:
	s_add_u32 s14, s14, (.LBB1_1475-.Lpost_getpc11489)&4294967295
	s_addc_u32 s15, s15, (.LBB1_1475-.Lpost_getpc11489)>>32
	s_setpc_b64 s[14:15]
.LBB1_29409:
	s_getpc_b64 s[14:15]
.Lpost_getpc368:
	s_add_u32 s14, s14, (.LBB1_1476-.Lpost_getpc368)&4294967295
	s_addc_u32 s15, s15, (.LBB1_1476-.Lpost_getpc368)>>32
	s_setpc_b64 s[14:15]
.LBB1_15813:
	s_movk_i32 s4, 0x80
	v_cmp_eq_u16_sdwa s[12:13], v4, s4 src0_sel:BYTE_0 src1_sel:DWORD
	s_mov_b64 s[4:5], -1
                                        ; implicit-def: $sgpr10
	s_and_saveexec_b64 s[8:9], s[12:13]
; %bb.15814:
	s_mov_b32 s10, 0x7f800001
	s_xor_b64 s[4:5], exec, -1
; %bb.15815:
	s_or_b64 exec, exec, s[8:9]
	s_and_b64 s[4:5], s[4:5], exec
	s_or_saveexec_b64 s[6:7], s[6:7]
	v_mov_b32_e32 v3, s10
	s_xor_b64 exec, exec, s[6:7]
	s_cbranch_execnz .LBB1_15816
; %bb.51653:
	s_getpc_b64 s[14:15]
.Lpost_getpc11490:
	s_add_u32 s14, s14, (.LBB1_1478-.Lpost_getpc11490)&4294967295
	s_addc_u32 s15, s15, (.LBB1_1478-.Lpost_getpc11490)>>32
	s_setpc_b64 s[14:15]
.LBB1_15816:
	v_mov_b32_e32 v3, 0
	v_cmp_ne_u16_sdwa s[8:9], v4, v3 src0_sel:BYTE_0 src1_sel:DWORD
	s_andn2_b64 s[4:5], s[4:5], exec
	s_and_b64 s[8:9], s[8:9], exec
	s_or_b64 s[4:5], s[4:5], s[8:9]
	s_or_b64 exec, exec, s[6:7]
	s_and_saveexec_b64 s[6:7], s[4:5]
	s_cbranch_execz .LBB1_29411
; %bb.51655:
	s_getpc_b64 s[14:15]
.Lpost_getpc11491:
	s_add_u32 s14, s14, (.LBB1_1479-.Lpost_getpc11491)&4294967295
	s_addc_u32 s15, s15, (.LBB1_1479-.Lpost_getpc11491)>>32
	s_setpc_b64 s[14:15]
.LBB1_29411:
	s_getpc_b64 s[14:15]
.Lpost_getpc369:
	s_add_u32 s14, s14, (.LBB1_1480-.Lpost_getpc369)&4294967295
	s_addc_u32 s15, s15, (.LBB1_1480-.Lpost_getpc369)>>32
	s_setpc_b64 s[14:15]
.LBB1_15817:
	s_movk_i32 s4, 0x80
	v_cmp_eq_u16_sdwa s[12:13], v3, s4 src0_sel:BYTE_0 src1_sel:DWORD
	s_mov_b64 s[4:5], -1
                                        ; implicit-def: $sgpr10
	s_and_saveexec_b64 s[8:9], s[12:13]
; %bb.15818:
	s_mov_b32 s10, 0x7f800001
	s_xor_b64 s[4:5], exec, -1
; %bb.15819:
	s_or_b64 exec, exec, s[8:9]
	s_and_b64 s[4:5], s[4:5], exec
	s_or_saveexec_b64 s[6:7], s[6:7]
	v_mov_b32_e32 v2, s10
	s_xor_b64 exec, exec, s[6:7]
	s_cbranch_execnz .LBB1_15820
; %bb.51657:
	s_getpc_b64 s[14:15]
.Lpost_getpc11492:
	s_add_u32 s14, s14, (.LBB1_1482-.Lpost_getpc11492)&4294967295
	s_addc_u32 s15, s15, (.LBB1_1482-.Lpost_getpc11492)>>32
	s_setpc_b64 s[14:15]
.LBB1_15820:
	v_mov_b32_e32 v2, 0
	v_cmp_ne_u16_sdwa s[8:9], v3, v2 src0_sel:BYTE_0 src1_sel:DWORD
	s_andn2_b64 s[4:5], s[4:5], exec
	s_and_b64 s[8:9], s[8:9], exec
	s_or_b64 s[4:5], s[4:5], s[8:9]
	s_or_b64 exec, exec, s[6:7]
	s_and_saveexec_b64 s[6:7], s[4:5]
	s_cbranch_execz .LBB1_29413
; %bb.51659:
	s_getpc_b64 s[14:15]
.Lpost_getpc11493:
	s_add_u32 s14, s14, (.LBB1_1483-.Lpost_getpc11493)&4294967295
	s_addc_u32 s15, s15, (.LBB1_1483-.Lpost_getpc11493)>>32
	s_setpc_b64 s[14:15]
.LBB1_29413:
	s_getpc_b64 s[14:15]
.Lpost_getpc370:
	s_add_u32 s14, s14, (.LBB1_1484-.Lpost_getpc370)&4294967295
	s_addc_u32 s15, s15, (.LBB1_1484-.Lpost_getpc370)>>32
	s_setpc_b64 s[14:15]
.LBB1_15821:
	s_movk_i32 s4, 0x80
	v_cmp_eq_u16_sdwa s[12:13], v3, s4 src0_sel:BYTE_0 src1_sel:DWORD
	s_mov_b64 s[4:5], -1
                                        ; implicit-def: $sgpr10
	s_and_saveexec_b64 s[8:9], s[12:13]
; %bb.15822:
	s_mov_b32 s10, 0x7f800001
	s_xor_b64 s[4:5], exec, -1
; %bb.15823:
	s_or_b64 exec, exec, s[8:9]
	s_and_b64 s[4:5], s[4:5], exec
	s_or_saveexec_b64 s[6:7], s[6:7]
	v_mov_b32_e32 v6, s10
	s_xor_b64 exec, exec, s[6:7]
	s_cbranch_execnz .LBB1_15824
; %bb.51661:
	s_getpc_b64 s[14:15]
.Lpost_getpc11494:
	s_add_u32 s14, s14, (.LBB1_1486-.Lpost_getpc11494)&4294967295
	s_addc_u32 s15, s15, (.LBB1_1486-.Lpost_getpc11494)>>32
	s_setpc_b64 s[14:15]
.LBB1_15824:
	v_mov_b32_e32 v6, 0
	v_cmp_ne_u16_sdwa s[8:9], v3, v6 src0_sel:BYTE_0 src1_sel:DWORD
	s_andn2_b64 s[4:5], s[4:5], exec
	s_and_b64 s[8:9], s[8:9], exec
	s_or_b64 s[4:5], s[4:5], s[8:9]
	s_or_b64 exec, exec, s[6:7]
	s_and_saveexec_b64 s[6:7], s[4:5]
	s_cbranch_execz .LBB1_29415
; %bb.51663:
	s_getpc_b64 s[14:15]
.Lpost_getpc11495:
	s_add_u32 s14, s14, (.LBB1_1487-.Lpost_getpc11495)&4294967295
	s_addc_u32 s15, s15, (.LBB1_1487-.Lpost_getpc11495)>>32
	s_setpc_b64 s[14:15]
.LBB1_29415:
	s_getpc_b64 s[14:15]
.Lpost_getpc371:
	s_add_u32 s14, s14, (.LBB1_1488-.Lpost_getpc371)&4294967295
	s_addc_u32 s15, s15, (.LBB1_1488-.Lpost_getpc371)>>32
	s_setpc_b64 s[14:15]
.LBB1_15825:
	s_movk_i32 s4, 0x80
	v_cmp_eq_u16_e32 vcc, s4, v3
	s_mov_b64 s[4:5], -1
                                        ; implicit-def: $sgpr10
	s_and_saveexec_b64 s[8:9], vcc
; %bb.15826:
	s_mov_b32 s10, 0x7f800001
	s_xor_b64 s[4:5], exec, -1
; %bb.15827:
	s_or_b64 exec, exec, s[8:9]
	s_and_b64 s[4:5], s[4:5], exec
                                        ; implicit-def: $vgpr3
	s_or_saveexec_b64 s[6:7], s[6:7]
	v_mov_b32_e32 v2, s10
	s_xor_b64 exec, exec, s[6:7]
	s_cbranch_execnz .LBB1_15828
; %bb.51665:
	s_getpc_b64 s[14:15]
.Lpost_getpc11496:
	s_add_u32 s14, s14, (.LBB1_1490-.Lpost_getpc11496)&4294967295
	s_addc_u32 s15, s15, (.LBB1_1490-.Lpost_getpc11496)>>32
	s_setpc_b64 s[14:15]
.LBB1_15828:
	v_cmp_ne_u16_e32 vcc, 0, v3
	s_andn2_b64 s[4:5], s[4:5], exec
	s_and_b64 s[8:9], vcc, exec
	v_mov_b32_e32 v2, 0
	s_or_b64 s[4:5], s[4:5], s[8:9]
	s_or_b64 exec, exec, s[6:7]
	s_and_saveexec_b64 s[6:7], s[4:5]
	s_cbranch_execz .LBB1_29417
; %bb.51667:
	s_getpc_b64 s[14:15]
.Lpost_getpc11497:
	s_add_u32 s14, s14, (.LBB1_1491-.Lpost_getpc11497)&4294967295
	s_addc_u32 s15, s15, (.LBB1_1491-.Lpost_getpc11497)>>32
	s_setpc_b64 s[14:15]
.LBB1_29417:
	s_getpc_b64 s[14:15]
.Lpost_getpc372:
	s_add_u32 s14, s14, (.LBB1_1492-.Lpost_getpc372)&4294967295
	s_addc_u32 s15, s15, (.LBB1_1492-.Lpost_getpc372)>>32
	s_setpc_b64 s[14:15]
.LBB1_15829:
	s_movk_i32 s4, 0x80
	v_cmp_eq_u16_e32 vcc, s4, v3
	s_mov_b64 s[4:5], -1
                                        ; implicit-def: $sgpr10
	s_and_saveexec_b64 s[8:9], vcc
; %bb.15830:
	s_mov_b32 s10, 0x7f800001
	s_xor_b64 s[4:5], exec, -1
; %bb.15831:
	s_or_b64 exec, exec, s[8:9]
	s_and_b64 s[4:5], s[4:5], exec
                                        ; implicit-def: $vgpr3
	s_or_saveexec_b64 s[6:7], s[6:7]
	v_mov_b32_e32 v6, s10
	s_xor_b64 exec, exec, s[6:7]
	s_cbranch_execnz .LBB1_15832
; %bb.51669:
	s_getpc_b64 s[14:15]
.Lpost_getpc11498:
	s_add_u32 s14, s14, (.LBB1_1494-.Lpost_getpc11498)&4294967295
	s_addc_u32 s15, s15, (.LBB1_1494-.Lpost_getpc11498)>>32
	s_setpc_b64 s[14:15]
.LBB1_15832:
	v_cmp_ne_u16_e32 vcc, 0, v3
	s_andn2_b64 s[4:5], s[4:5], exec
	s_and_b64 s[8:9], vcc, exec
	v_mov_b32_e32 v6, 0
	s_or_b64 s[4:5], s[4:5], s[8:9]
	s_or_b64 exec, exec, s[6:7]
	s_and_saveexec_b64 s[6:7], s[4:5]
	s_cbranch_execz .LBB1_29419
; %bb.51671:
	s_getpc_b64 s[14:15]
.Lpost_getpc11499:
	s_add_u32 s14, s14, (.LBB1_1495-.Lpost_getpc11499)&4294967295
	s_addc_u32 s15, s15, (.LBB1_1495-.Lpost_getpc11499)>>32
	s_setpc_b64 s[14:15]
.LBB1_29419:
	s_getpc_b64 s[14:15]
.Lpost_getpc373:
	s_add_u32 s14, s14, (.LBB1_1496-.Lpost_getpc373)&4294967295
	s_addc_u32 s15, s15, (.LBB1_1496-.Lpost_getpc373)>>32
	s_setpc_b64 s[14:15]
.LBB1_15833:
	s_movk_i32 s4, 0x80
	v_cmp_eq_u16_sdwa s[12:13], v8, s4 src0_sel:BYTE_3 src1_sel:DWORD
	s_mov_b64 s[4:5], -1
                                        ; implicit-def: $sgpr10
	s_and_saveexec_b64 s[8:9], s[12:13]
; %bb.15834:
	s_mov_b32 s10, 0x7f800001
	s_xor_b64 s[4:5], exec, -1
; %bb.15835:
	s_or_b64 exec, exec, s[8:9]
	s_and_b64 s[4:5], s[4:5], exec
	s_or_saveexec_b64 s[6:7], s[6:7]
	v_mov_b32_e32 v2, s10
	s_xor_b64 exec, exec, s[6:7]
	s_cbranch_execnz .LBB1_15836
; %bb.51673:
	s_getpc_b64 s[14:15]
.Lpost_getpc11500:
	s_add_u32 s14, s14, (.LBB1_1498-.Lpost_getpc11500)&4294967295
	s_addc_u32 s15, s15, (.LBB1_1498-.Lpost_getpc11500)>>32
	s_setpc_b64 s[14:15]
.LBB1_15836:
	v_mov_b32_e32 v2, 0
	v_cmp_ne_u16_sdwa s[8:9], v8, v2 src0_sel:BYTE_3 src1_sel:DWORD
	s_andn2_b64 s[4:5], s[4:5], exec
	s_and_b64 s[8:9], s[8:9], exec
	s_or_b64 s[4:5], s[4:5], s[8:9]
	s_or_b64 exec, exec, s[6:7]
	s_and_saveexec_b64 s[6:7], s[4:5]
	s_cbranch_execz .LBB1_29421
; %bb.51675:
	s_getpc_b64 s[14:15]
.Lpost_getpc11501:
	s_add_u32 s14, s14, (.LBB1_1499-.Lpost_getpc11501)&4294967295
	s_addc_u32 s15, s15, (.LBB1_1499-.Lpost_getpc11501)>>32
	s_setpc_b64 s[14:15]
.LBB1_29421:
	s_getpc_b64 s[14:15]
.Lpost_getpc374:
	s_add_u32 s14, s14, (.LBB1_1500-.Lpost_getpc374)&4294967295
	s_addc_u32 s15, s15, (.LBB1_1500-.Lpost_getpc374)>>32
	s_setpc_b64 s[14:15]
.LBB1_15837:
	s_movk_i32 s4, 0x80
	v_cmp_eq_u16_sdwa s[12:13], v4, s4 src0_sel:BYTE_3 src1_sel:DWORD
	s_mov_b64 s[4:5], -1
                                        ; implicit-def: $sgpr10
	s_and_saveexec_b64 s[8:9], s[12:13]
; %bb.15838:
	s_mov_b32 s10, 0x7f800001
	s_xor_b64 s[4:5], exec, -1
; %bb.15839:
	s_or_b64 exec, exec, s[8:9]
	s_and_b64 s[4:5], s[4:5], exec
	s_or_saveexec_b64 s[6:7], s[6:7]
	v_mov_b32_e32 v3, s10
	s_xor_b64 exec, exec, s[6:7]
	s_cbranch_execnz .LBB1_15840
; %bb.51677:
	s_getpc_b64 s[14:15]
.Lpost_getpc11502:
	s_add_u32 s14, s14, (.LBB1_1502-.Lpost_getpc11502)&4294967295
	s_addc_u32 s15, s15, (.LBB1_1502-.Lpost_getpc11502)>>32
	s_setpc_b64 s[14:15]
.LBB1_15840:
	v_mov_b32_e32 v3, 0
	v_cmp_ne_u16_sdwa s[8:9], v4, v3 src0_sel:BYTE_3 src1_sel:DWORD
	s_andn2_b64 s[4:5], s[4:5], exec
	s_and_b64 s[8:9], s[8:9], exec
	s_or_b64 s[4:5], s[4:5], s[8:9]
	s_or_b64 exec, exec, s[6:7]
	s_and_saveexec_b64 s[6:7], s[4:5]
	s_cbranch_execz .LBB1_29423
; %bb.51679:
	s_getpc_b64 s[14:15]
.Lpost_getpc11503:
	s_add_u32 s14, s14, (.LBB1_1503-.Lpost_getpc11503)&4294967295
	s_addc_u32 s15, s15, (.LBB1_1503-.Lpost_getpc11503)>>32
	s_setpc_b64 s[14:15]
.LBB1_29423:
	s_getpc_b64 s[14:15]
.Lpost_getpc375:
	s_add_u32 s14, s14, (.LBB1_1504-.Lpost_getpc375)&4294967295
	s_addc_u32 s15, s15, (.LBB1_1504-.Lpost_getpc375)>>32
	s_setpc_b64 s[14:15]
.LBB1_15841:
	s_movk_i32 s4, 0x80
	v_cmp_eq_u16_sdwa s[12:13], v9, s4 src0_sel:BYTE_0 src1_sel:DWORD
	s_mov_b64 s[4:5], -1
                                        ; implicit-def: $sgpr10
	s_and_saveexec_b64 s[8:9], s[12:13]
; %bb.15842:
	s_mov_b32 s10, 0x7f800001
	s_xor_b64 s[4:5], exec, -1
; %bb.15843:
	s_or_b64 exec, exec, s[8:9]
	s_and_b64 s[4:5], s[4:5], exec
	s_or_saveexec_b64 s[6:7], s[6:7]
	v_mov_b32_e32 v2, s10
	s_xor_b64 exec, exec, s[6:7]
	s_cbranch_execnz .LBB1_15844
; %bb.51681:
	s_getpc_b64 s[14:15]
.Lpost_getpc11504:
	s_add_u32 s14, s14, (.LBB1_1506-.Lpost_getpc11504)&4294967295
	s_addc_u32 s15, s15, (.LBB1_1506-.Lpost_getpc11504)>>32
	s_setpc_b64 s[14:15]
.LBB1_15844:
	v_mov_b32_e32 v2, 0
	v_cmp_ne_u16_sdwa s[8:9], v9, v2 src0_sel:BYTE_0 src1_sel:DWORD
	s_andn2_b64 s[4:5], s[4:5], exec
	s_and_b64 s[8:9], s[8:9], exec
	s_or_b64 s[4:5], s[4:5], s[8:9]
	s_or_b64 exec, exec, s[6:7]
	s_and_saveexec_b64 s[6:7], s[4:5]
	s_cbranch_execz .LBB1_29425
; %bb.51683:
	s_getpc_b64 s[14:15]
.Lpost_getpc11505:
	s_add_u32 s14, s14, (.LBB1_1507-.Lpost_getpc11505)&4294967295
	s_addc_u32 s15, s15, (.LBB1_1507-.Lpost_getpc11505)>>32
	s_setpc_b64 s[14:15]
.LBB1_29425:
	s_getpc_b64 s[14:15]
.Lpost_getpc376:
	s_add_u32 s14, s14, (.LBB1_1508-.Lpost_getpc376)&4294967295
	s_addc_u32 s15, s15, (.LBB1_1508-.Lpost_getpc376)>>32
	s_setpc_b64 s[14:15]
.LBB1_15845:
	s_movk_i32 s4, 0x80
	v_cmp_eq_u16_sdwa s[12:13], v5, s4 src0_sel:BYTE_0 src1_sel:DWORD
	s_mov_b64 s[4:5], -1
                                        ; implicit-def: $sgpr10
	s_and_saveexec_b64 s[8:9], s[12:13]
; %bb.15846:
	s_mov_b32 s10, 0x7f800001
	s_xor_b64 s[4:5], exec, -1
; %bb.15847:
	s_or_b64 exec, exec, s[8:9]
	s_and_b64 s[4:5], s[4:5], exec
	s_or_saveexec_b64 s[6:7], s[6:7]
	v_mov_b32_e32 v3, s10
	s_xor_b64 exec, exec, s[6:7]
	s_cbranch_execnz .LBB1_15848
; %bb.51685:
	s_getpc_b64 s[14:15]
.Lpost_getpc11506:
	s_add_u32 s14, s14, (.LBB1_1510-.Lpost_getpc11506)&4294967295
	s_addc_u32 s15, s15, (.LBB1_1510-.Lpost_getpc11506)>>32
	s_setpc_b64 s[14:15]
.LBB1_15848:
	v_mov_b32_e32 v3, 0
	v_cmp_ne_u16_sdwa s[8:9], v5, v3 src0_sel:BYTE_0 src1_sel:DWORD
	s_andn2_b64 s[4:5], s[4:5], exec
	s_and_b64 s[8:9], s[8:9], exec
	s_or_b64 s[4:5], s[4:5], s[8:9]
	s_or_b64 exec, exec, s[6:7]
	s_and_saveexec_b64 s[6:7], s[4:5]
	s_cbranch_execz .LBB1_29427
; %bb.51687:
	s_getpc_b64 s[14:15]
.Lpost_getpc11507:
	s_add_u32 s14, s14, (.LBB1_1511-.Lpost_getpc11507)&4294967295
	s_addc_u32 s15, s15, (.LBB1_1511-.Lpost_getpc11507)>>32
	s_setpc_b64 s[14:15]
.LBB1_29427:
	s_getpc_b64 s[14:15]
.Lpost_getpc377:
	s_add_u32 s14, s14, (.LBB1_1512-.Lpost_getpc377)&4294967295
	s_addc_u32 s15, s15, (.LBB1_1512-.Lpost_getpc377)>>32
	s_setpc_b64 s[14:15]
.LBB1_15849:
	s_movk_i32 s4, 0x80
	v_cmp_eq_u16_sdwa s[12:13], v3, s4 src0_sel:BYTE_0 src1_sel:DWORD
	s_mov_b64 s[4:5], -1
                                        ; implicit-def: $sgpr10
	s_and_saveexec_b64 s[8:9], s[12:13]
; %bb.15850:
	s_mov_b32 s10, 0x7f800001
	s_xor_b64 s[4:5], exec, -1
; %bb.15851:
	s_or_b64 exec, exec, s[8:9]
	s_and_b64 s[4:5], s[4:5], exec
	s_or_saveexec_b64 s[6:7], s[6:7]
	v_mov_b32_e32 v2, s10
	s_xor_b64 exec, exec, s[6:7]
	s_cbranch_execnz .LBB1_15852
; %bb.51689:
	s_getpc_b64 s[14:15]
.Lpost_getpc11508:
	s_add_u32 s14, s14, (.LBB1_1514-.Lpost_getpc11508)&4294967295
	s_addc_u32 s15, s15, (.LBB1_1514-.Lpost_getpc11508)>>32
	s_setpc_b64 s[14:15]
.LBB1_15852:
	v_mov_b32_e32 v2, 0
	v_cmp_ne_u16_sdwa s[8:9], v3, v2 src0_sel:BYTE_0 src1_sel:DWORD
	s_andn2_b64 s[4:5], s[4:5], exec
	s_and_b64 s[8:9], s[8:9], exec
	s_or_b64 s[4:5], s[4:5], s[8:9]
	s_or_b64 exec, exec, s[6:7]
	s_and_saveexec_b64 s[6:7], s[4:5]
	s_cbranch_execz .LBB1_29429
; %bb.51691:
	s_getpc_b64 s[14:15]
.Lpost_getpc11509:
	s_add_u32 s14, s14, (.LBB1_1515-.Lpost_getpc11509)&4294967295
	s_addc_u32 s15, s15, (.LBB1_1515-.Lpost_getpc11509)>>32
	s_setpc_b64 s[14:15]
.LBB1_29429:
	s_getpc_b64 s[14:15]
.Lpost_getpc378:
	s_add_u32 s14, s14, (.LBB1_1516-.Lpost_getpc378)&4294967295
	s_addc_u32 s15, s15, (.LBB1_1516-.Lpost_getpc378)>>32
	s_setpc_b64 s[14:15]
.LBB1_15853:
	s_movk_i32 s4, 0x80
	v_cmp_eq_u16_sdwa s[12:13], v3, s4 src0_sel:BYTE_0 src1_sel:DWORD
	s_mov_b64 s[4:5], -1
                                        ; implicit-def: $sgpr10
	s_and_saveexec_b64 s[8:9], s[12:13]
; %bb.15854:
	s_mov_b32 s10, 0x7f800001
	s_xor_b64 s[4:5], exec, -1
; %bb.15855:
	s_or_b64 exec, exec, s[8:9]
	s_and_b64 s[4:5], s[4:5], exec
	s_or_saveexec_b64 s[6:7], s[6:7]
	v_mov_b32_e32 v4, s10
	s_xor_b64 exec, exec, s[6:7]
	s_cbranch_execnz .LBB1_15856
; %bb.51693:
	s_getpc_b64 s[14:15]
.Lpost_getpc11510:
	s_add_u32 s14, s14, (.LBB1_1518-.Lpost_getpc11510)&4294967295
	s_addc_u32 s15, s15, (.LBB1_1518-.Lpost_getpc11510)>>32
	s_setpc_b64 s[14:15]
.LBB1_15856:
	v_mov_b32_e32 v4, 0
	v_cmp_ne_u16_sdwa s[8:9], v3, v4 src0_sel:BYTE_0 src1_sel:DWORD
	s_andn2_b64 s[4:5], s[4:5], exec
	s_and_b64 s[8:9], s[8:9], exec
	s_or_b64 s[4:5], s[4:5], s[8:9]
	s_or_b64 exec, exec, s[6:7]
	s_and_saveexec_b64 s[6:7], s[4:5]
	s_cbranch_execz .LBB1_29431
; %bb.51695:
	s_getpc_b64 s[14:15]
.Lpost_getpc11511:
	s_add_u32 s14, s14, (.LBB1_1519-.Lpost_getpc11511)&4294967295
	s_addc_u32 s15, s15, (.LBB1_1519-.Lpost_getpc11511)>>32
	s_setpc_b64 s[14:15]
.LBB1_29431:
	s_getpc_b64 s[14:15]
.Lpost_getpc379:
	s_add_u32 s14, s14, (.LBB1_1520-.Lpost_getpc379)&4294967295
	s_addc_u32 s15, s15, (.LBB1_1520-.Lpost_getpc379)>>32
	s_setpc_b64 s[14:15]
.LBB1_15857:
	s_movk_i32 s4, 0x80
	v_cmp_eq_u16_e32 vcc, s4, v3
	s_mov_b64 s[4:5], -1
                                        ; implicit-def: $sgpr10
	s_and_saveexec_b64 s[8:9], vcc
; %bb.15858:
	s_mov_b32 s10, 0x7f800001
	s_xor_b64 s[4:5], exec, -1
; %bb.15859:
	s_or_b64 exec, exec, s[8:9]
	s_and_b64 s[4:5], s[4:5], exec
                                        ; implicit-def: $vgpr3
	s_or_saveexec_b64 s[6:7], s[6:7]
	v_mov_b32_e32 v2, s10
	s_xor_b64 exec, exec, s[6:7]
	s_cbranch_execnz .LBB1_15860
; %bb.51697:
	s_getpc_b64 s[14:15]
.Lpost_getpc11512:
	s_add_u32 s14, s14, (.LBB1_1522-.Lpost_getpc11512)&4294967295
	s_addc_u32 s15, s15, (.LBB1_1522-.Lpost_getpc11512)>>32
	s_setpc_b64 s[14:15]
.LBB1_15860:
	v_cmp_ne_u16_e32 vcc, 0, v3
	s_andn2_b64 s[4:5], s[4:5], exec
	s_and_b64 s[8:9], vcc, exec
	v_mov_b32_e32 v2, 0
	s_or_b64 s[4:5], s[4:5], s[8:9]
	s_or_b64 exec, exec, s[6:7]
	s_and_saveexec_b64 s[6:7], s[4:5]
	s_cbranch_execz .LBB1_29433
; %bb.51699:
	s_getpc_b64 s[14:15]
.Lpost_getpc11513:
	s_add_u32 s14, s14, (.LBB1_1523-.Lpost_getpc11513)&4294967295
	s_addc_u32 s15, s15, (.LBB1_1523-.Lpost_getpc11513)>>32
	s_setpc_b64 s[14:15]
.LBB1_29433:
	s_getpc_b64 s[14:15]
.Lpost_getpc380:
	s_add_u32 s14, s14, (.LBB1_1524-.Lpost_getpc380)&4294967295
	s_addc_u32 s15, s15, (.LBB1_1524-.Lpost_getpc380)>>32
	s_setpc_b64 s[14:15]
.LBB1_15861:
	s_movk_i32 s4, 0x80
	v_cmp_eq_u16_e32 vcc, s4, v3
	s_mov_b64 s[4:5], -1
                                        ; implicit-def: $sgpr10
	s_and_saveexec_b64 s[8:9], vcc
; %bb.15862:
	s_mov_b32 s10, 0x7f800001
	s_xor_b64 s[4:5], exec, -1
; %bb.15863:
	s_or_b64 exec, exec, s[8:9]
	s_and_b64 s[4:5], s[4:5], exec
                                        ; implicit-def: $vgpr3
	s_or_saveexec_b64 s[6:7], s[6:7]
	v_mov_b32_e32 v4, s10
	s_xor_b64 exec, exec, s[6:7]
	s_cbranch_execnz .LBB1_15864
; %bb.51701:
	s_getpc_b64 s[14:15]
.Lpost_getpc11514:
	s_add_u32 s14, s14, (.LBB1_1526-.Lpost_getpc11514)&4294967295
	s_addc_u32 s15, s15, (.LBB1_1526-.Lpost_getpc11514)>>32
	s_setpc_b64 s[14:15]
.LBB1_15864:
	v_cmp_ne_u16_e32 vcc, 0, v3
	s_andn2_b64 s[4:5], s[4:5], exec
	s_and_b64 s[8:9], vcc, exec
	v_mov_b32_e32 v4, 0
	s_or_b64 s[4:5], s[4:5], s[8:9]
	s_or_b64 exec, exec, s[6:7]
	s_and_saveexec_b64 s[6:7], s[4:5]
	s_cbranch_execz .LBB1_29435
; %bb.51703:
	s_getpc_b64 s[14:15]
.Lpost_getpc11515:
	s_add_u32 s14, s14, (.LBB1_1527-.Lpost_getpc11515)&4294967295
	s_addc_u32 s15, s15, (.LBB1_1527-.Lpost_getpc11515)>>32
	s_setpc_b64 s[14:15]
.LBB1_29435:
	s_getpc_b64 s[14:15]
.Lpost_getpc381:
	s_add_u32 s14, s14, (.LBB1_1528-.Lpost_getpc381)&4294967295
	s_addc_u32 s15, s15, (.LBB1_1528-.Lpost_getpc381)>>32
	s_setpc_b64 s[14:15]
.LBB1_15865:
	s_movk_i32 s4, 0x80
	v_cmp_eq_u16_sdwa s[12:13], v9, s4 src0_sel:BYTE_3 src1_sel:DWORD
	s_mov_b64 s[4:5], -1
                                        ; implicit-def: $sgpr10
	s_and_saveexec_b64 s[8:9], s[12:13]
; %bb.15866:
	s_mov_b32 s10, 0x7f800001
	s_xor_b64 s[4:5], exec, -1
; %bb.15867:
	s_or_b64 exec, exec, s[8:9]
	s_and_b64 s[4:5], s[4:5], exec
	s_or_saveexec_b64 s[6:7], s[6:7]
	v_mov_b32_e32 v2, s10
	s_xor_b64 exec, exec, s[6:7]
	s_cbranch_execnz .LBB1_15868
; %bb.51705:
	s_getpc_b64 s[14:15]
.Lpost_getpc11516:
	s_add_u32 s14, s14, (.LBB1_1530-.Lpost_getpc11516)&4294967295
	s_addc_u32 s15, s15, (.LBB1_1530-.Lpost_getpc11516)>>32
	s_setpc_b64 s[14:15]
.LBB1_15868:
	v_mov_b32_e32 v2, 0
	v_cmp_ne_u16_sdwa s[8:9], v9, v2 src0_sel:BYTE_3 src1_sel:DWORD
	s_andn2_b64 s[4:5], s[4:5], exec
	s_and_b64 s[8:9], s[8:9], exec
	s_or_b64 s[4:5], s[4:5], s[8:9]
	s_or_b64 exec, exec, s[6:7]
	s_and_saveexec_b64 s[6:7], s[4:5]
	s_cbranch_execz .LBB1_29437
; %bb.51707:
	s_getpc_b64 s[14:15]
.Lpost_getpc11517:
	s_add_u32 s14, s14, (.LBB1_1531-.Lpost_getpc11517)&4294967295
	s_addc_u32 s15, s15, (.LBB1_1531-.Lpost_getpc11517)>>32
	s_setpc_b64 s[14:15]
.LBB1_29437:
	s_getpc_b64 s[14:15]
.Lpost_getpc382:
	s_add_u32 s14, s14, (.LBB1_1532-.Lpost_getpc382)&4294967295
	s_addc_u32 s15, s15, (.LBB1_1532-.Lpost_getpc382)>>32
	s_setpc_b64 s[14:15]
.LBB1_15869:
	s_movk_i32 s4, 0x80
	v_cmp_eq_u16_sdwa s[12:13], v5, s4 src0_sel:BYTE_3 src1_sel:DWORD
	s_mov_b64 s[4:5], -1
                                        ; implicit-def: $sgpr10
	s_and_saveexec_b64 s[8:9], s[12:13]
; %bb.15870:
	s_mov_b32 s10, 0x7f800001
	s_xor_b64 s[4:5], exec, -1
; %bb.15871:
	s_or_b64 exec, exec, s[8:9]
	s_and_b64 s[4:5], s[4:5], exec
	s_or_saveexec_b64 s[6:7], s[6:7]
	v_mov_b32_e32 v3, s10
	s_xor_b64 exec, exec, s[6:7]
	s_cbranch_execnz .LBB1_15872
; %bb.51709:
	s_getpc_b64 s[14:15]
.Lpost_getpc11518:
	s_add_u32 s14, s14, (.LBB1_1534-.Lpost_getpc11518)&4294967295
	s_addc_u32 s15, s15, (.LBB1_1534-.Lpost_getpc11518)>>32
	s_setpc_b64 s[14:15]
.LBB1_15872:
	v_mov_b32_e32 v3, 0
	v_cmp_ne_u16_sdwa s[8:9], v5, v3 src0_sel:BYTE_3 src1_sel:DWORD
	s_andn2_b64 s[4:5], s[4:5], exec
	s_and_b64 s[8:9], s[8:9], exec
	s_or_b64 s[4:5], s[4:5], s[8:9]
	s_or_b64 exec, exec, s[6:7]
	s_and_saveexec_b64 s[6:7], s[4:5]
	s_cbranch_execz .LBB1_29439
; %bb.51711:
	s_getpc_b64 s[14:15]
.Lpost_getpc11519:
	s_add_u32 s14, s14, (.LBB1_1535-.Lpost_getpc11519)&4294967295
	s_addc_u32 s15, s15, (.LBB1_1535-.Lpost_getpc11519)>>32
	s_setpc_b64 s[14:15]
.LBB1_29439:
	s_getpc_b64 s[14:15]
.Lpost_getpc383:
	s_add_u32 s14, s14, (.LBB1_1536-.Lpost_getpc383)&4294967295
	s_addc_u32 s15, s15, (.LBB1_1536-.Lpost_getpc383)>>32
	s_setpc_b64 s[14:15]
.LBB1_15873:
	s_movk_i32 s4, 0x80
	v_cmp_eq_u16_sdwa s[12:13], v6, s4 src0_sel:BYTE_0 src1_sel:DWORD
	s_mov_b64 s[4:5], -1
                                        ; implicit-def: $sgpr10
	s_and_saveexec_b64 s[8:9], s[12:13]
; %bb.15874:
	s_mov_b32 s10, 0x7f800001
	s_xor_b64 s[4:5], exec, -1
; %bb.15875:
	s_or_b64 exec, exec, s[8:9]
	s_and_b64 s[4:5], s[4:5], exec
	s_or_saveexec_b64 s[6:7], s[6:7]
	v_mov_b32_e32 v12, s10
	s_xor_b64 exec, exec, s[6:7]
	s_cbranch_execnz .LBB1_15876
; %bb.51713:
	s_getpc_b64 s[14:15]
.Lpost_getpc11520:
	s_add_u32 s14, s14, (.LBB1_1538-.Lpost_getpc11520)&4294967295
	s_addc_u32 s15, s15, (.LBB1_1538-.Lpost_getpc11520)>>32
	s_setpc_b64 s[14:15]
.LBB1_15876:
	v_mov_b32_e32 v12, 0
	v_cmp_ne_u16_sdwa s[8:9], v6, v12 src0_sel:BYTE_0 src1_sel:DWORD
	s_andn2_b64 s[4:5], s[4:5], exec
	s_and_b64 s[8:9], s[8:9], exec
	s_or_b64 s[4:5], s[4:5], s[8:9]
	s_or_b64 exec, exec, s[6:7]
	s_and_saveexec_b64 s[6:7], s[4:5]
	s_cbranch_execz .LBB1_29441
; %bb.51715:
	s_getpc_b64 s[14:15]
.Lpost_getpc11521:
	s_add_u32 s14, s14, (.LBB1_1539-.Lpost_getpc11521)&4294967295
	s_addc_u32 s15, s15, (.LBB1_1539-.Lpost_getpc11521)>>32
	s_setpc_b64 s[14:15]
.LBB1_29441:
	s_getpc_b64 s[14:15]
.Lpost_getpc384:
	s_add_u32 s14, s14, (.LBB1_1540-.Lpost_getpc384)&4294967295
	s_addc_u32 s15, s15, (.LBB1_1540-.Lpost_getpc384)>>32
	s_setpc_b64 s[14:15]
.LBB1_15877:
	s_movk_i32 s4, 0x80
	v_cmp_eq_u16_sdwa s[12:13], v2, s4 src0_sel:BYTE_0 src1_sel:DWORD
	s_mov_b64 s[4:5], -1
                                        ; implicit-def: $sgpr10
	s_and_saveexec_b64 s[8:9], s[12:13]
; %bb.15878:
	s_mov_b32 s10, 0x7f800001
	s_xor_b64 s[4:5], exec, -1
; %bb.15879:
	s_or_b64 exec, exec, s[8:9]
	s_and_b64 s[4:5], s[4:5], exec
	s_or_saveexec_b64 s[6:7], s[6:7]
	v_mov_b32_e32 v13, s10
	s_xor_b64 exec, exec, s[6:7]
	s_cbranch_execnz .LBB1_15880
; %bb.51717:
	s_getpc_b64 s[14:15]
.Lpost_getpc11522:
	s_add_u32 s14, s14, (.LBB1_1542-.Lpost_getpc11522)&4294967295
	s_addc_u32 s15, s15, (.LBB1_1542-.Lpost_getpc11522)>>32
	s_setpc_b64 s[14:15]
.LBB1_15880:
	v_mov_b32_e32 v13, 0
	v_cmp_ne_u16_sdwa s[8:9], v2, v13 src0_sel:BYTE_0 src1_sel:DWORD
	s_andn2_b64 s[4:5], s[4:5], exec
	s_and_b64 s[8:9], s[8:9], exec
	s_or_b64 s[4:5], s[4:5], s[8:9]
	s_or_b64 exec, exec, s[6:7]
	s_and_saveexec_b64 s[6:7], s[4:5]
	s_cbranch_execz .LBB1_29443
; %bb.51719:
	s_getpc_b64 s[14:15]
.Lpost_getpc11523:
	s_add_u32 s14, s14, (.LBB1_1543-.Lpost_getpc11523)&4294967295
	s_addc_u32 s15, s15, (.LBB1_1543-.Lpost_getpc11523)>>32
	s_setpc_b64 s[14:15]
.LBB1_29443:
	s_getpc_b64 s[14:15]
.Lpost_getpc385:
	s_add_u32 s14, s14, (.LBB1_1544-.Lpost_getpc385)&4294967295
	s_addc_u32 s15, s15, (.LBB1_1544-.Lpost_getpc385)>>32
	s_setpc_b64 s[14:15]
.LBB1_15881:
	s_movk_i32 s4, 0x80
	v_cmp_eq_u16_sdwa s[12:13], v13, s4 src0_sel:BYTE_0 src1_sel:DWORD
	s_mov_b64 s[4:5], -1
                                        ; implicit-def: $sgpr10
	s_and_saveexec_b64 s[8:9], s[12:13]
; %bb.15882:
	s_mov_b32 s10, 0x7f800001
	s_xor_b64 s[4:5], exec, -1
; %bb.15883:
	s_or_b64 exec, exec, s[8:9]
	s_and_b64 s[4:5], s[4:5], exec
	s_or_saveexec_b64 s[6:7], s[6:7]
	v_mov_b32_e32 v12, s10
	s_xor_b64 exec, exec, s[6:7]
	s_cbranch_execnz .LBB1_15884
; %bb.51721:
	s_getpc_b64 s[14:15]
.Lpost_getpc11524:
	s_add_u32 s14, s14, (.LBB1_1546-.Lpost_getpc11524)&4294967295
	s_addc_u32 s15, s15, (.LBB1_1546-.Lpost_getpc11524)>>32
	s_setpc_b64 s[14:15]
.LBB1_15884:
	v_mov_b32_e32 v12, 0
	v_cmp_ne_u16_sdwa s[8:9], v13, v12 src0_sel:BYTE_0 src1_sel:DWORD
	s_andn2_b64 s[4:5], s[4:5], exec
	s_and_b64 s[8:9], s[8:9], exec
	s_or_b64 s[4:5], s[4:5], s[8:9]
	s_or_b64 exec, exec, s[6:7]
	s_and_saveexec_b64 s[6:7], s[4:5]
	s_cbranch_execz .LBB1_29445
; %bb.51723:
	s_getpc_b64 s[14:15]
.Lpost_getpc11525:
	s_add_u32 s14, s14, (.LBB1_1547-.Lpost_getpc11525)&4294967295
	s_addc_u32 s15, s15, (.LBB1_1547-.Lpost_getpc11525)>>32
	s_setpc_b64 s[14:15]
.LBB1_29445:
	s_getpc_b64 s[14:15]
.Lpost_getpc386:
	s_add_u32 s14, s14, (.LBB1_1548-.Lpost_getpc386)&4294967295
	s_addc_u32 s15, s15, (.LBB1_1548-.Lpost_getpc386)>>32
	s_setpc_b64 s[14:15]
.LBB1_15885:
	s_movk_i32 s4, 0x80
	v_cmp_eq_u16_sdwa s[12:13], v13, s4 src0_sel:BYTE_0 src1_sel:DWORD
	s_mov_b64 s[4:5], -1
                                        ; implicit-def: $sgpr10
	s_and_saveexec_b64 s[8:9], s[12:13]
; %bb.15886:
	s_mov_b32 s10, 0x7f800001
	s_xor_b64 s[4:5], exec, -1
; %bb.15887:
	s_or_b64 exec, exec, s[8:9]
	s_and_b64 s[4:5], s[4:5], exec
	s_or_saveexec_b64 s[6:7], s[6:7]
	v_mov_b32_e32 v14, s10
	s_xor_b64 exec, exec, s[6:7]
	s_cbranch_execnz .LBB1_15888
; %bb.51725:
	s_getpc_b64 s[14:15]
.Lpost_getpc11526:
	s_add_u32 s14, s14, (.LBB1_1550-.Lpost_getpc11526)&4294967295
	s_addc_u32 s15, s15, (.LBB1_1550-.Lpost_getpc11526)>>32
	s_setpc_b64 s[14:15]
.LBB1_15888:
	v_mov_b32_e32 v14, 0
	v_cmp_ne_u16_sdwa s[8:9], v13, v14 src0_sel:BYTE_0 src1_sel:DWORD
	s_andn2_b64 s[4:5], s[4:5], exec
	s_and_b64 s[8:9], s[8:9], exec
	s_or_b64 s[4:5], s[4:5], s[8:9]
	s_or_b64 exec, exec, s[6:7]
	s_and_saveexec_b64 s[6:7], s[4:5]
	s_cbranch_execz .LBB1_29447
; %bb.51727:
	s_getpc_b64 s[14:15]
.Lpost_getpc11527:
	s_add_u32 s14, s14, (.LBB1_1551-.Lpost_getpc11527)&4294967295
	s_addc_u32 s15, s15, (.LBB1_1551-.Lpost_getpc11527)>>32
	s_setpc_b64 s[14:15]
.LBB1_29447:
	s_getpc_b64 s[14:15]
.Lpost_getpc387:
	s_add_u32 s14, s14, (.LBB1_1552-.Lpost_getpc387)&4294967295
	s_addc_u32 s15, s15, (.LBB1_1552-.Lpost_getpc387)>>32
	s_setpc_b64 s[14:15]
.LBB1_15889:
	s_movk_i32 s4, 0x80
	v_cmp_eq_u16_e32 vcc, s4, v13
	s_mov_b64 s[4:5], -1
                                        ; implicit-def: $sgpr10
	s_and_saveexec_b64 s[8:9], vcc
; %bb.15890:
	s_mov_b32 s10, 0x7f800001
	s_xor_b64 s[4:5], exec, -1
; %bb.15891:
	s_or_b64 exec, exec, s[8:9]
	s_and_b64 s[4:5], s[4:5], exec
                                        ; implicit-def: $vgpr13
	s_or_saveexec_b64 s[6:7], s[6:7]
	v_mov_b32_e32 v12, s10
	s_xor_b64 exec, exec, s[6:7]
	s_cbranch_execnz .LBB1_15892
; %bb.51729:
	s_getpc_b64 s[14:15]
.Lpost_getpc11528:
	s_add_u32 s14, s14, (.LBB1_1554-.Lpost_getpc11528)&4294967295
	s_addc_u32 s15, s15, (.LBB1_1554-.Lpost_getpc11528)>>32
	s_setpc_b64 s[14:15]
.LBB1_15892:
	v_cmp_ne_u16_e32 vcc, 0, v13
	s_andn2_b64 s[4:5], s[4:5], exec
	s_and_b64 s[8:9], vcc, exec
	v_mov_b32_e32 v12, 0
	s_or_b64 s[4:5], s[4:5], s[8:9]
	s_or_b64 exec, exec, s[6:7]
	s_and_saveexec_b64 s[6:7], s[4:5]
	s_cbranch_execz .LBB1_29449
; %bb.51731:
	s_getpc_b64 s[14:15]
.Lpost_getpc11529:
	s_add_u32 s14, s14, (.LBB1_1555-.Lpost_getpc11529)&4294967295
	s_addc_u32 s15, s15, (.LBB1_1555-.Lpost_getpc11529)>>32
	s_setpc_b64 s[14:15]
.LBB1_29449:
	s_getpc_b64 s[14:15]
.Lpost_getpc388:
	s_add_u32 s14, s14, (.LBB1_1556-.Lpost_getpc388)&4294967295
	s_addc_u32 s15, s15, (.LBB1_1556-.Lpost_getpc388)>>32
	s_setpc_b64 s[14:15]
.LBB1_15893:
	s_movk_i32 s4, 0x80
	v_cmp_eq_u16_e32 vcc, s4, v13
	s_mov_b64 s[4:5], -1
                                        ; implicit-def: $sgpr10
	s_and_saveexec_b64 s[8:9], vcc
; %bb.15894:
	s_mov_b32 s10, 0x7f800001
	s_xor_b64 s[4:5], exec, -1
; %bb.15895:
	s_or_b64 exec, exec, s[8:9]
	s_and_b64 s[4:5], s[4:5], exec
                                        ; implicit-def: $vgpr13
	s_or_saveexec_b64 s[6:7], s[6:7]
	v_mov_b32_e32 v14, s10
	s_xor_b64 exec, exec, s[6:7]
	s_cbranch_execnz .LBB1_15896
; %bb.51733:
	s_getpc_b64 s[14:15]
.Lpost_getpc11530:
	s_add_u32 s14, s14, (.LBB1_1558-.Lpost_getpc11530)&4294967295
	s_addc_u32 s15, s15, (.LBB1_1558-.Lpost_getpc11530)>>32
	s_setpc_b64 s[14:15]
.LBB1_15896:
	v_cmp_ne_u16_e32 vcc, 0, v13
	s_andn2_b64 s[4:5], s[4:5], exec
	s_and_b64 s[8:9], vcc, exec
	v_mov_b32_e32 v14, 0
	s_or_b64 s[4:5], s[4:5], s[8:9]
	s_or_b64 exec, exec, s[6:7]
	s_and_saveexec_b64 s[6:7], s[4:5]
	s_cbranch_execz .LBB1_29451
; %bb.51735:
	s_getpc_b64 s[14:15]
.Lpost_getpc11531:
	s_add_u32 s14, s14, (.LBB1_1559-.Lpost_getpc11531)&4294967295
	s_addc_u32 s15, s15, (.LBB1_1559-.Lpost_getpc11531)>>32
	s_setpc_b64 s[14:15]
.LBB1_29451:
	s_getpc_b64 s[14:15]
.Lpost_getpc389:
	s_add_u32 s14, s14, (.LBB1_1560-.Lpost_getpc389)&4294967295
	s_addc_u32 s15, s15, (.LBB1_1560-.Lpost_getpc389)>>32
	s_setpc_b64 s[14:15]
.LBB1_15897:
	s_movk_i32 s4, 0x80
	v_cmp_eq_u16_sdwa s[12:13], v6, s4 src0_sel:BYTE_3 src1_sel:DWORD
	s_mov_b64 s[4:5], -1
                                        ; implicit-def: $sgpr10
	s_and_saveexec_b64 s[8:9], s[12:13]
; %bb.15898:
	s_mov_b32 s10, 0x7f800001
	s_xor_b64 s[4:5], exec, -1
; %bb.15899:
	s_or_b64 exec, exec, s[8:9]
	s_and_b64 s[4:5], s[4:5], exec
	s_or_saveexec_b64 s[6:7], s[6:7]
	v_mov_b32_e32 v12, s10
	s_xor_b64 exec, exec, s[6:7]
	s_cbranch_execnz .LBB1_15900
; %bb.51737:
	s_getpc_b64 s[14:15]
.Lpost_getpc11532:
	s_add_u32 s14, s14, (.LBB1_1562-.Lpost_getpc11532)&4294967295
	s_addc_u32 s15, s15, (.LBB1_1562-.Lpost_getpc11532)>>32
	s_setpc_b64 s[14:15]
.LBB1_15900:
	v_mov_b32_e32 v12, 0
	v_cmp_ne_u16_sdwa s[8:9], v6, v12 src0_sel:BYTE_3 src1_sel:DWORD
	s_andn2_b64 s[4:5], s[4:5], exec
	s_and_b64 s[8:9], s[8:9], exec
	s_or_b64 s[4:5], s[4:5], s[8:9]
	s_or_b64 exec, exec, s[6:7]
	s_and_saveexec_b64 s[6:7], s[4:5]
	s_cbranch_execz .LBB1_29453
; %bb.51739:
	s_getpc_b64 s[14:15]
.Lpost_getpc11533:
	s_add_u32 s14, s14, (.LBB1_1563-.Lpost_getpc11533)&4294967295
	s_addc_u32 s15, s15, (.LBB1_1563-.Lpost_getpc11533)>>32
	s_setpc_b64 s[14:15]
.LBB1_29453:
	s_getpc_b64 s[14:15]
.Lpost_getpc390:
	s_add_u32 s14, s14, (.LBB1_1564-.Lpost_getpc390)&4294967295
	s_addc_u32 s15, s15, (.LBB1_1564-.Lpost_getpc390)>>32
	s_setpc_b64 s[14:15]
.LBB1_15901:
	s_movk_i32 s4, 0x80
	v_cmp_eq_u16_sdwa s[12:13], v2, s4 src0_sel:BYTE_3 src1_sel:DWORD
	s_mov_b64 s[4:5], -1
                                        ; implicit-def: $sgpr10
	s_and_saveexec_b64 s[8:9], s[12:13]
; %bb.15902:
	s_mov_b32 s10, 0x7f800001
	s_xor_b64 s[4:5], exec, -1
; %bb.15903:
	s_or_b64 exec, exec, s[8:9]
	s_and_b64 s[4:5], s[4:5], exec
	s_or_saveexec_b64 s[6:7], s[6:7]
	v_mov_b32_e32 v6, s10
	s_xor_b64 exec, exec, s[6:7]
	s_cbranch_execnz .LBB1_15904
; %bb.51741:
	s_getpc_b64 s[14:15]
.Lpost_getpc11534:
	s_add_u32 s14, s14, (.LBB1_1566-.Lpost_getpc11534)&4294967295
	s_addc_u32 s15, s15, (.LBB1_1566-.Lpost_getpc11534)>>32
	s_setpc_b64 s[14:15]
.LBB1_15904:
	v_mov_b32_e32 v6, 0
	v_cmp_ne_u16_sdwa s[8:9], v2, v6 src0_sel:BYTE_3 src1_sel:DWORD
	s_andn2_b64 s[4:5], s[4:5], exec
	s_and_b64 s[8:9], s[8:9], exec
	s_or_b64 s[4:5], s[4:5], s[8:9]
	s_or_b64 exec, exec, s[6:7]
	s_and_saveexec_b64 s[6:7], s[4:5]
	s_cbranch_execz .LBB1_29455
; %bb.51743:
	s_getpc_b64 s[14:15]
.Lpost_getpc11535:
	s_add_u32 s14, s14, (.LBB1_1567-.Lpost_getpc11535)&4294967295
	s_addc_u32 s15, s15, (.LBB1_1567-.Lpost_getpc11535)>>32
	s_setpc_b64 s[14:15]
.LBB1_29455:
	s_getpc_b64 s[14:15]
.Lpost_getpc391:
	s_add_u32 s14, s14, (.LBB1_1568-.Lpost_getpc391)&4294967295
	s_addc_u32 s15, s15, (.LBB1_1568-.Lpost_getpc391)>>32
	s_setpc_b64 s[14:15]
.LBB1_15905:
	s_movk_i32 s4, 0x80
	v_cmp_eq_u16_sdwa s[12:13], v7, s4 src0_sel:BYTE_0 src1_sel:DWORD
	s_mov_b64 s[4:5], -1
                                        ; implicit-def: $sgpr10
	s_and_saveexec_b64 s[8:9], s[12:13]
; %bb.15906:
	s_mov_b32 s10, 0x7f800001
	s_xor_b64 s[4:5], exec, -1
; %bb.15907:
	s_or_b64 exec, exec, s[8:9]
	s_and_b64 s[4:5], s[4:5], exec
	s_or_saveexec_b64 s[6:7], s[6:7]
	v_mov_b32_e32 v2, s10
	s_xor_b64 exec, exec, s[6:7]
	s_cbranch_execnz .LBB1_15908
; %bb.51745:
	s_getpc_b64 s[14:15]
.Lpost_getpc11536:
	s_add_u32 s14, s14, (.LBB1_1570-.Lpost_getpc11536)&4294967295
	s_addc_u32 s15, s15, (.LBB1_1570-.Lpost_getpc11536)>>32
	s_setpc_b64 s[14:15]
.LBB1_15908:
	v_mov_b32_e32 v2, 0
	v_cmp_ne_u16_sdwa s[8:9], v7, v2 src0_sel:BYTE_0 src1_sel:DWORD
	s_andn2_b64 s[4:5], s[4:5], exec
	s_and_b64 s[8:9], s[8:9], exec
	s_or_b64 s[4:5], s[4:5], s[8:9]
	s_or_b64 exec, exec, s[6:7]
	s_and_saveexec_b64 s[6:7], s[4:5]
	s_cbranch_execz .LBB1_29457
; %bb.51747:
	s_getpc_b64 s[14:15]
.Lpost_getpc11537:
	s_add_u32 s14, s14, (.LBB1_1571-.Lpost_getpc11537)&4294967295
	s_addc_u32 s15, s15, (.LBB1_1571-.Lpost_getpc11537)>>32
	s_setpc_b64 s[14:15]
.LBB1_29457:
	s_getpc_b64 s[14:15]
.Lpost_getpc392:
	s_add_u32 s14, s14, (.LBB1_1572-.Lpost_getpc392)&4294967295
	s_addc_u32 s15, s15, (.LBB1_1572-.Lpost_getpc392)>>32
	s_setpc_b64 s[14:15]
.LBB1_15909:
	s_movk_i32 s4, 0x80
	v_cmp_eq_u16_sdwa s[12:13], v3, s4 src0_sel:BYTE_0 src1_sel:DWORD
	s_mov_b64 s[4:5], -1
                                        ; implicit-def: $sgpr10
	s_and_saveexec_b64 s[8:9], s[12:13]
; %bb.15910:
	s_mov_b32 s10, 0x7f800001
	s_xor_b64 s[4:5], exec, -1
; %bb.15911:
	s_or_b64 exec, exec, s[8:9]
	s_and_b64 s[4:5], s[4:5], exec
	s_or_saveexec_b64 s[6:7], s[6:7]
	v_mov_b32_e32 v6, s10
	s_xor_b64 exec, exec, s[6:7]
	s_cbranch_execnz .LBB1_15912
; %bb.51749:
	s_getpc_b64 s[14:15]
.Lpost_getpc11538:
	s_add_u32 s14, s14, (.LBB1_1574-.Lpost_getpc11538)&4294967295
	s_addc_u32 s15, s15, (.LBB1_1574-.Lpost_getpc11538)>>32
	s_setpc_b64 s[14:15]
.LBB1_15912:
	v_mov_b32_e32 v6, 0
	v_cmp_ne_u16_sdwa s[8:9], v3, v6 src0_sel:BYTE_0 src1_sel:DWORD
	s_andn2_b64 s[4:5], s[4:5], exec
	s_and_b64 s[8:9], s[8:9], exec
	s_or_b64 s[4:5], s[4:5], s[8:9]
	s_or_b64 exec, exec, s[6:7]
	s_and_saveexec_b64 s[6:7], s[4:5]
	s_cbranch_execz .LBB1_29459
; %bb.51751:
	s_getpc_b64 s[14:15]
.Lpost_getpc11539:
	s_add_u32 s14, s14, (.LBB1_1575-.Lpost_getpc11539)&4294967295
	s_addc_u32 s15, s15, (.LBB1_1575-.Lpost_getpc11539)>>32
	s_setpc_b64 s[14:15]
.LBB1_29459:
	s_getpc_b64 s[14:15]
.Lpost_getpc393:
	s_add_u32 s14, s14, (.LBB1_1576-.Lpost_getpc393)&4294967295
	s_addc_u32 s15, s15, (.LBB1_1576-.Lpost_getpc393)>>32
	s_setpc_b64 s[14:15]
.LBB1_15913:
	s_movk_i32 s4, 0x80
	v_cmp_eq_u16_sdwa s[12:13], v6, s4 src0_sel:BYTE_0 src1_sel:DWORD
	s_mov_b64 s[4:5], -1
                                        ; implicit-def: $sgpr10
	s_and_saveexec_b64 s[8:9], s[12:13]
; %bb.15914:
	s_mov_b32 s10, 0x7f800001
	s_xor_b64 s[4:5], exec, -1
; %bb.15915:
	s_or_b64 exec, exec, s[8:9]
	s_and_b64 s[4:5], s[4:5], exec
	s_or_saveexec_b64 s[6:7], s[6:7]
	v_mov_b32_e32 v2, s10
	s_xor_b64 exec, exec, s[6:7]
	s_cbranch_execnz .LBB1_15916
; %bb.51753:
	s_getpc_b64 s[14:15]
.Lpost_getpc11540:
	s_add_u32 s14, s14, (.LBB1_1578-.Lpost_getpc11540)&4294967295
	s_addc_u32 s15, s15, (.LBB1_1578-.Lpost_getpc11540)>>32
	s_setpc_b64 s[14:15]
.LBB1_15916:
	v_mov_b32_e32 v2, 0
	v_cmp_ne_u16_sdwa s[8:9], v6, v2 src0_sel:BYTE_0 src1_sel:DWORD
	s_andn2_b64 s[4:5], s[4:5], exec
	s_and_b64 s[8:9], s[8:9], exec
	s_or_b64 s[4:5], s[4:5], s[8:9]
	s_or_b64 exec, exec, s[6:7]
	s_and_saveexec_b64 s[6:7], s[4:5]
	s_cbranch_execz .LBB1_29461
; %bb.51755:
	s_getpc_b64 s[14:15]
.Lpost_getpc11541:
	s_add_u32 s14, s14, (.LBB1_1579-.Lpost_getpc11541)&4294967295
	s_addc_u32 s15, s15, (.LBB1_1579-.Lpost_getpc11541)>>32
	s_setpc_b64 s[14:15]
.LBB1_29461:
	s_getpc_b64 s[14:15]
.Lpost_getpc394:
	s_add_u32 s14, s14, (.LBB1_1580-.Lpost_getpc394)&4294967295
	s_addc_u32 s15, s15, (.LBB1_1580-.Lpost_getpc394)>>32
	s_setpc_b64 s[14:15]
.LBB1_15917:
	s_movk_i32 s4, 0x80
	v_cmp_eq_u16_sdwa s[12:13], v6, s4 src0_sel:BYTE_0 src1_sel:DWORD
	s_mov_b64 s[4:5], -1
                                        ; implicit-def: $sgpr10
	s_and_saveexec_b64 s[8:9], s[12:13]
; %bb.15918:
	s_mov_b32 s10, 0x7f800001
	s_xor_b64 s[4:5], exec, -1
; %bb.15919:
	s_or_b64 exec, exec, s[8:9]
	s_and_b64 s[4:5], s[4:5], exec
	s_or_saveexec_b64 s[6:7], s[6:7]
	v_mov_b32_e32 v12, s10
	s_xor_b64 exec, exec, s[6:7]
	s_cbranch_execnz .LBB1_15920
; %bb.51757:
	s_getpc_b64 s[14:15]
.Lpost_getpc11542:
	s_add_u32 s14, s14, (.LBB1_1582-.Lpost_getpc11542)&4294967295
	s_addc_u32 s15, s15, (.LBB1_1582-.Lpost_getpc11542)>>32
	s_setpc_b64 s[14:15]
.LBB1_15920:
	v_mov_b32_e32 v12, 0
	v_cmp_ne_u16_sdwa s[8:9], v6, v12 src0_sel:BYTE_0 src1_sel:DWORD
	s_andn2_b64 s[4:5], s[4:5], exec
	s_and_b64 s[8:9], s[8:9], exec
	s_or_b64 s[4:5], s[4:5], s[8:9]
	s_or_b64 exec, exec, s[6:7]
	s_and_saveexec_b64 s[6:7], s[4:5]
	s_cbranch_execz .LBB1_29463
; %bb.51759:
	s_getpc_b64 s[14:15]
.Lpost_getpc11543:
	s_add_u32 s14, s14, (.LBB1_1583-.Lpost_getpc11543)&4294967295
	s_addc_u32 s15, s15, (.LBB1_1583-.Lpost_getpc11543)>>32
	s_setpc_b64 s[14:15]
.LBB1_29463:
	s_getpc_b64 s[14:15]
.Lpost_getpc395:
	s_add_u32 s14, s14, (.LBB1_1584-.Lpost_getpc395)&4294967295
	s_addc_u32 s15, s15, (.LBB1_1584-.Lpost_getpc395)>>32
	s_setpc_b64 s[14:15]
.LBB1_15921:
	s_movk_i32 s4, 0x80
	v_cmp_eq_u16_e32 vcc, s4, v6
	s_mov_b64 s[4:5], -1
                                        ; implicit-def: $sgpr10
	s_and_saveexec_b64 s[8:9], vcc
; %bb.15922:
	s_mov_b32 s10, 0x7f800001
	s_xor_b64 s[4:5], exec, -1
; %bb.15923:
	s_or_b64 exec, exec, s[8:9]
	s_and_b64 s[4:5], s[4:5], exec
                                        ; implicit-def: $vgpr6
	s_or_saveexec_b64 s[6:7], s[6:7]
	v_mov_b32_e32 v2, s10
	s_xor_b64 exec, exec, s[6:7]
	s_cbranch_execnz .LBB1_15924
; %bb.51761:
	s_getpc_b64 s[14:15]
.Lpost_getpc11544:
	s_add_u32 s14, s14, (.LBB1_1586-.Lpost_getpc11544)&4294967295
	s_addc_u32 s15, s15, (.LBB1_1586-.Lpost_getpc11544)>>32
	s_setpc_b64 s[14:15]
.LBB1_15924:
	v_cmp_ne_u16_e32 vcc, 0, v6
	s_andn2_b64 s[4:5], s[4:5], exec
	s_and_b64 s[8:9], vcc, exec
	v_mov_b32_e32 v2, 0
	s_or_b64 s[4:5], s[4:5], s[8:9]
	s_or_b64 exec, exec, s[6:7]
	s_and_saveexec_b64 s[6:7], s[4:5]
	s_cbranch_execz .LBB1_29465
; %bb.51763:
	s_getpc_b64 s[14:15]
.Lpost_getpc11545:
	s_add_u32 s14, s14, (.LBB1_1587-.Lpost_getpc11545)&4294967295
	s_addc_u32 s15, s15, (.LBB1_1587-.Lpost_getpc11545)>>32
	s_setpc_b64 s[14:15]
.LBB1_29465:
	s_getpc_b64 s[14:15]
.Lpost_getpc396:
	s_add_u32 s14, s14, (.LBB1_1588-.Lpost_getpc396)&4294967295
	s_addc_u32 s15, s15, (.LBB1_1588-.Lpost_getpc396)>>32
	s_setpc_b64 s[14:15]
.LBB1_15925:
	s_movk_i32 s4, 0x80
	v_cmp_eq_u16_e32 vcc, s4, v6
	s_mov_b64 s[4:5], -1
                                        ; implicit-def: $sgpr10
	s_and_saveexec_b64 s[8:9], vcc
; %bb.15926:
	s_mov_b32 s10, 0x7f800001
	s_xor_b64 s[4:5], exec, -1
; %bb.15927:
	s_or_b64 exec, exec, s[8:9]
	s_and_b64 s[4:5], s[4:5], exec
                                        ; implicit-def: $vgpr6
	s_or_saveexec_b64 s[6:7], s[6:7]
	v_mov_b32_e32 v12, s10
	s_xor_b64 exec, exec, s[6:7]
	s_cbranch_execnz .LBB1_15928
; %bb.51765:
	s_getpc_b64 s[14:15]
.Lpost_getpc11546:
	s_add_u32 s14, s14, (.LBB1_1590-.Lpost_getpc11546)&4294967295
	s_addc_u32 s15, s15, (.LBB1_1590-.Lpost_getpc11546)>>32
	s_setpc_b64 s[14:15]
.LBB1_15928:
	v_cmp_ne_u16_e32 vcc, 0, v6
	s_andn2_b64 s[4:5], s[4:5], exec
	s_and_b64 s[8:9], vcc, exec
	v_mov_b32_e32 v12, 0
	s_or_b64 s[4:5], s[4:5], s[8:9]
	s_or_b64 exec, exec, s[6:7]
	s_and_saveexec_b64 s[6:7], s[4:5]
	s_cbranch_execz .LBB1_29467
; %bb.51767:
	s_getpc_b64 s[14:15]
.Lpost_getpc11547:
	s_add_u32 s14, s14, (.LBB1_1591-.Lpost_getpc11547)&4294967295
	s_addc_u32 s15, s15, (.LBB1_1591-.Lpost_getpc11547)>>32
	s_setpc_b64 s[14:15]
.LBB1_29467:
	s_getpc_b64 s[14:15]
.Lpost_getpc397:
	s_add_u32 s14, s14, (.LBB1_1592-.Lpost_getpc397)&4294967295
	s_addc_u32 s15, s15, (.LBB1_1592-.Lpost_getpc397)>>32
	s_setpc_b64 s[14:15]
.LBB1_15929:
	s_movk_i32 s4, 0x80
	v_cmp_eq_u16_sdwa s[12:13], v7, s4 src0_sel:BYTE_3 src1_sel:DWORD
	s_mov_b64 s[4:5], -1
                                        ; implicit-def: $sgpr10
	s_and_saveexec_b64 s[8:9], s[12:13]
; %bb.15930:
	s_mov_b32 s10, 0x7f800001
	s_xor_b64 s[4:5], exec, -1
; %bb.15931:
	s_or_b64 exec, exec, s[8:9]
	s_and_b64 s[4:5], s[4:5], exec
	s_or_saveexec_b64 s[6:7], s[6:7]
	v_mov_b32_e32 v2, s10
	s_xor_b64 exec, exec, s[6:7]
	s_cbranch_execnz .LBB1_15932
; %bb.51769:
	s_getpc_b64 s[14:15]
.Lpost_getpc11548:
	s_add_u32 s14, s14, (.LBB1_1594-.Lpost_getpc11548)&4294967295
	s_addc_u32 s15, s15, (.LBB1_1594-.Lpost_getpc11548)>>32
	s_setpc_b64 s[14:15]
.LBB1_15932:
	v_mov_b32_e32 v2, 0
	v_cmp_ne_u16_sdwa s[8:9], v7, v2 src0_sel:BYTE_3 src1_sel:DWORD
	s_andn2_b64 s[4:5], s[4:5], exec
	s_and_b64 s[8:9], s[8:9], exec
	s_or_b64 s[4:5], s[4:5], s[8:9]
	s_or_b64 exec, exec, s[6:7]
	s_and_saveexec_b64 s[6:7], s[4:5]
	s_cbranch_execz .LBB1_29469
; %bb.51771:
	s_getpc_b64 s[14:15]
.Lpost_getpc11549:
	s_add_u32 s14, s14, (.LBB1_1595-.Lpost_getpc11549)&4294967295
	s_addc_u32 s15, s15, (.LBB1_1595-.Lpost_getpc11549)>>32
	s_setpc_b64 s[14:15]
.LBB1_29469:
	s_getpc_b64 s[14:15]
.Lpost_getpc398:
	s_add_u32 s14, s14, (.LBB1_1596-.Lpost_getpc398)&4294967295
	s_addc_u32 s15, s15, (.LBB1_1596-.Lpost_getpc398)>>32
	s_setpc_b64 s[14:15]
.LBB1_15933:
	s_movk_i32 s4, 0x80
	v_cmp_eq_u16_sdwa s[12:13], v3, s4 src0_sel:BYTE_3 src1_sel:DWORD
	s_mov_b64 s[4:5], -1
                                        ; implicit-def: $sgpr10
	s_and_saveexec_b64 s[8:9], s[12:13]
; %bb.15934:
	s_mov_b32 s10, 0x7f800001
	s_xor_b64 s[4:5], exec, -1
; %bb.15935:
	s_or_b64 exec, exec, s[8:9]
	s_and_b64 s[4:5], s[4:5], exec
	s_or_saveexec_b64 s[6:7], s[6:7]
	v_mov_b32_e32 v6, s10
	s_xor_b64 exec, exec, s[6:7]
	s_cbranch_execnz .LBB1_15936
; %bb.51773:
	s_getpc_b64 s[14:15]
.Lpost_getpc11550:
	s_add_u32 s14, s14, (.LBB1_1598-.Lpost_getpc11550)&4294967295
	s_addc_u32 s15, s15, (.LBB1_1598-.Lpost_getpc11550)>>32
	s_setpc_b64 s[14:15]
.LBB1_15936:
	v_mov_b32_e32 v6, 0
	v_cmp_ne_u16_sdwa s[8:9], v3, v6 src0_sel:BYTE_3 src1_sel:DWORD
	s_andn2_b64 s[4:5], s[4:5], exec
	s_and_b64 s[8:9], s[8:9], exec
	s_or_b64 s[4:5], s[4:5], s[8:9]
	s_or_b64 exec, exec, s[6:7]
	s_and_saveexec_b64 s[6:7], s[4:5]
	s_cbranch_execz .LBB1_29471
; %bb.51775:
	s_getpc_b64 s[14:15]
.Lpost_getpc11551:
	s_add_u32 s14, s14, (.LBB1_1599-.Lpost_getpc11551)&4294967295
	s_addc_u32 s15, s15, (.LBB1_1599-.Lpost_getpc11551)>>32
	s_setpc_b64 s[14:15]
.LBB1_29471:
	s_getpc_b64 s[14:15]
.Lpost_getpc399:
	s_add_u32 s14, s14, (.LBB1_1600-.Lpost_getpc399)&4294967295
	s_addc_u32 s15, s15, (.LBB1_1600-.Lpost_getpc399)>>32
	s_setpc_b64 s[14:15]
.LBB1_15937:
	s_movk_i32 s4, 0x80
	v_cmp_eq_u16_sdwa s[12:13], v8, s4 src0_sel:BYTE_0 src1_sel:DWORD
	s_mov_b64 s[4:5], -1
                                        ; implicit-def: $sgpr10
	s_and_saveexec_b64 s[8:9], s[12:13]
; %bb.15938:
	s_mov_b32 s10, 0x7f800001
	s_xor_b64 s[4:5], exec, -1
; %bb.15939:
	s_or_b64 exec, exec, s[8:9]
	s_and_b64 s[4:5], s[4:5], exec
	s_or_saveexec_b64 s[6:7], s[6:7]
	v_mov_b32_e32 v2, s10
	s_xor_b64 exec, exec, s[6:7]
	s_cbranch_execnz .LBB1_15940
; %bb.51777:
	s_getpc_b64 s[14:15]
.Lpost_getpc11552:
	s_add_u32 s14, s14, (.LBB1_1602-.Lpost_getpc11552)&4294967295
	s_addc_u32 s15, s15, (.LBB1_1602-.Lpost_getpc11552)>>32
	s_setpc_b64 s[14:15]
.LBB1_15940:
	v_mov_b32_e32 v2, 0
	v_cmp_ne_u16_sdwa s[8:9], v8, v2 src0_sel:BYTE_0 src1_sel:DWORD
	s_andn2_b64 s[4:5], s[4:5], exec
	s_and_b64 s[8:9], s[8:9], exec
	s_or_b64 s[4:5], s[4:5], s[8:9]
	s_or_b64 exec, exec, s[6:7]
	s_and_saveexec_b64 s[6:7], s[4:5]
	s_cbranch_execz .LBB1_29473
; %bb.51779:
	s_getpc_b64 s[14:15]
.Lpost_getpc11553:
	s_add_u32 s14, s14, (.LBB1_1603-.Lpost_getpc11553)&4294967295
	s_addc_u32 s15, s15, (.LBB1_1603-.Lpost_getpc11553)>>32
	s_setpc_b64 s[14:15]
.LBB1_29473:
	s_getpc_b64 s[14:15]
.Lpost_getpc400:
	s_add_u32 s14, s14, (.LBB1_1604-.Lpost_getpc400)&4294967295
	s_addc_u32 s15, s15, (.LBB1_1604-.Lpost_getpc400)>>32
	s_setpc_b64 s[14:15]
.LBB1_15941:
	s_movk_i32 s4, 0x80
	v_cmp_eq_u16_sdwa s[12:13], v4, s4 src0_sel:BYTE_0 src1_sel:DWORD
	s_mov_b64 s[4:5], -1
                                        ; implicit-def: $sgpr10
	s_and_saveexec_b64 s[8:9], s[12:13]
; %bb.15942:
	s_mov_b32 s10, 0x7f800001
	s_xor_b64 s[4:5], exec, -1
; %bb.15943:
	s_or_b64 exec, exec, s[8:9]
	s_and_b64 s[4:5], s[4:5], exec
	s_or_saveexec_b64 s[6:7], s[6:7]
	v_mov_b32_e32 v3, s10
	s_xor_b64 exec, exec, s[6:7]
	s_cbranch_execnz .LBB1_15944
; %bb.51781:
	s_getpc_b64 s[14:15]
.Lpost_getpc11554:
	s_add_u32 s14, s14, (.LBB1_1606-.Lpost_getpc11554)&4294967295
	s_addc_u32 s15, s15, (.LBB1_1606-.Lpost_getpc11554)>>32
	s_setpc_b64 s[14:15]
.LBB1_15944:
	v_mov_b32_e32 v3, 0
	v_cmp_ne_u16_sdwa s[8:9], v4, v3 src0_sel:BYTE_0 src1_sel:DWORD
	s_andn2_b64 s[4:5], s[4:5], exec
	s_and_b64 s[8:9], s[8:9], exec
	s_or_b64 s[4:5], s[4:5], s[8:9]
	s_or_b64 exec, exec, s[6:7]
	s_and_saveexec_b64 s[6:7], s[4:5]
	s_cbranch_execz .LBB1_29475
; %bb.51783:
	s_getpc_b64 s[14:15]
.Lpost_getpc11555:
	s_add_u32 s14, s14, (.LBB1_1607-.Lpost_getpc11555)&4294967295
	s_addc_u32 s15, s15, (.LBB1_1607-.Lpost_getpc11555)>>32
	s_setpc_b64 s[14:15]
.LBB1_29475:
	s_getpc_b64 s[14:15]
.Lpost_getpc401:
	s_add_u32 s14, s14, (.LBB1_1608-.Lpost_getpc401)&4294967295
	s_addc_u32 s15, s15, (.LBB1_1608-.Lpost_getpc401)>>32
	s_setpc_b64 s[14:15]
.LBB1_15945:
	s_movk_i32 s4, 0x80
	v_cmp_eq_u16_sdwa s[12:13], v3, s4 src0_sel:BYTE_0 src1_sel:DWORD
	s_mov_b64 s[4:5], -1
                                        ; implicit-def: $sgpr10
	s_and_saveexec_b64 s[8:9], s[12:13]
; %bb.15946:
	s_mov_b32 s10, 0x7f800001
	s_xor_b64 s[4:5], exec, -1
; %bb.15947:
	s_or_b64 exec, exec, s[8:9]
	s_and_b64 s[4:5], s[4:5], exec
	s_or_saveexec_b64 s[6:7], s[6:7]
	v_mov_b32_e32 v2, s10
	s_xor_b64 exec, exec, s[6:7]
	s_cbranch_execnz .LBB1_15948
; %bb.51785:
	s_getpc_b64 s[14:15]
.Lpost_getpc11556:
	s_add_u32 s14, s14, (.LBB1_1610-.Lpost_getpc11556)&4294967295
	s_addc_u32 s15, s15, (.LBB1_1610-.Lpost_getpc11556)>>32
	s_setpc_b64 s[14:15]
.LBB1_15948:
	v_mov_b32_e32 v2, 0
	v_cmp_ne_u16_sdwa s[8:9], v3, v2 src0_sel:BYTE_0 src1_sel:DWORD
	s_andn2_b64 s[4:5], s[4:5], exec
	s_and_b64 s[8:9], s[8:9], exec
	s_or_b64 s[4:5], s[4:5], s[8:9]
	s_or_b64 exec, exec, s[6:7]
	s_and_saveexec_b64 s[6:7], s[4:5]
	s_cbranch_execz .LBB1_29477
; %bb.51787:
	s_getpc_b64 s[14:15]
.Lpost_getpc11557:
	s_add_u32 s14, s14, (.LBB1_1611-.Lpost_getpc11557)&4294967295
	s_addc_u32 s15, s15, (.LBB1_1611-.Lpost_getpc11557)>>32
	s_setpc_b64 s[14:15]
.LBB1_29477:
	s_getpc_b64 s[14:15]
.Lpost_getpc402:
	s_add_u32 s14, s14, (.LBB1_1612-.Lpost_getpc402)&4294967295
	s_addc_u32 s15, s15, (.LBB1_1612-.Lpost_getpc402)>>32
	s_setpc_b64 s[14:15]
.LBB1_15949:
	s_movk_i32 s4, 0x80
	v_cmp_eq_u16_sdwa s[12:13], v3, s4 src0_sel:BYTE_0 src1_sel:DWORD
	s_mov_b64 s[4:5], -1
                                        ; implicit-def: $sgpr10
	s_and_saveexec_b64 s[8:9], s[12:13]
; %bb.15950:
	s_mov_b32 s10, 0x7f800001
	s_xor_b64 s[4:5], exec, -1
; %bb.15951:
	s_or_b64 exec, exec, s[8:9]
	s_and_b64 s[4:5], s[4:5], exec
	s_or_saveexec_b64 s[6:7], s[6:7]
	v_mov_b32_e32 v6, s10
	s_xor_b64 exec, exec, s[6:7]
	s_cbranch_execnz .LBB1_15952
; %bb.51789:
	s_getpc_b64 s[14:15]
.Lpost_getpc11558:
	s_add_u32 s14, s14, (.LBB1_1614-.Lpost_getpc11558)&4294967295
	s_addc_u32 s15, s15, (.LBB1_1614-.Lpost_getpc11558)>>32
	s_setpc_b64 s[14:15]
.LBB1_15952:
	v_mov_b32_e32 v6, 0
	v_cmp_ne_u16_sdwa s[8:9], v3, v6 src0_sel:BYTE_0 src1_sel:DWORD
	s_andn2_b64 s[4:5], s[4:5], exec
	s_and_b64 s[8:9], s[8:9], exec
	s_or_b64 s[4:5], s[4:5], s[8:9]
	s_or_b64 exec, exec, s[6:7]
	s_and_saveexec_b64 s[6:7], s[4:5]
	s_cbranch_execz .LBB1_29479
; %bb.51791:
	s_getpc_b64 s[14:15]
.Lpost_getpc11559:
	s_add_u32 s14, s14, (.LBB1_1615-.Lpost_getpc11559)&4294967295
	s_addc_u32 s15, s15, (.LBB1_1615-.Lpost_getpc11559)>>32
	s_setpc_b64 s[14:15]
.LBB1_29479:
	s_getpc_b64 s[14:15]
.Lpost_getpc403:
	s_add_u32 s14, s14, (.LBB1_1616-.Lpost_getpc403)&4294967295
	s_addc_u32 s15, s15, (.LBB1_1616-.Lpost_getpc403)>>32
	s_setpc_b64 s[14:15]
.LBB1_15953:
	s_movk_i32 s4, 0x80
	v_cmp_eq_u16_e32 vcc, s4, v3
	s_mov_b64 s[4:5], -1
                                        ; implicit-def: $sgpr10
	s_and_saveexec_b64 s[8:9], vcc
; %bb.15954:
	s_mov_b32 s10, 0x7f800001
	s_xor_b64 s[4:5], exec, -1
; %bb.15955:
	s_or_b64 exec, exec, s[8:9]
	s_and_b64 s[4:5], s[4:5], exec
                                        ; implicit-def: $vgpr3
	s_or_saveexec_b64 s[6:7], s[6:7]
	v_mov_b32_e32 v2, s10
	s_xor_b64 exec, exec, s[6:7]
	s_cbranch_execnz .LBB1_15956
; %bb.51793:
	s_getpc_b64 s[14:15]
.Lpost_getpc11560:
	s_add_u32 s14, s14, (.LBB1_1618-.Lpost_getpc11560)&4294967295
	s_addc_u32 s15, s15, (.LBB1_1618-.Lpost_getpc11560)>>32
	s_setpc_b64 s[14:15]
.LBB1_15956:
	v_cmp_ne_u16_e32 vcc, 0, v3
	s_andn2_b64 s[4:5], s[4:5], exec
	s_and_b64 s[8:9], vcc, exec
	v_mov_b32_e32 v2, 0
	s_or_b64 s[4:5], s[4:5], s[8:9]
	s_or_b64 exec, exec, s[6:7]
	s_and_saveexec_b64 s[6:7], s[4:5]
	s_cbranch_execz .LBB1_29481
; %bb.51795:
	s_getpc_b64 s[14:15]
.Lpost_getpc11561:
	s_add_u32 s14, s14, (.LBB1_1619-.Lpost_getpc11561)&4294967295
	s_addc_u32 s15, s15, (.LBB1_1619-.Lpost_getpc11561)>>32
	s_setpc_b64 s[14:15]
.LBB1_29481:
	s_getpc_b64 s[14:15]
.Lpost_getpc404:
	s_add_u32 s14, s14, (.LBB1_1620-.Lpost_getpc404)&4294967295
	s_addc_u32 s15, s15, (.LBB1_1620-.Lpost_getpc404)>>32
	s_setpc_b64 s[14:15]
.LBB1_15957:
	s_movk_i32 s4, 0x80
	v_cmp_eq_u16_e32 vcc, s4, v3
	s_mov_b64 s[4:5], -1
                                        ; implicit-def: $sgpr10
	s_and_saveexec_b64 s[8:9], vcc
; %bb.15958:
	s_mov_b32 s10, 0x7f800001
	s_xor_b64 s[4:5], exec, -1
; %bb.15959:
	s_or_b64 exec, exec, s[8:9]
	s_and_b64 s[4:5], s[4:5], exec
                                        ; implicit-def: $vgpr3
	s_or_saveexec_b64 s[6:7], s[6:7]
	v_mov_b32_e32 v6, s10
	s_xor_b64 exec, exec, s[6:7]
	s_cbranch_execnz .LBB1_15960
; %bb.51797:
	s_getpc_b64 s[14:15]
.Lpost_getpc11562:
	s_add_u32 s14, s14, (.LBB1_1622-.Lpost_getpc11562)&4294967295
	s_addc_u32 s15, s15, (.LBB1_1622-.Lpost_getpc11562)>>32
	s_setpc_b64 s[14:15]
.LBB1_15960:
	v_cmp_ne_u16_e32 vcc, 0, v3
	s_andn2_b64 s[4:5], s[4:5], exec
	s_and_b64 s[8:9], vcc, exec
	v_mov_b32_e32 v6, 0
	s_or_b64 s[4:5], s[4:5], s[8:9]
	s_or_b64 exec, exec, s[6:7]
	s_and_saveexec_b64 s[6:7], s[4:5]
	s_cbranch_execz .LBB1_29483
; %bb.51799:
	s_getpc_b64 s[14:15]
.Lpost_getpc11563:
	s_add_u32 s14, s14, (.LBB1_1623-.Lpost_getpc11563)&4294967295
	s_addc_u32 s15, s15, (.LBB1_1623-.Lpost_getpc11563)>>32
	s_setpc_b64 s[14:15]
.LBB1_29483:
	s_getpc_b64 s[14:15]
.Lpost_getpc405:
	s_add_u32 s14, s14, (.LBB1_1624-.Lpost_getpc405)&4294967295
	s_addc_u32 s15, s15, (.LBB1_1624-.Lpost_getpc405)>>32
	s_setpc_b64 s[14:15]
.LBB1_15961:
	s_movk_i32 s4, 0x80
	v_cmp_eq_u16_sdwa s[12:13], v8, s4 src0_sel:BYTE_3 src1_sel:DWORD
	s_mov_b64 s[4:5], -1
                                        ; implicit-def: $sgpr10
	s_and_saveexec_b64 s[8:9], s[12:13]
; %bb.15962:
	s_mov_b32 s10, 0x7f800001
	s_xor_b64 s[4:5], exec, -1
; %bb.15963:
	s_or_b64 exec, exec, s[8:9]
	s_and_b64 s[4:5], s[4:5], exec
	s_or_saveexec_b64 s[6:7], s[6:7]
	v_mov_b32_e32 v2, s10
	s_xor_b64 exec, exec, s[6:7]
	s_cbranch_execnz .LBB1_15964
; %bb.51801:
	s_getpc_b64 s[14:15]
.Lpost_getpc11564:
	s_add_u32 s14, s14, (.LBB1_1626-.Lpost_getpc11564)&4294967295
	s_addc_u32 s15, s15, (.LBB1_1626-.Lpost_getpc11564)>>32
	s_setpc_b64 s[14:15]
.LBB1_15964:
	v_mov_b32_e32 v2, 0
	v_cmp_ne_u16_sdwa s[8:9], v8, v2 src0_sel:BYTE_3 src1_sel:DWORD
	s_andn2_b64 s[4:5], s[4:5], exec
	s_and_b64 s[8:9], s[8:9], exec
	s_or_b64 s[4:5], s[4:5], s[8:9]
	s_or_b64 exec, exec, s[6:7]
	s_and_saveexec_b64 s[6:7], s[4:5]
	s_cbranch_execz .LBB1_29485
; %bb.51803:
	s_getpc_b64 s[14:15]
.Lpost_getpc11565:
	s_add_u32 s14, s14, (.LBB1_1627-.Lpost_getpc11565)&4294967295
	s_addc_u32 s15, s15, (.LBB1_1627-.Lpost_getpc11565)>>32
	s_setpc_b64 s[14:15]
.LBB1_29485:
	s_getpc_b64 s[14:15]
.Lpost_getpc406:
	s_add_u32 s14, s14, (.LBB1_1628-.Lpost_getpc406)&4294967295
	s_addc_u32 s15, s15, (.LBB1_1628-.Lpost_getpc406)>>32
	s_setpc_b64 s[14:15]
.LBB1_15965:
	s_movk_i32 s4, 0x80
	v_cmp_eq_u16_sdwa s[12:13], v4, s4 src0_sel:BYTE_3 src1_sel:DWORD
	s_mov_b64 s[4:5], -1
                                        ; implicit-def: $sgpr10
	s_and_saveexec_b64 s[8:9], s[12:13]
; %bb.15966:
	s_mov_b32 s10, 0x7f800001
	s_xor_b64 s[4:5], exec, -1
; %bb.15967:
	s_or_b64 exec, exec, s[8:9]
	s_and_b64 s[4:5], s[4:5], exec
	s_or_saveexec_b64 s[6:7], s[6:7]
	v_mov_b32_e32 v3, s10
	s_xor_b64 exec, exec, s[6:7]
	s_cbranch_execnz .LBB1_15968
; %bb.51805:
	s_getpc_b64 s[14:15]
.Lpost_getpc11566:
	s_add_u32 s14, s14, (.LBB1_1630-.Lpost_getpc11566)&4294967295
	s_addc_u32 s15, s15, (.LBB1_1630-.Lpost_getpc11566)>>32
	s_setpc_b64 s[14:15]
.LBB1_15968:
	v_mov_b32_e32 v3, 0
	v_cmp_ne_u16_sdwa s[8:9], v4, v3 src0_sel:BYTE_3 src1_sel:DWORD
	s_andn2_b64 s[4:5], s[4:5], exec
	s_and_b64 s[8:9], s[8:9], exec
	s_or_b64 s[4:5], s[4:5], s[8:9]
	s_or_b64 exec, exec, s[6:7]
	s_and_saveexec_b64 s[6:7], s[4:5]
	s_cbranch_execz .LBB1_29487
; %bb.51807:
	s_getpc_b64 s[14:15]
.Lpost_getpc11567:
	s_add_u32 s14, s14, (.LBB1_1631-.Lpost_getpc11567)&4294967295
	s_addc_u32 s15, s15, (.LBB1_1631-.Lpost_getpc11567)>>32
	s_setpc_b64 s[14:15]
.LBB1_29487:
	s_getpc_b64 s[14:15]
.Lpost_getpc407:
	s_add_u32 s14, s14, (.LBB1_1632-.Lpost_getpc407)&4294967295
	s_addc_u32 s15, s15, (.LBB1_1632-.Lpost_getpc407)>>32
	s_setpc_b64 s[14:15]
.LBB1_15969:
	s_movk_i32 s4, 0x80
	v_cmp_eq_u16_sdwa s[12:13], v9, s4 src0_sel:BYTE_0 src1_sel:DWORD
	s_mov_b64 s[4:5], -1
                                        ; implicit-def: $sgpr10
	s_and_saveexec_b64 s[8:9], s[12:13]
; %bb.15970:
	s_mov_b32 s10, 0x7f800001
	s_xor_b64 s[4:5], exec, -1
; %bb.15971:
	s_or_b64 exec, exec, s[8:9]
	s_and_b64 s[4:5], s[4:5], exec
	s_or_saveexec_b64 s[6:7], s[6:7]
	v_mov_b32_e32 v2, s10
	s_xor_b64 exec, exec, s[6:7]
	s_cbranch_execnz .LBB1_15972
; %bb.51809:
	s_getpc_b64 s[14:15]
.Lpost_getpc11568:
	s_add_u32 s14, s14, (.LBB1_1634-.Lpost_getpc11568)&4294967295
	s_addc_u32 s15, s15, (.LBB1_1634-.Lpost_getpc11568)>>32
	s_setpc_b64 s[14:15]
.LBB1_15972:
	v_mov_b32_e32 v2, 0
	v_cmp_ne_u16_sdwa s[8:9], v9, v2 src0_sel:BYTE_0 src1_sel:DWORD
	s_andn2_b64 s[4:5], s[4:5], exec
	s_and_b64 s[8:9], s[8:9], exec
	s_or_b64 s[4:5], s[4:5], s[8:9]
	s_or_b64 exec, exec, s[6:7]
	s_and_saveexec_b64 s[6:7], s[4:5]
	s_cbranch_execz .LBB1_29489
; %bb.51811:
	s_getpc_b64 s[14:15]
.Lpost_getpc11569:
	s_add_u32 s14, s14, (.LBB1_1635-.Lpost_getpc11569)&4294967295
	s_addc_u32 s15, s15, (.LBB1_1635-.Lpost_getpc11569)>>32
	s_setpc_b64 s[14:15]
.LBB1_29489:
	s_getpc_b64 s[14:15]
.Lpost_getpc408:
	s_add_u32 s14, s14, (.LBB1_1636-.Lpost_getpc408)&4294967295
	s_addc_u32 s15, s15, (.LBB1_1636-.Lpost_getpc408)>>32
	s_setpc_b64 s[14:15]
.LBB1_15973:
	s_movk_i32 s4, 0x80
	v_cmp_eq_u16_sdwa s[12:13], v5, s4 src0_sel:BYTE_0 src1_sel:DWORD
	s_mov_b64 s[4:5], -1
                                        ; implicit-def: $sgpr10
	s_and_saveexec_b64 s[8:9], s[12:13]
; %bb.15974:
	s_mov_b32 s10, 0x7f800001
	s_xor_b64 s[4:5], exec, -1
; %bb.15975:
	s_or_b64 exec, exec, s[8:9]
	s_and_b64 s[4:5], s[4:5], exec
	s_or_saveexec_b64 s[6:7], s[6:7]
	v_mov_b32_e32 v3, s10
	s_xor_b64 exec, exec, s[6:7]
	s_cbranch_execnz .LBB1_15976
; %bb.51813:
	s_getpc_b64 s[14:15]
.Lpost_getpc11570:
	s_add_u32 s14, s14, (.LBB1_1638-.Lpost_getpc11570)&4294967295
	s_addc_u32 s15, s15, (.LBB1_1638-.Lpost_getpc11570)>>32
	s_setpc_b64 s[14:15]
.LBB1_15976:
	v_mov_b32_e32 v3, 0
	v_cmp_ne_u16_sdwa s[8:9], v5, v3 src0_sel:BYTE_0 src1_sel:DWORD
	s_andn2_b64 s[4:5], s[4:5], exec
	s_and_b64 s[8:9], s[8:9], exec
	s_or_b64 s[4:5], s[4:5], s[8:9]
	s_or_b64 exec, exec, s[6:7]
	s_and_saveexec_b64 s[6:7], s[4:5]
	s_cbranch_execz .LBB1_29491
; %bb.51815:
	s_getpc_b64 s[14:15]
.Lpost_getpc11571:
	s_add_u32 s14, s14, (.LBB1_1639-.Lpost_getpc11571)&4294967295
	s_addc_u32 s15, s15, (.LBB1_1639-.Lpost_getpc11571)>>32
	s_setpc_b64 s[14:15]
.LBB1_29491:
	s_getpc_b64 s[14:15]
.Lpost_getpc409:
	s_add_u32 s14, s14, (.LBB1_1640-.Lpost_getpc409)&4294967295
	s_addc_u32 s15, s15, (.LBB1_1640-.Lpost_getpc409)>>32
	s_setpc_b64 s[14:15]
.LBB1_15977:
	s_movk_i32 s4, 0x80
	v_cmp_eq_u16_sdwa s[12:13], v3, s4 src0_sel:BYTE_0 src1_sel:DWORD
	s_mov_b64 s[4:5], -1
                                        ; implicit-def: $sgpr10
	s_and_saveexec_b64 s[8:9], s[12:13]
; %bb.15978:
	s_mov_b32 s10, 0x7f800001
	s_xor_b64 s[4:5], exec, -1
; %bb.15979:
	s_or_b64 exec, exec, s[8:9]
	s_and_b64 s[4:5], s[4:5], exec
	s_or_saveexec_b64 s[6:7], s[6:7]
	v_mov_b32_e32 v2, s10
	s_xor_b64 exec, exec, s[6:7]
	s_cbranch_execnz .LBB1_15980
; %bb.51817:
	s_getpc_b64 s[14:15]
.Lpost_getpc11572:
	s_add_u32 s14, s14, (.LBB1_1642-.Lpost_getpc11572)&4294967295
	s_addc_u32 s15, s15, (.LBB1_1642-.Lpost_getpc11572)>>32
	s_setpc_b64 s[14:15]
.LBB1_15980:
	v_mov_b32_e32 v2, 0
	v_cmp_ne_u16_sdwa s[8:9], v3, v2 src0_sel:BYTE_0 src1_sel:DWORD
	s_andn2_b64 s[4:5], s[4:5], exec
	s_and_b64 s[8:9], s[8:9], exec
	s_or_b64 s[4:5], s[4:5], s[8:9]
	s_or_b64 exec, exec, s[6:7]
	s_and_saveexec_b64 s[6:7], s[4:5]
	s_cbranch_execz .LBB1_29493
; %bb.51819:
	s_getpc_b64 s[14:15]
.Lpost_getpc11573:
	s_add_u32 s14, s14, (.LBB1_1643-.Lpost_getpc11573)&4294967295
	s_addc_u32 s15, s15, (.LBB1_1643-.Lpost_getpc11573)>>32
	s_setpc_b64 s[14:15]
.LBB1_29493:
	s_getpc_b64 s[14:15]
.Lpost_getpc410:
	s_add_u32 s14, s14, (.LBB1_1644-.Lpost_getpc410)&4294967295
	s_addc_u32 s15, s15, (.LBB1_1644-.Lpost_getpc410)>>32
	s_setpc_b64 s[14:15]
.LBB1_15981:
	s_movk_i32 s4, 0x80
	v_cmp_eq_u16_sdwa s[12:13], v3, s4 src0_sel:BYTE_0 src1_sel:DWORD
	s_mov_b64 s[4:5], -1
                                        ; implicit-def: $sgpr10
	s_and_saveexec_b64 s[8:9], s[12:13]
; %bb.15982:
	s_mov_b32 s10, 0x7f800001
	s_xor_b64 s[4:5], exec, -1
; %bb.15983:
	s_or_b64 exec, exec, s[8:9]
	s_and_b64 s[4:5], s[4:5], exec
	s_or_saveexec_b64 s[6:7], s[6:7]
	v_mov_b32_e32 v4, s10
	s_xor_b64 exec, exec, s[6:7]
	s_cbranch_execnz .LBB1_15984
; %bb.51821:
	s_getpc_b64 s[14:15]
.Lpost_getpc11574:
	s_add_u32 s14, s14, (.LBB1_1646-.Lpost_getpc11574)&4294967295
	s_addc_u32 s15, s15, (.LBB1_1646-.Lpost_getpc11574)>>32
	s_setpc_b64 s[14:15]
.LBB1_15984:
	v_mov_b32_e32 v4, 0
	v_cmp_ne_u16_sdwa s[8:9], v3, v4 src0_sel:BYTE_0 src1_sel:DWORD
	s_andn2_b64 s[4:5], s[4:5], exec
	s_and_b64 s[8:9], s[8:9], exec
	s_or_b64 s[4:5], s[4:5], s[8:9]
	s_or_b64 exec, exec, s[6:7]
	s_and_saveexec_b64 s[6:7], s[4:5]
	s_cbranch_execz .LBB1_29495
; %bb.51823:
	s_getpc_b64 s[14:15]
.Lpost_getpc11575:
	s_add_u32 s14, s14, (.LBB1_1647-.Lpost_getpc11575)&4294967295
	s_addc_u32 s15, s15, (.LBB1_1647-.Lpost_getpc11575)>>32
	s_setpc_b64 s[14:15]
.LBB1_29495:
	s_getpc_b64 s[14:15]
.Lpost_getpc411:
	s_add_u32 s14, s14, (.LBB1_1648-.Lpost_getpc411)&4294967295
	s_addc_u32 s15, s15, (.LBB1_1648-.Lpost_getpc411)>>32
	s_setpc_b64 s[14:15]
.LBB1_15985:
	s_movk_i32 s4, 0x80
	v_cmp_eq_u16_e32 vcc, s4, v3
	s_mov_b64 s[4:5], -1
                                        ; implicit-def: $sgpr10
	s_and_saveexec_b64 s[8:9], vcc
; %bb.15986:
	s_mov_b32 s10, 0x7f800001
	s_xor_b64 s[4:5], exec, -1
; %bb.15987:
	s_or_b64 exec, exec, s[8:9]
	s_and_b64 s[4:5], s[4:5], exec
                                        ; implicit-def: $vgpr3
	s_or_saveexec_b64 s[6:7], s[6:7]
	v_mov_b32_e32 v2, s10
	s_xor_b64 exec, exec, s[6:7]
	s_cbranch_execnz .LBB1_15988
; %bb.51825:
	s_getpc_b64 s[14:15]
.Lpost_getpc11576:
	s_add_u32 s14, s14, (.LBB1_1650-.Lpost_getpc11576)&4294967295
	s_addc_u32 s15, s15, (.LBB1_1650-.Lpost_getpc11576)>>32
	s_setpc_b64 s[14:15]
.LBB1_15988:
	v_cmp_ne_u16_e32 vcc, 0, v3
	s_andn2_b64 s[4:5], s[4:5], exec
	s_and_b64 s[8:9], vcc, exec
	v_mov_b32_e32 v2, 0
	s_or_b64 s[4:5], s[4:5], s[8:9]
	s_or_b64 exec, exec, s[6:7]
	s_and_saveexec_b64 s[6:7], s[4:5]
	s_cbranch_execz .LBB1_29497
; %bb.51827:
	s_getpc_b64 s[14:15]
.Lpost_getpc11577:
	s_add_u32 s14, s14, (.LBB1_1651-.Lpost_getpc11577)&4294967295
	s_addc_u32 s15, s15, (.LBB1_1651-.Lpost_getpc11577)>>32
	s_setpc_b64 s[14:15]
.LBB1_29497:
	s_getpc_b64 s[14:15]
.Lpost_getpc412:
	s_add_u32 s14, s14, (.LBB1_1652-.Lpost_getpc412)&4294967295
	s_addc_u32 s15, s15, (.LBB1_1652-.Lpost_getpc412)>>32
	s_setpc_b64 s[14:15]
.LBB1_15989:
	s_movk_i32 s4, 0x80
	v_cmp_eq_u16_e32 vcc, s4, v3
	s_mov_b64 s[4:5], -1
                                        ; implicit-def: $sgpr10
	s_and_saveexec_b64 s[8:9], vcc
; %bb.15990:
	s_mov_b32 s10, 0x7f800001
	s_xor_b64 s[4:5], exec, -1
; %bb.15991:
	s_or_b64 exec, exec, s[8:9]
	s_and_b64 s[4:5], s[4:5], exec
                                        ; implicit-def: $vgpr3
	s_or_saveexec_b64 s[6:7], s[6:7]
	v_mov_b32_e32 v4, s10
	s_xor_b64 exec, exec, s[6:7]
	s_cbranch_execnz .LBB1_15992
; %bb.51829:
	s_getpc_b64 s[14:15]
.Lpost_getpc11578:
	s_add_u32 s14, s14, (.LBB1_1654-.Lpost_getpc11578)&4294967295
	s_addc_u32 s15, s15, (.LBB1_1654-.Lpost_getpc11578)>>32
	s_setpc_b64 s[14:15]
.LBB1_15992:
	v_cmp_ne_u16_e32 vcc, 0, v3
	s_andn2_b64 s[4:5], s[4:5], exec
	s_and_b64 s[8:9], vcc, exec
	v_mov_b32_e32 v4, 0
	s_or_b64 s[4:5], s[4:5], s[8:9]
	s_or_b64 exec, exec, s[6:7]
	s_and_saveexec_b64 s[6:7], s[4:5]
	s_cbranch_execz .LBB1_29499
; %bb.51831:
	s_getpc_b64 s[14:15]
.Lpost_getpc11579:
	s_add_u32 s14, s14, (.LBB1_1655-.Lpost_getpc11579)&4294967295
	s_addc_u32 s15, s15, (.LBB1_1655-.Lpost_getpc11579)>>32
	s_setpc_b64 s[14:15]
.LBB1_29499:
	s_getpc_b64 s[14:15]
.Lpost_getpc413:
	s_add_u32 s14, s14, (.LBB1_1656-.Lpost_getpc413)&4294967295
	s_addc_u32 s15, s15, (.LBB1_1656-.Lpost_getpc413)>>32
	s_setpc_b64 s[14:15]
.LBB1_15993:
	s_movk_i32 s4, 0x80
	v_cmp_eq_u16_sdwa s[12:13], v9, s4 src0_sel:BYTE_3 src1_sel:DWORD
	s_mov_b64 s[4:5], -1
                                        ; implicit-def: $sgpr10
	s_and_saveexec_b64 s[8:9], s[12:13]
; %bb.15994:
	s_mov_b32 s10, 0x7f800001
	s_xor_b64 s[4:5], exec, -1
; %bb.15995:
	s_or_b64 exec, exec, s[8:9]
	s_and_b64 s[4:5], s[4:5], exec
	s_or_saveexec_b64 s[6:7], s[6:7]
	v_mov_b32_e32 v2, s10
	s_xor_b64 exec, exec, s[6:7]
	s_cbranch_execnz .LBB1_15996
; %bb.51833:
	s_getpc_b64 s[14:15]
.Lpost_getpc11580:
	s_add_u32 s14, s14, (.LBB1_1658-.Lpost_getpc11580)&4294967295
	s_addc_u32 s15, s15, (.LBB1_1658-.Lpost_getpc11580)>>32
	s_setpc_b64 s[14:15]
.LBB1_15996:
	v_mov_b32_e32 v2, 0
	v_cmp_ne_u16_sdwa s[8:9], v9, v2 src0_sel:BYTE_3 src1_sel:DWORD
	s_andn2_b64 s[4:5], s[4:5], exec
	s_and_b64 s[8:9], s[8:9], exec
	s_or_b64 s[4:5], s[4:5], s[8:9]
	s_or_b64 exec, exec, s[6:7]
	s_and_saveexec_b64 s[6:7], s[4:5]
	s_cbranch_execz .LBB1_29501
; %bb.51835:
	s_getpc_b64 s[14:15]
.Lpost_getpc11581:
	s_add_u32 s14, s14, (.LBB1_1659-.Lpost_getpc11581)&4294967295
	s_addc_u32 s15, s15, (.LBB1_1659-.Lpost_getpc11581)>>32
	s_setpc_b64 s[14:15]
.LBB1_29501:
	s_getpc_b64 s[14:15]
.Lpost_getpc414:
	s_add_u32 s14, s14, (.LBB1_1660-.Lpost_getpc414)&4294967295
	s_addc_u32 s15, s15, (.LBB1_1660-.Lpost_getpc414)>>32
	s_setpc_b64 s[14:15]
.LBB1_15997:
	s_movk_i32 s4, 0x80
	v_cmp_eq_u16_sdwa s[12:13], v5, s4 src0_sel:BYTE_3 src1_sel:DWORD
	s_mov_b64 s[4:5], -1
                                        ; implicit-def: $sgpr10
	s_and_saveexec_b64 s[8:9], s[12:13]
; %bb.15998:
	s_mov_b32 s10, 0x7f800001
	s_xor_b64 s[4:5], exec, -1
; %bb.15999:
	s_or_b64 exec, exec, s[8:9]
	s_and_b64 s[4:5], s[4:5], exec
	s_or_saveexec_b64 s[6:7], s[6:7]
	v_mov_b32_e32 v3, s10
	s_xor_b64 exec, exec, s[6:7]
	s_cbranch_execnz .LBB1_16000
; %bb.51837:
	s_getpc_b64 s[14:15]
.Lpost_getpc11582:
	s_add_u32 s14, s14, (.LBB1_1662-.Lpost_getpc11582)&4294967295
	s_addc_u32 s15, s15, (.LBB1_1662-.Lpost_getpc11582)>>32
	s_setpc_b64 s[14:15]
.LBB1_16000:
	v_mov_b32_e32 v3, 0
	v_cmp_ne_u16_sdwa s[8:9], v5, v3 src0_sel:BYTE_3 src1_sel:DWORD
	s_andn2_b64 s[4:5], s[4:5], exec
	s_and_b64 s[8:9], s[8:9], exec
	s_or_b64 s[4:5], s[4:5], s[8:9]
	s_or_b64 exec, exec, s[6:7]
	s_and_saveexec_b64 s[6:7], s[4:5]
	s_cbranch_execz .LBB1_29503
; %bb.51839:
	s_getpc_b64 s[14:15]
.Lpost_getpc11583:
	s_add_u32 s14, s14, (.LBB1_1663-.Lpost_getpc11583)&4294967295
	s_addc_u32 s15, s15, (.LBB1_1663-.Lpost_getpc11583)>>32
	s_setpc_b64 s[14:15]
.LBB1_29503:
	s_getpc_b64 s[14:15]
.Lpost_getpc415:
	s_add_u32 s14, s14, (.LBB1_1664-.Lpost_getpc415)&4294967295
	s_addc_u32 s15, s15, (.LBB1_1664-.Lpost_getpc415)>>32
	s_setpc_b64 s[14:15]
.LBB1_16001:
	s_movk_i32 s4, 0x80
	v_cmp_eq_u16_sdwa s[12:13], v6, s4 src0_sel:BYTE_0 src1_sel:DWORD
	s_mov_b64 s[4:5], -1
                                        ; implicit-def: $sgpr10
	s_and_saveexec_b64 s[8:9], s[12:13]
; %bb.16002:
	s_mov_b32 s10, 0x7f800001
	s_xor_b64 s[4:5], exec, -1
; %bb.16003:
	s_or_b64 exec, exec, s[8:9]
	s_and_b64 s[4:5], s[4:5], exec
	s_or_saveexec_b64 s[6:7], s[6:7]
	v_mov_b32_e32 v12, s10
	s_xor_b64 exec, exec, s[6:7]
	s_cbranch_execnz .LBB1_16004
; %bb.51841:
	s_getpc_b64 s[14:15]
.Lpost_getpc11584:
	s_add_u32 s14, s14, (.LBB1_1666-.Lpost_getpc11584)&4294967295
	s_addc_u32 s15, s15, (.LBB1_1666-.Lpost_getpc11584)>>32
	s_setpc_b64 s[14:15]
.LBB1_16004:
	v_mov_b32_e32 v12, 0
	v_cmp_ne_u16_sdwa s[8:9], v6, v12 src0_sel:BYTE_0 src1_sel:DWORD
	s_andn2_b64 s[4:5], s[4:5], exec
	s_and_b64 s[8:9], s[8:9], exec
	s_or_b64 s[4:5], s[4:5], s[8:9]
	s_or_b64 exec, exec, s[6:7]
	s_and_saveexec_b64 s[6:7], s[4:5]
	s_cbranch_execz .LBB1_29505
; %bb.51843:
	s_getpc_b64 s[14:15]
.Lpost_getpc11585:
	s_add_u32 s14, s14, (.LBB1_1667-.Lpost_getpc11585)&4294967295
	s_addc_u32 s15, s15, (.LBB1_1667-.Lpost_getpc11585)>>32
	s_setpc_b64 s[14:15]
.LBB1_29505:
	s_getpc_b64 s[14:15]
.Lpost_getpc416:
	s_add_u32 s14, s14, (.LBB1_1668-.Lpost_getpc416)&4294967295
	s_addc_u32 s15, s15, (.LBB1_1668-.Lpost_getpc416)>>32
	s_setpc_b64 s[14:15]
.LBB1_16005:
	s_movk_i32 s4, 0x80
	v_cmp_eq_u16_sdwa s[12:13], v2, s4 src0_sel:BYTE_0 src1_sel:DWORD
	s_mov_b64 s[4:5], -1
                                        ; implicit-def: $sgpr10
	s_and_saveexec_b64 s[8:9], s[12:13]
; %bb.16006:
	s_mov_b32 s10, 0x7f800001
	s_xor_b64 s[4:5], exec, -1
; %bb.16007:
	s_or_b64 exec, exec, s[8:9]
	s_and_b64 s[4:5], s[4:5], exec
	s_or_saveexec_b64 s[6:7], s[6:7]
	v_mov_b32_e32 v13, s10
	s_xor_b64 exec, exec, s[6:7]
	s_cbranch_execnz .LBB1_16008
; %bb.51845:
	s_getpc_b64 s[14:15]
.Lpost_getpc11586:
	s_add_u32 s14, s14, (.LBB1_1670-.Lpost_getpc11586)&4294967295
	s_addc_u32 s15, s15, (.LBB1_1670-.Lpost_getpc11586)>>32
	s_setpc_b64 s[14:15]
.LBB1_16008:
	v_mov_b32_e32 v13, 0
	v_cmp_ne_u16_sdwa s[8:9], v2, v13 src0_sel:BYTE_0 src1_sel:DWORD
	s_andn2_b64 s[4:5], s[4:5], exec
	s_and_b64 s[8:9], s[8:9], exec
	s_or_b64 s[4:5], s[4:5], s[8:9]
	s_or_b64 exec, exec, s[6:7]
	s_and_saveexec_b64 s[6:7], s[4:5]
	s_cbranch_execz .LBB1_29507
; %bb.51847:
	s_getpc_b64 s[14:15]
.Lpost_getpc11587:
	s_add_u32 s14, s14, (.LBB1_1671-.Lpost_getpc11587)&4294967295
	s_addc_u32 s15, s15, (.LBB1_1671-.Lpost_getpc11587)>>32
	s_setpc_b64 s[14:15]
.LBB1_29507:
	s_getpc_b64 s[14:15]
.Lpost_getpc417:
	s_add_u32 s14, s14, (.LBB1_1672-.Lpost_getpc417)&4294967295
	s_addc_u32 s15, s15, (.LBB1_1672-.Lpost_getpc417)>>32
	s_setpc_b64 s[14:15]
.LBB1_16009:
	s_movk_i32 s4, 0x80
	v_cmp_eq_u16_sdwa s[12:13], v13, s4 src0_sel:BYTE_0 src1_sel:DWORD
	s_mov_b64 s[4:5], -1
                                        ; implicit-def: $sgpr10
	s_and_saveexec_b64 s[8:9], s[12:13]
; %bb.16010:
	s_mov_b32 s10, 0x7f800001
	s_xor_b64 s[4:5], exec, -1
; %bb.16011:
	s_or_b64 exec, exec, s[8:9]
	s_and_b64 s[4:5], s[4:5], exec
	s_or_saveexec_b64 s[6:7], s[6:7]
	v_mov_b32_e32 v12, s10
	s_xor_b64 exec, exec, s[6:7]
	s_cbranch_execnz .LBB1_16012
; %bb.51849:
	s_getpc_b64 s[14:15]
.Lpost_getpc11588:
	s_add_u32 s14, s14, (.LBB1_1674-.Lpost_getpc11588)&4294967295
	s_addc_u32 s15, s15, (.LBB1_1674-.Lpost_getpc11588)>>32
	s_setpc_b64 s[14:15]
.LBB1_16012:
	v_mov_b32_e32 v12, 0
	v_cmp_ne_u16_sdwa s[8:9], v13, v12 src0_sel:BYTE_0 src1_sel:DWORD
	s_andn2_b64 s[4:5], s[4:5], exec
	s_and_b64 s[8:9], s[8:9], exec
	s_or_b64 s[4:5], s[4:5], s[8:9]
	s_or_b64 exec, exec, s[6:7]
	s_and_saveexec_b64 s[6:7], s[4:5]
	s_cbranch_execz .LBB1_29509
; %bb.51851:
	s_getpc_b64 s[14:15]
.Lpost_getpc11589:
	s_add_u32 s14, s14, (.LBB1_1675-.Lpost_getpc11589)&4294967295
	s_addc_u32 s15, s15, (.LBB1_1675-.Lpost_getpc11589)>>32
	s_setpc_b64 s[14:15]
.LBB1_29509:
	s_getpc_b64 s[14:15]
.Lpost_getpc418:
	s_add_u32 s14, s14, (.LBB1_1676-.Lpost_getpc418)&4294967295
	s_addc_u32 s15, s15, (.LBB1_1676-.Lpost_getpc418)>>32
	s_setpc_b64 s[14:15]
.LBB1_16013:
	s_movk_i32 s4, 0x80
	v_cmp_eq_u16_sdwa s[12:13], v13, s4 src0_sel:BYTE_0 src1_sel:DWORD
	s_mov_b64 s[4:5], -1
                                        ; implicit-def: $sgpr10
	s_and_saveexec_b64 s[8:9], s[12:13]
; %bb.16014:
	s_mov_b32 s10, 0x7f800001
	s_xor_b64 s[4:5], exec, -1
; %bb.16015:
	s_or_b64 exec, exec, s[8:9]
	s_and_b64 s[4:5], s[4:5], exec
	s_or_saveexec_b64 s[6:7], s[6:7]
	v_mov_b32_e32 v14, s10
	s_xor_b64 exec, exec, s[6:7]
	s_cbranch_execnz .LBB1_16016
; %bb.51853:
	s_getpc_b64 s[14:15]
.Lpost_getpc11590:
	s_add_u32 s14, s14, (.LBB1_1678-.Lpost_getpc11590)&4294967295
	s_addc_u32 s15, s15, (.LBB1_1678-.Lpost_getpc11590)>>32
	s_setpc_b64 s[14:15]
.LBB1_16016:
	v_mov_b32_e32 v14, 0
	v_cmp_ne_u16_sdwa s[8:9], v13, v14 src0_sel:BYTE_0 src1_sel:DWORD
	s_andn2_b64 s[4:5], s[4:5], exec
	s_and_b64 s[8:9], s[8:9], exec
	s_or_b64 s[4:5], s[4:5], s[8:9]
	s_or_b64 exec, exec, s[6:7]
	s_and_saveexec_b64 s[6:7], s[4:5]
	s_cbranch_execz .LBB1_29511
; %bb.51855:
	s_getpc_b64 s[14:15]
.Lpost_getpc11591:
	s_add_u32 s14, s14, (.LBB1_1679-.Lpost_getpc11591)&4294967295
	s_addc_u32 s15, s15, (.LBB1_1679-.Lpost_getpc11591)>>32
	s_setpc_b64 s[14:15]
.LBB1_29511:
	s_getpc_b64 s[14:15]
.Lpost_getpc419:
	s_add_u32 s14, s14, (.LBB1_1680-.Lpost_getpc419)&4294967295
	s_addc_u32 s15, s15, (.LBB1_1680-.Lpost_getpc419)>>32
	s_setpc_b64 s[14:15]
.LBB1_16017:
	s_movk_i32 s4, 0x80
	v_cmp_eq_u16_e32 vcc, s4, v13
	s_mov_b64 s[4:5], -1
                                        ; implicit-def: $sgpr10
	s_and_saveexec_b64 s[8:9], vcc
; %bb.16018:
	s_mov_b32 s10, 0x7f800001
	s_xor_b64 s[4:5], exec, -1
; %bb.16019:
	s_or_b64 exec, exec, s[8:9]
	s_and_b64 s[4:5], s[4:5], exec
                                        ; implicit-def: $vgpr13
	s_or_saveexec_b64 s[6:7], s[6:7]
	v_mov_b32_e32 v12, s10
	s_xor_b64 exec, exec, s[6:7]
	s_cbranch_execnz .LBB1_16020
; %bb.51857:
	s_getpc_b64 s[14:15]
.Lpost_getpc11592:
	s_add_u32 s14, s14, (.LBB1_1682-.Lpost_getpc11592)&4294967295
	s_addc_u32 s15, s15, (.LBB1_1682-.Lpost_getpc11592)>>32
	s_setpc_b64 s[14:15]
.LBB1_16020:
	v_cmp_ne_u16_e32 vcc, 0, v13
	s_andn2_b64 s[4:5], s[4:5], exec
	s_and_b64 s[8:9], vcc, exec
	v_mov_b32_e32 v12, 0
	s_or_b64 s[4:5], s[4:5], s[8:9]
	s_or_b64 exec, exec, s[6:7]
	s_and_saveexec_b64 s[6:7], s[4:5]
	s_cbranch_execz .LBB1_29513
; %bb.51859:
	s_getpc_b64 s[14:15]
.Lpost_getpc11593:
	s_add_u32 s14, s14, (.LBB1_1683-.Lpost_getpc11593)&4294967295
	s_addc_u32 s15, s15, (.LBB1_1683-.Lpost_getpc11593)>>32
	s_setpc_b64 s[14:15]
.LBB1_29513:
	s_getpc_b64 s[14:15]
.Lpost_getpc420:
	s_add_u32 s14, s14, (.LBB1_1684-.Lpost_getpc420)&4294967295
	s_addc_u32 s15, s15, (.LBB1_1684-.Lpost_getpc420)>>32
	s_setpc_b64 s[14:15]
.LBB1_16021:
	s_movk_i32 s4, 0x80
	v_cmp_eq_u16_e32 vcc, s4, v13
	s_mov_b64 s[4:5], -1
                                        ; implicit-def: $sgpr10
	s_and_saveexec_b64 s[8:9], vcc
; %bb.16022:
	s_mov_b32 s10, 0x7f800001
	s_xor_b64 s[4:5], exec, -1
; %bb.16023:
	s_or_b64 exec, exec, s[8:9]
	s_and_b64 s[4:5], s[4:5], exec
                                        ; implicit-def: $vgpr13
	s_or_saveexec_b64 s[6:7], s[6:7]
	v_mov_b32_e32 v14, s10
	s_xor_b64 exec, exec, s[6:7]
	s_cbranch_execnz .LBB1_16024
; %bb.51861:
	s_getpc_b64 s[14:15]
.Lpost_getpc11594:
	s_add_u32 s14, s14, (.LBB1_1686-.Lpost_getpc11594)&4294967295
	s_addc_u32 s15, s15, (.LBB1_1686-.Lpost_getpc11594)>>32
	s_setpc_b64 s[14:15]
.LBB1_16024:
	v_cmp_ne_u16_e32 vcc, 0, v13
	s_andn2_b64 s[4:5], s[4:5], exec
	s_and_b64 s[8:9], vcc, exec
	v_mov_b32_e32 v14, 0
	s_or_b64 s[4:5], s[4:5], s[8:9]
	s_or_b64 exec, exec, s[6:7]
	s_and_saveexec_b64 s[6:7], s[4:5]
	s_cbranch_execz .LBB1_29515
; %bb.51863:
	s_getpc_b64 s[14:15]
.Lpost_getpc11595:
	s_add_u32 s14, s14, (.LBB1_1687-.Lpost_getpc11595)&4294967295
	s_addc_u32 s15, s15, (.LBB1_1687-.Lpost_getpc11595)>>32
	s_setpc_b64 s[14:15]
.LBB1_29515:
	s_getpc_b64 s[14:15]
.Lpost_getpc421:
	s_add_u32 s14, s14, (.LBB1_1688-.Lpost_getpc421)&4294967295
	s_addc_u32 s15, s15, (.LBB1_1688-.Lpost_getpc421)>>32
	s_setpc_b64 s[14:15]
.LBB1_16025:
	s_movk_i32 s4, 0x80
	v_cmp_eq_u16_sdwa s[12:13], v6, s4 src0_sel:BYTE_3 src1_sel:DWORD
	s_mov_b64 s[4:5], -1
                                        ; implicit-def: $sgpr10
	s_and_saveexec_b64 s[8:9], s[12:13]
; %bb.16026:
	s_mov_b32 s10, 0x7f800001
	s_xor_b64 s[4:5], exec, -1
; %bb.16027:
	s_or_b64 exec, exec, s[8:9]
	s_and_b64 s[4:5], s[4:5], exec
	s_or_saveexec_b64 s[6:7], s[6:7]
	v_mov_b32_e32 v12, s10
	s_xor_b64 exec, exec, s[6:7]
	s_cbranch_execnz .LBB1_16028
; %bb.51865:
	s_getpc_b64 s[14:15]
.Lpost_getpc11596:
	s_add_u32 s14, s14, (.LBB1_1690-.Lpost_getpc11596)&4294967295
	s_addc_u32 s15, s15, (.LBB1_1690-.Lpost_getpc11596)>>32
	s_setpc_b64 s[14:15]
.LBB1_16028:
	v_mov_b32_e32 v12, 0
	v_cmp_ne_u16_sdwa s[8:9], v6, v12 src0_sel:BYTE_3 src1_sel:DWORD
	s_andn2_b64 s[4:5], s[4:5], exec
	s_and_b64 s[8:9], s[8:9], exec
	s_or_b64 s[4:5], s[4:5], s[8:9]
	s_or_b64 exec, exec, s[6:7]
	s_and_saveexec_b64 s[6:7], s[4:5]
	s_cbranch_execz .LBB1_29517
; %bb.51867:
	s_getpc_b64 s[14:15]
.Lpost_getpc11597:
	s_add_u32 s14, s14, (.LBB1_1691-.Lpost_getpc11597)&4294967295
	s_addc_u32 s15, s15, (.LBB1_1691-.Lpost_getpc11597)>>32
	s_setpc_b64 s[14:15]
.LBB1_29517:
	s_getpc_b64 s[14:15]
.Lpost_getpc422:
	s_add_u32 s14, s14, (.LBB1_1692-.Lpost_getpc422)&4294967295
	s_addc_u32 s15, s15, (.LBB1_1692-.Lpost_getpc422)>>32
	s_setpc_b64 s[14:15]
.LBB1_16029:
	s_movk_i32 s4, 0x80
	v_cmp_eq_u16_sdwa s[12:13], v2, s4 src0_sel:BYTE_3 src1_sel:DWORD
	s_mov_b64 s[4:5], -1
                                        ; implicit-def: $sgpr10
	s_and_saveexec_b64 s[8:9], s[12:13]
; %bb.16030:
	s_mov_b32 s10, 0x7f800001
	s_xor_b64 s[4:5], exec, -1
; %bb.16031:
	s_or_b64 exec, exec, s[8:9]
	s_and_b64 s[4:5], s[4:5], exec
	s_or_saveexec_b64 s[6:7], s[6:7]
	v_mov_b32_e32 v6, s10
	s_xor_b64 exec, exec, s[6:7]
	s_cbranch_execnz .LBB1_16032
; %bb.51869:
	s_getpc_b64 s[14:15]
.Lpost_getpc11598:
	s_add_u32 s14, s14, (.LBB1_1694-.Lpost_getpc11598)&4294967295
	s_addc_u32 s15, s15, (.LBB1_1694-.Lpost_getpc11598)>>32
	s_setpc_b64 s[14:15]
.LBB1_16032:
	v_mov_b32_e32 v6, 0
	v_cmp_ne_u16_sdwa s[8:9], v2, v6 src0_sel:BYTE_3 src1_sel:DWORD
	s_andn2_b64 s[4:5], s[4:5], exec
	s_and_b64 s[8:9], s[8:9], exec
	s_or_b64 s[4:5], s[4:5], s[8:9]
	s_or_b64 exec, exec, s[6:7]
	s_and_saveexec_b64 s[6:7], s[4:5]
	s_cbranch_execz .LBB1_29519
; %bb.51871:
	s_getpc_b64 s[14:15]
.Lpost_getpc11599:
	s_add_u32 s14, s14, (.LBB1_1695-.Lpost_getpc11599)&4294967295
	s_addc_u32 s15, s15, (.LBB1_1695-.Lpost_getpc11599)>>32
	s_setpc_b64 s[14:15]
.LBB1_29519:
	s_getpc_b64 s[14:15]
.Lpost_getpc423:
	s_add_u32 s14, s14, (.LBB1_1696-.Lpost_getpc423)&4294967295
	s_addc_u32 s15, s15, (.LBB1_1696-.Lpost_getpc423)>>32
	s_setpc_b64 s[14:15]
.LBB1_16033:
	s_movk_i32 s4, 0x80
	v_cmp_eq_u16_sdwa s[12:13], v7, s4 src0_sel:BYTE_0 src1_sel:DWORD
	s_mov_b64 s[4:5], -1
                                        ; implicit-def: $sgpr10
	s_and_saveexec_b64 s[8:9], s[12:13]
; %bb.16034:
	s_mov_b32 s10, 0x7f800001
	s_xor_b64 s[4:5], exec, -1
; %bb.16035:
	s_or_b64 exec, exec, s[8:9]
	s_and_b64 s[4:5], s[4:5], exec
	s_or_saveexec_b64 s[6:7], s[6:7]
	v_mov_b32_e32 v2, s10
	s_xor_b64 exec, exec, s[6:7]
	s_cbranch_execnz .LBB1_16036
; %bb.51873:
	s_getpc_b64 s[14:15]
.Lpost_getpc11600:
	s_add_u32 s14, s14, (.LBB1_1698-.Lpost_getpc11600)&4294967295
	s_addc_u32 s15, s15, (.LBB1_1698-.Lpost_getpc11600)>>32
	s_setpc_b64 s[14:15]
.LBB1_16036:
	v_mov_b32_e32 v2, 0
	v_cmp_ne_u16_sdwa s[8:9], v7, v2 src0_sel:BYTE_0 src1_sel:DWORD
	s_andn2_b64 s[4:5], s[4:5], exec
	s_and_b64 s[8:9], s[8:9], exec
	s_or_b64 s[4:5], s[4:5], s[8:9]
	s_or_b64 exec, exec, s[6:7]
	s_and_saveexec_b64 s[6:7], s[4:5]
	s_cbranch_execz .LBB1_29521
; %bb.51875:
	s_getpc_b64 s[14:15]
.Lpost_getpc11601:
	s_add_u32 s14, s14, (.LBB1_1699-.Lpost_getpc11601)&4294967295
	s_addc_u32 s15, s15, (.LBB1_1699-.Lpost_getpc11601)>>32
	s_setpc_b64 s[14:15]
.LBB1_29521:
	s_getpc_b64 s[14:15]
.Lpost_getpc424:
	s_add_u32 s14, s14, (.LBB1_1700-.Lpost_getpc424)&4294967295
	s_addc_u32 s15, s15, (.LBB1_1700-.Lpost_getpc424)>>32
	s_setpc_b64 s[14:15]
.LBB1_16037:
	s_movk_i32 s4, 0x80
	v_cmp_eq_u16_sdwa s[12:13], v3, s4 src0_sel:BYTE_0 src1_sel:DWORD
	s_mov_b64 s[4:5], -1
                                        ; implicit-def: $sgpr10
	s_and_saveexec_b64 s[8:9], s[12:13]
; %bb.16038:
	s_mov_b32 s10, 0x7f800001
	s_xor_b64 s[4:5], exec, -1
; %bb.16039:
	s_or_b64 exec, exec, s[8:9]
	s_and_b64 s[4:5], s[4:5], exec
	s_or_saveexec_b64 s[6:7], s[6:7]
	v_mov_b32_e32 v6, s10
	s_xor_b64 exec, exec, s[6:7]
	s_cbranch_execnz .LBB1_16040
; %bb.51877:
	s_getpc_b64 s[14:15]
.Lpost_getpc11602:
	s_add_u32 s14, s14, (.LBB1_1702-.Lpost_getpc11602)&4294967295
	s_addc_u32 s15, s15, (.LBB1_1702-.Lpost_getpc11602)>>32
	s_setpc_b64 s[14:15]
.LBB1_16040:
	v_mov_b32_e32 v6, 0
	v_cmp_ne_u16_sdwa s[8:9], v3, v6 src0_sel:BYTE_0 src1_sel:DWORD
	s_andn2_b64 s[4:5], s[4:5], exec
	s_and_b64 s[8:9], s[8:9], exec
	s_or_b64 s[4:5], s[4:5], s[8:9]
	s_or_b64 exec, exec, s[6:7]
	s_and_saveexec_b64 s[6:7], s[4:5]
	s_cbranch_execz .LBB1_29523
; %bb.51879:
	s_getpc_b64 s[14:15]
.Lpost_getpc11603:
	s_add_u32 s14, s14, (.LBB1_1703-.Lpost_getpc11603)&4294967295
	s_addc_u32 s15, s15, (.LBB1_1703-.Lpost_getpc11603)>>32
	s_setpc_b64 s[14:15]
.LBB1_29523:
	s_getpc_b64 s[14:15]
.Lpost_getpc425:
	s_add_u32 s14, s14, (.LBB1_1704-.Lpost_getpc425)&4294967295
	s_addc_u32 s15, s15, (.LBB1_1704-.Lpost_getpc425)>>32
	s_setpc_b64 s[14:15]
.LBB1_16041:
	s_movk_i32 s4, 0x80
	v_cmp_eq_u16_sdwa s[12:13], v6, s4 src0_sel:BYTE_0 src1_sel:DWORD
	s_mov_b64 s[4:5], -1
                                        ; implicit-def: $sgpr10
	s_and_saveexec_b64 s[8:9], s[12:13]
; %bb.16042:
	s_mov_b32 s10, 0x7f800001
	s_xor_b64 s[4:5], exec, -1
; %bb.16043:
	s_or_b64 exec, exec, s[8:9]
	s_and_b64 s[4:5], s[4:5], exec
	s_or_saveexec_b64 s[6:7], s[6:7]
	v_mov_b32_e32 v2, s10
	s_xor_b64 exec, exec, s[6:7]
	s_cbranch_execnz .LBB1_16044
; %bb.51881:
	s_getpc_b64 s[14:15]
.Lpost_getpc11604:
	s_add_u32 s14, s14, (.LBB1_1706-.Lpost_getpc11604)&4294967295
	s_addc_u32 s15, s15, (.LBB1_1706-.Lpost_getpc11604)>>32
	s_setpc_b64 s[14:15]
.LBB1_16044:
	v_mov_b32_e32 v2, 0
	v_cmp_ne_u16_sdwa s[8:9], v6, v2 src0_sel:BYTE_0 src1_sel:DWORD
	s_andn2_b64 s[4:5], s[4:5], exec
	s_and_b64 s[8:9], s[8:9], exec
	s_or_b64 s[4:5], s[4:5], s[8:9]
	s_or_b64 exec, exec, s[6:7]
	s_and_saveexec_b64 s[6:7], s[4:5]
	s_cbranch_execz .LBB1_29525
; %bb.51883:
	s_getpc_b64 s[14:15]
.Lpost_getpc11605:
	s_add_u32 s14, s14, (.LBB1_1707-.Lpost_getpc11605)&4294967295
	s_addc_u32 s15, s15, (.LBB1_1707-.Lpost_getpc11605)>>32
	s_setpc_b64 s[14:15]
.LBB1_29525:
	s_getpc_b64 s[14:15]
.Lpost_getpc426:
	s_add_u32 s14, s14, (.LBB1_1708-.Lpost_getpc426)&4294967295
	s_addc_u32 s15, s15, (.LBB1_1708-.Lpost_getpc426)>>32
	s_setpc_b64 s[14:15]
.LBB1_16045:
	s_movk_i32 s4, 0x80
	v_cmp_eq_u16_sdwa s[12:13], v6, s4 src0_sel:BYTE_0 src1_sel:DWORD
	s_mov_b64 s[4:5], -1
                                        ; implicit-def: $sgpr10
	s_and_saveexec_b64 s[8:9], s[12:13]
; %bb.16046:
	s_mov_b32 s10, 0x7f800001
	s_xor_b64 s[4:5], exec, -1
; %bb.16047:
	s_or_b64 exec, exec, s[8:9]
	s_and_b64 s[4:5], s[4:5], exec
	s_or_saveexec_b64 s[6:7], s[6:7]
	v_mov_b32_e32 v12, s10
	s_xor_b64 exec, exec, s[6:7]
	s_cbranch_execnz .LBB1_16048
; %bb.51885:
	s_getpc_b64 s[14:15]
.Lpost_getpc11606:
	s_add_u32 s14, s14, (.LBB1_1710-.Lpost_getpc11606)&4294967295
	s_addc_u32 s15, s15, (.LBB1_1710-.Lpost_getpc11606)>>32
	s_setpc_b64 s[14:15]
.LBB1_16048:
	v_mov_b32_e32 v12, 0
	v_cmp_ne_u16_sdwa s[8:9], v6, v12 src0_sel:BYTE_0 src1_sel:DWORD
	s_andn2_b64 s[4:5], s[4:5], exec
	s_and_b64 s[8:9], s[8:9], exec
	s_or_b64 s[4:5], s[4:5], s[8:9]
	s_or_b64 exec, exec, s[6:7]
	s_and_saveexec_b64 s[6:7], s[4:5]
	s_cbranch_execz .LBB1_29527
; %bb.51887:
	s_getpc_b64 s[14:15]
.Lpost_getpc11607:
	s_add_u32 s14, s14, (.LBB1_1711-.Lpost_getpc11607)&4294967295
	s_addc_u32 s15, s15, (.LBB1_1711-.Lpost_getpc11607)>>32
	s_setpc_b64 s[14:15]
.LBB1_29527:
	s_getpc_b64 s[14:15]
.Lpost_getpc427:
	s_add_u32 s14, s14, (.LBB1_1712-.Lpost_getpc427)&4294967295
	s_addc_u32 s15, s15, (.LBB1_1712-.Lpost_getpc427)>>32
	s_setpc_b64 s[14:15]
.LBB1_16049:
	s_movk_i32 s4, 0x80
	v_cmp_eq_u16_e32 vcc, s4, v6
	s_mov_b64 s[4:5], -1
                                        ; implicit-def: $sgpr10
	s_and_saveexec_b64 s[8:9], vcc
; %bb.16050:
	s_mov_b32 s10, 0x7f800001
	s_xor_b64 s[4:5], exec, -1
; %bb.16051:
	s_or_b64 exec, exec, s[8:9]
	s_and_b64 s[4:5], s[4:5], exec
                                        ; implicit-def: $vgpr6
	s_or_saveexec_b64 s[6:7], s[6:7]
	v_mov_b32_e32 v2, s10
	s_xor_b64 exec, exec, s[6:7]
	s_cbranch_execnz .LBB1_16052
; %bb.51889:
	s_getpc_b64 s[14:15]
.Lpost_getpc11608:
	s_add_u32 s14, s14, (.LBB1_1714-.Lpost_getpc11608)&4294967295
	s_addc_u32 s15, s15, (.LBB1_1714-.Lpost_getpc11608)>>32
	s_setpc_b64 s[14:15]
.LBB1_16052:
	v_cmp_ne_u16_e32 vcc, 0, v6
	s_andn2_b64 s[4:5], s[4:5], exec
	s_and_b64 s[8:9], vcc, exec
	v_mov_b32_e32 v2, 0
	s_or_b64 s[4:5], s[4:5], s[8:9]
	s_or_b64 exec, exec, s[6:7]
	s_and_saveexec_b64 s[6:7], s[4:5]
	s_cbranch_execz .LBB1_29529
; %bb.51891:
	s_getpc_b64 s[14:15]
.Lpost_getpc11609:
	s_add_u32 s14, s14, (.LBB1_1715-.Lpost_getpc11609)&4294967295
	s_addc_u32 s15, s15, (.LBB1_1715-.Lpost_getpc11609)>>32
	s_setpc_b64 s[14:15]
.LBB1_29529:
	s_getpc_b64 s[14:15]
.Lpost_getpc428:
	s_add_u32 s14, s14, (.LBB1_1716-.Lpost_getpc428)&4294967295
	s_addc_u32 s15, s15, (.LBB1_1716-.Lpost_getpc428)>>32
	s_setpc_b64 s[14:15]
.LBB1_16053:
	s_movk_i32 s4, 0x80
	v_cmp_eq_u16_e32 vcc, s4, v6
	s_mov_b64 s[4:5], -1
                                        ; implicit-def: $sgpr10
	s_and_saveexec_b64 s[8:9], vcc
; %bb.16054:
	s_mov_b32 s10, 0x7f800001
	s_xor_b64 s[4:5], exec, -1
; %bb.16055:
	s_or_b64 exec, exec, s[8:9]
	s_and_b64 s[4:5], s[4:5], exec
                                        ; implicit-def: $vgpr6
	s_or_saveexec_b64 s[6:7], s[6:7]
	v_mov_b32_e32 v12, s10
	s_xor_b64 exec, exec, s[6:7]
	s_cbranch_execnz .LBB1_16056
; %bb.51893:
	s_getpc_b64 s[14:15]
.Lpost_getpc11610:
	s_add_u32 s14, s14, (.LBB1_1718-.Lpost_getpc11610)&4294967295
	s_addc_u32 s15, s15, (.LBB1_1718-.Lpost_getpc11610)>>32
	s_setpc_b64 s[14:15]
.LBB1_16056:
	v_cmp_ne_u16_e32 vcc, 0, v6
	s_andn2_b64 s[4:5], s[4:5], exec
	s_and_b64 s[8:9], vcc, exec
	v_mov_b32_e32 v12, 0
	s_or_b64 s[4:5], s[4:5], s[8:9]
	s_or_b64 exec, exec, s[6:7]
	s_and_saveexec_b64 s[6:7], s[4:5]
	s_cbranch_execz .LBB1_29531
; %bb.51895:
	s_getpc_b64 s[14:15]
.Lpost_getpc11611:
	s_add_u32 s14, s14, (.LBB1_1719-.Lpost_getpc11611)&4294967295
	s_addc_u32 s15, s15, (.LBB1_1719-.Lpost_getpc11611)>>32
	s_setpc_b64 s[14:15]
.LBB1_29531:
	s_getpc_b64 s[14:15]
.Lpost_getpc429:
	s_add_u32 s14, s14, (.LBB1_1720-.Lpost_getpc429)&4294967295
	s_addc_u32 s15, s15, (.LBB1_1720-.Lpost_getpc429)>>32
	s_setpc_b64 s[14:15]
.LBB1_16057:
	s_movk_i32 s4, 0x80
	v_cmp_eq_u16_sdwa s[12:13], v7, s4 src0_sel:BYTE_3 src1_sel:DWORD
	s_mov_b64 s[4:5], -1
                                        ; implicit-def: $sgpr10
	s_and_saveexec_b64 s[8:9], s[12:13]
; %bb.16058:
	s_mov_b32 s10, 0x7f800001
	s_xor_b64 s[4:5], exec, -1
; %bb.16059:
	s_or_b64 exec, exec, s[8:9]
	s_and_b64 s[4:5], s[4:5], exec
	s_or_saveexec_b64 s[6:7], s[6:7]
	v_mov_b32_e32 v2, s10
	s_xor_b64 exec, exec, s[6:7]
	s_cbranch_execnz .LBB1_16060
; %bb.51897:
	s_getpc_b64 s[14:15]
.Lpost_getpc11612:
	s_add_u32 s14, s14, (.LBB1_1722-.Lpost_getpc11612)&4294967295
	s_addc_u32 s15, s15, (.LBB1_1722-.Lpost_getpc11612)>>32
	s_setpc_b64 s[14:15]
.LBB1_16060:
	v_mov_b32_e32 v2, 0
	v_cmp_ne_u16_sdwa s[8:9], v7, v2 src0_sel:BYTE_3 src1_sel:DWORD
	s_andn2_b64 s[4:5], s[4:5], exec
	s_and_b64 s[8:9], s[8:9], exec
	s_or_b64 s[4:5], s[4:5], s[8:9]
	s_or_b64 exec, exec, s[6:7]
	s_and_saveexec_b64 s[6:7], s[4:5]
	s_cbranch_execz .LBB1_29533
; %bb.51899:
	s_getpc_b64 s[14:15]
.Lpost_getpc11613:
	s_add_u32 s14, s14, (.LBB1_1723-.Lpost_getpc11613)&4294967295
	s_addc_u32 s15, s15, (.LBB1_1723-.Lpost_getpc11613)>>32
	s_setpc_b64 s[14:15]
.LBB1_29533:
	s_getpc_b64 s[14:15]
.Lpost_getpc430:
	s_add_u32 s14, s14, (.LBB1_1724-.Lpost_getpc430)&4294967295
	s_addc_u32 s15, s15, (.LBB1_1724-.Lpost_getpc430)>>32
	s_setpc_b64 s[14:15]
.LBB1_16061:
	s_movk_i32 s4, 0x80
	v_cmp_eq_u16_sdwa s[12:13], v3, s4 src0_sel:BYTE_3 src1_sel:DWORD
	s_mov_b64 s[4:5], -1
                                        ; implicit-def: $sgpr10
	s_and_saveexec_b64 s[8:9], s[12:13]
; %bb.16062:
	s_mov_b32 s10, 0x7f800001
	s_xor_b64 s[4:5], exec, -1
; %bb.16063:
	s_or_b64 exec, exec, s[8:9]
	s_and_b64 s[4:5], s[4:5], exec
	s_or_saveexec_b64 s[6:7], s[6:7]
	v_mov_b32_e32 v6, s10
	s_xor_b64 exec, exec, s[6:7]
	s_cbranch_execnz .LBB1_16064
; %bb.51901:
	s_getpc_b64 s[14:15]
.Lpost_getpc11614:
	s_add_u32 s14, s14, (.LBB1_1726-.Lpost_getpc11614)&4294967295
	s_addc_u32 s15, s15, (.LBB1_1726-.Lpost_getpc11614)>>32
	s_setpc_b64 s[14:15]
.LBB1_16064:
	v_mov_b32_e32 v6, 0
	v_cmp_ne_u16_sdwa s[8:9], v3, v6 src0_sel:BYTE_3 src1_sel:DWORD
	s_andn2_b64 s[4:5], s[4:5], exec
	s_and_b64 s[8:9], s[8:9], exec
	s_or_b64 s[4:5], s[4:5], s[8:9]
	s_or_b64 exec, exec, s[6:7]
	s_and_saveexec_b64 s[6:7], s[4:5]
	s_cbranch_execz .LBB1_29535
; %bb.51903:
	s_getpc_b64 s[14:15]
.Lpost_getpc11615:
	s_add_u32 s14, s14, (.LBB1_1727-.Lpost_getpc11615)&4294967295
	s_addc_u32 s15, s15, (.LBB1_1727-.Lpost_getpc11615)>>32
	s_setpc_b64 s[14:15]
.LBB1_29535:
	s_getpc_b64 s[14:15]
.Lpost_getpc431:
	s_add_u32 s14, s14, (.LBB1_1728-.Lpost_getpc431)&4294967295
	s_addc_u32 s15, s15, (.LBB1_1728-.Lpost_getpc431)>>32
	s_setpc_b64 s[14:15]
.LBB1_16065:
	s_movk_i32 s4, 0x80
	v_cmp_eq_u16_sdwa s[12:13], v8, s4 src0_sel:BYTE_0 src1_sel:DWORD
	s_mov_b64 s[4:5], -1
                                        ; implicit-def: $sgpr10
	s_and_saveexec_b64 s[8:9], s[12:13]
; %bb.16066:
	s_mov_b32 s10, 0x7f800001
	s_xor_b64 s[4:5], exec, -1
; %bb.16067:
	s_or_b64 exec, exec, s[8:9]
	s_and_b64 s[4:5], s[4:5], exec
	s_or_saveexec_b64 s[6:7], s[6:7]
	v_mov_b32_e32 v2, s10
	s_xor_b64 exec, exec, s[6:7]
	s_cbranch_execnz .LBB1_16068
; %bb.51905:
	s_getpc_b64 s[14:15]
.Lpost_getpc11616:
	s_add_u32 s14, s14, (.LBB1_1730-.Lpost_getpc11616)&4294967295
	s_addc_u32 s15, s15, (.LBB1_1730-.Lpost_getpc11616)>>32
	s_setpc_b64 s[14:15]
.LBB1_16068:
	v_mov_b32_e32 v2, 0
	v_cmp_ne_u16_sdwa s[8:9], v8, v2 src0_sel:BYTE_0 src1_sel:DWORD
	s_andn2_b64 s[4:5], s[4:5], exec
	s_and_b64 s[8:9], s[8:9], exec
	s_or_b64 s[4:5], s[4:5], s[8:9]
	s_or_b64 exec, exec, s[6:7]
	s_and_saveexec_b64 s[6:7], s[4:5]
	s_cbranch_execz .LBB1_29537
; %bb.51907:
	s_getpc_b64 s[14:15]
.Lpost_getpc11617:
	s_add_u32 s14, s14, (.LBB1_1731-.Lpost_getpc11617)&4294967295
	s_addc_u32 s15, s15, (.LBB1_1731-.Lpost_getpc11617)>>32
	s_setpc_b64 s[14:15]
.LBB1_29537:
	s_getpc_b64 s[14:15]
.Lpost_getpc432:
	s_add_u32 s14, s14, (.LBB1_1732-.Lpost_getpc432)&4294967295
	s_addc_u32 s15, s15, (.LBB1_1732-.Lpost_getpc432)>>32
	s_setpc_b64 s[14:15]
.LBB1_16069:
	s_movk_i32 s4, 0x80
	v_cmp_eq_u16_sdwa s[12:13], v4, s4 src0_sel:BYTE_0 src1_sel:DWORD
	s_mov_b64 s[4:5], -1
                                        ; implicit-def: $sgpr10
	s_and_saveexec_b64 s[8:9], s[12:13]
; %bb.16070:
	s_mov_b32 s10, 0x7f800001
	s_xor_b64 s[4:5], exec, -1
; %bb.16071:
	s_or_b64 exec, exec, s[8:9]
	s_and_b64 s[4:5], s[4:5], exec
	s_or_saveexec_b64 s[6:7], s[6:7]
	v_mov_b32_e32 v3, s10
	s_xor_b64 exec, exec, s[6:7]
	s_cbranch_execnz .LBB1_16072
; %bb.51909:
	s_getpc_b64 s[14:15]
.Lpost_getpc11618:
	s_add_u32 s14, s14, (.LBB1_1734-.Lpost_getpc11618)&4294967295
	s_addc_u32 s15, s15, (.LBB1_1734-.Lpost_getpc11618)>>32
	s_setpc_b64 s[14:15]
.LBB1_16072:
	v_mov_b32_e32 v3, 0
	v_cmp_ne_u16_sdwa s[8:9], v4, v3 src0_sel:BYTE_0 src1_sel:DWORD
	s_andn2_b64 s[4:5], s[4:5], exec
	s_and_b64 s[8:9], s[8:9], exec
	s_or_b64 s[4:5], s[4:5], s[8:9]
	s_or_b64 exec, exec, s[6:7]
	s_and_saveexec_b64 s[6:7], s[4:5]
	s_cbranch_execz .LBB1_29539
; %bb.51911:
	s_getpc_b64 s[14:15]
.Lpost_getpc11619:
	s_add_u32 s14, s14, (.LBB1_1735-.Lpost_getpc11619)&4294967295
	s_addc_u32 s15, s15, (.LBB1_1735-.Lpost_getpc11619)>>32
	s_setpc_b64 s[14:15]
.LBB1_29539:
	s_getpc_b64 s[14:15]
.Lpost_getpc433:
	s_add_u32 s14, s14, (.LBB1_1736-.Lpost_getpc433)&4294967295
	s_addc_u32 s15, s15, (.LBB1_1736-.Lpost_getpc433)>>32
	s_setpc_b64 s[14:15]
.LBB1_16073:
	s_movk_i32 s4, 0x80
	v_cmp_eq_u16_sdwa s[12:13], v3, s4 src0_sel:BYTE_0 src1_sel:DWORD
	s_mov_b64 s[4:5], -1
                                        ; implicit-def: $sgpr10
	s_and_saveexec_b64 s[8:9], s[12:13]
; %bb.16074:
	s_mov_b32 s10, 0x7f800001
	s_xor_b64 s[4:5], exec, -1
; %bb.16075:
	s_or_b64 exec, exec, s[8:9]
	s_and_b64 s[4:5], s[4:5], exec
	s_or_saveexec_b64 s[6:7], s[6:7]
	v_mov_b32_e32 v2, s10
	s_xor_b64 exec, exec, s[6:7]
	s_cbranch_execnz .LBB1_16076
; %bb.51913:
	s_getpc_b64 s[14:15]
.Lpost_getpc11620:
	s_add_u32 s14, s14, (.LBB1_1738-.Lpost_getpc11620)&4294967295
	s_addc_u32 s15, s15, (.LBB1_1738-.Lpost_getpc11620)>>32
	s_setpc_b64 s[14:15]
.LBB1_16076:
	v_mov_b32_e32 v2, 0
	v_cmp_ne_u16_sdwa s[8:9], v3, v2 src0_sel:BYTE_0 src1_sel:DWORD
	s_andn2_b64 s[4:5], s[4:5], exec
	s_and_b64 s[8:9], s[8:9], exec
	s_or_b64 s[4:5], s[4:5], s[8:9]
	s_or_b64 exec, exec, s[6:7]
	s_and_saveexec_b64 s[6:7], s[4:5]
	s_cbranch_execz .LBB1_29541
; %bb.51915:
	s_getpc_b64 s[14:15]
.Lpost_getpc11621:
	s_add_u32 s14, s14, (.LBB1_1739-.Lpost_getpc11621)&4294967295
	s_addc_u32 s15, s15, (.LBB1_1739-.Lpost_getpc11621)>>32
	s_setpc_b64 s[14:15]
.LBB1_29541:
	s_getpc_b64 s[14:15]
.Lpost_getpc434:
	s_add_u32 s14, s14, (.LBB1_1740-.Lpost_getpc434)&4294967295
	s_addc_u32 s15, s15, (.LBB1_1740-.Lpost_getpc434)>>32
	s_setpc_b64 s[14:15]
.LBB1_16077:
	s_movk_i32 s4, 0x80
	v_cmp_eq_u16_sdwa s[12:13], v3, s4 src0_sel:BYTE_0 src1_sel:DWORD
	s_mov_b64 s[4:5], -1
                                        ; implicit-def: $sgpr10
	s_and_saveexec_b64 s[8:9], s[12:13]
; %bb.16078:
	s_mov_b32 s10, 0x7f800001
	s_xor_b64 s[4:5], exec, -1
; %bb.16079:
	s_or_b64 exec, exec, s[8:9]
	s_and_b64 s[4:5], s[4:5], exec
	s_or_saveexec_b64 s[6:7], s[6:7]
	v_mov_b32_e32 v6, s10
	s_xor_b64 exec, exec, s[6:7]
	s_cbranch_execnz .LBB1_16080
; %bb.51917:
	s_getpc_b64 s[14:15]
.Lpost_getpc11622:
	s_add_u32 s14, s14, (.LBB1_1742-.Lpost_getpc11622)&4294967295
	s_addc_u32 s15, s15, (.LBB1_1742-.Lpost_getpc11622)>>32
	s_setpc_b64 s[14:15]
.LBB1_16080:
	v_mov_b32_e32 v6, 0
	v_cmp_ne_u16_sdwa s[8:9], v3, v6 src0_sel:BYTE_0 src1_sel:DWORD
	s_andn2_b64 s[4:5], s[4:5], exec
	s_and_b64 s[8:9], s[8:9], exec
	s_or_b64 s[4:5], s[4:5], s[8:9]
	s_or_b64 exec, exec, s[6:7]
	s_and_saveexec_b64 s[6:7], s[4:5]
	s_cbranch_execz .LBB1_29543
; %bb.51919:
	s_getpc_b64 s[14:15]
.Lpost_getpc11623:
	s_add_u32 s14, s14, (.LBB1_1743-.Lpost_getpc11623)&4294967295
	s_addc_u32 s15, s15, (.LBB1_1743-.Lpost_getpc11623)>>32
	s_setpc_b64 s[14:15]
.LBB1_29543:
	s_getpc_b64 s[14:15]
.Lpost_getpc435:
	s_add_u32 s14, s14, (.LBB1_1744-.Lpost_getpc435)&4294967295
	s_addc_u32 s15, s15, (.LBB1_1744-.Lpost_getpc435)>>32
	s_setpc_b64 s[14:15]
.LBB1_16081:
	s_movk_i32 s4, 0x80
	v_cmp_eq_u16_e32 vcc, s4, v3
	s_mov_b64 s[4:5], -1
                                        ; implicit-def: $sgpr10
	s_and_saveexec_b64 s[8:9], vcc
; %bb.16082:
	s_mov_b32 s10, 0x7f800001
	s_xor_b64 s[4:5], exec, -1
; %bb.16083:
	s_or_b64 exec, exec, s[8:9]
	s_and_b64 s[4:5], s[4:5], exec
                                        ; implicit-def: $vgpr3
	s_or_saveexec_b64 s[6:7], s[6:7]
	v_mov_b32_e32 v2, s10
	s_xor_b64 exec, exec, s[6:7]
	s_cbranch_execnz .LBB1_16084
; %bb.51921:
	s_getpc_b64 s[14:15]
.Lpost_getpc11624:
	s_add_u32 s14, s14, (.LBB1_1746-.Lpost_getpc11624)&4294967295
	s_addc_u32 s15, s15, (.LBB1_1746-.Lpost_getpc11624)>>32
	s_setpc_b64 s[14:15]
.LBB1_16084:
	v_cmp_ne_u16_e32 vcc, 0, v3
	s_andn2_b64 s[4:5], s[4:5], exec
	s_and_b64 s[8:9], vcc, exec
	v_mov_b32_e32 v2, 0
	s_or_b64 s[4:5], s[4:5], s[8:9]
	s_or_b64 exec, exec, s[6:7]
	s_and_saveexec_b64 s[6:7], s[4:5]
	s_cbranch_execz .LBB1_29545
; %bb.51923:
	s_getpc_b64 s[14:15]
.Lpost_getpc11625:
	s_add_u32 s14, s14, (.LBB1_1747-.Lpost_getpc11625)&4294967295
	s_addc_u32 s15, s15, (.LBB1_1747-.Lpost_getpc11625)>>32
	s_setpc_b64 s[14:15]
.LBB1_29545:
	s_getpc_b64 s[14:15]
.Lpost_getpc436:
	s_add_u32 s14, s14, (.LBB1_1748-.Lpost_getpc436)&4294967295
	s_addc_u32 s15, s15, (.LBB1_1748-.Lpost_getpc436)>>32
	s_setpc_b64 s[14:15]
.LBB1_16085:
	s_movk_i32 s4, 0x80
	v_cmp_eq_u16_e32 vcc, s4, v3
	s_mov_b64 s[4:5], -1
                                        ; implicit-def: $sgpr10
	s_and_saveexec_b64 s[8:9], vcc
; %bb.16086:
	s_mov_b32 s10, 0x7f800001
	s_xor_b64 s[4:5], exec, -1
; %bb.16087:
	s_or_b64 exec, exec, s[8:9]
	s_and_b64 s[4:5], s[4:5], exec
                                        ; implicit-def: $vgpr3
	s_or_saveexec_b64 s[6:7], s[6:7]
	v_mov_b32_e32 v6, s10
	s_xor_b64 exec, exec, s[6:7]
	s_cbranch_execnz .LBB1_16088
; %bb.51925:
	s_getpc_b64 s[14:15]
.Lpost_getpc11626:
	s_add_u32 s14, s14, (.LBB1_1750-.Lpost_getpc11626)&4294967295
	s_addc_u32 s15, s15, (.LBB1_1750-.Lpost_getpc11626)>>32
	s_setpc_b64 s[14:15]
.LBB1_16088:
	v_cmp_ne_u16_e32 vcc, 0, v3
	s_andn2_b64 s[4:5], s[4:5], exec
	s_and_b64 s[8:9], vcc, exec
	v_mov_b32_e32 v6, 0
	s_or_b64 s[4:5], s[4:5], s[8:9]
	s_or_b64 exec, exec, s[6:7]
	s_and_saveexec_b64 s[6:7], s[4:5]
	s_cbranch_execz .LBB1_29547
; %bb.51927:
	s_getpc_b64 s[14:15]
.Lpost_getpc11627:
	s_add_u32 s14, s14, (.LBB1_1751-.Lpost_getpc11627)&4294967295
	s_addc_u32 s15, s15, (.LBB1_1751-.Lpost_getpc11627)>>32
	s_setpc_b64 s[14:15]
.LBB1_29547:
	s_getpc_b64 s[14:15]
.Lpost_getpc437:
	s_add_u32 s14, s14, (.LBB1_1752-.Lpost_getpc437)&4294967295
	s_addc_u32 s15, s15, (.LBB1_1752-.Lpost_getpc437)>>32
	s_setpc_b64 s[14:15]
.LBB1_16089:
	s_movk_i32 s4, 0x80
	v_cmp_eq_u16_sdwa s[12:13], v8, s4 src0_sel:BYTE_3 src1_sel:DWORD
	s_mov_b64 s[4:5], -1
                                        ; implicit-def: $sgpr10
	s_and_saveexec_b64 s[8:9], s[12:13]
; %bb.16090:
	s_mov_b32 s10, 0x7f800001
	s_xor_b64 s[4:5], exec, -1
; %bb.16091:
	s_or_b64 exec, exec, s[8:9]
	s_and_b64 s[4:5], s[4:5], exec
	s_or_saveexec_b64 s[6:7], s[6:7]
	v_mov_b32_e32 v2, s10
	s_xor_b64 exec, exec, s[6:7]
	s_cbranch_execnz .LBB1_16092
; %bb.51929:
	s_getpc_b64 s[14:15]
.Lpost_getpc11628:
	s_add_u32 s14, s14, (.LBB1_1754-.Lpost_getpc11628)&4294967295
	s_addc_u32 s15, s15, (.LBB1_1754-.Lpost_getpc11628)>>32
	s_setpc_b64 s[14:15]
.LBB1_16092:
	v_mov_b32_e32 v2, 0
	v_cmp_ne_u16_sdwa s[8:9], v8, v2 src0_sel:BYTE_3 src1_sel:DWORD
	s_andn2_b64 s[4:5], s[4:5], exec
	s_and_b64 s[8:9], s[8:9], exec
	s_or_b64 s[4:5], s[4:5], s[8:9]
	s_or_b64 exec, exec, s[6:7]
	s_and_saveexec_b64 s[6:7], s[4:5]
	s_cbranch_execz .LBB1_29549
; %bb.51931:
	s_getpc_b64 s[14:15]
.Lpost_getpc11629:
	s_add_u32 s14, s14, (.LBB1_1755-.Lpost_getpc11629)&4294967295
	s_addc_u32 s15, s15, (.LBB1_1755-.Lpost_getpc11629)>>32
	s_setpc_b64 s[14:15]
.LBB1_29549:
	s_getpc_b64 s[14:15]
.Lpost_getpc438:
	s_add_u32 s14, s14, (.LBB1_1756-.Lpost_getpc438)&4294967295
	s_addc_u32 s15, s15, (.LBB1_1756-.Lpost_getpc438)>>32
	s_setpc_b64 s[14:15]
.LBB1_16093:
	s_movk_i32 s4, 0x80
	v_cmp_eq_u16_sdwa s[12:13], v4, s4 src0_sel:BYTE_3 src1_sel:DWORD
	s_mov_b64 s[4:5], -1
                                        ; implicit-def: $sgpr10
	s_and_saveexec_b64 s[8:9], s[12:13]
; %bb.16094:
	s_mov_b32 s10, 0x7f800001
	s_xor_b64 s[4:5], exec, -1
; %bb.16095:
	s_or_b64 exec, exec, s[8:9]
	s_and_b64 s[4:5], s[4:5], exec
	s_or_saveexec_b64 s[6:7], s[6:7]
	v_mov_b32_e32 v3, s10
	s_xor_b64 exec, exec, s[6:7]
	s_cbranch_execnz .LBB1_16096
; %bb.51933:
	s_getpc_b64 s[14:15]
.Lpost_getpc11630:
	s_add_u32 s14, s14, (.LBB1_1758-.Lpost_getpc11630)&4294967295
	s_addc_u32 s15, s15, (.LBB1_1758-.Lpost_getpc11630)>>32
	s_setpc_b64 s[14:15]
.LBB1_16096:
	v_mov_b32_e32 v3, 0
	v_cmp_ne_u16_sdwa s[8:9], v4, v3 src0_sel:BYTE_3 src1_sel:DWORD
	s_andn2_b64 s[4:5], s[4:5], exec
	s_and_b64 s[8:9], s[8:9], exec
	s_or_b64 s[4:5], s[4:5], s[8:9]
	s_or_b64 exec, exec, s[6:7]
	s_and_saveexec_b64 s[6:7], s[4:5]
	s_cbranch_execz .LBB1_29551
; %bb.51935:
	s_getpc_b64 s[14:15]
.Lpost_getpc11631:
	s_add_u32 s14, s14, (.LBB1_1759-.Lpost_getpc11631)&4294967295
	s_addc_u32 s15, s15, (.LBB1_1759-.Lpost_getpc11631)>>32
	s_setpc_b64 s[14:15]
.LBB1_29551:
	s_getpc_b64 s[14:15]
.Lpost_getpc439:
	s_add_u32 s14, s14, (.LBB1_1760-.Lpost_getpc439)&4294967295
	s_addc_u32 s15, s15, (.LBB1_1760-.Lpost_getpc439)>>32
	s_setpc_b64 s[14:15]
.LBB1_16097:
	s_movk_i32 s4, 0x80
	v_cmp_eq_u16_sdwa s[12:13], v9, s4 src0_sel:BYTE_0 src1_sel:DWORD
	s_mov_b64 s[4:5], -1
                                        ; implicit-def: $sgpr10
	s_and_saveexec_b64 s[8:9], s[12:13]
; %bb.16098:
	s_mov_b32 s10, 0x7f800001
	s_xor_b64 s[4:5], exec, -1
; %bb.16099:
	s_or_b64 exec, exec, s[8:9]
	s_and_b64 s[4:5], s[4:5], exec
	s_or_saveexec_b64 s[6:7], s[6:7]
	v_mov_b32_e32 v2, s10
	s_xor_b64 exec, exec, s[6:7]
	s_cbranch_execnz .LBB1_16100
; %bb.51937:
	s_getpc_b64 s[14:15]
.Lpost_getpc11632:
	s_add_u32 s14, s14, (.LBB1_1762-.Lpost_getpc11632)&4294967295
	s_addc_u32 s15, s15, (.LBB1_1762-.Lpost_getpc11632)>>32
	s_setpc_b64 s[14:15]
.LBB1_16100:
	v_mov_b32_e32 v2, 0
	v_cmp_ne_u16_sdwa s[8:9], v9, v2 src0_sel:BYTE_0 src1_sel:DWORD
	s_andn2_b64 s[4:5], s[4:5], exec
	s_and_b64 s[8:9], s[8:9], exec
	s_or_b64 s[4:5], s[4:5], s[8:9]
	s_or_b64 exec, exec, s[6:7]
	s_and_saveexec_b64 s[6:7], s[4:5]
	s_cbranch_execz .LBB1_29553
; %bb.51939:
	s_getpc_b64 s[14:15]
.Lpost_getpc11633:
	s_add_u32 s14, s14, (.LBB1_1763-.Lpost_getpc11633)&4294967295
	s_addc_u32 s15, s15, (.LBB1_1763-.Lpost_getpc11633)>>32
	s_setpc_b64 s[14:15]
.LBB1_29553:
	s_getpc_b64 s[14:15]
.Lpost_getpc440:
	s_add_u32 s14, s14, (.LBB1_1764-.Lpost_getpc440)&4294967295
	s_addc_u32 s15, s15, (.LBB1_1764-.Lpost_getpc440)>>32
	s_setpc_b64 s[14:15]
.LBB1_16101:
	s_movk_i32 s4, 0x80
	v_cmp_eq_u16_sdwa s[12:13], v5, s4 src0_sel:BYTE_0 src1_sel:DWORD
	s_mov_b64 s[4:5], -1
                                        ; implicit-def: $sgpr10
	s_and_saveexec_b64 s[8:9], s[12:13]
; %bb.16102:
	s_mov_b32 s10, 0x7f800001
	s_xor_b64 s[4:5], exec, -1
; %bb.16103:
	s_or_b64 exec, exec, s[8:9]
	s_and_b64 s[4:5], s[4:5], exec
	s_or_saveexec_b64 s[6:7], s[6:7]
	v_mov_b32_e32 v3, s10
	s_xor_b64 exec, exec, s[6:7]
	s_cbranch_execnz .LBB1_16104
; %bb.51941:
	s_getpc_b64 s[14:15]
.Lpost_getpc11634:
	s_add_u32 s14, s14, (.LBB1_1766-.Lpost_getpc11634)&4294967295
	s_addc_u32 s15, s15, (.LBB1_1766-.Lpost_getpc11634)>>32
	s_setpc_b64 s[14:15]
.LBB1_16104:
	v_mov_b32_e32 v3, 0
	v_cmp_ne_u16_sdwa s[8:9], v5, v3 src0_sel:BYTE_0 src1_sel:DWORD
	s_andn2_b64 s[4:5], s[4:5], exec
	s_and_b64 s[8:9], s[8:9], exec
	s_or_b64 s[4:5], s[4:5], s[8:9]
	s_or_b64 exec, exec, s[6:7]
	s_and_saveexec_b64 s[6:7], s[4:5]
	s_cbranch_execz .LBB1_29555
; %bb.51943:
	s_getpc_b64 s[14:15]
.Lpost_getpc11635:
	s_add_u32 s14, s14, (.LBB1_1767-.Lpost_getpc11635)&4294967295
	s_addc_u32 s15, s15, (.LBB1_1767-.Lpost_getpc11635)>>32
	s_setpc_b64 s[14:15]
.LBB1_29555:
	s_getpc_b64 s[14:15]
.Lpost_getpc441:
	s_add_u32 s14, s14, (.LBB1_1768-.Lpost_getpc441)&4294967295
	s_addc_u32 s15, s15, (.LBB1_1768-.Lpost_getpc441)>>32
	s_setpc_b64 s[14:15]
.LBB1_16105:
	s_movk_i32 s4, 0x80
	v_cmp_eq_u16_sdwa s[12:13], v3, s4 src0_sel:BYTE_0 src1_sel:DWORD
	s_mov_b64 s[4:5], -1
                                        ; implicit-def: $sgpr10
	s_and_saveexec_b64 s[8:9], s[12:13]
; %bb.16106:
	s_mov_b32 s10, 0x7f800001
	s_xor_b64 s[4:5], exec, -1
; %bb.16107:
	s_or_b64 exec, exec, s[8:9]
	s_and_b64 s[4:5], s[4:5], exec
	s_or_saveexec_b64 s[6:7], s[6:7]
	v_mov_b32_e32 v2, s10
	s_xor_b64 exec, exec, s[6:7]
	s_cbranch_execnz .LBB1_16108
; %bb.51945:
	s_getpc_b64 s[14:15]
.Lpost_getpc11636:
	s_add_u32 s14, s14, (.LBB1_1770-.Lpost_getpc11636)&4294967295
	s_addc_u32 s15, s15, (.LBB1_1770-.Lpost_getpc11636)>>32
	s_setpc_b64 s[14:15]
.LBB1_16108:
	v_mov_b32_e32 v2, 0
	v_cmp_ne_u16_sdwa s[8:9], v3, v2 src0_sel:BYTE_0 src1_sel:DWORD
	s_andn2_b64 s[4:5], s[4:5], exec
	s_and_b64 s[8:9], s[8:9], exec
	s_or_b64 s[4:5], s[4:5], s[8:9]
	s_or_b64 exec, exec, s[6:7]
	s_and_saveexec_b64 s[6:7], s[4:5]
	s_cbranch_execz .LBB1_29557
; %bb.51947:
	s_getpc_b64 s[14:15]
.Lpost_getpc11637:
	s_add_u32 s14, s14, (.LBB1_1771-.Lpost_getpc11637)&4294967295
	s_addc_u32 s15, s15, (.LBB1_1771-.Lpost_getpc11637)>>32
	s_setpc_b64 s[14:15]
.LBB1_29557:
	s_getpc_b64 s[14:15]
.Lpost_getpc442:
	s_add_u32 s14, s14, (.LBB1_1772-.Lpost_getpc442)&4294967295
	s_addc_u32 s15, s15, (.LBB1_1772-.Lpost_getpc442)>>32
	s_setpc_b64 s[14:15]
.LBB1_16109:
	s_movk_i32 s4, 0x80
	v_cmp_eq_u16_sdwa s[12:13], v3, s4 src0_sel:BYTE_0 src1_sel:DWORD
	s_mov_b64 s[4:5], -1
                                        ; implicit-def: $sgpr10
	s_and_saveexec_b64 s[8:9], s[12:13]
; %bb.16110:
	s_mov_b32 s10, 0x7f800001
	s_xor_b64 s[4:5], exec, -1
; %bb.16111:
	s_or_b64 exec, exec, s[8:9]
	s_and_b64 s[4:5], s[4:5], exec
	s_or_saveexec_b64 s[6:7], s[6:7]
	v_mov_b32_e32 v4, s10
	s_xor_b64 exec, exec, s[6:7]
	s_cbranch_execnz .LBB1_16112
; %bb.51949:
	s_getpc_b64 s[14:15]
.Lpost_getpc11638:
	s_add_u32 s14, s14, (.LBB1_1774-.Lpost_getpc11638)&4294967295
	s_addc_u32 s15, s15, (.LBB1_1774-.Lpost_getpc11638)>>32
	s_setpc_b64 s[14:15]
.LBB1_16112:
	v_mov_b32_e32 v4, 0
	v_cmp_ne_u16_sdwa s[8:9], v3, v4 src0_sel:BYTE_0 src1_sel:DWORD
	s_andn2_b64 s[4:5], s[4:5], exec
	s_and_b64 s[8:9], s[8:9], exec
	s_or_b64 s[4:5], s[4:5], s[8:9]
	s_or_b64 exec, exec, s[6:7]
	s_and_saveexec_b64 s[6:7], s[4:5]
	s_cbranch_execz .LBB1_29559
; %bb.51951:
	s_getpc_b64 s[14:15]
.Lpost_getpc11639:
	s_add_u32 s14, s14, (.LBB1_1775-.Lpost_getpc11639)&4294967295
	s_addc_u32 s15, s15, (.LBB1_1775-.Lpost_getpc11639)>>32
	s_setpc_b64 s[14:15]
.LBB1_29559:
	s_getpc_b64 s[14:15]
.Lpost_getpc443:
	s_add_u32 s14, s14, (.LBB1_1776-.Lpost_getpc443)&4294967295
	s_addc_u32 s15, s15, (.LBB1_1776-.Lpost_getpc443)>>32
	s_setpc_b64 s[14:15]
.LBB1_16113:
	s_movk_i32 s4, 0x80
	v_cmp_eq_u16_e32 vcc, s4, v3
	s_mov_b64 s[4:5], -1
                                        ; implicit-def: $sgpr10
	s_and_saveexec_b64 s[8:9], vcc
; %bb.16114:
	s_mov_b32 s10, 0x7f800001
	s_xor_b64 s[4:5], exec, -1
; %bb.16115:
	s_or_b64 exec, exec, s[8:9]
	s_and_b64 s[4:5], s[4:5], exec
                                        ; implicit-def: $vgpr3
	s_or_saveexec_b64 s[6:7], s[6:7]
	v_mov_b32_e32 v2, s10
	s_xor_b64 exec, exec, s[6:7]
	s_cbranch_execnz .LBB1_16116
; %bb.51953:
	s_getpc_b64 s[14:15]
.Lpost_getpc11640:
	s_add_u32 s14, s14, (.LBB1_1778-.Lpost_getpc11640)&4294967295
	s_addc_u32 s15, s15, (.LBB1_1778-.Lpost_getpc11640)>>32
	s_setpc_b64 s[14:15]
.LBB1_16116:
	v_cmp_ne_u16_e32 vcc, 0, v3
	s_andn2_b64 s[4:5], s[4:5], exec
	s_and_b64 s[8:9], vcc, exec
	v_mov_b32_e32 v2, 0
	s_or_b64 s[4:5], s[4:5], s[8:9]
	s_or_b64 exec, exec, s[6:7]
	s_and_saveexec_b64 s[6:7], s[4:5]
	s_cbranch_execz .LBB1_29561
; %bb.51955:
	s_getpc_b64 s[14:15]
.Lpost_getpc11641:
	s_add_u32 s14, s14, (.LBB1_1779-.Lpost_getpc11641)&4294967295
	s_addc_u32 s15, s15, (.LBB1_1779-.Lpost_getpc11641)>>32
	s_setpc_b64 s[14:15]
.LBB1_29561:
	s_getpc_b64 s[14:15]
.Lpost_getpc444:
	s_add_u32 s14, s14, (.LBB1_1780-.Lpost_getpc444)&4294967295
	s_addc_u32 s15, s15, (.LBB1_1780-.Lpost_getpc444)>>32
	s_setpc_b64 s[14:15]
.LBB1_16117:
	s_movk_i32 s4, 0x80
	v_cmp_eq_u16_e32 vcc, s4, v3
	s_mov_b64 s[4:5], -1
                                        ; implicit-def: $sgpr10
	s_and_saveexec_b64 s[8:9], vcc
; %bb.16118:
	s_mov_b32 s10, 0x7f800001
	s_xor_b64 s[4:5], exec, -1
; %bb.16119:
	s_or_b64 exec, exec, s[8:9]
	s_and_b64 s[4:5], s[4:5], exec
                                        ; implicit-def: $vgpr3
	s_or_saveexec_b64 s[6:7], s[6:7]
	v_mov_b32_e32 v4, s10
	s_xor_b64 exec, exec, s[6:7]
	s_cbranch_execnz .LBB1_16120
; %bb.51957:
	s_getpc_b64 s[14:15]
.Lpost_getpc11642:
	s_add_u32 s14, s14, (.LBB1_1782-.Lpost_getpc11642)&4294967295
	s_addc_u32 s15, s15, (.LBB1_1782-.Lpost_getpc11642)>>32
	s_setpc_b64 s[14:15]
.LBB1_16120:
	v_cmp_ne_u16_e32 vcc, 0, v3
	s_andn2_b64 s[4:5], s[4:5], exec
	s_and_b64 s[8:9], vcc, exec
	v_mov_b32_e32 v4, 0
	s_or_b64 s[4:5], s[4:5], s[8:9]
	s_or_b64 exec, exec, s[6:7]
	s_and_saveexec_b64 s[6:7], s[4:5]
	s_cbranch_execz .LBB1_29563
; %bb.51959:
	s_getpc_b64 s[14:15]
.Lpost_getpc11643:
	s_add_u32 s14, s14, (.LBB1_1783-.Lpost_getpc11643)&4294967295
	s_addc_u32 s15, s15, (.LBB1_1783-.Lpost_getpc11643)>>32
	s_setpc_b64 s[14:15]
.LBB1_29563:
	s_getpc_b64 s[14:15]
.Lpost_getpc445:
	s_add_u32 s14, s14, (.LBB1_1784-.Lpost_getpc445)&4294967295
	s_addc_u32 s15, s15, (.LBB1_1784-.Lpost_getpc445)>>32
	s_setpc_b64 s[14:15]
.LBB1_16121:
	s_movk_i32 s4, 0x80
	v_cmp_eq_u16_sdwa s[12:13], v9, s4 src0_sel:BYTE_3 src1_sel:DWORD
	s_mov_b64 s[4:5], -1
                                        ; implicit-def: $sgpr10
	s_and_saveexec_b64 s[8:9], s[12:13]
; %bb.16122:
	s_mov_b32 s10, 0x7f800001
	s_xor_b64 s[4:5], exec, -1
; %bb.16123:
	s_or_b64 exec, exec, s[8:9]
	s_and_b64 s[4:5], s[4:5], exec
	s_or_saveexec_b64 s[6:7], s[6:7]
	v_mov_b32_e32 v2, s10
	s_xor_b64 exec, exec, s[6:7]
	s_cbranch_execnz .LBB1_16124
; %bb.51961:
	s_getpc_b64 s[14:15]
.Lpost_getpc11644:
	s_add_u32 s14, s14, (.LBB1_1786-.Lpost_getpc11644)&4294967295
	s_addc_u32 s15, s15, (.LBB1_1786-.Lpost_getpc11644)>>32
	s_setpc_b64 s[14:15]
.LBB1_16124:
	v_mov_b32_e32 v2, 0
	v_cmp_ne_u16_sdwa s[8:9], v9, v2 src0_sel:BYTE_3 src1_sel:DWORD
	s_andn2_b64 s[4:5], s[4:5], exec
	s_and_b64 s[8:9], s[8:9], exec
	s_or_b64 s[4:5], s[4:5], s[8:9]
	s_or_b64 exec, exec, s[6:7]
	s_and_saveexec_b64 s[6:7], s[4:5]
	s_cbranch_execz .LBB1_29565
; %bb.51963:
	s_getpc_b64 s[14:15]
.Lpost_getpc11645:
	s_add_u32 s14, s14, (.LBB1_1787-.Lpost_getpc11645)&4294967295
	s_addc_u32 s15, s15, (.LBB1_1787-.Lpost_getpc11645)>>32
	s_setpc_b64 s[14:15]
.LBB1_29565:
	s_getpc_b64 s[14:15]
.Lpost_getpc446:
	s_add_u32 s14, s14, (.LBB1_1788-.Lpost_getpc446)&4294967295
	s_addc_u32 s15, s15, (.LBB1_1788-.Lpost_getpc446)>>32
	s_setpc_b64 s[14:15]
.LBB1_16125:
	s_movk_i32 s4, 0x80
	v_cmp_eq_u16_sdwa s[12:13], v5, s4 src0_sel:BYTE_3 src1_sel:DWORD
	s_mov_b64 s[4:5], -1
                                        ; implicit-def: $sgpr10
	s_and_saveexec_b64 s[8:9], s[12:13]
; %bb.16126:
	s_mov_b32 s10, 0x7f800001
	s_xor_b64 s[4:5], exec, -1
; %bb.16127:
	s_or_b64 exec, exec, s[8:9]
	s_and_b64 s[4:5], s[4:5], exec
	s_or_saveexec_b64 s[6:7], s[6:7]
	v_mov_b32_e32 v3, s10
	s_xor_b64 exec, exec, s[6:7]
	s_cbranch_execnz .LBB1_16128
; %bb.51965:
	s_getpc_b64 s[14:15]
.Lpost_getpc11646:
	s_add_u32 s14, s14, (.LBB1_1790-.Lpost_getpc11646)&4294967295
	s_addc_u32 s15, s15, (.LBB1_1790-.Lpost_getpc11646)>>32
	s_setpc_b64 s[14:15]
.LBB1_16128:
	v_mov_b32_e32 v3, 0
	v_cmp_ne_u16_sdwa s[8:9], v5, v3 src0_sel:BYTE_3 src1_sel:DWORD
	s_andn2_b64 s[4:5], s[4:5], exec
	s_and_b64 s[8:9], s[8:9], exec
	s_or_b64 s[4:5], s[4:5], s[8:9]
	s_or_b64 exec, exec, s[6:7]
	s_and_saveexec_b64 s[6:7], s[4:5]
	s_cbranch_execz .LBB1_29567
; %bb.51967:
	s_getpc_b64 s[14:15]
.Lpost_getpc11647:
	s_add_u32 s14, s14, (.LBB1_1791-.Lpost_getpc11647)&4294967295
	s_addc_u32 s15, s15, (.LBB1_1791-.Lpost_getpc11647)>>32
	s_setpc_b64 s[14:15]
.LBB1_29567:
	s_getpc_b64 s[14:15]
.Lpost_getpc447:
	s_add_u32 s14, s14, (.LBB1_1792-.Lpost_getpc447)&4294967295
	s_addc_u32 s15, s15, (.LBB1_1792-.Lpost_getpc447)>>32
	s_setpc_b64 s[14:15]
.LBB1_16129:
	s_movk_i32 s4, 0x80
	v_cmp_eq_u16_sdwa s[12:13], v6, s4 src0_sel:BYTE_0 src1_sel:DWORD
	s_mov_b64 s[4:5], -1
                                        ; implicit-def: $sgpr10
	s_and_saveexec_b64 s[8:9], s[12:13]
; %bb.16130:
	s_mov_b32 s10, 0x7f800001
	s_xor_b64 s[4:5], exec, -1
; %bb.16131:
	s_or_b64 exec, exec, s[8:9]
	s_and_b64 s[4:5], s[4:5], exec
	s_or_saveexec_b64 s[6:7], s[6:7]
	v_mov_b32_e32 v12, s10
	s_xor_b64 exec, exec, s[6:7]
	s_cbranch_execnz .LBB1_16132
; %bb.51969:
	s_getpc_b64 s[14:15]
.Lpost_getpc11648:
	s_add_u32 s14, s14, (.LBB1_1794-.Lpost_getpc11648)&4294967295
	s_addc_u32 s15, s15, (.LBB1_1794-.Lpost_getpc11648)>>32
	s_setpc_b64 s[14:15]
.LBB1_16132:
	v_mov_b32_e32 v12, 0
	v_cmp_ne_u16_sdwa s[8:9], v6, v12 src0_sel:BYTE_0 src1_sel:DWORD
	s_andn2_b64 s[4:5], s[4:5], exec
	s_and_b64 s[8:9], s[8:9], exec
	s_or_b64 s[4:5], s[4:5], s[8:9]
	s_or_b64 exec, exec, s[6:7]
	s_and_saveexec_b64 s[6:7], s[4:5]
	s_cbranch_execz .LBB1_29569
; %bb.51971:
	s_getpc_b64 s[14:15]
.Lpost_getpc11649:
	s_add_u32 s14, s14, (.LBB1_1795-.Lpost_getpc11649)&4294967295
	s_addc_u32 s15, s15, (.LBB1_1795-.Lpost_getpc11649)>>32
	s_setpc_b64 s[14:15]
.LBB1_29569:
	s_getpc_b64 s[14:15]
.Lpost_getpc448:
	s_add_u32 s14, s14, (.LBB1_1796-.Lpost_getpc448)&4294967295
	s_addc_u32 s15, s15, (.LBB1_1796-.Lpost_getpc448)>>32
	s_setpc_b64 s[14:15]
.LBB1_16133:
	s_movk_i32 s4, 0x80
	v_cmp_eq_u16_sdwa s[12:13], v2, s4 src0_sel:BYTE_0 src1_sel:DWORD
	s_mov_b64 s[4:5], -1
                                        ; implicit-def: $sgpr10
	s_and_saveexec_b64 s[8:9], s[12:13]
; %bb.16134:
	s_mov_b32 s10, 0x7f800001
	s_xor_b64 s[4:5], exec, -1
; %bb.16135:
	s_or_b64 exec, exec, s[8:9]
	s_and_b64 s[4:5], s[4:5], exec
	s_or_saveexec_b64 s[6:7], s[6:7]
	v_mov_b32_e32 v13, s10
	s_xor_b64 exec, exec, s[6:7]
	s_cbranch_execnz .LBB1_16136
; %bb.51973:
	s_getpc_b64 s[14:15]
.Lpost_getpc11650:
	s_add_u32 s14, s14, (.LBB1_1798-.Lpost_getpc11650)&4294967295
	s_addc_u32 s15, s15, (.LBB1_1798-.Lpost_getpc11650)>>32
	s_setpc_b64 s[14:15]
.LBB1_16136:
	v_mov_b32_e32 v13, 0
	v_cmp_ne_u16_sdwa s[8:9], v2, v13 src0_sel:BYTE_0 src1_sel:DWORD
	s_andn2_b64 s[4:5], s[4:5], exec
	s_and_b64 s[8:9], s[8:9], exec
	s_or_b64 s[4:5], s[4:5], s[8:9]
	s_or_b64 exec, exec, s[6:7]
	s_and_saveexec_b64 s[6:7], s[4:5]
	s_cbranch_execz .LBB1_29571
; %bb.51975:
	s_getpc_b64 s[14:15]
.Lpost_getpc11651:
	s_add_u32 s14, s14, (.LBB1_1799-.Lpost_getpc11651)&4294967295
	s_addc_u32 s15, s15, (.LBB1_1799-.Lpost_getpc11651)>>32
	s_setpc_b64 s[14:15]
.LBB1_29571:
	s_getpc_b64 s[14:15]
.Lpost_getpc449:
	s_add_u32 s14, s14, (.LBB1_1800-.Lpost_getpc449)&4294967295
	s_addc_u32 s15, s15, (.LBB1_1800-.Lpost_getpc449)>>32
	s_setpc_b64 s[14:15]
.LBB1_16137:
	s_movk_i32 s4, 0x80
	v_cmp_eq_u16_sdwa s[12:13], v13, s4 src0_sel:BYTE_0 src1_sel:DWORD
	s_mov_b64 s[4:5], -1
                                        ; implicit-def: $sgpr10
	s_and_saveexec_b64 s[8:9], s[12:13]
; %bb.16138:
	s_mov_b32 s10, 0x7f800001
	s_xor_b64 s[4:5], exec, -1
; %bb.16139:
	s_or_b64 exec, exec, s[8:9]
	s_and_b64 s[4:5], s[4:5], exec
	s_or_saveexec_b64 s[6:7], s[6:7]
	v_mov_b32_e32 v12, s10
	s_xor_b64 exec, exec, s[6:7]
	s_cbranch_execnz .LBB1_16140
; %bb.51977:
	s_getpc_b64 s[14:15]
.Lpost_getpc11652:
	s_add_u32 s14, s14, (.LBB1_1802-.Lpost_getpc11652)&4294967295
	s_addc_u32 s15, s15, (.LBB1_1802-.Lpost_getpc11652)>>32
	s_setpc_b64 s[14:15]
.LBB1_16140:
	v_mov_b32_e32 v12, 0
	v_cmp_ne_u16_sdwa s[8:9], v13, v12 src0_sel:BYTE_0 src1_sel:DWORD
	s_andn2_b64 s[4:5], s[4:5], exec
	s_and_b64 s[8:9], s[8:9], exec
	s_or_b64 s[4:5], s[4:5], s[8:9]
	s_or_b64 exec, exec, s[6:7]
	s_and_saveexec_b64 s[6:7], s[4:5]
	s_cbranch_execz .LBB1_29573
; %bb.51979:
	s_getpc_b64 s[14:15]
.Lpost_getpc11653:
	s_add_u32 s14, s14, (.LBB1_1803-.Lpost_getpc11653)&4294967295
	s_addc_u32 s15, s15, (.LBB1_1803-.Lpost_getpc11653)>>32
	s_setpc_b64 s[14:15]
.LBB1_29573:
	s_getpc_b64 s[14:15]
.Lpost_getpc450:
	s_add_u32 s14, s14, (.LBB1_1804-.Lpost_getpc450)&4294967295
	s_addc_u32 s15, s15, (.LBB1_1804-.Lpost_getpc450)>>32
	s_setpc_b64 s[14:15]
.LBB1_16141:
	s_movk_i32 s4, 0x80
	v_cmp_eq_u16_sdwa s[12:13], v13, s4 src0_sel:BYTE_0 src1_sel:DWORD
	s_mov_b64 s[4:5], -1
                                        ; implicit-def: $sgpr10
	s_and_saveexec_b64 s[8:9], s[12:13]
; %bb.16142:
	s_mov_b32 s10, 0x7f800001
	s_xor_b64 s[4:5], exec, -1
; %bb.16143:
	s_or_b64 exec, exec, s[8:9]
	s_and_b64 s[4:5], s[4:5], exec
	s_or_saveexec_b64 s[6:7], s[6:7]
	v_mov_b32_e32 v14, s10
	s_xor_b64 exec, exec, s[6:7]
	s_cbranch_execnz .LBB1_16144
; %bb.51981:
	s_getpc_b64 s[14:15]
.Lpost_getpc11654:
	s_add_u32 s14, s14, (.LBB1_1806-.Lpost_getpc11654)&4294967295
	s_addc_u32 s15, s15, (.LBB1_1806-.Lpost_getpc11654)>>32
	s_setpc_b64 s[14:15]
.LBB1_16144:
	v_mov_b32_e32 v14, 0
	v_cmp_ne_u16_sdwa s[8:9], v13, v14 src0_sel:BYTE_0 src1_sel:DWORD
	s_andn2_b64 s[4:5], s[4:5], exec
	s_and_b64 s[8:9], s[8:9], exec
	s_or_b64 s[4:5], s[4:5], s[8:9]
	s_or_b64 exec, exec, s[6:7]
	s_and_saveexec_b64 s[6:7], s[4:5]
	s_cbranch_execz .LBB1_29575
; %bb.51983:
	s_getpc_b64 s[14:15]
.Lpost_getpc11655:
	s_add_u32 s14, s14, (.LBB1_1807-.Lpost_getpc11655)&4294967295
	s_addc_u32 s15, s15, (.LBB1_1807-.Lpost_getpc11655)>>32
	s_setpc_b64 s[14:15]
.LBB1_29575:
	s_getpc_b64 s[14:15]
.Lpost_getpc451:
	s_add_u32 s14, s14, (.LBB1_1808-.Lpost_getpc451)&4294967295
	s_addc_u32 s15, s15, (.LBB1_1808-.Lpost_getpc451)>>32
	s_setpc_b64 s[14:15]
.LBB1_16145:
	s_movk_i32 s4, 0x80
	v_cmp_eq_u16_e32 vcc, s4, v13
	s_mov_b64 s[4:5], -1
                                        ; implicit-def: $sgpr10
	s_and_saveexec_b64 s[8:9], vcc
; %bb.16146:
	s_mov_b32 s10, 0x7f800001
	s_xor_b64 s[4:5], exec, -1
; %bb.16147:
	s_or_b64 exec, exec, s[8:9]
	s_and_b64 s[4:5], s[4:5], exec
                                        ; implicit-def: $vgpr13
	s_or_saveexec_b64 s[6:7], s[6:7]
	v_mov_b32_e32 v12, s10
	s_xor_b64 exec, exec, s[6:7]
	s_cbranch_execnz .LBB1_16148
; %bb.51985:
	s_getpc_b64 s[14:15]
.Lpost_getpc11656:
	s_add_u32 s14, s14, (.LBB1_1810-.Lpost_getpc11656)&4294967295
	s_addc_u32 s15, s15, (.LBB1_1810-.Lpost_getpc11656)>>32
	s_setpc_b64 s[14:15]
.LBB1_16148:
	v_cmp_ne_u16_e32 vcc, 0, v13
	s_andn2_b64 s[4:5], s[4:5], exec
	s_and_b64 s[8:9], vcc, exec
	v_mov_b32_e32 v12, 0
	s_or_b64 s[4:5], s[4:5], s[8:9]
	s_or_b64 exec, exec, s[6:7]
	s_and_saveexec_b64 s[6:7], s[4:5]
	s_cbranch_execz .LBB1_29577
; %bb.51987:
	s_getpc_b64 s[14:15]
.Lpost_getpc11657:
	s_add_u32 s14, s14, (.LBB1_1811-.Lpost_getpc11657)&4294967295
	s_addc_u32 s15, s15, (.LBB1_1811-.Lpost_getpc11657)>>32
	s_setpc_b64 s[14:15]
.LBB1_29577:
	s_getpc_b64 s[14:15]
.Lpost_getpc452:
	s_add_u32 s14, s14, (.LBB1_1812-.Lpost_getpc452)&4294967295
	s_addc_u32 s15, s15, (.LBB1_1812-.Lpost_getpc452)>>32
	s_setpc_b64 s[14:15]
.LBB1_16149:
	s_movk_i32 s4, 0x80
	v_cmp_eq_u16_e32 vcc, s4, v13
	s_mov_b64 s[4:5], -1
                                        ; implicit-def: $sgpr10
	s_and_saveexec_b64 s[8:9], vcc
; %bb.16150:
	s_mov_b32 s10, 0x7f800001
	s_xor_b64 s[4:5], exec, -1
; %bb.16151:
	s_or_b64 exec, exec, s[8:9]
	s_and_b64 s[4:5], s[4:5], exec
                                        ; implicit-def: $vgpr13
	s_or_saveexec_b64 s[6:7], s[6:7]
	v_mov_b32_e32 v14, s10
	s_xor_b64 exec, exec, s[6:7]
	s_cbranch_execnz .LBB1_16152
; %bb.51989:
	s_getpc_b64 s[14:15]
.Lpost_getpc11658:
	s_add_u32 s14, s14, (.LBB1_1814-.Lpost_getpc11658)&4294967295
	s_addc_u32 s15, s15, (.LBB1_1814-.Lpost_getpc11658)>>32
	s_setpc_b64 s[14:15]
.LBB1_16152:
	v_cmp_ne_u16_e32 vcc, 0, v13
	s_andn2_b64 s[4:5], s[4:5], exec
	s_and_b64 s[8:9], vcc, exec
	v_mov_b32_e32 v14, 0
	s_or_b64 s[4:5], s[4:5], s[8:9]
	s_or_b64 exec, exec, s[6:7]
	s_and_saveexec_b64 s[6:7], s[4:5]
	s_cbranch_execz .LBB1_29579
; %bb.51991:
	s_getpc_b64 s[14:15]
.Lpost_getpc11659:
	s_add_u32 s14, s14, (.LBB1_1815-.Lpost_getpc11659)&4294967295
	s_addc_u32 s15, s15, (.LBB1_1815-.Lpost_getpc11659)>>32
	s_setpc_b64 s[14:15]
.LBB1_29579:
	s_getpc_b64 s[14:15]
.Lpost_getpc453:
	s_add_u32 s14, s14, (.LBB1_1816-.Lpost_getpc453)&4294967295
	s_addc_u32 s15, s15, (.LBB1_1816-.Lpost_getpc453)>>32
	s_setpc_b64 s[14:15]
.LBB1_16153:
	s_movk_i32 s4, 0x80
	v_cmp_eq_u16_sdwa s[12:13], v6, s4 src0_sel:BYTE_3 src1_sel:DWORD
	s_mov_b64 s[4:5], -1
                                        ; implicit-def: $sgpr10
	s_and_saveexec_b64 s[8:9], s[12:13]
; %bb.16154:
	s_mov_b32 s10, 0x7f800001
	s_xor_b64 s[4:5], exec, -1
; %bb.16155:
	s_or_b64 exec, exec, s[8:9]
	s_and_b64 s[4:5], s[4:5], exec
	s_or_saveexec_b64 s[6:7], s[6:7]
	v_mov_b32_e32 v12, s10
	s_xor_b64 exec, exec, s[6:7]
	s_cbranch_execnz .LBB1_16156
; %bb.51993:
	s_getpc_b64 s[14:15]
.Lpost_getpc11660:
	s_add_u32 s14, s14, (.LBB1_1818-.Lpost_getpc11660)&4294967295
	s_addc_u32 s15, s15, (.LBB1_1818-.Lpost_getpc11660)>>32
	s_setpc_b64 s[14:15]
.LBB1_16156:
	v_mov_b32_e32 v12, 0
	v_cmp_ne_u16_sdwa s[8:9], v6, v12 src0_sel:BYTE_3 src1_sel:DWORD
	s_andn2_b64 s[4:5], s[4:5], exec
	s_and_b64 s[8:9], s[8:9], exec
	s_or_b64 s[4:5], s[4:5], s[8:9]
	s_or_b64 exec, exec, s[6:7]
	s_and_saveexec_b64 s[6:7], s[4:5]
	s_cbranch_execz .LBB1_29581
; %bb.51995:
	s_getpc_b64 s[14:15]
.Lpost_getpc11661:
	s_add_u32 s14, s14, (.LBB1_1819-.Lpost_getpc11661)&4294967295
	s_addc_u32 s15, s15, (.LBB1_1819-.Lpost_getpc11661)>>32
	s_setpc_b64 s[14:15]
.LBB1_29581:
	s_getpc_b64 s[14:15]
.Lpost_getpc454:
	s_add_u32 s14, s14, (.LBB1_1820-.Lpost_getpc454)&4294967295
	s_addc_u32 s15, s15, (.LBB1_1820-.Lpost_getpc454)>>32
	s_setpc_b64 s[14:15]
.LBB1_16157:
	s_movk_i32 s4, 0x80
	v_cmp_eq_u16_sdwa s[12:13], v2, s4 src0_sel:BYTE_3 src1_sel:DWORD
	s_mov_b64 s[4:5], -1
                                        ; implicit-def: $sgpr10
	s_and_saveexec_b64 s[8:9], s[12:13]
; %bb.16158:
	s_mov_b32 s10, 0x7f800001
	s_xor_b64 s[4:5], exec, -1
; %bb.16159:
	s_or_b64 exec, exec, s[8:9]
	s_and_b64 s[4:5], s[4:5], exec
	s_or_saveexec_b64 s[6:7], s[6:7]
	v_mov_b32_e32 v6, s10
	s_xor_b64 exec, exec, s[6:7]
	s_cbranch_execnz .LBB1_16160
; %bb.51997:
	s_getpc_b64 s[14:15]
.Lpost_getpc11662:
	s_add_u32 s14, s14, (.LBB1_1822-.Lpost_getpc11662)&4294967295
	s_addc_u32 s15, s15, (.LBB1_1822-.Lpost_getpc11662)>>32
	s_setpc_b64 s[14:15]
.LBB1_16160:
	v_mov_b32_e32 v6, 0
	v_cmp_ne_u16_sdwa s[8:9], v2, v6 src0_sel:BYTE_3 src1_sel:DWORD
	s_andn2_b64 s[4:5], s[4:5], exec
	s_and_b64 s[8:9], s[8:9], exec
	s_or_b64 s[4:5], s[4:5], s[8:9]
	s_or_b64 exec, exec, s[6:7]
	s_and_saveexec_b64 s[6:7], s[4:5]
	s_cbranch_execz .LBB1_29583
; %bb.51999:
	s_getpc_b64 s[14:15]
.Lpost_getpc11663:
	s_add_u32 s14, s14, (.LBB1_1823-.Lpost_getpc11663)&4294967295
	s_addc_u32 s15, s15, (.LBB1_1823-.Lpost_getpc11663)>>32
	s_setpc_b64 s[14:15]
.LBB1_29583:
	s_getpc_b64 s[14:15]
.Lpost_getpc455:
	s_add_u32 s14, s14, (.LBB1_1824-.Lpost_getpc455)&4294967295
	s_addc_u32 s15, s15, (.LBB1_1824-.Lpost_getpc455)>>32
	s_setpc_b64 s[14:15]
.LBB1_16161:
	s_movk_i32 s4, 0x80
	v_cmp_eq_u16_sdwa s[12:13], v7, s4 src0_sel:BYTE_0 src1_sel:DWORD
	s_mov_b64 s[4:5], -1
                                        ; implicit-def: $sgpr10
	s_and_saveexec_b64 s[8:9], s[12:13]
; %bb.16162:
	s_mov_b32 s10, 0x7f800001
	s_xor_b64 s[4:5], exec, -1
; %bb.16163:
	s_or_b64 exec, exec, s[8:9]
	s_and_b64 s[4:5], s[4:5], exec
	s_or_saveexec_b64 s[6:7], s[6:7]
	v_mov_b32_e32 v2, s10
	s_xor_b64 exec, exec, s[6:7]
	s_cbranch_execnz .LBB1_16164
; %bb.52001:
	s_getpc_b64 s[14:15]
.Lpost_getpc11664:
	s_add_u32 s14, s14, (.LBB1_1826-.Lpost_getpc11664)&4294967295
	s_addc_u32 s15, s15, (.LBB1_1826-.Lpost_getpc11664)>>32
	s_setpc_b64 s[14:15]
.LBB1_16164:
	v_mov_b32_e32 v2, 0
	v_cmp_ne_u16_sdwa s[8:9], v7, v2 src0_sel:BYTE_0 src1_sel:DWORD
	s_andn2_b64 s[4:5], s[4:5], exec
	s_and_b64 s[8:9], s[8:9], exec
	s_or_b64 s[4:5], s[4:5], s[8:9]
	s_or_b64 exec, exec, s[6:7]
	s_and_saveexec_b64 s[6:7], s[4:5]
	s_cbranch_execz .LBB1_29585
; %bb.52003:
	s_getpc_b64 s[14:15]
.Lpost_getpc11665:
	s_add_u32 s14, s14, (.LBB1_1827-.Lpost_getpc11665)&4294967295
	s_addc_u32 s15, s15, (.LBB1_1827-.Lpost_getpc11665)>>32
	s_setpc_b64 s[14:15]
.LBB1_29585:
	s_getpc_b64 s[14:15]
.Lpost_getpc456:
	s_add_u32 s14, s14, (.LBB1_1828-.Lpost_getpc456)&4294967295
	s_addc_u32 s15, s15, (.LBB1_1828-.Lpost_getpc456)>>32
	s_setpc_b64 s[14:15]
.LBB1_16165:
	s_movk_i32 s4, 0x80
	v_cmp_eq_u16_sdwa s[12:13], v3, s4 src0_sel:BYTE_0 src1_sel:DWORD
	s_mov_b64 s[4:5], -1
                                        ; implicit-def: $sgpr10
	s_and_saveexec_b64 s[8:9], s[12:13]
; %bb.16166:
	s_mov_b32 s10, 0x7f800001
	s_xor_b64 s[4:5], exec, -1
; %bb.16167:
	s_or_b64 exec, exec, s[8:9]
	s_and_b64 s[4:5], s[4:5], exec
	s_or_saveexec_b64 s[6:7], s[6:7]
	v_mov_b32_e32 v6, s10
	s_xor_b64 exec, exec, s[6:7]
	s_cbranch_execnz .LBB1_16168
; %bb.52005:
	s_getpc_b64 s[14:15]
.Lpost_getpc11666:
	s_add_u32 s14, s14, (.LBB1_1830-.Lpost_getpc11666)&4294967295
	s_addc_u32 s15, s15, (.LBB1_1830-.Lpost_getpc11666)>>32
	s_setpc_b64 s[14:15]
.LBB1_16168:
	v_mov_b32_e32 v6, 0
	v_cmp_ne_u16_sdwa s[8:9], v3, v6 src0_sel:BYTE_0 src1_sel:DWORD
	s_andn2_b64 s[4:5], s[4:5], exec
	s_and_b64 s[8:9], s[8:9], exec
	s_or_b64 s[4:5], s[4:5], s[8:9]
	s_or_b64 exec, exec, s[6:7]
	s_and_saveexec_b64 s[6:7], s[4:5]
	s_cbranch_execz .LBB1_29587
; %bb.52007:
	s_getpc_b64 s[14:15]
.Lpost_getpc11667:
	s_add_u32 s14, s14, (.LBB1_1831-.Lpost_getpc11667)&4294967295
	s_addc_u32 s15, s15, (.LBB1_1831-.Lpost_getpc11667)>>32
	s_setpc_b64 s[14:15]
.LBB1_29587:
	s_getpc_b64 s[14:15]
.Lpost_getpc457:
	s_add_u32 s14, s14, (.LBB1_1832-.Lpost_getpc457)&4294967295
	s_addc_u32 s15, s15, (.LBB1_1832-.Lpost_getpc457)>>32
	s_setpc_b64 s[14:15]
.LBB1_16169:
	s_movk_i32 s4, 0x80
	v_cmp_eq_u16_sdwa s[12:13], v6, s4 src0_sel:BYTE_0 src1_sel:DWORD
	s_mov_b64 s[4:5], -1
                                        ; implicit-def: $sgpr10
	s_and_saveexec_b64 s[8:9], s[12:13]
; %bb.16170:
	s_mov_b32 s10, 0x7f800001
	s_xor_b64 s[4:5], exec, -1
; %bb.16171:
	s_or_b64 exec, exec, s[8:9]
	s_and_b64 s[4:5], s[4:5], exec
	s_or_saveexec_b64 s[6:7], s[6:7]
	v_mov_b32_e32 v2, s10
	s_xor_b64 exec, exec, s[6:7]
	s_cbranch_execnz .LBB1_16172
; %bb.52009:
	s_getpc_b64 s[14:15]
.Lpost_getpc11668:
	s_add_u32 s14, s14, (.LBB1_1834-.Lpost_getpc11668)&4294967295
	s_addc_u32 s15, s15, (.LBB1_1834-.Lpost_getpc11668)>>32
	s_setpc_b64 s[14:15]
.LBB1_16172:
	v_mov_b32_e32 v2, 0
	v_cmp_ne_u16_sdwa s[8:9], v6, v2 src0_sel:BYTE_0 src1_sel:DWORD
	s_andn2_b64 s[4:5], s[4:5], exec
	s_and_b64 s[8:9], s[8:9], exec
	s_or_b64 s[4:5], s[4:5], s[8:9]
	s_or_b64 exec, exec, s[6:7]
	s_and_saveexec_b64 s[6:7], s[4:5]
	s_cbranch_execz .LBB1_29589
; %bb.52011:
	s_getpc_b64 s[14:15]
.Lpost_getpc11669:
	s_add_u32 s14, s14, (.LBB1_1835-.Lpost_getpc11669)&4294967295
	s_addc_u32 s15, s15, (.LBB1_1835-.Lpost_getpc11669)>>32
	s_setpc_b64 s[14:15]
.LBB1_29589:
	s_getpc_b64 s[14:15]
.Lpost_getpc458:
	s_add_u32 s14, s14, (.LBB1_1836-.Lpost_getpc458)&4294967295
	s_addc_u32 s15, s15, (.LBB1_1836-.Lpost_getpc458)>>32
	s_setpc_b64 s[14:15]
.LBB1_16173:
	s_movk_i32 s4, 0x80
	v_cmp_eq_u16_sdwa s[12:13], v6, s4 src0_sel:BYTE_0 src1_sel:DWORD
	s_mov_b64 s[4:5], -1
                                        ; implicit-def: $sgpr10
	s_and_saveexec_b64 s[8:9], s[12:13]
; %bb.16174:
	s_mov_b32 s10, 0x7f800001
	s_xor_b64 s[4:5], exec, -1
; %bb.16175:
	s_or_b64 exec, exec, s[8:9]
	s_and_b64 s[4:5], s[4:5], exec
	s_or_saveexec_b64 s[6:7], s[6:7]
	v_mov_b32_e32 v12, s10
	s_xor_b64 exec, exec, s[6:7]
	s_cbranch_execnz .LBB1_16176
; %bb.52013:
	s_getpc_b64 s[14:15]
.Lpost_getpc11670:
	s_add_u32 s14, s14, (.LBB1_1838-.Lpost_getpc11670)&4294967295
	s_addc_u32 s15, s15, (.LBB1_1838-.Lpost_getpc11670)>>32
	s_setpc_b64 s[14:15]
.LBB1_16176:
	v_mov_b32_e32 v12, 0
	v_cmp_ne_u16_sdwa s[8:9], v6, v12 src0_sel:BYTE_0 src1_sel:DWORD
	s_andn2_b64 s[4:5], s[4:5], exec
	s_and_b64 s[8:9], s[8:9], exec
	s_or_b64 s[4:5], s[4:5], s[8:9]
	s_or_b64 exec, exec, s[6:7]
	s_and_saveexec_b64 s[6:7], s[4:5]
	s_cbranch_execz .LBB1_29591
; %bb.52015:
	s_getpc_b64 s[14:15]
.Lpost_getpc11671:
	s_add_u32 s14, s14, (.LBB1_1839-.Lpost_getpc11671)&4294967295
	s_addc_u32 s15, s15, (.LBB1_1839-.Lpost_getpc11671)>>32
	s_setpc_b64 s[14:15]
.LBB1_29591:
	s_getpc_b64 s[14:15]
.Lpost_getpc459:
	s_add_u32 s14, s14, (.LBB1_1840-.Lpost_getpc459)&4294967295
	s_addc_u32 s15, s15, (.LBB1_1840-.Lpost_getpc459)>>32
	s_setpc_b64 s[14:15]
.LBB1_16177:
	s_movk_i32 s4, 0x80
	v_cmp_eq_u16_e32 vcc, s4, v6
	s_mov_b64 s[4:5], -1
                                        ; implicit-def: $sgpr10
	s_and_saveexec_b64 s[8:9], vcc
; %bb.16178:
	s_mov_b32 s10, 0x7f800001
	s_xor_b64 s[4:5], exec, -1
; %bb.16179:
	s_or_b64 exec, exec, s[8:9]
	s_and_b64 s[4:5], s[4:5], exec
                                        ; implicit-def: $vgpr6
	s_or_saveexec_b64 s[6:7], s[6:7]
	v_mov_b32_e32 v2, s10
	s_xor_b64 exec, exec, s[6:7]
	s_cbranch_execnz .LBB1_16180
; %bb.52017:
	s_getpc_b64 s[14:15]
.Lpost_getpc11672:
	s_add_u32 s14, s14, (.LBB1_1842-.Lpost_getpc11672)&4294967295
	s_addc_u32 s15, s15, (.LBB1_1842-.Lpost_getpc11672)>>32
	s_setpc_b64 s[14:15]
.LBB1_16180:
	v_cmp_ne_u16_e32 vcc, 0, v6
	s_andn2_b64 s[4:5], s[4:5], exec
	s_and_b64 s[8:9], vcc, exec
	v_mov_b32_e32 v2, 0
	s_or_b64 s[4:5], s[4:5], s[8:9]
	s_or_b64 exec, exec, s[6:7]
	s_and_saveexec_b64 s[6:7], s[4:5]
	s_cbranch_execz .LBB1_29593
; %bb.52019:
	s_getpc_b64 s[14:15]
.Lpost_getpc11673:
	s_add_u32 s14, s14, (.LBB1_1843-.Lpost_getpc11673)&4294967295
	s_addc_u32 s15, s15, (.LBB1_1843-.Lpost_getpc11673)>>32
	s_setpc_b64 s[14:15]
.LBB1_29593:
	s_getpc_b64 s[14:15]
.Lpost_getpc460:
	s_add_u32 s14, s14, (.LBB1_1844-.Lpost_getpc460)&4294967295
	s_addc_u32 s15, s15, (.LBB1_1844-.Lpost_getpc460)>>32
	s_setpc_b64 s[14:15]
.LBB1_16181:
	s_movk_i32 s4, 0x80
	v_cmp_eq_u16_e32 vcc, s4, v6
	s_mov_b64 s[4:5], -1
                                        ; implicit-def: $sgpr10
	s_and_saveexec_b64 s[8:9], vcc
; %bb.16182:
	s_mov_b32 s10, 0x7f800001
	s_xor_b64 s[4:5], exec, -1
; %bb.16183:
	s_or_b64 exec, exec, s[8:9]
	s_and_b64 s[4:5], s[4:5], exec
                                        ; implicit-def: $vgpr6
	s_or_saveexec_b64 s[6:7], s[6:7]
	v_mov_b32_e32 v12, s10
	s_xor_b64 exec, exec, s[6:7]
	s_cbranch_execnz .LBB1_16184
; %bb.52021:
	s_getpc_b64 s[14:15]
.Lpost_getpc11674:
	s_add_u32 s14, s14, (.LBB1_1846-.Lpost_getpc11674)&4294967295
	s_addc_u32 s15, s15, (.LBB1_1846-.Lpost_getpc11674)>>32
	s_setpc_b64 s[14:15]
.LBB1_16184:
	v_cmp_ne_u16_e32 vcc, 0, v6
	s_andn2_b64 s[4:5], s[4:5], exec
	s_and_b64 s[8:9], vcc, exec
	v_mov_b32_e32 v12, 0
	s_or_b64 s[4:5], s[4:5], s[8:9]
	s_or_b64 exec, exec, s[6:7]
	s_and_saveexec_b64 s[6:7], s[4:5]
	s_cbranch_execz .LBB1_29595
; %bb.52023:
	s_getpc_b64 s[14:15]
.Lpost_getpc11675:
	s_add_u32 s14, s14, (.LBB1_1847-.Lpost_getpc11675)&4294967295
	s_addc_u32 s15, s15, (.LBB1_1847-.Lpost_getpc11675)>>32
	s_setpc_b64 s[14:15]
.LBB1_29595:
	s_getpc_b64 s[14:15]
.Lpost_getpc461:
	s_add_u32 s14, s14, (.LBB1_1848-.Lpost_getpc461)&4294967295
	s_addc_u32 s15, s15, (.LBB1_1848-.Lpost_getpc461)>>32
	s_setpc_b64 s[14:15]
.LBB1_16185:
	s_movk_i32 s4, 0x80
	v_cmp_eq_u16_sdwa s[12:13], v7, s4 src0_sel:BYTE_3 src1_sel:DWORD
	s_mov_b64 s[4:5], -1
                                        ; implicit-def: $sgpr10
	s_and_saveexec_b64 s[8:9], s[12:13]
; %bb.16186:
	s_mov_b32 s10, 0x7f800001
	s_xor_b64 s[4:5], exec, -1
; %bb.16187:
	s_or_b64 exec, exec, s[8:9]
	s_and_b64 s[4:5], s[4:5], exec
	s_or_saveexec_b64 s[6:7], s[6:7]
	v_mov_b32_e32 v2, s10
	s_xor_b64 exec, exec, s[6:7]
	s_cbranch_execnz .LBB1_16188
; %bb.52025:
	s_getpc_b64 s[14:15]
.Lpost_getpc11676:
	s_add_u32 s14, s14, (.LBB1_1850-.Lpost_getpc11676)&4294967295
	s_addc_u32 s15, s15, (.LBB1_1850-.Lpost_getpc11676)>>32
	s_setpc_b64 s[14:15]
.LBB1_16188:
	v_mov_b32_e32 v2, 0
	v_cmp_ne_u16_sdwa s[8:9], v7, v2 src0_sel:BYTE_3 src1_sel:DWORD
	s_andn2_b64 s[4:5], s[4:5], exec
	s_and_b64 s[8:9], s[8:9], exec
	s_or_b64 s[4:5], s[4:5], s[8:9]
	s_or_b64 exec, exec, s[6:7]
	s_and_saveexec_b64 s[6:7], s[4:5]
	s_cbranch_execz .LBB1_29597
; %bb.52027:
	s_getpc_b64 s[14:15]
.Lpost_getpc11677:
	s_add_u32 s14, s14, (.LBB1_1851-.Lpost_getpc11677)&4294967295
	s_addc_u32 s15, s15, (.LBB1_1851-.Lpost_getpc11677)>>32
	s_setpc_b64 s[14:15]
.LBB1_29597:
	s_getpc_b64 s[14:15]
.Lpost_getpc462:
	s_add_u32 s14, s14, (.LBB1_1852-.Lpost_getpc462)&4294967295
	s_addc_u32 s15, s15, (.LBB1_1852-.Lpost_getpc462)>>32
	s_setpc_b64 s[14:15]
.LBB1_16189:
	s_movk_i32 s4, 0x80
	v_cmp_eq_u16_sdwa s[12:13], v3, s4 src0_sel:BYTE_3 src1_sel:DWORD
	s_mov_b64 s[4:5], -1
                                        ; implicit-def: $sgpr10
	s_and_saveexec_b64 s[8:9], s[12:13]
; %bb.16190:
	s_mov_b32 s10, 0x7f800001
	s_xor_b64 s[4:5], exec, -1
; %bb.16191:
	s_or_b64 exec, exec, s[8:9]
	s_and_b64 s[4:5], s[4:5], exec
	s_or_saveexec_b64 s[6:7], s[6:7]
	v_mov_b32_e32 v6, s10
	s_xor_b64 exec, exec, s[6:7]
	s_cbranch_execnz .LBB1_16192
; %bb.52029:
	s_getpc_b64 s[14:15]
.Lpost_getpc11678:
	s_add_u32 s14, s14, (.LBB1_1854-.Lpost_getpc11678)&4294967295
	s_addc_u32 s15, s15, (.LBB1_1854-.Lpost_getpc11678)>>32
	s_setpc_b64 s[14:15]
.LBB1_16192:
	v_mov_b32_e32 v6, 0
	v_cmp_ne_u16_sdwa s[8:9], v3, v6 src0_sel:BYTE_3 src1_sel:DWORD
	s_andn2_b64 s[4:5], s[4:5], exec
	s_and_b64 s[8:9], s[8:9], exec
	s_or_b64 s[4:5], s[4:5], s[8:9]
	s_or_b64 exec, exec, s[6:7]
	s_and_saveexec_b64 s[6:7], s[4:5]
	s_cbranch_execz .LBB1_29599
; %bb.52031:
	s_getpc_b64 s[14:15]
.Lpost_getpc11679:
	s_add_u32 s14, s14, (.LBB1_1855-.Lpost_getpc11679)&4294967295
	s_addc_u32 s15, s15, (.LBB1_1855-.Lpost_getpc11679)>>32
	s_setpc_b64 s[14:15]
.LBB1_29599:
	s_getpc_b64 s[14:15]
.Lpost_getpc463:
	s_add_u32 s14, s14, (.LBB1_1856-.Lpost_getpc463)&4294967295
	s_addc_u32 s15, s15, (.LBB1_1856-.Lpost_getpc463)>>32
	s_setpc_b64 s[14:15]
.LBB1_16193:
	s_movk_i32 s4, 0x80
	v_cmp_eq_u16_sdwa s[12:13], v8, s4 src0_sel:BYTE_0 src1_sel:DWORD
	s_mov_b64 s[4:5], -1
                                        ; implicit-def: $sgpr10
	s_and_saveexec_b64 s[8:9], s[12:13]
; %bb.16194:
	s_mov_b32 s10, 0x7f800001
	s_xor_b64 s[4:5], exec, -1
; %bb.16195:
	s_or_b64 exec, exec, s[8:9]
	s_and_b64 s[4:5], s[4:5], exec
	s_or_saveexec_b64 s[6:7], s[6:7]
	v_mov_b32_e32 v2, s10
	s_xor_b64 exec, exec, s[6:7]
	s_cbranch_execnz .LBB1_16196
; %bb.52033:
	s_getpc_b64 s[14:15]
.Lpost_getpc11680:
	s_add_u32 s14, s14, (.LBB1_1858-.Lpost_getpc11680)&4294967295
	s_addc_u32 s15, s15, (.LBB1_1858-.Lpost_getpc11680)>>32
	s_setpc_b64 s[14:15]
.LBB1_16196:
	v_mov_b32_e32 v2, 0
	v_cmp_ne_u16_sdwa s[8:9], v8, v2 src0_sel:BYTE_0 src1_sel:DWORD
	s_andn2_b64 s[4:5], s[4:5], exec
	s_and_b64 s[8:9], s[8:9], exec
	s_or_b64 s[4:5], s[4:5], s[8:9]
	s_or_b64 exec, exec, s[6:7]
	s_and_saveexec_b64 s[6:7], s[4:5]
	s_cbranch_execz .LBB1_29601
; %bb.52035:
	s_getpc_b64 s[14:15]
.Lpost_getpc11681:
	s_add_u32 s14, s14, (.LBB1_1859-.Lpost_getpc11681)&4294967295
	s_addc_u32 s15, s15, (.LBB1_1859-.Lpost_getpc11681)>>32
	s_setpc_b64 s[14:15]
.LBB1_29601:
	s_getpc_b64 s[14:15]
.Lpost_getpc464:
	s_add_u32 s14, s14, (.LBB1_1860-.Lpost_getpc464)&4294967295
	s_addc_u32 s15, s15, (.LBB1_1860-.Lpost_getpc464)>>32
	s_setpc_b64 s[14:15]
.LBB1_16197:
	s_movk_i32 s4, 0x80
	v_cmp_eq_u16_sdwa s[12:13], v4, s4 src0_sel:BYTE_0 src1_sel:DWORD
	s_mov_b64 s[4:5], -1
                                        ; implicit-def: $sgpr10
	s_and_saveexec_b64 s[8:9], s[12:13]
; %bb.16198:
	s_mov_b32 s10, 0x7f800001
	s_xor_b64 s[4:5], exec, -1
; %bb.16199:
	s_or_b64 exec, exec, s[8:9]
	s_and_b64 s[4:5], s[4:5], exec
	s_or_saveexec_b64 s[6:7], s[6:7]
	v_mov_b32_e32 v3, s10
	s_xor_b64 exec, exec, s[6:7]
	s_cbranch_execnz .LBB1_16200
; %bb.52037:
	s_getpc_b64 s[14:15]
.Lpost_getpc11682:
	s_add_u32 s14, s14, (.LBB1_1862-.Lpost_getpc11682)&4294967295
	s_addc_u32 s15, s15, (.LBB1_1862-.Lpost_getpc11682)>>32
	s_setpc_b64 s[14:15]
.LBB1_16200:
	v_mov_b32_e32 v3, 0
	v_cmp_ne_u16_sdwa s[8:9], v4, v3 src0_sel:BYTE_0 src1_sel:DWORD
	s_andn2_b64 s[4:5], s[4:5], exec
	s_and_b64 s[8:9], s[8:9], exec
	s_or_b64 s[4:5], s[4:5], s[8:9]
	s_or_b64 exec, exec, s[6:7]
	s_and_saveexec_b64 s[6:7], s[4:5]
	s_cbranch_execz .LBB1_29603
; %bb.52039:
	s_getpc_b64 s[14:15]
.Lpost_getpc11683:
	s_add_u32 s14, s14, (.LBB1_1863-.Lpost_getpc11683)&4294967295
	s_addc_u32 s15, s15, (.LBB1_1863-.Lpost_getpc11683)>>32
	s_setpc_b64 s[14:15]
.LBB1_29603:
	s_getpc_b64 s[14:15]
.Lpost_getpc465:
	s_add_u32 s14, s14, (.LBB1_1864-.Lpost_getpc465)&4294967295
	s_addc_u32 s15, s15, (.LBB1_1864-.Lpost_getpc465)>>32
	s_setpc_b64 s[14:15]
.LBB1_16201:
	s_movk_i32 s4, 0x80
	v_cmp_eq_u16_sdwa s[12:13], v3, s4 src0_sel:BYTE_0 src1_sel:DWORD
	s_mov_b64 s[4:5], -1
                                        ; implicit-def: $sgpr10
	s_and_saveexec_b64 s[8:9], s[12:13]
; %bb.16202:
	s_mov_b32 s10, 0x7f800001
	s_xor_b64 s[4:5], exec, -1
; %bb.16203:
	s_or_b64 exec, exec, s[8:9]
	s_and_b64 s[4:5], s[4:5], exec
	s_or_saveexec_b64 s[6:7], s[6:7]
	v_mov_b32_e32 v2, s10
	s_xor_b64 exec, exec, s[6:7]
	s_cbranch_execnz .LBB1_16204
; %bb.52041:
	s_getpc_b64 s[14:15]
.Lpost_getpc11684:
	s_add_u32 s14, s14, (.LBB1_1866-.Lpost_getpc11684)&4294967295
	s_addc_u32 s15, s15, (.LBB1_1866-.Lpost_getpc11684)>>32
	s_setpc_b64 s[14:15]
.LBB1_16204:
	v_mov_b32_e32 v2, 0
	v_cmp_ne_u16_sdwa s[8:9], v3, v2 src0_sel:BYTE_0 src1_sel:DWORD
	s_andn2_b64 s[4:5], s[4:5], exec
	s_and_b64 s[8:9], s[8:9], exec
	s_or_b64 s[4:5], s[4:5], s[8:9]
	s_or_b64 exec, exec, s[6:7]
	s_and_saveexec_b64 s[6:7], s[4:5]
	s_cbranch_execz .LBB1_29605
; %bb.52043:
	s_getpc_b64 s[14:15]
.Lpost_getpc11685:
	s_add_u32 s14, s14, (.LBB1_1867-.Lpost_getpc11685)&4294967295
	s_addc_u32 s15, s15, (.LBB1_1867-.Lpost_getpc11685)>>32
	s_setpc_b64 s[14:15]
.LBB1_29605:
	s_getpc_b64 s[14:15]
.Lpost_getpc466:
	s_add_u32 s14, s14, (.LBB1_1868-.Lpost_getpc466)&4294967295
	s_addc_u32 s15, s15, (.LBB1_1868-.Lpost_getpc466)>>32
	s_setpc_b64 s[14:15]
.LBB1_16205:
	s_movk_i32 s4, 0x80
	v_cmp_eq_u16_sdwa s[12:13], v3, s4 src0_sel:BYTE_0 src1_sel:DWORD
	s_mov_b64 s[4:5], -1
                                        ; implicit-def: $sgpr10
	s_and_saveexec_b64 s[8:9], s[12:13]
; %bb.16206:
	s_mov_b32 s10, 0x7f800001
	s_xor_b64 s[4:5], exec, -1
; %bb.16207:
	s_or_b64 exec, exec, s[8:9]
	s_and_b64 s[4:5], s[4:5], exec
	s_or_saveexec_b64 s[6:7], s[6:7]
	v_mov_b32_e32 v6, s10
	s_xor_b64 exec, exec, s[6:7]
	s_cbranch_execnz .LBB1_16208
; %bb.52045:
	s_getpc_b64 s[14:15]
.Lpost_getpc11686:
	s_add_u32 s14, s14, (.LBB1_1870-.Lpost_getpc11686)&4294967295
	s_addc_u32 s15, s15, (.LBB1_1870-.Lpost_getpc11686)>>32
	s_setpc_b64 s[14:15]
.LBB1_16208:
	v_mov_b32_e32 v6, 0
	v_cmp_ne_u16_sdwa s[8:9], v3, v6 src0_sel:BYTE_0 src1_sel:DWORD
	s_andn2_b64 s[4:5], s[4:5], exec
	s_and_b64 s[8:9], s[8:9], exec
	s_or_b64 s[4:5], s[4:5], s[8:9]
	s_or_b64 exec, exec, s[6:7]
	s_and_saveexec_b64 s[6:7], s[4:5]
	s_cbranch_execz .LBB1_29607
; %bb.52047:
	s_getpc_b64 s[14:15]
.Lpost_getpc11687:
	s_add_u32 s14, s14, (.LBB1_1871-.Lpost_getpc11687)&4294967295
	s_addc_u32 s15, s15, (.LBB1_1871-.Lpost_getpc11687)>>32
	s_setpc_b64 s[14:15]
.LBB1_29607:
	s_getpc_b64 s[14:15]
.Lpost_getpc467:
	s_add_u32 s14, s14, (.LBB1_1872-.Lpost_getpc467)&4294967295
	s_addc_u32 s15, s15, (.LBB1_1872-.Lpost_getpc467)>>32
	s_setpc_b64 s[14:15]
.LBB1_16209:
	s_movk_i32 s4, 0x80
	v_cmp_eq_u16_e32 vcc, s4, v3
	s_mov_b64 s[4:5], -1
                                        ; implicit-def: $sgpr10
	s_and_saveexec_b64 s[8:9], vcc
; %bb.16210:
	s_mov_b32 s10, 0x7f800001
	s_xor_b64 s[4:5], exec, -1
; %bb.16211:
	s_or_b64 exec, exec, s[8:9]
	s_and_b64 s[4:5], s[4:5], exec
                                        ; implicit-def: $vgpr3
	s_or_saveexec_b64 s[6:7], s[6:7]
	v_mov_b32_e32 v2, s10
	s_xor_b64 exec, exec, s[6:7]
	s_cbranch_execnz .LBB1_16212
; %bb.52049:
	s_getpc_b64 s[14:15]
.Lpost_getpc11688:
	s_add_u32 s14, s14, (.LBB1_1874-.Lpost_getpc11688)&4294967295
	s_addc_u32 s15, s15, (.LBB1_1874-.Lpost_getpc11688)>>32
	s_setpc_b64 s[14:15]
.LBB1_16212:
	v_cmp_ne_u16_e32 vcc, 0, v3
	s_andn2_b64 s[4:5], s[4:5], exec
	s_and_b64 s[8:9], vcc, exec
	v_mov_b32_e32 v2, 0
	s_or_b64 s[4:5], s[4:5], s[8:9]
	s_or_b64 exec, exec, s[6:7]
	s_and_saveexec_b64 s[6:7], s[4:5]
	s_cbranch_execz .LBB1_29609
; %bb.52051:
	s_getpc_b64 s[14:15]
.Lpost_getpc11689:
	s_add_u32 s14, s14, (.LBB1_1875-.Lpost_getpc11689)&4294967295
	s_addc_u32 s15, s15, (.LBB1_1875-.Lpost_getpc11689)>>32
	s_setpc_b64 s[14:15]
.LBB1_29609:
	s_getpc_b64 s[14:15]
.Lpost_getpc468:
	s_add_u32 s14, s14, (.LBB1_1876-.Lpost_getpc468)&4294967295
	s_addc_u32 s15, s15, (.LBB1_1876-.Lpost_getpc468)>>32
	s_setpc_b64 s[14:15]
.LBB1_16213:
	s_movk_i32 s4, 0x80
	v_cmp_eq_u16_e32 vcc, s4, v3
	s_mov_b64 s[4:5], -1
                                        ; implicit-def: $sgpr10
	s_and_saveexec_b64 s[8:9], vcc
; %bb.16214:
	s_mov_b32 s10, 0x7f800001
	s_xor_b64 s[4:5], exec, -1
; %bb.16215:
	s_or_b64 exec, exec, s[8:9]
	s_and_b64 s[4:5], s[4:5], exec
                                        ; implicit-def: $vgpr3
	s_or_saveexec_b64 s[6:7], s[6:7]
	v_mov_b32_e32 v6, s10
	s_xor_b64 exec, exec, s[6:7]
	s_cbranch_execnz .LBB1_16216
; %bb.52053:
	s_getpc_b64 s[14:15]
.Lpost_getpc11690:
	s_add_u32 s14, s14, (.LBB1_1878-.Lpost_getpc11690)&4294967295
	s_addc_u32 s15, s15, (.LBB1_1878-.Lpost_getpc11690)>>32
	s_setpc_b64 s[14:15]
.LBB1_16216:
	v_cmp_ne_u16_e32 vcc, 0, v3
	s_andn2_b64 s[4:5], s[4:5], exec
	s_and_b64 s[8:9], vcc, exec
	v_mov_b32_e32 v6, 0
	s_or_b64 s[4:5], s[4:5], s[8:9]
	s_or_b64 exec, exec, s[6:7]
	s_and_saveexec_b64 s[6:7], s[4:5]
	s_cbranch_execz .LBB1_29611
; %bb.52055:
	s_getpc_b64 s[14:15]
.Lpost_getpc11691:
	s_add_u32 s14, s14, (.LBB1_1879-.Lpost_getpc11691)&4294967295
	s_addc_u32 s15, s15, (.LBB1_1879-.Lpost_getpc11691)>>32
	s_setpc_b64 s[14:15]
.LBB1_29611:
	s_getpc_b64 s[14:15]
.Lpost_getpc469:
	s_add_u32 s14, s14, (.LBB1_1880-.Lpost_getpc469)&4294967295
	s_addc_u32 s15, s15, (.LBB1_1880-.Lpost_getpc469)>>32
	s_setpc_b64 s[14:15]
.LBB1_16217:
	s_movk_i32 s4, 0x80
	v_cmp_eq_u16_sdwa s[12:13], v8, s4 src0_sel:BYTE_3 src1_sel:DWORD
	s_mov_b64 s[4:5], -1
                                        ; implicit-def: $sgpr10
	s_and_saveexec_b64 s[8:9], s[12:13]
; %bb.16218:
	s_mov_b32 s10, 0x7f800001
	s_xor_b64 s[4:5], exec, -1
; %bb.16219:
	s_or_b64 exec, exec, s[8:9]
	s_and_b64 s[4:5], s[4:5], exec
	s_or_saveexec_b64 s[6:7], s[6:7]
	v_mov_b32_e32 v2, s10
	s_xor_b64 exec, exec, s[6:7]
	s_cbranch_execnz .LBB1_16220
; %bb.52057:
	s_getpc_b64 s[14:15]
.Lpost_getpc11692:
	s_add_u32 s14, s14, (.LBB1_1882-.Lpost_getpc11692)&4294967295
	s_addc_u32 s15, s15, (.LBB1_1882-.Lpost_getpc11692)>>32
	s_setpc_b64 s[14:15]
.LBB1_16220:
	v_mov_b32_e32 v2, 0
	v_cmp_ne_u16_sdwa s[8:9], v8, v2 src0_sel:BYTE_3 src1_sel:DWORD
	s_andn2_b64 s[4:5], s[4:5], exec
	s_and_b64 s[8:9], s[8:9], exec
	s_or_b64 s[4:5], s[4:5], s[8:9]
	s_or_b64 exec, exec, s[6:7]
	s_and_saveexec_b64 s[6:7], s[4:5]
	s_cbranch_execz .LBB1_29613
; %bb.52059:
	s_getpc_b64 s[14:15]
.Lpost_getpc11693:
	s_add_u32 s14, s14, (.LBB1_1883-.Lpost_getpc11693)&4294967295
	s_addc_u32 s15, s15, (.LBB1_1883-.Lpost_getpc11693)>>32
	s_setpc_b64 s[14:15]
.LBB1_29613:
	s_getpc_b64 s[14:15]
.Lpost_getpc470:
	s_add_u32 s14, s14, (.LBB1_1884-.Lpost_getpc470)&4294967295
	s_addc_u32 s15, s15, (.LBB1_1884-.Lpost_getpc470)>>32
	s_setpc_b64 s[14:15]
.LBB1_16221:
	s_movk_i32 s4, 0x80
	v_cmp_eq_u16_sdwa s[12:13], v4, s4 src0_sel:BYTE_3 src1_sel:DWORD
	s_mov_b64 s[4:5], -1
                                        ; implicit-def: $sgpr10
	s_and_saveexec_b64 s[8:9], s[12:13]
; %bb.16222:
	s_mov_b32 s10, 0x7f800001
	s_xor_b64 s[4:5], exec, -1
; %bb.16223:
	s_or_b64 exec, exec, s[8:9]
	s_and_b64 s[4:5], s[4:5], exec
	s_or_saveexec_b64 s[6:7], s[6:7]
	v_mov_b32_e32 v3, s10
	s_xor_b64 exec, exec, s[6:7]
	s_cbranch_execnz .LBB1_16224
; %bb.52061:
	s_getpc_b64 s[14:15]
.Lpost_getpc11694:
	s_add_u32 s14, s14, (.LBB1_1886-.Lpost_getpc11694)&4294967295
	s_addc_u32 s15, s15, (.LBB1_1886-.Lpost_getpc11694)>>32
	s_setpc_b64 s[14:15]
.LBB1_16224:
	v_mov_b32_e32 v3, 0
	v_cmp_ne_u16_sdwa s[8:9], v4, v3 src0_sel:BYTE_3 src1_sel:DWORD
	s_andn2_b64 s[4:5], s[4:5], exec
	s_and_b64 s[8:9], s[8:9], exec
	s_or_b64 s[4:5], s[4:5], s[8:9]
	s_or_b64 exec, exec, s[6:7]
	s_and_saveexec_b64 s[6:7], s[4:5]
	s_cbranch_execz .LBB1_29615
; %bb.52063:
	s_getpc_b64 s[14:15]
.Lpost_getpc11695:
	s_add_u32 s14, s14, (.LBB1_1887-.Lpost_getpc11695)&4294967295
	s_addc_u32 s15, s15, (.LBB1_1887-.Lpost_getpc11695)>>32
	s_setpc_b64 s[14:15]
.LBB1_29615:
	s_getpc_b64 s[14:15]
.Lpost_getpc471:
	s_add_u32 s14, s14, (.LBB1_1888-.Lpost_getpc471)&4294967295
	s_addc_u32 s15, s15, (.LBB1_1888-.Lpost_getpc471)>>32
	s_setpc_b64 s[14:15]
.LBB1_16225:
	s_movk_i32 s4, 0x80
	v_cmp_eq_u16_sdwa s[12:13], v9, s4 src0_sel:BYTE_0 src1_sel:DWORD
	s_mov_b64 s[4:5], -1
                                        ; implicit-def: $sgpr10
	s_and_saveexec_b64 s[8:9], s[12:13]
; %bb.16226:
	s_mov_b32 s10, 0x7f800001
	s_xor_b64 s[4:5], exec, -1
; %bb.16227:
	s_or_b64 exec, exec, s[8:9]
	s_and_b64 s[4:5], s[4:5], exec
	s_or_saveexec_b64 s[6:7], s[6:7]
	v_mov_b32_e32 v2, s10
	s_xor_b64 exec, exec, s[6:7]
	s_cbranch_execnz .LBB1_16228
; %bb.52065:
	s_getpc_b64 s[14:15]
.Lpost_getpc11696:
	s_add_u32 s14, s14, (.LBB1_1890-.Lpost_getpc11696)&4294967295
	s_addc_u32 s15, s15, (.LBB1_1890-.Lpost_getpc11696)>>32
	s_setpc_b64 s[14:15]
.LBB1_16228:
	v_mov_b32_e32 v2, 0
	v_cmp_ne_u16_sdwa s[8:9], v9, v2 src0_sel:BYTE_0 src1_sel:DWORD
	s_andn2_b64 s[4:5], s[4:5], exec
	s_and_b64 s[8:9], s[8:9], exec
	s_or_b64 s[4:5], s[4:5], s[8:9]
	s_or_b64 exec, exec, s[6:7]
	s_and_saveexec_b64 s[6:7], s[4:5]
	s_cbranch_execz .LBB1_29617
; %bb.52067:
	s_getpc_b64 s[14:15]
.Lpost_getpc11697:
	s_add_u32 s14, s14, (.LBB1_1891-.Lpost_getpc11697)&4294967295
	s_addc_u32 s15, s15, (.LBB1_1891-.Lpost_getpc11697)>>32
	s_setpc_b64 s[14:15]
.LBB1_29617:
	s_getpc_b64 s[14:15]
.Lpost_getpc472:
	s_add_u32 s14, s14, (.LBB1_1892-.Lpost_getpc472)&4294967295
	s_addc_u32 s15, s15, (.LBB1_1892-.Lpost_getpc472)>>32
	s_setpc_b64 s[14:15]
.LBB1_16229:
	s_movk_i32 s4, 0x80
	v_cmp_eq_u16_sdwa s[12:13], v5, s4 src0_sel:BYTE_0 src1_sel:DWORD
	s_mov_b64 s[4:5], -1
                                        ; implicit-def: $sgpr10
	s_and_saveexec_b64 s[8:9], s[12:13]
; %bb.16230:
	s_mov_b32 s10, 0x7f800001
	s_xor_b64 s[4:5], exec, -1
; %bb.16231:
	s_or_b64 exec, exec, s[8:9]
	s_and_b64 s[4:5], s[4:5], exec
	s_or_saveexec_b64 s[6:7], s[6:7]
	v_mov_b32_e32 v3, s10
	s_xor_b64 exec, exec, s[6:7]
	s_cbranch_execnz .LBB1_16232
; %bb.52069:
	s_getpc_b64 s[14:15]
.Lpost_getpc11698:
	s_add_u32 s14, s14, (.LBB1_1894-.Lpost_getpc11698)&4294967295
	s_addc_u32 s15, s15, (.LBB1_1894-.Lpost_getpc11698)>>32
	s_setpc_b64 s[14:15]
.LBB1_16232:
	v_mov_b32_e32 v3, 0
	v_cmp_ne_u16_sdwa s[8:9], v5, v3 src0_sel:BYTE_0 src1_sel:DWORD
	s_andn2_b64 s[4:5], s[4:5], exec
	s_and_b64 s[8:9], s[8:9], exec
	s_or_b64 s[4:5], s[4:5], s[8:9]
	s_or_b64 exec, exec, s[6:7]
	s_and_saveexec_b64 s[6:7], s[4:5]
	s_cbranch_execz .LBB1_29619
; %bb.52071:
	s_getpc_b64 s[14:15]
.Lpost_getpc11699:
	s_add_u32 s14, s14, (.LBB1_1895-.Lpost_getpc11699)&4294967295
	s_addc_u32 s15, s15, (.LBB1_1895-.Lpost_getpc11699)>>32
	s_setpc_b64 s[14:15]
.LBB1_29619:
	s_getpc_b64 s[14:15]
.Lpost_getpc473:
	s_add_u32 s14, s14, (.LBB1_1896-.Lpost_getpc473)&4294967295
	s_addc_u32 s15, s15, (.LBB1_1896-.Lpost_getpc473)>>32
	s_setpc_b64 s[14:15]
.LBB1_16233:
	s_movk_i32 s4, 0x80
	v_cmp_eq_u16_sdwa s[12:13], v3, s4 src0_sel:BYTE_0 src1_sel:DWORD
	s_mov_b64 s[4:5], -1
                                        ; implicit-def: $sgpr10
	s_and_saveexec_b64 s[8:9], s[12:13]
; %bb.16234:
	s_mov_b32 s10, 0x7f800001
	s_xor_b64 s[4:5], exec, -1
; %bb.16235:
	s_or_b64 exec, exec, s[8:9]
	s_and_b64 s[4:5], s[4:5], exec
	s_or_saveexec_b64 s[6:7], s[6:7]
	v_mov_b32_e32 v2, s10
	s_xor_b64 exec, exec, s[6:7]
	s_cbranch_execnz .LBB1_16236
; %bb.52073:
	s_getpc_b64 s[14:15]
.Lpost_getpc11700:
	s_add_u32 s14, s14, (.LBB1_1898-.Lpost_getpc11700)&4294967295
	s_addc_u32 s15, s15, (.LBB1_1898-.Lpost_getpc11700)>>32
	s_setpc_b64 s[14:15]
.LBB1_16236:
	v_mov_b32_e32 v2, 0
	v_cmp_ne_u16_sdwa s[8:9], v3, v2 src0_sel:BYTE_0 src1_sel:DWORD
	s_andn2_b64 s[4:5], s[4:5], exec
	s_and_b64 s[8:9], s[8:9], exec
	s_or_b64 s[4:5], s[4:5], s[8:9]
	s_or_b64 exec, exec, s[6:7]
	s_and_saveexec_b64 s[6:7], s[4:5]
	s_cbranch_execz .LBB1_29621
; %bb.52075:
	s_getpc_b64 s[14:15]
.Lpost_getpc11701:
	s_add_u32 s14, s14, (.LBB1_1899-.Lpost_getpc11701)&4294967295
	s_addc_u32 s15, s15, (.LBB1_1899-.Lpost_getpc11701)>>32
	s_setpc_b64 s[14:15]
.LBB1_29621:
	s_getpc_b64 s[14:15]
.Lpost_getpc474:
	s_add_u32 s14, s14, (.LBB1_1900-.Lpost_getpc474)&4294967295
	s_addc_u32 s15, s15, (.LBB1_1900-.Lpost_getpc474)>>32
	s_setpc_b64 s[14:15]
.LBB1_16237:
	s_movk_i32 s4, 0x80
	v_cmp_eq_u16_sdwa s[12:13], v3, s4 src0_sel:BYTE_0 src1_sel:DWORD
	s_mov_b64 s[4:5], -1
                                        ; implicit-def: $sgpr10
	s_and_saveexec_b64 s[8:9], s[12:13]
; %bb.16238:
	s_mov_b32 s10, 0x7f800001
	s_xor_b64 s[4:5], exec, -1
; %bb.16239:
	s_or_b64 exec, exec, s[8:9]
	s_and_b64 s[4:5], s[4:5], exec
	s_or_saveexec_b64 s[6:7], s[6:7]
	v_mov_b32_e32 v4, s10
	s_xor_b64 exec, exec, s[6:7]
	s_cbranch_execnz .LBB1_16240
; %bb.52077:
	s_getpc_b64 s[14:15]
.Lpost_getpc11702:
	s_add_u32 s14, s14, (.LBB1_1902-.Lpost_getpc11702)&4294967295
	s_addc_u32 s15, s15, (.LBB1_1902-.Lpost_getpc11702)>>32
	s_setpc_b64 s[14:15]
.LBB1_16240:
	v_mov_b32_e32 v4, 0
	v_cmp_ne_u16_sdwa s[8:9], v3, v4 src0_sel:BYTE_0 src1_sel:DWORD
	s_andn2_b64 s[4:5], s[4:5], exec
	s_and_b64 s[8:9], s[8:9], exec
	s_or_b64 s[4:5], s[4:5], s[8:9]
	s_or_b64 exec, exec, s[6:7]
	s_and_saveexec_b64 s[6:7], s[4:5]
	s_cbranch_execz .LBB1_29623
; %bb.52079:
	s_getpc_b64 s[14:15]
.Lpost_getpc11703:
	s_add_u32 s14, s14, (.LBB1_1903-.Lpost_getpc11703)&4294967295
	s_addc_u32 s15, s15, (.LBB1_1903-.Lpost_getpc11703)>>32
	s_setpc_b64 s[14:15]
.LBB1_29623:
	s_getpc_b64 s[14:15]
.Lpost_getpc475:
	s_add_u32 s14, s14, (.LBB1_1904-.Lpost_getpc475)&4294967295
	s_addc_u32 s15, s15, (.LBB1_1904-.Lpost_getpc475)>>32
	s_setpc_b64 s[14:15]
.LBB1_16241:
	s_movk_i32 s4, 0x80
	v_cmp_eq_u16_e32 vcc, s4, v3
	s_mov_b64 s[4:5], -1
                                        ; implicit-def: $sgpr10
	s_and_saveexec_b64 s[8:9], vcc
; %bb.16242:
	s_mov_b32 s10, 0x7f800001
	s_xor_b64 s[4:5], exec, -1
; %bb.16243:
	s_or_b64 exec, exec, s[8:9]
	s_and_b64 s[4:5], s[4:5], exec
                                        ; implicit-def: $vgpr3
	s_or_saveexec_b64 s[6:7], s[6:7]
	v_mov_b32_e32 v2, s10
	s_xor_b64 exec, exec, s[6:7]
	s_cbranch_execnz .LBB1_16244
; %bb.52081:
	s_getpc_b64 s[14:15]
.Lpost_getpc11704:
	s_add_u32 s14, s14, (.LBB1_1906-.Lpost_getpc11704)&4294967295
	s_addc_u32 s15, s15, (.LBB1_1906-.Lpost_getpc11704)>>32
	s_setpc_b64 s[14:15]
.LBB1_16244:
	v_cmp_ne_u16_e32 vcc, 0, v3
	s_andn2_b64 s[4:5], s[4:5], exec
	s_and_b64 s[8:9], vcc, exec
	v_mov_b32_e32 v2, 0
	s_or_b64 s[4:5], s[4:5], s[8:9]
	s_or_b64 exec, exec, s[6:7]
	s_and_saveexec_b64 s[6:7], s[4:5]
	s_cbranch_execz .LBB1_29625
; %bb.52083:
	s_getpc_b64 s[14:15]
.Lpost_getpc11705:
	s_add_u32 s14, s14, (.LBB1_1907-.Lpost_getpc11705)&4294967295
	s_addc_u32 s15, s15, (.LBB1_1907-.Lpost_getpc11705)>>32
	s_setpc_b64 s[14:15]
.LBB1_29625:
	s_getpc_b64 s[14:15]
.Lpost_getpc476:
	s_add_u32 s14, s14, (.LBB1_1908-.Lpost_getpc476)&4294967295
	s_addc_u32 s15, s15, (.LBB1_1908-.Lpost_getpc476)>>32
	s_setpc_b64 s[14:15]
.LBB1_16245:
	s_movk_i32 s4, 0x80
	v_cmp_eq_u16_e32 vcc, s4, v3
	s_mov_b64 s[4:5], -1
                                        ; implicit-def: $sgpr10
	s_and_saveexec_b64 s[8:9], vcc
; %bb.16246:
	s_mov_b32 s10, 0x7f800001
	s_xor_b64 s[4:5], exec, -1
; %bb.16247:
	s_or_b64 exec, exec, s[8:9]
	s_and_b64 s[4:5], s[4:5], exec
                                        ; implicit-def: $vgpr3
	s_or_saveexec_b64 s[6:7], s[6:7]
	v_mov_b32_e32 v4, s10
	s_xor_b64 exec, exec, s[6:7]
	s_cbranch_execnz .LBB1_16248
; %bb.52085:
	s_getpc_b64 s[14:15]
.Lpost_getpc11706:
	s_add_u32 s14, s14, (.LBB1_1910-.Lpost_getpc11706)&4294967295
	s_addc_u32 s15, s15, (.LBB1_1910-.Lpost_getpc11706)>>32
	s_setpc_b64 s[14:15]
.LBB1_16248:
	v_cmp_ne_u16_e32 vcc, 0, v3
	s_andn2_b64 s[4:5], s[4:5], exec
	s_and_b64 s[8:9], vcc, exec
	v_mov_b32_e32 v4, 0
	s_or_b64 s[4:5], s[4:5], s[8:9]
	s_or_b64 exec, exec, s[6:7]
	s_and_saveexec_b64 s[6:7], s[4:5]
	s_cbranch_execz .LBB1_29627
; %bb.52087:
	s_getpc_b64 s[14:15]
.Lpost_getpc11707:
	s_add_u32 s14, s14, (.LBB1_1911-.Lpost_getpc11707)&4294967295
	s_addc_u32 s15, s15, (.LBB1_1911-.Lpost_getpc11707)>>32
	s_setpc_b64 s[14:15]
.LBB1_29627:
	s_getpc_b64 s[14:15]
.Lpost_getpc477:
	s_add_u32 s14, s14, (.LBB1_1912-.Lpost_getpc477)&4294967295
	s_addc_u32 s15, s15, (.LBB1_1912-.Lpost_getpc477)>>32
	s_setpc_b64 s[14:15]
.LBB1_16249:
	s_movk_i32 s4, 0x80
	v_cmp_eq_u16_sdwa s[12:13], v9, s4 src0_sel:BYTE_3 src1_sel:DWORD
	s_mov_b64 s[4:5], -1
                                        ; implicit-def: $sgpr10
	s_and_saveexec_b64 s[8:9], s[12:13]
; %bb.16250:
	s_mov_b32 s10, 0x7f800001
	s_xor_b64 s[4:5], exec, -1
; %bb.16251:
	s_or_b64 exec, exec, s[8:9]
	s_and_b64 s[4:5], s[4:5], exec
	s_or_saveexec_b64 s[6:7], s[6:7]
	v_mov_b32_e32 v2, s10
	s_xor_b64 exec, exec, s[6:7]
	s_cbranch_execnz .LBB1_16252
; %bb.52089:
	s_getpc_b64 s[14:15]
.Lpost_getpc11708:
	s_add_u32 s14, s14, (.LBB1_1914-.Lpost_getpc11708)&4294967295
	s_addc_u32 s15, s15, (.LBB1_1914-.Lpost_getpc11708)>>32
	s_setpc_b64 s[14:15]
.LBB1_16252:
	v_mov_b32_e32 v2, 0
	v_cmp_ne_u16_sdwa s[8:9], v9, v2 src0_sel:BYTE_3 src1_sel:DWORD
	s_andn2_b64 s[4:5], s[4:5], exec
	s_and_b64 s[8:9], s[8:9], exec
	s_or_b64 s[4:5], s[4:5], s[8:9]
	s_or_b64 exec, exec, s[6:7]
	s_and_saveexec_b64 s[6:7], s[4:5]
	s_cbranch_execz .LBB1_29629
; %bb.52091:
	s_getpc_b64 s[14:15]
.Lpost_getpc11709:
	s_add_u32 s14, s14, (.LBB1_1915-.Lpost_getpc11709)&4294967295
	s_addc_u32 s15, s15, (.LBB1_1915-.Lpost_getpc11709)>>32
	s_setpc_b64 s[14:15]
.LBB1_29629:
	s_getpc_b64 s[14:15]
.Lpost_getpc478:
	s_add_u32 s14, s14, (.LBB1_1916-.Lpost_getpc478)&4294967295
	s_addc_u32 s15, s15, (.LBB1_1916-.Lpost_getpc478)>>32
	s_setpc_b64 s[14:15]
.LBB1_16253:
	s_movk_i32 s4, 0x80
	v_cmp_eq_u16_sdwa s[12:13], v5, s4 src0_sel:BYTE_3 src1_sel:DWORD
	s_mov_b64 s[4:5], -1
                                        ; implicit-def: $sgpr10
	s_and_saveexec_b64 s[8:9], s[12:13]
; %bb.16254:
	s_mov_b32 s10, 0x7f800001
	s_xor_b64 s[4:5], exec, -1
; %bb.16255:
	s_or_b64 exec, exec, s[8:9]
	s_and_b64 s[4:5], s[4:5], exec
	s_or_saveexec_b64 s[6:7], s[6:7]
	v_mov_b32_e32 v3, s10
	s_xor_b64 exec, exec, s[6:7]
	s_cbranch_execnz .LBB1_16256
; %bb.52093:
	s_getpc_b64 s[14:15]
.Lpost_getpc11710:
	s_add_u32 s14, s14, (.LBB1_1918-.Lpost_getpc11710)&4294967295
	s_addc_u32 s15, s15, (.LBB1_1918-.Lpost_getpc11710)>>32
	s_setpc_b64 s[14:15]
.LBB1_16256:
	v_mov_b32_e32 v3, 0
	v_cmp_ne_u16_sdwa s[8:9], v5, v3 src0_sel:BYTE_3 src1_sel:DWORD
	s_andn2_b64 s[4:5], s[4:5], exec
	s_and_b64 s[8:9], s[8:9], exec
	s_or_b64 s[4:5], s[4:5], s[8:9]
	s_or_b64 exec, exec, s[6:7]
	s_and_saveexec_b64 s[6:7], s[4:5]
	s_cbranch_execz .LBB1_29631
; %bb.52095:
	s_getpc_b64 s[14:15]
.Lpost_getpc11711:
	s_add_u32 s14, s14, (.LBB1_1919-.Lpost_getpc11711)&4294967295
	s_addc_u32 s15, s15, (.LBB1_1919-.Lpost_getpc11711)>>32
	s_setpc_b64 s[14:15]
.LBB1_29631:
	s_getpc_b64 s[14:15]
.Lpost_getpc479:
	s_add_u32 s14, s14, (.LBB1_1920-.Lpost_getpc479)&4294967295
	s_addc_u32 s15, s15, (.LBB1_1920-.Lpost_getpc479)>>32
	s_setpc_b64 s[14:15]
.LBB1_16257:
	s_movk_i32 s4, 0x80
	v_cmp_eq_u16_sdwa s[12:13], v6, s4 src0_sel:BYTE_0 src1_sel:DWORD
	s_mov_b64 s[4:5], -1
                                        ; implicit-def: $sgpr10
	s_and_saveexec_b64 s[8:9], s[12:13]
; %bb.16258:
	s_mov_b32 s10, 0x7f800001
	s_xor_b64 s[4:5], exec, -1
; %bb.16259:
	s_or_b64 exec, exec, s[8:9]
	s_and_b64 s[4:5], s[4:5], exec
	s_or_saveexec_b64 s[6:7], s[6:7]
	v_mov_b32_e32 v12, s10
	s_xor_b64 exec, exec, s[6:7]
	s_cbranch_execnz .LBB1_16260
; %bb.52097:
	s_getpc_b64 s[14:15]
.Lpost_getpc11712:
	s_add_u32 s14, s14, (.LBB1_1922-.Lpost_getpc11712)&4294967295
	s_addc_u32 s15, s15, (.LBB1_1922-.Lpost_getpc11712)>>32
	s_setpc_b64 s[14:15]
.LBB1_16260:
	v_mov_b32_e32 v12, 0
	v_cmp_ne_u16_sdwa s[8:9], v6, v12 src0_sel:BYTE_0 src1_sel:DWORD
	s_andn2_b64 s[4:5], s[4:5], exec
	s_and_b64 s[8:9], s[8:9], exec
	s_or_b64 s[4:5], s[4:5], s[8:9]
	s_or_b64 exec, exec, s[6:7]
	s_and_saveexec_b64 s[6:7], s[4:5]
	s_cbranch_execz .LBB1_29633
; %bb.52099:
	s_getpc_b64 s[14:15]
.Lpost_getpc11713:
	s_add_u32 s14, s14, (.LBB1_1923-.Lpost_getpc11713)&4294967295
	s_addc_u32 s15, s15, (.LBB1_1923-.Lpost_getpc11713)>>32
	s_setpc_b64 s[14:15]
.LBB1_29633:
	s_getpc_b64 s[14:15]
.Lpost_getpc480:
	s_add_u32 s14, s14, (.LBB1_1924-.Lpost_getpc480)&4294967295
	s_addc_u32 s15, s15, (.LBB1_1924-.Lpost_getpc480)>>32
	s_setpc_b64 s[14:15]
.LBB1_16261:
	s_movk_i32 s4, 0x80
	v_cmp_eq_u16_sdwa s[12:13], v2, s4 src0_sel:BYTE_0 src1_sel:DWORD
	s_mov_b64 s[4:5], -1
                                        ; implicit-def: $sgpr10
	s_and_saveexec_b64 s[8:9], s[12:13]
; %bb.16262:
	s_mov_b32 s10, 0x7f800001
	s_xor_b64 s[4:5], exec, -1
; %bb.16263:
	s_or_b64 exec, exec, s[8:9]
	s_and_b64 s[4:5], s[4:5], exec
	s_or_saveexec_b64 s[6:7], s[6:7]
	v_mov_b32_e32 v13, s10
	s_xor_b64 exec, exec, s[6:7]
	s_cbranch_execnz .LBB1_16264
; %bb.52101:
	s_getpc_b64 s[14:15]
.Lpost_getpc11714:
	s_add_u32 s14, s14, (.LBB1_1926-.Lpost_getpc11714)&4294967295
	s_addc_u32 s15, s15, (.LBB1_1926-.Lpost_getpc11714)>>32
	s_setpc_b64 s[14:15]
.LBB1_16264:
	v_mov_b32_e32 v13, 0
	v_cmp_ne_u16_sdwa s[8:9], v2, v13 src0_sel:BYTE_0 src1_sel:DWORD
	s_andn2_b64 s[4:5], s[4:5], exec
	s_and_b64 s[8:9], s[8:9], exec
	s_or_b64 s[4:5], s[4:5], s[8:9]
	s_or_b64 exec, exec, s[6:7]
	s_and_saveexec_b64 s[6:7], s[4:5]
	s_cbranch_execz .LBB1_29635
; %bb.52103:
	s_getpc_b64 s[14:15]
.Lpost_getpc11715:
	s_add_u32 s14, s14, (.LBB1_1927-.Lpost_getpc11715)&4294967295
	s_addc_u32 s15, s15, (.LBB1_1927-.Lpost_getpc11715)>>32
	s_setpc_b64 s[14:15]
.LBB1_29635:
	s_getpc_b64 s[14:15]
.Lpost_getpc481:
	s_add_u32 s14, s14, (.LBB1_1928-.Lpost_getpc481)&4294967295
	s_addc_u32 s15, s15, (.LBB1_1928-.Lpost_getpc481)>>32
	s_setpc_b64 s[14:15]
.LBB1_16265:
	s_movk_i32 s4, 0x80
	v_cmp_eq_u16_sdwa s[12:13], v13, s4 src0_sel:BYTE_0 src1_sel:DWORD
	s_mov_b64 s[4:5], -1
                                        ; implicit-def: $sgpr10
	s_and_saveexec_b64 s[8:9], s[12:13]
; %bb.16266:
	s_mov_b32 s10, 0x7f800001
	s_xor_b64 s[4:5], exec, -1
; %bb.16267:
	s_or_b64 exec, exec, s[8:9]
	s_and_b64 s[4:5], s[4:5], exec
	s_or_saveexec_b64 s[6:7], s[6:7]
	v_mov_b32_e32 v12, s10
	s_xor_b64 exec, exec, s[6:7]
	s_cbranch_execnz .LBB1_16268
; %bb.52105:
	s_getpc_b64 s[14:15]
.Lpost_getpc11716:
	s_add_u32 s14, s14, (.LBB1_1930-.Lpost_getpc11716)&4294967295
	s_addc_u32 s15, s15, (.LBB1_1930-.Lpost_getpc11716)>>32
	s_setpc_b64 s[14:15]
.LBB1_16268:
	v_mov_b32_e32 v12, 0
	v_cmp_ne_u16_sdwa s[8:9], v13, v12 src0_sel:BYTE_0 src1_sel:DWORD
	s_andn2_b64 s[4:5], s[4:5], exec
	s_and_b64 s[8:9], s[8:9], exec
	s_or_b64 s[4:5], s[4:5], s[8:9]
	s_or_b64 exec, exec, s[6:7]
	s_and_saveexec_b64 s[6:7], s[4:5]
	s_cbranch_execz .LBB1_29637
; %bb.52107:
	s_getpc_b64 s[14:15]
.Lpost_getpc11717:
	s_add_u32 s14, s14, (.LBB1_1931-.Lpost_getpc11717)&4294967295
	s_addc_u32 s15, s15, (.LBB1_1931-.Lpost_getpc11717)>>32
	s_setpc_b64 s[14:15]
.LBB1_29637:
	s_getpc_b64 s[14:15]
.Lpost_getpc482:
	s_add_u32 s14, s14, (.LBB1_1932-.Lpost_getpc482)&4294967295
	s_addc_u32 s15, s15, (.LBB1_1932-.Lpost_getpc482)>>32
	s_setpc_b64 s[14:15]
.LBB1_16269:
	s_movk_i32 s4, 0x80
	v_cmp_eq_u16_sdwa s[12:13], v13, s4 src0_sel:BYTE_0 src1_sel:DWORD
	s_mov_b64 s[4:5], -1
                                        ; implicit-def: $sgpr10
	s_and_saveexec_b64 s[8:9], s[12:13]
; %bb.16270:
	s_mov_b32 s10, 0x7f800001
	s_xor_b64 s[4:5], exec, -1
; %bb.16271:
	s_or_b64 exec, exec, s[8:9]
	s_and_b64 s[4:5], s[4:5], exec
	s_or_saveexec_b64 s[6:7], s[6:7]
	v_mov_b32_e32 v14, s10
	s_xor_b64 exec, exec, s[6:7]
	s_cbranch_execnz .LBB1_16272
; %bb.52109:
	s_getpc_b64 s[14:15]
.Lpost_getpc11718:
	s_add_u32 s14, s14, (.LBB1_1934-.Lpost_getpc11718)&4294967295
	s_addc_u32 s15, s15, (.LBB1_1934-.Lpost_getpc11718)>>32
	s_setpc_b64 s[14:15]
.LBB1_16272:
	v_mov_b32_e32 v14, 0
	v_cmp_ne_u16_sdwa s[8:9], v13, v14 src0_sel:BYTE_0 src1_sel:DWORD
	s_andn2_b64 s[4:5], s[4:5], exec
	s_and_b64 s[8:9], s[8:9], exec
	s_or_b64 s[4:5], s[4:5], s[8:9]
	s_or_b64 exec, exec, s[6:7]
	s_and_saveexec_b64 s[6:7], s[4:5]
	s_cbranch_execz .LBB1_29639
; %bb.52111:
	s_getpc_b64 s[14:15]
.Lpost_getpc11719:
	s_add_u32 s14, s14, (.LBB1_1935-.Lpost_getpc11719)&4294967295
	s_addc_u32 s15, s15, (.LBB1_1935-.Lpost_getpc11719)>>32
	s_setpc_b64 s[14:15]
.LBB1_29639:
	s_getpc_b64 s[14:15]
.Lpost_getpc483:
	s_add_u32 s14, s14, (.LBB1_1936-.Lpost_getpc483)&4294967295
	s_addc_u32 s15, s15, (.LBB1_1936-.Lpost_getpc483)>>32
	s_setpc_b64 s[14:15]
.LBB1_16273:
	s_movk_i32 s4, 0x80
	v_cmp_eq_u16_e32 vcc, s4, v13
	s_mov_b64 s[4:5], -1
                                        ; implicit-def: $sgpr10
	s_and_saveexec_b64 s[8:9], vcc
; %bb.16274:
	s_mov_b32 s10, 0x7f800001
	s_xor_b64 s[4:5], exec, -1
; %bb.16275:
	s_or_b64 exec, exec, s[8:9]
	s_and_b64 s[4:5], s[4:5], exec
                                        ; implicit-def: $vgpr13
	s_or_saveexec_b64 s[6:7], s[6:7]
	v_mov_b32_e32 v12, s10
	s_xor_b64 exec, exec, s[6:7]
	s_cbranch_execnz .LBB1_16276
; %bb.52113:
	s_getpc_b64 s[14:15]
.Lpost_getpc11720:
	s_add_u32 s14, s14, (.LBB1_1938-.Lpost_getpc11720)&4294967295
	s_addc_u32 s15, s15, (.LBB1_1938-.Lpost_getpc11720)>>32
	s_setpc_b64 s[14:15]
.LBB1_16276:
	v_cmp_ne_u16_e32 vcc, 0, v13
	s_andn2_b64 s[4:5], s[4:5], exec
	s_and_b64 s[8:9], vcc, exec
	v_mov_b32_e32 v12, 0
	s_or_b64 s[4:5], s[4:5], s[8:9]
	s_or_b64 exec, exec, s[6:7]
	s_and_saveexec_b64 s[6:7], s[4:5]
	s_cbranch_execz .LBB1_29641
; %bb.52115:
	s_getpc_b64 s[14:15]
.Lpost_getpc11721:
	s_add_u32 s14, s14, (.LBB1_1939-.Lpost_getpc11721)&4294967295
	s_addc_u32 s15, s15, (.LBB1_1939-.Lpost_getpc11721)>>32
	s_setpc_b64 s[14:15]
.LBB1_29641:
	s_getpc_b64 s[14:15]
.Lpost_getpc484:
	s_add_u32 s14, s14, (.LBB1_1940-.Lpost_getpc484)&4294967295
	s_addc_u32 s15, s15, (.LBB1_1940-.Lpost_getpc484)>>32
	s_setpc_b64 s[14:15]
.LBB1_16277:
	s_movk_i32 s4, 0x80
	v_cmp_eq_u16_e32 vcc, s4, v13
	s_mov_b64 s[4:5], -1
                                        ; implicit-def: $sgpr10
	s_and_saveexec_b64 s[8:9], vcc
; %bb.16278:
	s_mov_b32 s10, 0x7f800001
	s_xor_b64 s[4:5], exec, -1
; %bb.16279:
	s_or_b64 exec, exec, s[8:9]
	s_and_b64 s[4:5], s[4:5], exec
                                        ; implicit-def: $vgpr13
	s_or_saveexec_b64 s[6:7], s[6:7]
	v_mov_b32_e32 v14, s10
	s_xor_b64 exec, exec, s[6:7]
	s_cbranch_execnz .LBB1_16280
; %bb.52117:
	s_getpc_b64 s[14:15]
.Lpost_getpc11722:
	s_add_u32 s14, s14, (.LBB1_1942-.Lpost_getpc11722)&4294967295
	s_addc_u32 s15, s15, (.LBB1_1942-.Lpost_getpc11722)>>32
	s_setpc_b64 s[14:15]
.LBB1_16280:
	v_cmp_ne_u16_e32 vcc, 0, v13
	s_andn2_b64 s[4:5], s[4:5], exec
	s_and_b64 s[8:9], vcc, exec
	v_mov_b32_e32 v14, 0
	s_or_b64 s[4:5], s[4:5], s[8:9]
	s_or_b64 exec, exec, s[6:7]
	s_and_saveexec_b64 s[6:7], s[4:5]
	s_cbranch_execz .LBB1_29643
; %bb.52119:
	s_getpc_b64 s[14:15]
.Lpost_getpc11723:
	s_add_u32 s14, s14, (.LBB1_1943-.Lpost_getpc11723)&4294967295
	s_addc_u32 s15, s15, (.LBB1_1943-.Lpost_getpc11723)>>32
	s_setpc_b64 s[14:15]
.LBB1_29643:
	s_getpc_b64 s[14:15]
.Lpost_getpc485:
	s_add_u32 s14, s14, (.LBB1_1944-.Lpost_getpc485)&4294967295
	s_addc_u32 s15, s15, (.LBB1_1944-.Lpost_getpc485)>>32
	s_setpc_b64 s[14:15]
.LBB1_16281:
	s_movk_i32 s4, 0x80
	v_cmp_eq_u16_sdwa s[12:13], v6, s4 src0_sel:BYTE_3 src1_sel:DWORD
	s_mov_b64 s[4:5], -1
                                        ; implicit-def: $sgpr10
	s_and_saveexec_b64 s[8:9], s[12:13]
; %bb.16282:
	s_mov_b32 s10, 0x7f800001
	s_xor_b64 s[4:5], exec, -1
; %bb.16283:
	s_or_b64 exec, exec, s[8:9]
	s_and_b64 s[4:5], s[4:5], exec
	s_or_saveexec_b64 s[6:7], s[6:7]
	v_mov_b32_e32 v12, s10
	s_xor_b64 exec, exec, s[6:7]
	s_cbranch_execnz .LBB1_16284
; %bb.52121:
	s_getpc_b64 s[14:15]
.Lpost_getpc11724:
	s_add_u32 s14, s14, (.LBB1_1946-.Lpost_getpc11724)&4294967295
	s_addc_u32 s15, s15, (.LBB1_1946-.Lpost_getpc11724)>>32
	s_setpc_b64 s[14:15]
.LBB1_16284:
	v_mov_b32_e32 v12, 0
	v_cmp_ne_u16_sdwa s[8:9], v6, v12 src0_sel:BYTE_3 src1_sel:DWORD
	s_andn2_b64 s[4:5], s[4:5], exec
	s_and_b64 s[8:9], s[8:9], exec
	s_or_b64 s[4:5], s[4:5], s[8:9]
	s_or_b64 exec, exec, s[6:7]
	s_and_saveexec_b64 s[6:7], s[4:5]
	s_cbranch_execz .LBB1_29645
; %bb.52123:
	s_getpc_b64 s[14:15]
.Lpost_getpc11725:
	s_add_u32 s14, s14, (.LBB1_1947-.Lpost_getpc11725)&4294967295
	s_addc_u32 s15, s15, (.LBB1_1947-.Lpost_getpc11725)>>32
	s_setpc_b64 s[14:15]
.LBB1_29645:
	s_getpc_b64 s[14:15]
.Lpost_getpc486:
	s_add_u32 s14, s14, (.LBB1_1948-.Lpost_getpc486)&4294967295
	s_addc_u32 s15, s15, (.LBB1_1948-.Lpost_getpc486)>>32
	s_setpc_b64 s[14:15]
.LBB1_16285:
	s_movk_i32 s4, 0x80
	v_cmp_eq_u16_sdwa s[12:13], v2, s4 src0_sel:BYTE_3 src1_sel:DWORD
	s_mov_b64 s[4:5], -1
                                        ; implicit-def: $sgpr10
	s_and_saveexec_b64 s[8:9], s[12:13]
; %bb.16286:
	s_mov_b32 s10, 0x7f800001
	s_xor_b64 s[4:5], exec, -1
; %bb.16287:
	s_or_b64 exec, exec, s[8:9]
	s_and_b64 s[4:5], s[4:5], exec
	s_or_saveexec_b64 s[6:7], s[6:7]
	v_mov_b32_e32 v6, s10
	s_xor_b64 exec, exec, s[6:7]
	s_cbranch_execnz .LBB1_16288
; %bb.52125:
	s_getpc_b64 s[14:15]
.Lpost_getpc11726:
	s_add_u32 s14, s14, (.LBB1_1950-.Lpost_getpc11726)&4294967295
	s_addc_u32 s15, s15, (.LBB1_1950-.Lpost_getpc11726)>>32
	s_setpc_b64 s[14:15]
.LBB1_16288:
	v_mov_b32_e32 v6, 0
	v_cmp_ne_u16_sdwa s[8:9], v2, v6 src0_sel:BYTE_3 src1_sel:DWORD
	s_andn2_b64 s[4:5], s[4:5], exec
	s_and_b64 s[8:9], s[8:9], exec
	s_or_b64 s[4:5], s[4:5], s[8:9]
	s_or_b64 exec, exec, s[6:7]
	s_and_saveexec_b64 s[6:7], s[4:5]
	s_cbranch_execz .LBB1_29647
; %bb.52127:
	s_getpc_b64 s[14:15]
.Lpost_getpc11727:
	s_add_u32 s14, s14, (.LBB1_1951-.Lpost_getpc11727)&4294967295
	s_addc_u32 s15, s15, (.LBB1_1951-.Lpost_getpc11727)>>32
	s_setpc_b64 s[14:15]
.LBB1_29647:
	s_getpc_b64 s[14:15]
.Lpost_getpc487:
	s_add_u32 s14, s14, (.LBB1_1952-.Lpost_getpc487)&4294967295
	s_addc_u32 s15, s15, (.LBB1_1952-.Lpost_getpc487)>>32
	s_setpc_b64 s[14:15]
.LBB1_16289:
	s_movk_i32 s4, 0x80
	v_cmp_eq_u16_sdwa s[12:13], v7, s4 src0_sel:BYTE_0 src1_sel:DWORD
	s_mov_b64 s[4:5], -1
                                        ; implicit-def: $sgpr10
	s_and_saveexec_b64 s[8:9], s[12:13]
; %bb.16290:
	s_mov_b32 s10, 0x7f800001
	s_xor_b64 s[4:5], exec, -1
; %bb.16291:
	s_or_b64 exec, exec, s[8:9]
	s_and_b64 s[4:5], s[4:5], exec
	s_or_saveexec_b64 s[6:7], s[6:7]
	v_mov_b32_e32 v2, s10
	s_xor_b64 exec, exec, s[6:7]
	s_cbranch_execnz .LBB1_16292
; %bb.52129:
	s_getpc_b64 s[14:15]
.Lpost_getpc11728:
	s_add_u32 s14, s14, (.LBB1_1954-.Lpost_getpc11728)&4294967295
	s_addc_u32 s15, s15, (.LBB1_1954-.Lpost_getpc11728)>>32
	s_setpc_b64 s[14:15]
.LBB1_16292:
	v_mov_b32_e32 v2, 0
	v_cmp_ne_u16_sdwa s[8:9], v7, v2 src0_sel:BYTE_0 src1_sel:DWORD
	s_andn2_b64 s[4:5], s[4:5], exec
	s_and_b64 s[8:9], s[8:9], exec
	s_or_b64 s[4:5], s[4:5], s[8:9]
	s_or_b64 exec, exec, s[6:7]
	s_and_saveexec_b64 s[6:7], s[4:5]
	s_cbranch_execz .LBB1_29649
; %bb.52131:
	s_getpc_b64 s[14:15]
.Lpost_getpc11729:
	s_add_u32 s14, s14, (.LBB1_1955-.Lpost_getpc11729)&4294967295
	s_addc_u32 s15, s15, (.LBB1_1955-.Lpost_getpc11729)>>32
	s_setpc_b64 s[14:15]
.LBB1_29649:
	s_getpc_b64 s[14:15]
.Lpost_getpc488:
	s_add_u32 s14, s14, (.LBB1_1956-.Lpost_getpc488)&4294967295
	s_addc_u32 s15, s15, (.LBB1_1956-.Lpost_getpc488)>>32
	s_setpc_b64 s[14:15]
.LBB1_16293:
	s_movk_i32 s4, 0x80
	v_cmp_eq_u16_sdwa s[12:13], v3, s4 src0_sel:BYTE_0 src1_sel:DWORD
	s_mov_b64 s[4:5], -1
                                        ; implicit-def: $sgpr10
	s_and_saveexec_b64 s[8:9], s[12:13]
; %bb.16294:
	s_mov_b32 s10, 0x7f800001
	s_xor_b64 s[4:5], exec, -1
; %bb.16295:
	s_or_b64 exec, exec, s[8:9]
	s_and_b64 s[4:5], s[4:5], exec
	s_or_saveexec_b64 s[6:7], s[6:7]
	v_mov_b32_e32 v6, s10
	s_xor_b64 exec, exec, s[6:7]
	s_cbranch_execnz .LBB1_16296
; %bb.52133:
	s_getpc_b64 s[14:15]
.Lpost_getpc11730:
	s_add_u32 s14, s14, (.LBB1_1958-.Lpost_getpc11730)&4294967295
	s_addc_u32 s15, s15, (.LBB1_1958-.Lpost_getpc11730)>>32
	s_setpc_b64 s[14:15]
.LBB1_16296:
	v_mov_b32_e32 v6, 0
	v_cmp_ne_u16_sdwa s[8:9], v3, v6 src0_sel:BYTE_0 src1_sel:DWORD
	s_andn2_b64 s[4:5], s[4:5], exec
	s_and_b64 s[8:9], s[8:9], exec
	s_or_b64 s[4:5], s[4:5], s[8:9]
	s_or_b64 exec, exec, s[6:7]
	s_and_saveexec_b64 s[6:7], s[4:5]
	s_cbranch_execz .LBB1_29651
; %bb.52135:
	s_getpc_b64 s[14:15]
.Lpost_getpc11731:
	s_add_u32 s14, s14, (.LBB1_1959-.Lpost_getpc11731)&4294967295
	s_addc_u32 s15, s15, (.LBB1_1959-.Lpost_getpc11731)>>32
	s_setpc_b64 s[14:15]
.LBB1_29651:
	s_getpc_b64 s[14:15]
.Lpost_getpc489:
	s_add_u32 s14, s14, (.LBB1_1960-.Lpost_getpc489)&4294967295
	s_addc_u32 s15, s15, (.LBB1_1960-.Lpost_getpc489)>>32
	s_setpc_b64 s[14:15]
.LBB1_16297:
	s_movk_i32 s4, 0x80
	v_cmp_eq_u16_sdwa s[12:13], v6, s4 src0_sel:BYTE_0 src1_sel:DWORD
	s_mov_b64 s[4:5], -1
                                        ; implicit-def: $sgpr10
	s_and_saveexec_b64 s[8:9], s[12:13]
; %bb.16298:
	s_mov_b32 s10, 0x7f800001
	s_xor_b64 s[4:5], exec, -1
; %bb.16299:
	s_or_b64 exec, exec, s[8:9]
	s_and_b64 s[4:5], s[4:5], exec
	s_or_saveexec_b64 s[6:7], s[6:7]
	v_mov_b32_e32 v2, s10
	s_xor_b64 exec, exec, s[6:7]
	s_cbranch_execnz .LBB1_16300
; %bb.52137:
	s_getpc_b64 s[14:15]
.Lpost_getpc11732:
	s_add_u32 s14, s14, (.LBB1_1962-.Lpost_getpc11732)&4294967295
	s_addc_u32 s15, s15, (.LBB1_1962-.Lpost_getpc11732)>>32
	s_setpc_b64 s[14:15]
.LBB1_16300:
	v_mov_b32_e32 v2, 0
	v_cmp_ne_u16_sdwa s[8:9], v6, v2 src0_sel:BYTE_0 src1_sel:DWORD
	s_andn2_b64 s[4:5], s[4:5], exec
	s_and_b64 s[8:9], s[8:9], exec
	s_or_b64 s[4:5], s[4:5], s[8:9]
	s_or_b64 exec, exec, s[6:7]
	s_and_saveexec_b64 s[6:7], s[4:5]
	s_cbranch_execz .LBB1_29653
; %bb.52139:
	s_getpc_b64 s[14:15]
.Lpost_getpc11733:
	s_add_u32 s14, s14, (.LBB1_1963-.Lpost_getpc11733)&4294967295
	s_addc_u32 s15, s15, (.LBB1_1963-.Lpost_getpc11733)>>32
	s_setpc_b64 s[14:15]
.LBB1_29653:
	s_getpc_b64 s[14:15]
.Lpost_getpc490:
	s_add_u32 s14, s14, (.LBB1_1964-.Lpost_getpc490)&4294967295
	s_addc_u32 s15, s15, (.LBB1_1964-.Lpost_getpc490)>>32
	s_setpc_b64 s[14:15]
.LBB1_16301:
	s_movk_i32 s4, 0x80
	v_cmp_eq_u16_sdwa s[12:13], v6, s4 src0_sel:BYTE_0 src1_sel:DWORD
	s_mov_b64 s[4:5], -1
                                        ; implicit-def: $sgpr10
	s_and_saveexec_b64 s[8:9], s[12:13]
; %bb.16302:
	s_mov_b32 s10, 0x7f800001
	s_xor_b64 s[4:5], exec, -1
; %bb.16303:
	s_or_b64 exec, exec, s[8:9]
	s_and_b64 s[4:5], s[4:5], exec
	s_or_saveexec_b64 s[6:7], s[6:7]
	v_mov_b32_e32 v12, s10
	s_xor_b64 exec, exec, s[6:7]
	s_cbranch_execnz .LBB1_16304
; %bb.52141:
	s_getpc_b64 s[14:15]
.Lpost_getpc11734:
	s_add_u32 s14, s14, (.LBB1_1966-.Lpost_getpc11734)&4294967295
	s_addc_u32 s15, s15, (.LBB1_1966-.Lpost_getpc11734)>>32
	s_setpc_b64 s[14:15]
.LBB1_16304:
	v_mov_b32_e32 v12, 0
	v_cmp_ne_u16_sdwa s[8:9], v6, v12 src0_sel:BYTE_0 src1_sel:DWORD
	s_andn2_b64 s[4:5], s[4:5], exec
	s_and_b64 s[8:9], s[8:9], exec
	s_or_b64 s[4:5], s[4:5], s[8:9]
	s_or_b64 exec, exec, s[6:7]
	s_and_saveexec_b64 s[6:7], s[4:5]
	s_cbranch_execz .LBB1_29655
; %bb.52143:
	s_getpc_b64 s[14:15]
.Lpost_getpc11735:
	s_add_u32 s14, s14, (.LBB1_1967-.Lpost_getpc11735)&4294967295
	s_addc_u32 s15, s15, (.LBB1_1967-.Lpost_getpc11735)>>32
	s_setpc_b64 s[14:15]
.LBB1_29655:
	s_getpc_b64 s[14:15]
.Lpost_getpc491:
	s_add_u32 s14, s14, (.LBB1_1968-.Lpost_getpc491)&4294967295
	s_addc_u32 s15, s15, (.LBB1_1968-.Lpost_getpc491)>>32
	s_setpc_b64 s[14:15]
.LBB1_16305:
	s_movk_i32 s4, 0x80
	v_cmp_eq_u16_e32 vcc, s4, v6
	s_mov_b64 s[4:5], -1
                                        ; implicit-def: $sgpr10
	s_and_saveexec_b64 s[8:9], vcc
; %bb.16306:
	s_mov_b32 s10, 0x7f800001
	s_xor_b64 s[4:5], exec, -1
; %bb.16307:
	s_or_b64 exec, exec, s[8:9]
	s_and_b64 s[4:5], s[4:5], exec
                                        ; implicit-def: $vgpr6
	s_or_saveexec_b64 s[6:7], s[6:7]
	v_mov_b32_e32 v2, s10
	s_xor_b64 exec, exec, s[6:7]
	s_cbranch_execnz .LBB1_16308
; %bb.52145:
	s_getpc_b64 s[14:15]
.Lpost_getpc11736:
	s_add_u32 s14, s14, (.LBB1_1970-.Lpost_getpc11736)&4294967295
	s_addc_u32 s15, s15, (.LBB1_1970-.Lpost_getpc11736)>>32
	s_setpc_b64 s[14:15]
.LBB1_16308:
	v_cmp_ne_u16_e32 vcc, 0, v6
	s_andn2_b64 s[4:5], s[4:5], exec
	s_and_b64 s[8:9], vcc, exec
	v_mov_b32_e32 v2, 0
	s_or_b64 s[4:5], s[4:5], s[8:9]
	s_or_b64 exec, exec, s[6:7]
	s_and_saveexec_b64 s[6:7], s[4:5]
	s_cbranch_execz .LBB1_29657
; %bb.52147:
	s_getpc_b64 s[14:15]
.Lpost_getpc11737:
	s_add_u32 s14, s14, (.LBB1_1971-.Lpost_getpc11737)&4294967295
	s_addc_u32 s15, s15, (.LBB1_1971-.Lpost_getpc11737)>>32
	s_setpc_b64 s[14:15]
.LBB1_29657:
	s_getpc_b64 s[14:15]
.Lpost_getpc492:
	s_add_u32 s14, s14, (.LBB1_1972-.Lpost_getpc492)&4294967295
	s_addc_u32 s15, s15, (.LBB1_1972-.Lpost_getpc492)>>32
	s_setpc_b64 s[14:15]
.LBB1_16309:
	s_movk_i32 s4, 0x80
	v_cmp_eq_u16_e32 vcc, s4, v6
	s_mov_b64 s[4:5], -1
                                        ; implicit-def: $sgpr10
	s_and_saveexec_b64 s[8:9], vcc
; %bb.16310:
	s_mov_b32 s10, 0x7f800001
	s_xor_b64 s[4:5], exec, -1
; %bb.16311:
	s_or_b64 exec, exec, s[8:9]
	s_and_b64 s[4:5], s[4:5], exec
                                        ; implicit-def: $vgpr6
	s_or_saveexec_b64 s[6:7], s[6:7]
	v_mov_b32_e32 v12, s10
	s_xor_b64 exec, exec, s[6:7]
	s_cbranch_execnz .LBB1_16312
; %bb.52149:
	s_getpc_b64 s[14:15]
.Lpost_getpc11738:
	s_add_u32 s14, s14, (.LBB1_1974-.Lpost_getpc11738)&4294967295
	s_addc_u32 s15, s15, (.LBB1_1974-.Lpost_getpc11738)>>32
	s_setpc_b64 s[14:15]
.LBB1_16312:
	v_cmp_ne_u16_e32 vcc, 0, v6
	s_andn2_b64 s[4:5], s[4:5], exec
	s_and_b64 s[8:9], vcc, exec
	v_mov_b32_e32 v12, 0
	s_or_b64 s[4:5], s[4:5], s[8:9]
	s_or_b64 exec, exec, s[6:7]
	s_and_saveexec_b64 s[6:7], s[4:5]
	s_cbranch_execz .LBB1_29659
; %bb.52151:
	s_getpc_b64 s[14:15]
.Lpost_getpc11739:
	s_add_u32 s14, s14, (.LBB1_1975-.Lpost_getpc11739)&4294967295
	s_addc_u32 s15, s15, (.LBB1_1975-.Lpost_getpc11739)>>32
	s_setpc_b64 s[14:15]
.LBB1_29659:
	s_getpc_b64 s[14:15]
.Lpost_getpc493:
	s_add_u32 s14, s14, (.LBB1_1976-.Lpost_getpc493)&4294967295
	s_addc_u32 s15, s15, (.LBB1_1976-.Lpost_getpc493)>>32
	s_setpc_b64 s[14:15]
.LBB1_16313:
	s_movk_i32 s4, 0x80
	v_cmp_eq_u16_sdwa s[12:13], v7, s4 src0_sel:BYTE_3 src1_sel:DWORD
	s_mov_b64 s[4:5], -1
                                        ; implicit-def: $sgpr10
	s_and_saveexec_b64 s[8:9], s[12:13]
; %bb.16314:
	s_mov_b32 s10, 0x7f800001
	s_xor_b64 s[4:5], exec, -1
; %bb.16315:
	s_or_b64 exec, exec, s[8:9]
	s_and_b64 s[4:5], s[4:5], exec
	s_or_saveexec_b64 s[6:7], s[6:7]
	v_mov_b32_e32 v2, s10
	s_xor_b64 exec, exec, s[6:7]
	s_cbranch_execnz .LBB1_16316
; %bb.52153:
	s_getpc_b64 s[14:15]
.Lpost_getpc11740:
	s_add_u32 s14, s14, (.LBB1_1978-.Lpost_getpc11740)&4294967295
	s_addc_u32 s15, s15, (.LBB1_1978-.Lpost_getpc11740)>>32
	s_setpc_b64 s[14:15]
.LBB1_16316:
	v_mov_b32_e32 v2, 0
	v_cmp_ne_u16_sdwa s[8:9], v7, v2 src0_sel:BYTE_3 src1_sel:DWORD
	s_andn2_b64 s[4:5], s[4:5], exec
	s_and_b64 s[8:9], s[8:9], exec
	s_or_b64 s[4:5], s[4:5], s[8:9]
	s_or_b64 exec, exec, s[6:7]
	s_and_saveexec_b64 s[6:7], s[4:5]
	s_cbranch_execz .LBB1_29661
; %bb.52155:
	s_getpc_b64 s[14:15]
.Lpost_getpc11741:
	s_add_u32 s14, s14, (.LBB1_1979-.Lpost_getpc11741)&4294967295
	s_addc_u32 s15, s15, (.LBB1_1979-.Lpost_getpc11741)>>32
	s_setpc_b64 s[14:15]
.LBB1_29661:
	s_getpc_b64 s[14:15]
.Lpost_getpc494:
	s_add_u32 s14, s14, (.LBB1_1980-.Lpost_getpc494)&4294967295
	s_addc_u32 s15, s15, (.LBB1_1980-.Lpost_getpc494)>>32
	s_setpc_b64 s[14:15]
.LBB1_16317:
	s_movk_i32 s4, 0x80
	v_cmp_eq_u16_sdwa s[12:13], v3, s4 src0_sel:BYTE_3 src1_sel:DWORD
	s_mov_b64 s[4:5], -1
                                        ; implicit-def: $sgpr10
	s_and_saveexec_b64 s[8:9], s[12:13]
; %bb.16318:
	s_mov_b32 s10, 0x7f800001
	s_xor_b64 s[4:5], exec, -1
; %bb.16319:
	s_or_b64 exec, exec, s[8:9]
	s_and_b64 s[4:5], s[4:5], exec
	s_or_saveexec_b64 s[6:7], s[6:7]
	v_mov_b32_e32 v6, s10
	s_xor_b64 exec, exec, s[6:7]
	s_cbranch_execnz .LBB1_16320
; %bb.52157:
	s_getpc_b64 s[14:15]
.Lpost_getpc11742:
	s_add_u32 s14, s14, (.LBB1_1982-.Lpost_getpc11742)&4294967295
	s_addc_u32 s15, s15, (.LBB1_1982-.Lpost_getpc11742)>>32
	s_setpc_b64 s[14:15]
.LBB1_16320:
	v_mov_b32_e32 v6, 0
	v_cmp_ne_u16_sdwa s[8:9], v3, v6 src0_sel:BYTE_3 src1_sel:DWORD
	s_andn2_b64 s[4:5], s[4:5], exec
	s_and_b64 s[8:9], s[8:9], exec
	s_or_b64 s[4:5], s[4:5], s[8:9]
	s_or_b64 exec, exec, s[6:7]
	s_and_saveexec_b64 s[6:7], s[4:5]
	s_cbranch_execz .LBB1_29663
; %bb.52159:
	s_getpc_b64 s[14:15]
.Lpost_getpc11743:
	s_add_u32 s14, s14, (.LBB1_1983-.Lpost_getpc11743)&4294967295
	s_addc_u32 s15, s15, (.LBB1_1983-.Lpost_getpc11743)>>32
	s_setpc_b64 s[14:15]
.LBB1_29663:
	s_getpc_b64 s[14:15]
.Lpost_getpc495:
	s_add_u32 s14, s14, (.LBB1_1984-.Lpost_getpc495)&4294967295
	s_addc_u32 s15, s15, (.LBB1_1984-.Lpost_getpc495)>>32
	s_setpc_b64 s[14:15]
.LBB1_16321:
	s_movk_i32 s4, 0x80
	v_cmp_eq_u16_sdwa s[12:13], v8, s4 src0_sel:BYTE_0 src1_sel:DWORD
	s_mov_b64 s[4:5], -1
                                        ; implicit-def: $sgpr10
	s_and_saveexec_b64 s[8:9], s[12:13]
; %bb.16322:
	s_mov_b32 s10, 0x7f800001
	s_xor_b64 s[4:5], exec, -1
; %bb.16323:
	s_or_b64 exec, exec, s[8:9]
	s_and_b64 s[4:5], s[4:5], exec
	s_or_saveexec_b64 s[6:7], s[6:7]
	v_mov_b32_e32 v2, s10
	s_xor_b64 exec, exec, s[6:7]
	s_cbranch_execnz .LBB1_16324
; %bb.52161:
	s_getpc_b64 s[14:15]
.Lpost_getpc11744:
	s_add_u32 s14, s14, (.LBB1_1986-.Lpost_getpc11744)&4294967295
	s_addc_u32 s15, s15, (.LBB1_1986-.Lpost_getpc11744)>>32
	s_setpc_b64 s[14:15]
.LBB1_16324:
	v_mov_b32_e32 v2, 0
	v_cmp_ne_u16_sdwa s[8:9], v8, v2 src0_sel:BYTE_0 src1_sel:DWORD
	s_andn2_b64 s[4:5], s[4:5], exec
	s_and_b64 s[8:9], s[8:9], exec
	s_or_b64 s[4:5], s[4:5], s[8:9]
	s_or_b64 exec, exec, s[6:7]
	s_and_saveexec_b64 s[6:7], s[4:5]
	s_cbranch_execz .LBB1_29665
; %bb.52163:
	s_getpc_b64 s[14:15]
.Lpost_getpc11745:
	s_add_u32 s14, s14, (.LBB1_1987-.Lpost_getpc11745)&4294967295
	s_addc_u32 s15, s15, (.LBB1_1987-.Lpost_getpc11745)>>32
	s_setpc_b64 s[14:15]
.LBB1_29665:
	s_getpc_b64 s[14:15]
.Lpost_getpc496:
	s_add_u32 s14, s14, (.LBB1_1988-.Lpost_getpc496)&4294967295
	s_addc_u32 s15, s15, (.LBB1_1988-.Lpost_getpc496)>>32
	s_setpc_b64 s[14:15]
.LBB1_16325:
	s_movk_i32 s4, 0x80
	v_cmp_eq_u16_sdwa s[12:13], v4, s4 src0_sel:BYTE_0 src1_sel:DWORD
	s_mov_b64 s[4:5], -1
                                        ; implicit-def: $sgpr10
	s_and_saveexec_b64 s[8:9], s[12:13]
; %bb.16326:
	s_mov_b32 s10, 0x7f800001
	s_xor_b64 s[4:5], exec, -1
; %bb.16327:
	s_or_b64 exec, exec, s[8:9]
	s_and_b64 s[4:5], s[4:5], exec
	s_or_saveexec_b64 s[6:7], s[6:7]
	v_mov_b32_e32 v3, s10
	s_xor_b64 exec, exec, s[6:7]
	s_cbranch_execnz .LBB1_16328
; %bb.52165:
	s_getpc_b64 s[14:15]
.Lpost_getpc11746:
	s_add_u32 s14, s14, (.LBB1_1990-.Lpost_getpc11746)&4294967295
	s_addc_u32 s15, s15, (.LBB1_1990-.Lpost_getpc11746)>>32
	s_setpc_b64 s[14:15]
.LBB1_16328:
	v_mov_b32_e32 v3, 0
	v_cmp_ne_u16_sdwa s[8:9], v4, v3 src0_sel:BYTE_0 src1_sel:DWORD
	s_andn2_b64 s[4:5], s[4:5], exec
	s_and_b64 s[8:9], s[8:9], exec
	s_or_b64 s[4:5], s[4:5], s[8:9]
	s_or_b64 exec, exec, s[6:7]
	s_and_saveexec_b64 s[6:7], s[4:5]
	s_cbranch_execz .LBB1_29667
; %bb.52167:
	s_getpc_b64 s[14:15]
.Lpost_getpc11747:
	s_add_u32 s14, s14, (.LBB1_1991-.Lpost_getpc11747)&4294967295
	s_addc_u32 s15, s15, (.LBB1_1991-.Lpost_getpc11747)>>32
	s_setpc_b64 s[14:15]
.LBB1_29667:
	s_getpc_b64 s[14:15]
.Lpost_getpc497:
	s_add_u32 s14, s14, (.LBB1_1992-.Lpost_getpc497)&4294967295
	s_addc_u32 s15, s15, (.LBB1_1992-.Lpost_getpc497)>>32
	s_setpc_b64 s[14:15]
.LBB1_16329:
	s_movk_i32 s4, 0x80
	v_cmp_eq_u16_sdwa s[12:13], v3, s4 src0_sel:BYTE_0 src1_sel:DWORD
	s_mov_b64 s[4:5], -1
                                        ; implicit-def: $sgpr10
	s_and_saveexec_b64 s[8:9], s[12:13]
; %bb.16330:
	s_mov_b32 s10, 0x7f800001
	s_xor_b64 s[4:5], exec, -1
; %bb.16331:
	s_or_b64 exec, exec, s[8:9]
	s_and_b64 s[4:5], s[4:5], exec
	s_or_saveexec_b64 s[6:7], s[6:7]
	v_mov_b32_e32 v2, s10
	s_xor_b64 exec, exec, s[6:7]
	s_cbranch_execnz .LBB1_16332
; %bb.52169:
	s_getpc_b64 s[14:15]
.Lpost_getpc11748:
	s_add_u32 s14, s14, (.LBB1_1994-.Lpost_getpc11748)&4294967295
	s_addc_u32 s15, s15, (.LBB1_1994-.Lpost_getpc11748)>>32
	s_setpc_b64 s[14:15]
.LBB1_16332:
	v_mov_b32_e32 v2, 0
	v_cmp_ne_u16_sdwa s[8:9], v3, v2 src0_sel:BYTE_0 src1_sel:DWORD
	s_andn2_b64 s[4:5], s[4:5], exec
	s_and_b64 s[8:9], s[8:9], exec
	s_or_b64 s[4:5], s[4:5], s[8:9]
	s_or_b64 exec, exec, s[6:7]
	s_and_saveexec_b64 s[6:7], s[4:5]
	s_cbranch_execz .LBB1_29669
; %bb.52171:
	s_getpc_b64 s[14:15]
.Lpost_getpc11749:
	s_add_u32 s14, s14, (.LBB1_1995-.Lpost_getpc11749)&4294967295
	s_addc_u32 s15, s15, (.LBB1_1995-.Lpost_getpc11749)>>32
	s_setpc_b64 s[14:15]
.LBB1_29669:
	s_getpc_b64 s[14:15]
.Lpost_getpc498:
	s_add_u32 s14, s14, (.LBB1_1996-.Lpost_getpc498)&4294967295
	s_addc_u32 s15, s15, (.LBB1_1996-.Lpost_getpc498)>>32
	s_setpc_b64 s[14:15]
.LBB1_16333:
	s_movk_i32 s4, 0x80
	v_cmp_eq_u16_sdwa s[12:13], v3, s4 src0_sel:BYTE_0 src1_sel:DWORD
	s_mov_b64 s[4:5], -1
                                        ; implicit-def: $sgpr10
	s_and_saveexec_b64 s[8:9], s[12:13]
; %bb.16334:
	s_mov_b32 s10, 0x7f800001
	s_xor_b64 s[4:5], exec, -1
; %bb.16335:
	s_or_b64 exec, exec, s[8:9]
	s_and_b64 s[4:5], s[4:5], exec
	s_or_saveexec_b64 s[6:7], s[6:7]
	v_mov_b32_e32 v6, s10
	s_xor_b64 exec, exec, s[6:7]
	s_cbranch_execnz .LBB1_16336
; %bb.52173:
	s_getpc_b64 s[14:15]
.Lpost_getpc11750:
	s_add_u32 s14, s14, (.LBB1_1998-.Lpost_getpc11750)&4294967295
	s_addc_u32 s15, s15, (.LBB1_1998-.Lpost_getpc11750)>>32
	s_setpc_b64 s[14:15]
.LBB1_16336:
	v_mov_b32_e32 v6, 0
	v_cmp_ne_u16_sdwa s[8:9], v3, v6 src0_sel:BYTE_0 src1_sel:DWORD
	s_andn2_b64 s[4:5], s[4:5], exec
	s_and_b64 s[8:9], s[8:9], exec
	s_or_b64 s[4:5], s[4:5], s[8:9]
	s_or_b64 exec, exec, s[6:7]
	s_and_saveexec_b64 s[6:7], s[4:5]
	s_cbranch_execz .LBB1_29671
; %bb.52175:
	s_getpc_b64 s[14:15]
.Lpost_getpc11751:
	s_add_u32 s14, s14, (.LBB1_1999-.Lpost_getpc11751)&4294967295
	s_addc_u32 s15, s15, (.LBB1_1999-.Lpost_getpc11751)>>32
	s_setpc_b64 s[14:15]
.LBB1_29671:
	s_getpc_b64 s[14:15]
.Lpost_getpc499:
	s_add_u32 s14, s14, (.LBB1_2000-.Lpost_getpc499)&4294967295
	s_addc_u32 s15, s15, (.LBB1_2000-.Lpost_getpc499)>>32
	s_setpc_b64 s[14:15]
.LBB1_16337:
	s_movk_i32 s4, 0x80
	v_cmp_eq_u16_e32 vcc, s4, v3
	s_mov_b64 s[4:5], -1
                                        ; implicit-def: $sgpr10
	s_and_saveexec_b64 s[8:9], vcc
; %bb.16338:
	s_mov_b32 s10, 0x7f800001
	s_xor_b64 s[4:5], exec, -1
; %bb.16339:
	s_or_b64 exec, exec, s[8:9]
	s_and_b64 s[4:5], s[4:5], exec
                                        ; implicit-def: $vgpr3
	s_or_saveexec_b64 s[6:7], s[6:7]
	v_mov_b32_e32 v2, s10
	s_xor_b64 exec, exec, s[6:7]
	s_cbranch_execnz .LBB1_16340
; %bb.52177:
	s_getpc_b64 s[14:15]
.Lpost_getpc11752:
	s_add_u32 s14, s14, (.LBB1_2002-.Lpost_getpc11752)&4294967295
	s_addc_u32 s15, s15, (.LBB1_2002-.Lpost_getpc11752)>>32
	s_setpc_b64 s[14:15]
.LBB1_16340:
	v_cmp_ne_u16_e32 vcc, 0, v3
	s_andn2_b64 s[4:5], s[4:5], exec
	s_and_b64 s[8:9], vcc, exec
	v_mov_b32_e32 v2, 0
	s_or_b64 s[4:5], s[4:5], s[8:9]
	s_or_b64 exec, exec, s[6:7]
	s_and_saveexec_b64 s[6:7], s[4:5]
	s_cbranch_execz .LBB1_29673
; %bb.52179:
	s_getpc_b64 s[14:15]
.Lpost_getpc11753:
	s_add_u32 s14, s14, (.LBB1_2003-.Lpost_getpc11753)&4294967295
	s_addc_u32 s15, s15, (.LBB1_2003-.Lpost_getpc11753)>>32
	s_setpc_b64 s[14:15]
.LBB1_29673:
	s_getpc_b64 s[14:15]
.Lpost_getpc500:
	s_add_u32 s14, s14, (.LBB1_2004-.Lpost_getpc500)&4294967295
	s_addc_u32 s15, s15, (.LBB1_2004-.Lpost_getpc500)>>32
	s_setpc_b64 s[14:15]
.LBB1_16341:
	s_movk_i32 s4, 0x80
	v_cmp_eq_u16_e32 vcc, s4, v3
	s_mov_b64 s[4:5], -1
                                        ; implicit-def: $sgpr10
	s_and_saveexec_b64 s[8:9], vcc
; %bb.16342:
	s_mov_b32 s10, 0x7f800001
	s_xor_b64 s[4:5], exec, -1
; %bb.16343:
	s_or_b64 exec, exec, s[8:9]
	s_and_b64 s[4:5], s[4:5], exec
                                        ; implicit-def: $vgpr3
	s_or_saveexec_b64 s[6:7], s[6:7]
	v_mov_b32_e32 v6, s10
	s_xor_b64 exec, exec, s[6:7]
	s_cbranch_execnz .LBB1_16344
; %bb.52181:
	s_getpc_b64 s[14:15]
.Lpost_getpc11754:
	s_add_u32 s14, s14, (.LBB1_2006-.Lpost_getpc11754)&4294967295
	s_addc_u32 s15, s15, (.LBB1_2006-.Lpost_getpc11754)>>32
	s_setpc_b64 s[14:15]
.LBB1_16344:
	v_cmp_ne_u16_e32 vcc, 0, v3
	s_andn2_b64 s[4:5], s[4:5], exec
	s_and_b64 s[8:9], vcc, exec
	v_mov_b32_e32 v6, 0
	s_or_b64 s[4:5], s[4:5], s[8:9]
	s_or_b64 exec, exec, s[6:7]
	s_and_saveexec_b64 s[6:7], s[4:5]
	s_cbranch_execz .LBB1_29675
; %bb.52183:
	s_getpc_b64 s[14:15]
.Lpost_getpc11755:
	s_add_u32 s14, s14, (.LBB1_2007-.Lpost_getpc11755)&4294967295
	s_addc_u32 s15, s15, (.LBB1_2007-.Lpost_getpc11755)>>32
	s_setpc_b64 s[14:15]
.LBB1_29675:
	s_getpc_b64 s[14:15]
.Lpost_getpc501:
	s_add_u32 s14, s14, (.LBB1_2008-.Lpost_getpc501)&4294967295
	s_addc_u32 s15, s15, (.LBB1_2008-.Lpost_getpc501)>>32
	s_setpc_b64 s[14:15]
.LBB1_16345:
	s_movk_i32 s4, 0x80
	v_cmp_eq_u16_sdwa s[12:13], v8, s4 src0_sel:BYTE_3 src1_sel:DWORD
	s_mov_b64 s[4:5], -1
                                        ; implicit-def: $sgpr10
	s_and_saveexec_b64 s[8:9], s[12:13]
; %bb.16346:
	s_mov_b32 s10, 0x7f800001
	s_xor_b64 s[4:5], exec, -1
; %bb.16347:
	s_or_b64 exec, exec, s[8:9]
	s_and_b64 s[4:5], s[4:5], exec
	s_or_saveexec_b64 s[6:7], s[6:7]
	v_mov_b32_e32 v2, s10
	s_xor_b64 exec, exec, s[6:7]
	s_cbranch_execnz .LBB1_16348
; %bb.52185:
	s_getpc_b64 s[14:15]
.Lpost_getpc11756:
	s_add_u32 s14, s14, (.LBB1_2010-.Lpost_getpc11756)&4294967295
	s_addc_u32 s15, s15, (.LBB1_2010-.Lpost_getpc11756)>>32
	s_setpc_b64 s[14:15]
.LBB1_16348:
	v_mov_b32_e32 v2, 0
	v_cmp_ne_u16_sdwa s[8:9], v8, v2 src0_sel:BYTE_3 src1_sel:DWORD
	s_andn2_b64 s[4:5], s[4:5], exec
	s_and_b64 s[8:9], s[8:9], exec
	s_or_b64 s[4:5], s[4:5], s[8:9]
	s_or_b64 exec, exec, s[6:7]
	s_and_saveexec_b64 s[6:7], s[4:5]
	s_cbranch_execz .LBB1_29677
; %bb.52187:
	s_getpc_b64 s[14:15]
.Lpost_getpc11757:
	s_add_u32 s14, s14, (.LBB1_2011-.Lpost_getpc11757)&4294967295
	s_addc_u32 s15, s15, (.LBB1_2011-.Lpost_getpc11757)>>32
	s_setpc_b64 s[14:15]
.LBB1_29677:
	s_getpc_b64 s[14:15]
.Lpost_getpc502:
	s_add_u32 s14, s14, (.LBB1_2012-.Lpost_getpc502)&4294967295
	s_addc_u32 s15, s15, (.LBB1_2012-.Lpost_getpc502)>>32
	s_setpc_b64 s[14:15]
.LBB1_16349:
	s_movk_i32 s4, 0x80
	v_cmp_eq_u16_sdwa s[12:13], v4, s4 src0_sel:BYTE_3 src1_sel:DWORD
	s_mov_b64 s[4:5], -1
                                        ; implicit-def: $sgpr10
	s_and_saveexec_b64 s[8:9], s[12:13]
; %bb.16350:
	s_mov_b32 s10, 0x7f800001
	s_xor_b64 s[4:5], exec, -1
; %bb.16351:
	s_or_b64 exec, exec, s[8:9]
	s_and_b64 s[4:5], s[4:5], exec
	s_or_saveexec_b64 s[6:7], s[6:7]
	v_mov_b32_e32 v3, s10
	s_xor_b64 exec, exec, s[6:7]
	s_cbranch_execnz .LBB1_16352
; %bb.52189:
	s_getpc_b64 s[14:15]
.Lpost_getpc11758:
	s_add_u32 s14, s14, (.LBB1_2014-.Lpost_getpc11758)&4294967295
	s_addc_u32 s15, s15, (.LBB1_2014-.Lpost_getpc11758)>>32
	s_setpc_b64 s[14:15]
.LBB1_16352:
	v_mov_b32_e32 v3, 0
	v_cmp_ne_u16_sdwa s[8:9], v4, v3 src0_sel:BYTE_3 src1_sel:DWORD
	s_andn2_b64 s[4:5], s[4:5], exec
	s_and_b64 s[8:9], s[8:9], exec
	s_or_b64 s[4:5], s[4:5], s[8:9]
	s_or_b64 exec, exec, s[6:7]
	s_and_saveexec_b64 s[6:7], s[4:5]
	s_cbranch_execz .LBB1_29679
; %bb.52191:
	s_getpc_b64 s[14:15]
.Lpost_getpc11759:
	s_add_u32 s14, s14, (.LBB1_2015-.Lpost_getpc11759)&4294967295
	s_addc_u32 s15, s15, (.LBB1_2015-.Lpost_getpc11759)>>32
	s_setpc_b64 s[14:15]
.LBB1_29679:
	s_getpc_b64 s[14:15]
.Lpost_getpc503:
	s_add_u32 s14, s14, (.LBB1_2016-.Lpost_getpc503)&4294967295
	s_addc_u32 s15, s15, (.LBB1_2016-.Lpost_getpc503)>>32
	s_setpc_b64 s[14:15]
.LBB1_16353:
	s_movk_i32 s4, 0x80
	v_cmp_eq_u16_sdwa s[12:13], v9, s4 src0_sel:BYTE_0 src1_sel:DWORD
	s_mov_b64 s[4:5], -1
                                        ; implicit-def: $sgpr10
	s_and_saveexec_b64 s[8:9], s[12:13]
; %bb.16354:
	s_mov_b32 s10, 0x7f800001
	s_xor_b64 s[4:5], exec, -1
; %bb.16355:
	s_or_b64 exec, exec, s[8:9]
	s_and_b64 s[4:5], s[4:5], exec
	s_or_saveexec_b64 s[6:7], s[6:7]
	v_mov_b32_e32 v2, s10
	s_xor_b64 exec, exec, s[6:7]
	s_cbranch_execnz .LBB1_16356
; %bb.52193:
	s_getpc_b64 s[14:15]
.Lpost_getpc11760:
	s_add_u32 s14, s14, (.LBB1_2018-.Lpost_getpc11760)&4294967295
	s_addc_u32 s15, s15, (.LBB1_2018-.Lpost_getpc11760)>>32
	s_setpc_b64 s[14:15]
.LBB1_16356:
	v_mov_b32_e32 v2, 0
	v_cmp_ne_u16_sdwa s[8:9], v9, v2 src0_sel:BYTE_0 src1_sel:DWORD
	s_andn2_b64 s[4:5], s[4:5], exec
	s_and_b64 s[8:9], s[8:9], exec
	s_or_b64 s[4:5], s[4:5], s[8:9]
	s_or_b64 exec, exec, s[6:7]
	s_and_saveexec_b64 s[6:7], s[4:5]
	s_cbranch_execz .LBB1_29681
; %bb.52195:
	s_getpc_b64 s[14:15]
.Lpost_getpc11761:
	s_add_u32 s14, s14, (.LBB1_2019-.Lpost_getpc11761)&4294967295
	s_addc_u32 s15, s15, (.LBB1_2019-.Lpost_getpc11761)>>32
	s_setpc_b64 s[14:15]
.LBB1_29681:
	s_getpc_b64 s[14:15]
.Lpost_getpc504:
	s_add_u32 s14, s14, (.LBB1_2020-.Lpost_getpc504)&4294967295
	s_addc_u32 s15, s15, (.LBB1_2020-.Lpost_getpc504)>>32
	s_setpc_b64 s[14:15]
.LBB1_16357:
	s_movk_i32 s4, 0x80
	v_cmp_eq_u16_sdwa s[12:13], v5, s4 src0_sel:BYTE_0 src1_sel:DWORD
	s_mov_b64 s[4:5], -1
                                        ; implicit-def: $sgpr10
	s_and_saveexec_b64 s[8:9], s[12:13]
; %bb.16358:
	s_mov_b32 s10, 0x7f800001
	s_xor_b64 s[4:5], exec, -1
; %bb.16359:
	s_or_b64 exec, exec, s[8:9]
	s_and_b64 s[4:5], s[4:5], exec
	s_or_saveexec_b64 s[6:7], s[6:7]
	v_mov_b32_e32 v3, s10
	s_xor_b64 exec, exec, s[6:7]
	s_cbranch_execnz .LBB1_16360
; %bb.52197:
	s_getpc_b64 s[14:15]
.Lpost_getpc11762:
	s_add_u32 s14, s14, (.LBB1_2022-.Lpost_getpc11762)&4294967295
	s_addc_u32 s15, s15, (.LBB1_2022-.Lpost_getpc11762)>>32
	s_setpc_b64 s[14:15]
.LBB1_16360:
	v_mov_b32_e32 v3, 0
	v_cmp_ne_u16_sdwa s[8:9], v5, v3 src0_sel:BYTE_0 src1_sel:DWORD
	s_andn2_b64 s[4:5], s[4:5], exec
	s_and_b64 s[8:9], s[8:9], exec
	s_or_b64 s[4:5], s[4:5], s[8:9]
	s_or_b64 exec, exec, s[6:7]
	s_and_saveexec_b64 s[6:7], s[4:5]
	s_cbranch_execz .LBB1_29683
; %bb.52199:
	s_getpc_b64 s[14:15]
.Lpost_getpc11763:
	s_add_u32 s14, s14, (.LBB1_2023-.Lpost_getpc11763)&4294967295
	s_addc_u32 s15, s15, (.LBB1_2023-.Lpost_getpc11763)>>32
	s_setpc_b64 s[14:15]
.LBB1_29683:
	s_getpc_b64 s[14:15]
.Lpost_getpc505:
	s_add_u32 s14, s14, (.LBB1_2024-.Lpost_getpc505)&4294967295
	s_addc_u32 s15, s15, (.LBB1_2024-.Lpost_getpc505)>>32
	s_setpc_b64 s[14:15]
.LBB1_16361:
	s_movk_i32 s4, 0x80
	v_cmp_eq_u16_sdwa s[12:13], v3, s4 src0_sel:BYTE_0 src1_sel:DWORD
	s_mov_b64 s[4:5], -1
                                        ; implicit-def: $sgpr10
	s_and_saveexec_b64 s[8:9], s[12:13]
; %bb.16362:
	s_mov_b32 s10, 0x7f800001
	s_xor_b64 s[4:5], exec, -1
; %bb.16363:
	s_or_b64 exec, exec, s[8:9]
	s_and_b64 s[4:5], s[4:5], exec
	s_or_saveexec_b64 s[6:7], s[6:7]
	v_mov_b32_e32 v2, s10
	s_xor_b64 exec, exec, s[6:7]
	s_cbranch_execnz .LBB1_16364
; %bb.52201:
	s_getpc_b64 s[14:15]
.Lpost_getpc11764:
	s_add_u32 s14, s14, (.LBB1_2026-.Lpost_getpc11764)&4294967295
	s_addc_u32 s15, s15, (.LBB1_2026-.Lpost_getpc11764)>>32
	s_setpc_b64 s[14:15]
.LBB1_16364:
	v_mov_b32_e32 v2, 0
	v_cmp_ne_u16_sdwa s[8:9], v3, v2 src0_sel:BYTE_0 src1_sel:DWORD
	s_andn2_b64 s[4:5], s[4:5], exec
	s_and_b64 s[8:9], s[8:9], exec
	s_or_b64 s[4:5], s[4:5], s[8:9]
	s_or_b64 exec, exec, s[6:7]
	s_and_saveexec_b64 s[6:7], s[4:5]
	s_cbranch_execz .LBB1_29685
; %bb.52203:
	s_getpc_b64 s[14:15]
.Lpost_getpc11765:
	s_add_u32 s14, s14, (.LBB1_2027-.Lpost_getpc11765)&4294967295
	s_addc_u32 s15, s15, (.LBB1_2027-.Lpost_getpc11765)>>32
	s_setpc_b64 s[14:15]
.LBB1_29685:
	s_getpc_b64 s[14:15]
.Lpost_getpc506:
	s_add_u32 s14, s14, (.LBB1_2028-.Lpost_getpc506)&4294967295
	s_addc_u32 s15, s15, (.LBB1_2028-.Lpost_getpc506)>>32
	s_setpc_b64 s[14:15]
.LBB1_16365:
	s_movk_i32 s4, 0x80
	v_cmp_eq_u16_sdwa s[12:13], v3, s4 src0_sel:BYTE_0 src1_sel:DWORD
	s_mov_b64 s[4:5], -1
                                        ; implicit-def: $sgpr10
	s_and_saveexec_b64 s[8:9], s[12:13]
; %bb.16366:
	s_mov_b32 s10, 0x7f800001
	s_xor_b64 s[4:5], exec, -1
; %bb.16367:
	s_or_b64 exec, exec, s[8:9]
	s_and_b64 s[4:5], s[4:5], exec
	s_or_saveexec_b64 s[6:7], s[6:7]
	v_mov_b32_e32 v4, s10
	s_xor_b64 exec, exec, s[6:7]
	s_cbranch_execnz .LBB1_16368
; %bb.52205:
	s_getpc_b64 s[14:15]
.Lpost_getpc11766:
	s_add_u32 s14, s14, (.LBB1_2030-.Lpost_getpc11766)&4294967295
	s_addc_u32 s15, s15, (.LBB1_2030-.Lpost_getpc11766)>>32
	s_setpc_b64 s[14:15]
.LBB1_16368:
	v_mov_b32_e32 v4, 0
	v_cmp_ne_u16_sdwa s[8:9], v3, v4 src0_sel:BYTE_0 src1_sel:DWORD
	s_andn2_b64 s[4:5], s[4:5], exec
	s_and_b64 s[8:9], s[8:9], exec
	s_or_b64 s[4:5], s[4:5], s[8:9]
	s_or_b64 exec, exec, s[6:7]
	s_and_saveexec_b64 s[6:7], s[4:5]
	s_cbranch_execz .LBB1_29687
; %bb.52207:
	s_getpc_b64 s[14:15]
.Lpost_getpc11767:
	s_add_u32 s14, s14, (.LBB1_2031-.Lpost_getpc11767)&4294967295
	s_addc_u32 s15, s15, (.LBB1_2031-.Lpost_getpc11767)>>32
	s_setpc_b64 s[14:15]
.LBB1_29687:
	s_getpc_b64 s[14:15]
.Lpost_getpc507:
	s_add_u32 s14, s14, (.LBB1_2032-.Lpost_getpc507)&4294967295
	s_addc_u32 s15, s15, (.LBB1_2032-.Lpost_getpc507)>>32
	s_setpc_b64 s[14:15]
.LBB1_16369:
	s_movk_i32 s4, 0x80
	v_cmp_eq_u16_e32 vcc, s4, v3
	s_mov_b64 s[4:5], -1
                                        ; implicit-def: $sgpr10
	s_and_saveexec_b64 s[8:9], vcc
; %bb.16370:
	s_mov_b32 s10, 0x7f800001
	s_xor_b64 s[4:5], exec, -1
; %bb.16371:
	s_or_b64 exec, exec, s[8:9]
	s_and_b64 s[4:5], s[4:5], exec
                                        ; implicit-def: $vgpr3
	s_or_saveexec_b64 s[6:7], s[6:7]
	v_mov_b32_e32 v2, s10
	s_xor_b64 exec, exec, s[6:7]
	s_cbranch_execnz .LBB1_16372
; %bb.52209:
	s_getpc_b64 s[14:15]
.Lpost_getpc11768:
	s_add_u32 s14, s14, (.LBB1_2034-.Lpost_getpc11768)&4294967295
	s_addc_u32 s15, s15, (.LBB1_2034-.Lpost_getpc11768)>>32
	s_setpc_b64 s[14:15]
.LBB1_16372:
	v_cmp_ne_u16_e32 vcc, 0, v3
	s_andn2_b64 s[4:5], s[4:5], exec
	s_and_b64 s[8:9], vcc, exec
	v_mov_b32_e32 v2, 0
	s_or_b64 s[4:5], s[4:5], s[8:9]
	s_or_b64 exec, exec, s[6:7]
	s_and_saveexec_b64 s[6:7], s[4:5]
	s_cbranch_execz .LBB1_29689
; %bb.52211:
	s_getpc_b64 s[14:15]
.Lpost_getpc11769:
	s_add_u32 s14, s14, (.LBB1_2035-.Lpost_getpc11769)&4294967295
	s_addc_u32 s15, s15, (.LBB1_2035-.Lpost_getpc11769)>>32
	s_setpc_b64 s[14:15]
.LBB1_29689:
	s_getpc_b64 s[14:15]
.Lpost_getpc508:
	s_add_u32 s14, s14, (.LBB1_2036-.Lpost_getpc508)&4294967295
	s_addc_u32 s15, s15, (.LBB1_2036-.Lpost_getpc508)>>32
	s_setpc_b64 s[14:15]
.LBB1_16373:
	s_movk_i32 s4, 0x80
	v_cmp_eq_u16_e32 vcc, s4, v3
	s_mov_b64 s[4:5], -1
                                        ; implicit-def: $sgpr10
	s_and_saveexec_b64 s[8:9], vcc
; %bb.16374:
	s_mov_b32 s10, 0x7f800001
	s_xor_b64 s[4:5], exec, -1
; %bb.16375:
	s_or_b64 exec, exec, s[8:9]
	s_and_b64 s[4:5], s[4:5], exec
                                        ; implicit-def: $vgpr3
	s_or_saveexec_b64 s[6:7], s[6:7]
	v_mov_b32_e32 v4, s10
	s_xor_b64 exec, exec, s[6:7]
	s_cbranch_execnz .LBB1_16376
; %bb.52213:
	s_getpc_b64 s[14:15]
.Lpost_getpc11770:
	s_add_u32 s14, s14, (.LBB1_2038-.Lpost_getpc11770)&4294967295
	s_addc_u32 s15, s15, (.LBB1_2038-.Lpost_getpc11770)>>32
	s_setpc_b64 s[14:15]
.LBB1_16376:
	v_cmp_ne_u16_e32 vcc, 0, v3
	s_andn2_b64 s[4:5], s[4:5], exec
	s_and_b64 s[8:9], vcc, exec
	v_mov_b32_e32 v4, 0
	s_or_b64 s[4:5], s[4:5], s[8:9]
	s_or_b64 exec, exec, s[6:7]
	s_and_saveexec_b64 s[6:7], s[4:5]
	s_cbranch_execz .LBB1_29691
; %bb.52215:
	s_getpc_b64 s[14:15]
.Lpost_getpc11771:
	s_add_u32 s14, s14, (.LBB1_2039-.Lpost_getpc11771)&4294967295
	s_addc_u32 s15, s15, (.LBB1_2039-.Lpost_getpc11771)>>32
	s_setpc_b64 s[14:15]
.LBB1_29691:
	s_getpc_b64 s[14:15]
.Lpost_getpc509:
	s_add_u32 s14, s14, (.LBB1_2040-.Lpost_getpc509)&4294967295
	s_addc_u32 s15, s15, (.LBB1_2040-.Lpost_getpc509)>>32
	s_setpc_b64 s[14:15]
.LBB1_16377:
	s_movk_i32 s4, 0x80
	v_cmp_eq_u16_sdwa s[12:13], v9, s4 src0_sel:BYTE_3 src1_sel:DWORD
	s_mov_b64 s[4:5], -1
                                        ; implicit-def: $sgpr10
	s_and_saveexec_b64 s[8:9], s[12:13]
; %bb.16378:
	s_mov_b32 s10, 0x7f800001
	s_xor_b64 s[4:5], exec, -1
; %bb.16379:
	s_or_b64 exec, exec, s[8:9]
	s_and_b64 s[4:5], s[4:5], exec
	s_or_saveexec_b64 s[6:7], s[6:7]
	v_mov_b32_e32 v2, s10
	s_xor_b64 exec, exec, s[6:7]
	s_cbranch_execnz .LBB1_16380
; %bb.52217:
	s_getpc_b64 s[14:15]
.Lpost_getpc11772:
	s_add_u32 s14, s14, (.LBB1_2042-.Lpost_getpc11772)&4294967295
	s_addc_u32 s15, s15, (.LBB1_2042-.Lpost_getpc11772)>>32
	s_setpc_b64 s[14:15]
.LBB1_16380:
	v_mov_b32_e32 v2, 0
	v_cmp_ne_u16_sdwa s[8:9], v9, v2 src0_sel:BYTE_3 src1_sel:DWORD
	s_andn2_b64 s[4:5], s[4:5], exec
	s_and_b64 s[8:9], s[8:9], exec
	s_or_b64 s[4:5], s[4:5], s[8:9]
	s_or_b64 exec, exec, s[6:7]
	s_and_saveexec_b64 s[6:7], s[4:5]
	s_cbranch_execz .LBB1_29693
; %bb.52219:
	s_getpc_b64 s[14:15]
.Lpost_getpc11773:
	s_add_u32 s14, s14, (.LBB1_2043-.Lpost_getpc11773)&4294967295
	s_addc_u32 s15, s15, (.LBB1_2043-.Lpost_getpc11773)>>32
	s_setpc_b64 s[14:15]
.LBB1_29693:
	s_getpc_b64 s[14:15]
.Lpost_getpc510:
	s_add_u32 s14, s14, (.LBB1_2044-.Lpost_getpc510)&4294967295
	s_addc_u32 s15, s15, (.LBB1_2044-.Lpost_getpc510)>>32
	s_setpc_b64 s[14:15]
.LBB1_16381:
	s_movk_i32 s4, 0x80
	v_cmp_eq_u16_sdwa s[12:13], v5, s4 src0_sel:BYTE_3 src1_sel:DWORD
	s_mov_b64 s[4:5], -1
                                        ; implicit-def: $sgpr10
	s_and_saveexec_b64 s[8:9], s[12:13]
; %bb.16382:
	s_mov_b32 s10, 0x7f800001
	s_xor_b64 s[4:5], exec, -1
; %bb.16383:
	s_or_b64 exec, exec, s[8:9]
	s_and_b64 s[4:5], s[4:5], exec
	s_or_saveexec_b64 s[6:7], s[6:7]
	v_mov_b32_e32 v3, s10
	s_xor_b64 exec, exec, s[6:7]
	s_cbranch_execnz .LBB1_16384
; %bb.52221:
	s_getpc_b64 s[14:15]
.Lpost_getpc11774:
	s_add_u32 s14, s14, (.LBB1_2046-.Lpost_getpc11774)&4294967295
	s_addc_u32 s15, s15, (.LBB1_2046-.Lpost_getpc11774)>>32
	s_setpc_b64 s[14:15]
.LBB1_16384:
	v_mov_b32_e32 v3, 0
	v_cmp_ne_u16_sdwa s[8:9], v5, v3 src0_sel:BYTE_3 src1_sel:DWORD
	s_andn2_b64 s[4:5], s[4:5], exec
	s_and_b64 s[8:9], s[8:9], exec
	s_or_b64 s[4:5], s[4:5], s[8:9]
	s_or_b64 exec, exec, s[6:7]
	s_and_saveexec_b64 s[6:7], s[4:5]
	s_cbranch_execz .LBB1_29695
; %bb.52223:
	s_getpc_b64 s[14:15]
.Lpost_getpc11775:
	s_add_u32 s14, s14, (.LBB1_2047-.Lpost_getpc11775)&4294967295
	s_addc_u32 s15, s15, (.LBB1_2047-.Lpost_getpc11775)>>32
	s_setpc_b64 s[14:15]
.LBB1_29695:
	s_getpc_b64 s[14:15]
.Lpost_getpc511:
	s_add_u32 s14, s14, (.LBB1_2048-.Lpost_getpc511)&4294967295
	s_addc_u32 s15, s15, (.LBB1_2048-.Lpost_getpc511)>>32
	s_setpc_b64 s[14:15]
.LBB1_16385:
	s_movk_i32 s4, 0x80
	v_cmp_eq_u16_sdwa s[12:13], v6, s4 src0_sel:BYTE_0 src1_sel:DWORD
	s_mov_b64 s[4:5], -1
                                        ; implicit-def: $sgpr10
	s_and_saveexec_b64 s[8:9], s[12:13]
; %bb.16386:
	s_mov_b32 s10, 0x7f800001
	s_xor_b64 s[4:5], exec, -1
; %bb.16387:
	s_or_b64 exec, exec, s[8:9]
	s_and_b64 s[4:5], s[4:5], exec
	s_or_saveexec_b64 s[6:7], s[6:7]
	v_mov_b32_e32 v12, s10
	s_xor_b64 exec, exec, s[6:7]
	s_cbranch_execnz .LBB1_16388
; %bb.52225:
	s_getpc_b64 s[14:15]
.Lpost_getpc11776:
	s_add_u32 s14, s14, (.LBB1_2050-.Lpost_getpc11776)&4294967295
	s_addc_u32 s15, s15, (.LBB1_2050-.Lpost_getpc11776)>>32
	s_setpc_b64 s[14:15]
.LBB1_16388:
	v_mov_b32_e32 v12, 0
	v_cmp_ne_u16_sdwa s[8:9], v6, v12 src0_sel:BYTE_0 src1_sel:DWORD
	s_andn2_b64 s[4:5], s[4:5], exec
	s_and_b64 s[8:9], s[8:9], exec
	s_or_b64 s[4:5], s[4:5], s[8:9]
	s_or_b64 exec, exec, s[6:7]
	s_and_saveexec_b64 s[6:7], s[4:5]
	s_cbranch_execz .LBB1_29697
; %bb.52227:
	s_getpc_b64 s[14:15]
.Lpost_getpc11777:
	s_add_u32 s14, s14, (.LBB1_2051-.Lpost_getpc11777)&4294967295
	s_addc_u32 s15, s15, (.LBB1_2051-.Lpost_getpc11777)>>32
	s_setpc_b64 s[14:15]
.LBB1_29697:
	s_getpc_b64 s[14:15]
.Lpost_getpc512:
	s_add_u32 s14, s14, (.LBB1_2052-.Lpost_getpc512)&4294967295
	s_addc_u32 s15, s15, (.LBB1_2052-.Lpost_getpc512)>>32
	s_setpc_b64 s[14:15]
.LBB1_16389:
	s_movk_i32 s4, 0x80
	v_cmp_eq_u16_sdwa s[12:13], v2, s4 src0_sel:BYTE_0 src1_sel:DWORD
	s_mov_b64 s[4:5], -1
                                        ; implicit-def: $sgpr10
	s_and_saveexec_b64 s[8:9], s[12:13]
; %bb.16390:
	s_mov_b32 s10, 0x7f800001
	s_xor_b64 s[4:5], exec, -1
; %bb.16391:
	s_or_b64 exec, exec, s[8:9]
	s_and_b64 s[4:5], s[4:5], exec
	s_or_saveexec_b64 s[6:7], s[6:7]
	v_mov_b32_e32 v13, s10
	s_xor_b64 exec, exec, s[6:7]
	s_cbranch_execnz .LBB1_16392
; %bb.52229:
	s_getpc_b64 s[14:15]
.Lpost_getpc11778:
	s_add_u32 s14, s14, (.LBB1_2054-.Lpost_getpc11778)&4294967295
	s_addc_u32 s15, s15, (.LBB1_2054-.Lpost_getpc11778)>>32
	s_setpc_b64 s[14:15]
.LBB1_16392:
	v_mov_b32_e32 v13, 0
	v_cmp_ne_u16_sdwa s[8:9], v2, v13 src0_sel:BYTE_0 src1_sel:DWORD
	s_andn2_b64 s[4:5], s[4:5], exec
	s_and_b64 s[8:9], s[8:9], exec
	s_or_b64 s[4:5], s[4:5], s[8:9]
	s_or_b64 exec, exec, s[6:7]
	s_and_saveexec_b64 s[6:7], s[4:5]
	s_cbranch_execz .LBB1_29699
; %bb.52231:
	s_getpc_b64 s[14:15]
.Lpost_getpc11779:
	s_add_u32 s14, s14, (.LBB1_2055-.Lpost_getpc11779)&4294967295
	s_addc_u32 s15, s15, (.LBB1_2055-.Lpost_getpc11779)>>32
	s_setpc_b64 s[14:15]
.LBB1_29699:
	s_getpc_b64 s[14:15]
.Lpost_getpc513:
	s_add_u32 s14, s14, (.LBB1_2056-.Lpost_getpc513)&4294967295
	s_addc_u32 s15, s15, (.LBB1_2056-.Lpost_getpc513)>>32
	s_setpc_b64 s[14:15]
.LBB1_16393:
	s_movk_i32 s4, 0x80
	v_cmp_eq_u16_sdwa s[12:13], v13, s4 src0_sel:BYTE_0 src1_sel:DWORD
	s_mov_b64 s[4:5], -1
                                        ; implicit-def: $sgpr10
	s_and_saveexec_b64 s[8:9], s[12:13]
; %bb.16394:
	s_mov_b32 s10, 0x7f800001
	s_xor_b64 s[4:5], exec, -1
; %bb.16395:
	s_or_b64 exec, exec, s[8:9]
	s_and_b64 s[4:5], s[4:5], exec
	s_or_saveexec_b64 s[6:7], s[6:7]
	v_mov_b32_e32 v12, s10
	s_xor_b64 exec, exec, s[6:7]
	s_cbranch_execnz .LBB1_16396
; %bb.52233:
	s_getpc_b64 s[14:15]
.Lpost_getpc11780:
	s_add_u32 s14, s14, (.LBB1_2058-.Lpost_getpc11780)&4294967295
	s_addc_u32 s15, s15, (.LBB1_2058-.Lpost_getpc11780)>>32
	s_setpc_b64 s[14:15]
.LBB1_16396:
	v_mov_b32_e32 v12, 0
	v_cmp_ne_u16_sdwa s[8:9], v13, v12 src0_sel:BYTE_0 src1_sel:DWORD
	s_andn2_b64 s[4:5], s[4:5], exec
	s_and_b64 s[8:9], s[8:9], exec
	s_or_b64 s[4:5], s[4:5], s[8:9]
	s_or_b64 exec, exec, s[6:7]
	s_and_saveexec_b64 s[6:7], s[4:5]
	s_cbranch_execz .LBB1_29701
; %bb.52235:
	s_getpc_b64 s[14:15]
.Lpost_getpc11781:
	s_add_u32 s14, s14, (.LBB1_2059-.Lpost_getpc11781)&4294967295
	s_addc_u32 s15, s15, (.LBB1_2059-.Lpost_getpc11781)>>32
	s_setpc_b64 s[14:15]
.LBB1_29701:
	s_getpc_b64 s[14:15]
.Lpost_getpc514:
	s_add_u32 s14, s14, (.LBB1_2060-.Lpost_getpc514)&4294967295
	s_addc_u32 s15, s15, (.LBB1_2060-.Lpost_getpc514)>>32
	s_setpc_b64 s[14:15]
.LBB1_16397:
	s_movk_i32 s4, 0x80
	v_cmp_eq_u16_sdwa s[12:13], v13, s4 src0_sel:BYTE_0 src1_sel:DWORD
	s_mov_b64 s[4:5], -1
                                        ; implicit-def: $sgpr10
	s_and_saveexec_b64 s[8:9], s[12:13]
; %bb.16398:
	s_mov_b32 s10, 0x7f800001
	s_xor_b64 s[4:5], exec, -1
; %bb.16399:
	s_or_b64 exec, exec, s[8:9]
	s_and_b64 s[4:5], s[4:5], exec
	s_or_saveexec_b64 s[6:7], s[6:7]
	v_mov_b32_e32 v14, s10
	s_xor_b64 exec, exec, s[6:7]
	s_cbranch_execnz .LBB1_16400
; %bb.52237:
	s_getpc_b64 s[14:15]
.Lpost_getpc11782:
	s_add_u32 s14, s14, (.LBB1_2062-.Lpost_getpc11782)&4294967295
	s_addc_u32 s15, s15, (.LBB1_2062-.Lpost_getpc11782)>>32
	s_setpc_b64 s[14:15]
.LBB1_16400:
	v_mov_b32_e32 v14, 0
	v_cmp_ne_u16_sdwa s[8:9], v13, v14 src0_sel:BYTE_0 src1_sel:DWORD
	s_andn2_b64 s[4:5], s[4:5], exec
	s_and_b64 s[8:9], s[8:9], exec
	s_or_b64 s[4:5], s[4:5], s[8:9]
	s_or_b64 exec, exec, s[6:7]
	s_and_saveexec_b64 s[6:7], s[4:5]
	s_cbranch_execz .LBB1_29703
; %bb.52239:
	s_getpc_b64 s[14:15]
.Lpost_getpc11783:
	s_add_u32 s14, s14, (.LBB1_2063-.Lpost_getpc11783)&4294967295
	s_addc_u32 s15, s15, (.LBB1_2063-.Lpost_getpc11783)>>32
	s_setpc_b64 s[14:15]
.LBB1_29703:
	s_getpc_b64 s[14:15]
.Lpost_getpc515:
	s_add_u32 s14, s14, (.LBB1_2064-.Lpost_getpc515)&4294967295
	s_addc_u32 s15, s15, (.LBB1_2064-.Lpost_getpc515)>>32
	s_setpc_b64 s[14:15]
.LBB1_16401:
	s_movk_i32 s4, 0x80
	v_cmp_eq_u16_e32 vcc, s4, v13
	s_mov_b64 s[4:5], -1
                                        ; implicit-def: $sgpr10
	s_and_saveexec_b64 s[8:9], vcc
; %bb.16402:
	s_mov_b32 s10, 0x7f800001
	s_xor_b64 s[4:5], exec, -1
; %bb.16403:
	s_or_b64 exec, exec, s[8:9]
	s_and_b64 s[4:5], s[4:5], exec
                                        ; implicit-def: $vgpr13
	s_or_saveexec_b64 s[6:7], s[6:7]
	v_mov_b32_e32 v12, s10
	s_xor_b64 exec, exec, s[6:7]
	s_cbranch_execnz .LBB1_16404
; %bb.52241:
	s_getpc_b64 s[14:15]
.Lpost_getpc11784:
	s_add_u32 s14, s14, (.LBB1_2066-.Lpost_getpc11784)&4294967295
	s_addc_u32 s15, s15, (.LBB1_2066-.Lpost_getpc11784)>>32
	s_setpc_b64 s[14:15]
.LBB1_16404:
	v_cmp_ne_u16_e32 vcc, 0, v13
	s_andn2_b64 s[4:5], s[4:5], exec
	s_and_b64 s[8:9], vcc, exec
	v_mov_b32_e32 v12, 0
	s_or_b64 s[4:5], s[4:5], s[8:9]
	s_or_b64 exec, exec, s[6:7]
	s_and_saveexec_b64 s[6:7], s[4:5]
	s_cbranch_execz .LBB1_29705
; %bb.52243:
	s_getpc_b64 s[14:15]
.Lpost_getpc11785:
	s_add_u32 s14, s14, (.LBB1_2067-.Lpost_getpc11785)&4294967295
	s_addc_u32 s15, s15, (.LBB1_2067-.Lpost_getpc11785)>>32
	s_setpc_b64 s[14:15]
.LBB1_29705:
	s_getpc_b64 s[14:15]
.Lpost_getpc516:
	s_add_u32 s14, s14, (.LBB1_2068-.Lpost_getpc516)&4294967295
	s_addc_u32 s15, s15, (.LBB1_2068-.Lpost_getpc516)>>32
	s_setpc_b64 s[14:15]
.LBB1_16405:
	s_movk_i32 s4, 0x80
	v_cmp_eq_u16_e32 vcc, s4, v13
	s_mov_b64 s[4:5], -1
                                        ; implicit-def: $sgpr10
	s_and_saveexec_b64 s[8:9], vcc
; %bb.16406:
	s_mov_b32 s10, 0x7f800001
	s_xor_b64 s[4:5], exec, -1
; %bb.16407:
	s_or_b64 exec, exec, s[8:9]
	s_and_b64 s[4:5], s[4:5], exec
                                        ; implicit-def: $vgpr13
	s_or_saveexec_b64 s[6:7], s[6:7]
	v_mov_b32_e32 v14, s10
	s_xor_b64 exec, exec, s[6:7]
	s_cbranch_execnz .LBB1_16408
; %bb.52245:
	s_getpc_b64 s[14:15]
.Lpost_getpc11786:
	s_add_u32 s14, s14, (.LBB1_2070-.Lpost_getpc11786)&4294967295
	s_addc_u32 s15, s15, (.LBB1_2070-.Lpost_getpc11786)>>32
	s_setpc_b64 s[14:15]
.LBB1_16408:
	v_cmp_ne_u16_e32 vcc, 0, v13
	s_andn2_b64 s[4:5], s[4:5], exec
	s_and_b64 s[8:9], vcc, exec
	v_mov_b32_e32 v14, 0
	s_or_b64 s[4:5], s[4:5], s[8:9]
	s_or_b64 exec, exec, s[6:7]
	s_and_saveexec_b64 s[6:7], s[4:5]
	s_cbranch_execz .LBB1_29707
; %bb.52247:
	s_getpc_b64 s[14:15]
.Lpost_getpc11787:
	s_add_u32 s14, s14, (.LBB1_2071-.Lpost_getpc11787)&4294967295
	s_addc_u32 s15, s15, (.LBB1_2071-.Lpost_getpc11787)>>32
	s_setpc_b64 s[14:15]
.LBB1_29707:
	s_getpc_b64 s[14:15]
.Lpost_getpc517:
	s_add_u32 s14, s14, (.LBB1_2072-.Lpost_getpc517)&4294967295
	s_addc_u32 s15, s15, (.LBB1_2072-.Lpost_getpc517)>>32
	s_setpc_b64 s[14:15]
.LBB1_16409:
	s_movk_i32 s4, 0x80
	v_cmp_eq_u16_sdwa s[12:13], v6, s4 src0_sel:BYTE_3 src1_sel:DWORD
	s_mov_b64 s[4:5], -1
                                        ; implicit-def: $sgpr10
	s_and_saveexec_b64 s[8:9], s[12:13]
; %bb.16410:
	s_mov_b32 s10, 0x7f800001
	s_xor_b64 s[4:5], exec, -1
; %bb.16411:
	s_or_b64 exec, exec, s[8:9]
	s_and_b64 s[4:5], s[4:5], exec
	s_or_saveexec_b64 s[6:7], s[6:7]
	v_mov_b32_e32 v12, s10
	s_xor_b64 exec, exec, s[6:7]
	s_cbranch_execnz .LBB1_16412
; %bb.52249:
	s_getpc_b64 s[14:15]
.Lpost_getpc11788:
	s_add_u32 s14, s14, (.LBB1_2074-.Lpost_getpc11788)&4294967295
	s_addc_u32 s15, s15, (.LBB1_2074-.Lpost_getpc11788)>>32
	s_setpc_b64 s[14:15]
.LBB1_16412:
	v_mov_b32_e32 v12, 0
	v_cmp_ne_u16_sdwa s[8:9], v6, v12 src0_sel:BYTE_3 src1_sel:DWORD
	s_andn2_b64 s[4:5], s[4:5], exec
	s_and_b64 s[8:9], s[8:9], exec
	s_or_b64 s[4:5], s[4:5], s[8:9]
	s_or_b64 exec, exec, s[6:7]
	s_and_saveexec_b64 s[6:7], s[4:5]
	s_cbranch_execz .LBB1_29709
; %bb.52251:
	s_getpc_b64 s[14:15]
.Lpost_getpc11789:
	s_add_u32 s14, s14, (.LBB1_2075-.Lpost_getpc11789)&4294967295
	s_addc_u32 s15, s15, (.LBB1_2075-.Lpost_getpc11789)>>32
	s_setpc_b64 s[14:15]
.LBB1_29709:
	s_getpc_b64 s[14:15]
.Lpost_getpc518:
	s_add_u32 s14, s14, (.LBB1_2076-.Lpost_getpc518)&4294967295
	s_addc_u32 s15, s15, (.LBB1_2076-.Lpost_getpc518)>>32
	s_setpc_b64 s[14:15]
.LBB1_16413:
	s_movk_i32 s4, 0x80
	v_cmp_eq_u16_sdwa s[12:13], v2, s4 src0_sel:BYTE_3 src1_sel:DWORD
	s_mov_b64 s[4:5], -1
                                        ; implicit-def: $sgpr10
	s_and_saveexec_b64 s[8:9], s[12:13]
; %bb.16414:
	s_mov_b32 s10, 0x7f800001
	s_xor_b64 s[4:5], exec, -1
; %bb.16415:
	s_or_b64 exec, exec, s[8:9]
	s_and_b64 s[4:5], s[4:5], exec
	s_or_saveexec_b64 s[6:7], s[6:7]
	v_mov_b32_e32 v6, s10
	s_xor_b64 exec, exec, s[6:7]
	s_cbranch_execnz .LBB1_16416
; %bb.52253:
	s_getpc_b64 s[14:15]
.Lpost_getpc11790:
	s_add_u32 s14, s14, (.LBB1_2078-.Lpost_getpc11790)&4294967295
	s_addc_u32 s15, s15, (.LBB1_2078-.Lpost_getpc11790)>>32
	s_setpc_b64 s[14:15]
.LBB1_16416:
	v_mov_b32_e32 v6, 0
	v_cmp_ne_u16_sdwa s[8:9], v2, v6 src0_sel:BYTE_3 src1_sel:DWORD
	s_andn2_b64 s[4:5], s[4:5], exec
	s_and_b64 s[8:9], s[8:9], exec
	s_or_b64 s[4:5], s[4:5], s[8:9]
	s_or_b64 exec, exec, s[6:7]
	s_and_saveexec_b64 s[6:7], s[4:5]
	s_cbranch_execz .LBB1_29711
; %bb.52255:
	s_getpc_b64 s[14:15]
.Lpost_getpc11791:
	s_add_u32 s14, s14, (.LBB1_2079-.Lpost_getpc11791)&4294967295
	s_addc_u32 s15, s15, (.LBB1_2079-.Lpost_getpc11791)>>32
	s_setpc_b64 s[14:15]
.LBB1_29711:
	s_getpc_b64 s[14:15]
.Lpost_getpc519:
	s_add_u32 s14, s14, (.LBB1_2080-.Lpost_getpc519)&4294967295
	s_addc_u32 s15, s15, (.LBB1_2080-.Lpost_getpc519)>>32
	s_setpc_b64 s[14:15]
.LBB1_16417:
	s_movk_i32 s4, 0x80
	v_cmp_eq_u16_sdwa s[12:13], v7, s4 src0_sel:BYTE_0 src1_sel:DWORD
	s_mov_b64 s[4:5], -1
                                        ; implicit-def: $sgpr10
	s_and_saveexec_b64 s[8:9], s[12:13]
; %bb.16418:
	s_mov_b32 s10, 0x7f800001
	s_xor_b64 s[4:5], exec, -1
; %bb.16419:
	s_or_b64 exec, exec, s[8:9]
	s_and_b64 s[4:5], s[4:5], exec
	s_or_saveexec_b64 s[6:7], s[6:7]
	v_mov_b32_e32 v2, s10
	s_xor_b64 exec, exec, s[6:7]
	s_cbranch_execnz .LBB1_16420
; %bb.52257:
	s_getpc_b64 s[14:15]
.Lpost_getpc11792:
	s_add_u32 s14, s14, (.LBB1_2082-.Lpost_getpc11792)&4294967295
	s_addc_u32 s15, s15, (.LBB1_2082-.Lpost_getpc11792)>>32
	s_setpc_b64 s[14:15]
.LBB1_16420:
	v_mov_b32_e32 v2, 0
	v_cmp_ne_u16_sdwa s[8:9], v7, v2 src0_sel:BYTE_0 src1_sel:DWORD
	s_andn2_b64 s[4:5], s[4:5], exec
	s_and_b64 s[8:9], s[8:9], exec
	s_or_b64 s[4:5], s[4:5], s[8:9]
	s_or_b64 exec, exec, s[6:7]
	s_and_saveexec_b64 s[6:7], s[4:5]
	s_cbranch_execz .LBB1_29713
; %bb.52259:
	s_getpc_b64 s[14:15]
.Lpost_getpc11793:
	s_add_u32 s14, s14, (.LBB1_2083-.Lpost_getpc11793)&4294967295
	s_addc_u32 s15, s15, (.LBB1_2083-.Lpost_getpc11793)>>32
	s_setpc_b64 s[14:15]
.LBB1_29713:
	s_getpc_b64 s[14:15]
.Lpost_getpc520:
	s_add_u32 s14, s14, (.LBB1_2084-.Lpost_getpc520)&4294967295
	s_addc_u32 s15, s15, (.LBB1_2084-.Lpost_getpc520)>>32
	s_setpc_b64 s[14:15]
.LBB1_16421:
	s_movk_i32 s4, 0x80
	v_cmp_eq_u16_sdwa s[12:13], v3, s4 src0_sel:BYTE_0 src1_sel:DWORD
	s_mov_b64 s[4:5], -1
                                        ; implicit-def: $sgpr10
	s_and_saveexec_b64 s[8:9], s[12:13]
; %bb.16422:
	s_mov_b32 s10, 0x7f800001
	s_xor_b64 s[4:5], exec, -1
; %bb.16423:
	s_or_b64 exec, exec, s[8:9]
	s_and_b64 s[4:5], s[4:5], exec
	s_or_saveexec_b64 s[6:7], s[6:7]
	v_mov_b32_e32 v6, s10
	s_xor_b64 exec, exec, s[6:7]
	s_cbranch_execnz .LBB1_16424
; %bb.52261:
	s_getpc_b64 s[14:15]
.Lpost_getpc11794:
	s_add_u32 s14, s14, (.LBB1_2086-.Lpost_getpc11794)&4294967295
	s_addc_u32 s15, s15, (.LBB1_2086-.Lpost_getpc11794)>>32
	s_setpc_b64 s[14:15]
.LBB1_16424:
	v_mov_b32_e32 v6, 0
	v_cmp_ne_u16_sdwa s[8:9], v3, v6 src0_sel:BYTE_0 src1_sel:DWORD
	s_andn2_b64 s[4:5], s[4:5], exec
	s_and_b64 s[8:9], s[8:9], exec
	s_or_b64 s[4:5], s[4:5], s[8:9]
	s_or_b64 exec, exec, s[6:7]
	s_and_saveexec_b64 s[6:7], s[4:5]
	s_cbranch_execz .LBB1_29715
; %bb.52263:
	s_getpc_b64 s[14:15]
.Lpost_getpc11795:
	s_add_u32 s14, s14, (.LBB1_2087-.Lpost_getpc11795)&4294967295
	s_addc_u32 s15, s15, (.LBB1_2087-.Lpost_getpc11795)>>32
	s_setpc_b64 s[14:15]
.LBB1_29715:
	s_getpc_b64 s[14:15]
.Lpost_getpc521:
	s_add_u32 s14, s14, (.LBB1_2088-.Lpost_getpc521)&4294967295
	s_addc_u32 s15, s15, (.LBB1_2088-.Lpost_getpc521)>>32
	s_setpc_b64 s[14:15]
.LBB1_16425:
	s_movk_i32 s4, 0x80
	v_cmp_eq_u16_sdwa s[12:13], v6, s4 src0_sel:BYTE_0 src1_sel:DWORD
	s_mov_b64 s[4:5], -1
                                        ; implicit-def: $sgpr10
	s_and_saveexec_b64 s[8:9], s[12:13]
; %bb.16426:
	s_mov_b32 s10, 0x7f800001
	s_xor_b64 s[4:5], exec, -1
; %bb.16427:
	s_or_b64 exec, exec, s[8:9]
	s_and_b64 s[4:5], s[4:5], exec
	s_or_saveexec_b64 s[6:7], s[6:7]
	v_mov_b32_e32 v2, s10
	s_xor_b64 exec, exec, s[6:7]
	s_cbranch_execnz .LBB1_16428
; %bb.52265:
	s_getpc_b64 s[14:15]
.Lpost_getpc11796:
	s_add_u32 s14, s14, (.LBB1_2090-.Lpost_getpc11796)&4294967295
	s_addc_u32 s15, s15, (.LBB1_2090-.Lpost_getpc11796)>>32
	s_setpc_b64 s[14:15]
.LBB1_16428:
	v_mov_b32_e32 v2, 0
	v_cmp_ne_u16_sdwa s[8:9], v6, v2 src0_sel:BYTE_0 src1_sel:DWORD
	s_andn2_b64 s[4:5], s[4:5], exec
	s_and_b64 s[8:9], s[8:9], exec
	s_or_b64 s[4:5], s[4:5], s[8:9]
	s_or_b64 exec, exec, s[6:7]
	s_and_saveexec_b64 s[6:7], s[4:5]
	s_cbranch_execz .LBB1_29717
; %bb.52267:
	s_getpc_b64 s[14:15]
.Lpost_getpc11797:
	s_add_u32 s14, s14, (.LBB1_2091-.Lpost_getpc11797)&4294967295
	s_addc_u32 s15, s15, (.LBB1_2091-.Lpost_getpc11797)>>32
	s_setpc_b64 s[14:15]
.LBB1_29717:
	s_getpc_b64 s[14:15]
.Lpost_getpc522:
	s_add_u32 s14, s14, (.LBB1_2092-.Lpost_getpc522)&4294967295
	s_addc_u32 s15, s15, (.LBB1_2092-.Lpost_getpc522)>>32
	s_setpc_b64 s[14:15]
.LBB1_16429:
	s_movk_i32 s4, 0x80
	v_cmp_eq_u16_sdwa s[12:13], v6, s4 src0_sel:BYTE_0 src1_sel:DWORD
	s_mov_b64 s[4:5], -1
                                        ; implicit-def: $sgpr10
	s_and_saveexec_b64 s[8:9], s[12:13]
; %bb.16430:
	s_mov_b32 s10, 0x7f800001
	s_xor_b64 s[4:5], exec, -1
; %bb.16431:
	s_or_b64 exec, exec, s[8:9]
	s_and_b64 s[4:5], s[4:5], exec
	s_or_saveexec_b64 s[6:7], s[6:7]
	v_mov_b32_e32 v12, s10
	s_xor_b64 exec, exec, s[6:7]
	s_cbranch_execnz .LBB1_16432
; %bb.52269:
	s_getpc_b64 s[14:15]
.Lpost_getpc11798:
	s_add_u32 s14, s14, (.LBB1_2094-.Lpost_getpc11798)&4294967295
	s_addc_u32 s15, s15, (.LBB1_2094-.Lpost_getpc11798)>>32
	s_setpc_b64 s[14:15]
.LBB1_16432:
	v_mov_b32_e32 v12, 0
	v_cmp_ne_u16_sdwa s[8:9], v6, v12 src0_sel:BYTE_0 src1_sel:DWORD
	s_andn2_b64 s[4:5], s[4:5], exec
	s_and_b64 s[8:9], s[8:9], exec
	s_or_b64 s[4:5], s[4:5], s[8:9]
	s_or_b64 exec, exec, s[6:7]
	s_and_saveexec_b64 s[6:7], s[4:5]
	s_cbranch_execz .LBB1_29719
; %bb.52271:
	s_getpc_b64 s[14:15]
.Lpost_getpc11799:
	s_add_u32 s14, s14, (.LBB1_2095-.Lpost_getpc11799)&4294967295
	s_addc_u32 s15, s15, (.LBB1_2095-.Lpost_getpc11799)>>32
	s_setpc_b64 s[14:15]
.LBB1_29719:
	s_getpc_b64 s[14:15]
.Lpost_getpc523:
	s_add_u32 s14, s14, (.LBB1_2096-.Lpost_getpc523)&4294967295
	s_addc_u32 s15, s15, (.LBB1_2096-.Lpost_getpc523)>>32
	s_setpc_b64 s[14:15]
.LBB1_16433:
	s_movk_i32 s4, 0x80
	v_cmp_eq_u16_e32 vcc, s4, v6
	s_mov_b64 s[4:5], -1
                                        ; implicit-def: $sgpr10
	s_and_saveexec_b64 s[8:9], vcc
; %bb.16434:
	s_mov_b32 s10, 0x7f800001
	s_xor_b64 s[4:5], exec, -1
; %bb.16435:
	s_or_b64 exec, exec, s[8:9]
	s_and_b64 s[4:5], s[4:5], exec
                                        ; implicit-def: $vgpr6
	s_or_saveexec_b64 s[6:7], s[6:7]
	v_mov_b32_e32 v2, s10
	s_xor_b64 exec, exec, s[6:7]
	s_cbranch_execnz .LBB1_16436
; %bb.52273:
	s_getpc_b64 s[14:15]
.Lpost_getpc11800:
	s_add_u32 s14, s14, (.LBB1_2098-.Lpost_getpc11800)&4294967295
	s_addc_u32 s15, s15, (.LBB1_2098-.Lpost_getpc11800)>>32
	s_setpc_b64 s[14:15]
.LBB1_16436:
	v_cmp_ne_u16_e32 vcc, 0, v6
	s_andn2_b64 s[4:5], s[4:5], exec
	s_and_b64 s[8:9], vcc, exec
	v_mov_b32_e32 v2, 0
	s_or_b64 s[4:5], s[4:5], s[8:9]
	s_or_b64 exec, exec, s[6:7]
	s_and_saveexec_b64 s[6:7], s[4:5]
	s_cbranch_execz .LBB1_29721
; %bb.52275:
	s_getpc_b64 s[14:15]
.Lpost_getpc11801:
	s_add_u32 s14, s14, (.LBB1_2099-.Lpost_getpc11801)&4294967295
	s_addc_u32 s15, s15, (.LBB1_2099-.Lpost_getpc11801)>>32
	s_setpc_b64 s[14:15]
.LBB1_29721:
	s_getpc_b64 s[14:15]
.Lpost_getpc524:
	s_add_u32 s14, s14, (.LBB1_2100-.Lpost_getpc524)&4294967295
	s_addc_u32 s15, s15, (.LBB1_2100-.Lpost_getpc524)>>32
	s_setpc_b64 s[14:15]
.LBB1_16437:
	s_movk_i32 s4, 0x80
	v_cmp_eq_u16_e32 vcc, s4, v6
	s_mov_b64 s[4:5], -1
                                        ; implicit-def: $sgpr10
	s_and_saveexec_b64 s[8:9], vcc
; %bb.16438:
	s_mov_b32 s10, 0x7f800001
	s_xor_b64 s[4:5], exec, -1
; %bb.16439:
	s_or_b64 exec, exec, s[8:9]
	s_and_b64 s[4:5], s[4:5], exec
                                        ; implicit-def: $vgpr6
	s_or_saveexec_b64 s[6:7], s[6:7]
	v_mov_b32_e32 v12, s10
	s_xor_b64 exec, exec, s[6:7]
	s_cbranch_execnz .LBB1_16440
; %bb.52277:
	s_getpc_b64 s[14:15]
.Lpost_getpc11802:
	s_add_u32 s14, s14, (.LBB1_2102-.Lpost_getpc11802)&4294967295
	s_addc_u32 s15, s15, (.LBB1_2102-.Lpost_getpc11802)>>32
	s_setpc_b64 s[14:15]
.LBB1_16440:
	v_cmp_ne_u16_e32 vcc, 0, v6
	s_andn2_b64 s[4:5], s[4:5], exec
	s_and_b64 s[8:9], vcc, exec
	v_mov_b32_e32 v12, 0
	s_or_b64 s[4:5], s[4:5], s[8:9]
	s_or_b64 exec, exec, s[6:7]
	s_and_saveexec_b64 s[6:7], s[4:5]
	s_cbranch_execz .LBB1_29723
; %bb.52279:
	s_getpc_b64 s[14:15]
.Lpost_getpc11803:
	s_add_u32 s14, s14, (.LBB1_2103-.Lpost_getpc11803)&4294967295
	s_addc_u32 s15, s15, (.LBB1_2103-.Lpost_getpc11803)>>32
	s_setpc_b64 s[14:15]
.LBB1_29723:
	s_getpc_b64 s[14:15]
.Lpost_getpc525:
	s_add_u32 s14, s14, (.LBB1_2104-.Lpost_getpc525)&4294967295
	s_addc_u32 s15, s15, (.LBB1_2104-.Lpost_getpc525)>>32
	s_setpc_b64 s[14:15]
.LBB1_16441:
	s_movk_i32 s4, 0x80
	v_cmp_eq_u16_sdwa s[12:13], v7, s4 src0_sel:BYTE_3 src1_sel:DWORD
	s_mov_b64 s[4:5], -1
                                        ; implicit-def: $sgpr10
	s_and_saveexec_b64 s[8:9], s[12:13]
; %bb.16442:
	s_mov_b32 s10, 0x7f800001
	s_xor_b64 s[4:5], exec, -1
; %bb.16443:
	s_or_b64 exec, exec, s[8:9]
	s_and_b64 s[4:5], s[4:5], exec
	s_or_saveexec_b64 s[6:7], s[6:7]
	v_mov_b32_e32 v2, s10
	s_xor_b64 exec, exec, s[6:7]
	s_cbranch_execnz .LBB1_16444
; %bb.52281:
	s_getpc_b64 s[14:15]
.Lpost_getpc11804:
	s_add_u32 s14, s14, (.LBB1_2106-.Lpost_getpc11804)&4294967295
	s_addc_u32 s15, s15, (.LBB1_2106-.Lpost_getpc11804)>>32
	s_setpc_b64 s[14:15]
.LBB1_16444:
	v_mov_b32_e32 v2, 0
	v_cmp_ne_u16_sdwa s[8:9], v7, v2 src0_sel:BYTE_3 src1_sel:DWORD
	s_andn2_b64 s[4:5], s[4:5], exec
	s_and_b64 s[8:9], s[8:9], exec
	s_or_b64 s[4:5], s[4:5], s[8:9]
	s_or_b64 exec, exec, s[6:7]
	s_and_saveexec_b64 s[6:7], s[4:5]
	s_cbranch_execz .LBB1_29725
; %bb.52283:
	s_getpc_b64 s[14:15]
.Lpost_getpc11805:
	s_add_u32 s14, s14, (.LBB1_2107-.Lpost_getpc11805)&4294967295
	s_addc_u32 s15, s15, (.LBB1_2107-.Lpost_getpc11805)>>32
	s_setpc_b64 s[14:15]
.LBB1_29725:
	s_getpc_b64 s[14:15]
.Lpost_getpc526:
	s_add_u32 s14, s14, (.LBB1_2108-.Lpost_getpc526)&4294967295
	s_addc_u32 s15, s15, (.LBB1_2108-.Lpost_getpc526)>>32
	s_setpc_b64 s[14:15]
.LBB1_16445:
	s_movk_i32 s4, 0x80
	v_cmp_eq_u16_sdwa s[12:13], v3, s4 src0_sel:BYTE_3 src1_sel:DWORD
	s_mov_b64 s[4:5], -1
                                        ; implicit-def: $sgpr10
	s_and_saveexec_b64 s[8:9], s[12:13]
; %bb.16446:
	s_mov_b32 s10, 0x7f800001
	s_xor_b64 s[4:5], exec, -1
; %bb.16447:
	s_or_b64 exec, exec, s[8:9]
	s_and_b64 s[4:5], s[4:5], exec
	s_or_saveexec_b64 s[6:7], s[6:7]
	v_mov_b32_e32 v6, s10
	s_xor_b64 exec, exec, s[6:7]
	s_cbranch_execnz .LBB1_16448
; %bb.52285:
	s_getpc_b64 s[14:15]
.Lpost_getpc11806:
	s_add_u32 s14, s14, (.LBB1_2110-.Lpost_getpc11806)&4294967295
	s_addc_u32 s15, s15, (.LBB1_2110-.Lpost_getpc11806)>>32
	s_setpc_b64 s[14:15]
.LBB1_16448:
	v_mov_b32_e32 v6, 0
	v_cmp_ne_u16_sdwa s[8:9], v3, v6 src0_sel:BYTE_3 src1_sel:DWORD
	s_andn2_b64 s[4:5], s[4:5], exec
	s_and_b64 s[8:9], s[8:9], exec
	s_or_b64 s[4:5], s[4:5], s[8:9]
	s_or_b64 exec, exec, s[6:7]
	s_and_saveexec_b64 s[6:7], s[4:5]
	s_cbranch_execz .LBB1_29727
; %bb.52287:
	s_getpc_b64 s[14:15]
.Lpost_getpc11807:
	s_add_u32 s14, s14, (.LBB1_2111-.Lpost_getpc11807)&4294967295
	s_addc_u32 s15, s15, (.LBB1_2111-.Lpost_getpc11807)>>32
	s_setpc_b64 s[14:15]
.LBB1_29727:
	s_getpc_b64 s[14:15]
.Lpost_getpc527:
	s_add_u32 s14, s14, (.LBB1_2112-.Lpost_getpc527)&4294967295
	s_addc_u32 s15, s15, (.LBB1_2112-.Lpost_getpc527)>>32
	s_setpc_b64 s[14:15]
.LBB1_16449:
	s_movk_i32 s4, 0x80
	v_cmp_eq_u16_sdwa s[12:13], v8, s4 src0_sel:BYTE_0 src1_sel:DWORD
	s_mov_b64 s[4:5], -1
                                        ; implicit-def: $sgpr10
	s_and_saveexec_b64 s[8:9], s[12:13]
; %bb.16450:
	s_mov_b32 s10, 0x7f800001
	s_xor_b64 s[4:5], exec, -1
; %bb.16451:
	s_or_b64 exec, exec, s[8:9]
	s_and_b64 s[4:5], s[4:5], exec
	s_or_saveexec_b64 s[6:7], s[6:7]
	v_mov_b32_e32 v2, s10
	s_xor_b64 exec, exec, s[6:7]
	s_cbranch_execnz .LBB1_16452
; %bb.52289:
	s_getpc_b64 s[14:15]
.Lpost_getpc11808:
	s_add_u32 s14, s14, (.LBB1_2114-.Lpost_getpc11808)&4294967295
	s_addc_u32 s15, s15, (.LBB1_2114-.Lpost_getpc11808)>>32
	s_setpc_b64 s[14:15]
.LBB1_16452:
	v_mov_b32_e32 v2, 0
	v_cmp_ne_u16_sdwa s[8:9], v8, v2 src0_sel:BYTE_0 src1_sel:DWORD
	s_andn2_b64 s[4:5], s[4:5], exec
	s_and_b64 s[8:9], s[8:9], exec
	s_or_b64 s[4:5], s[4:5], s[8:9]
	s_or_b64 exec, exec, s[6:7]
	s_and_saveexec_b64 s[6:7], s[4:5]
	s_cbranch_execz .LBB1_29729
; %bb.52291:
	s_getpc_b64 s[14:15]
.Lpost_getpc11809:
	s_add_u32 s14, s14, (.LBB1_2115-.Lpost_getpc11809)&4294967295
	s_addc_u32 s15, s15, (.LBB1_2115-.Lpost_getpc11809)>>32
	s_setpc_b64 s[14:15]
.LBB1_29729:
	s_getpc_b64 s[14:15]
.Lpost_getpc528:
	s_add_u32 s14, s14, (.LBB1_2116-.Lpost_getpc528)&4294967295
	s_addc_u32 s15, s15, (.LBB1_2116-.Lpost_getpc528)>>32
	s_setpc_b64 s[14:15]
.LBB1_16453:
	s_movk_i32 s4, 0x80
	v_cmp_eq_u16_sdwa s[12:13], v4, s4 src0_sel:BYTE_0 src1_sel:DWORD
	s_mov_b64 s[4:5], -1
                                        ; implicit-def: $sgpr10
	s_and_saveexec_b64 s[8:9], s[12:13]
; %bb.16454:
	s_mov_b32 s10, 0x7f800001
	s_xor_b64 s[4:5], exec, -1
; %bb.16455:
	s_or_b64 exec, exec, s[8:9]
	s_and_b64 s[4:5], s[4:5], exec
	s_or_saveexec_b64 s[6:7], s[6:7]
	v_mov_b32_e32 v3, s10
	s_xor_b64 exec, exec, s[6:7]
	s_cbranch_execnz .LBB1_16456
; %bb.52293:
	s_getpc_b64 s[14:15]
.Lpost_getpc11810:
	s_add_u32 s14, s14, (.LBB1_2118-.Lpost_getpc11810)&4294967295
	s_addc_u32 s15, s15, (.LBB1_2118-.Lpost_getpc11810)>>32
	s_setpc_b64 s[14:15]
.LBB1_16456:
	v_mov_b32_e32 v3, 0
	v_cmp_ne_u16_sdwa s[8:9], v4, v3 src0_sel:BYTE_0 src1_sel:DWORD
	s_andn2_b64 s[4:5], s[4:5], exec
	s_and_b64 s[8:9], s[8:9], exec
	s_or_b64 s[4:5], s[4:5], s[8:9]
	s_or_b64 exec, exec, s[6:7]
	s_and_saveexec_b64 s[6:7], s[4:5]
	s_cbranch_execz .LBB1_29731
; %bb.52295:
	s_getpc_b64 s[14:15]
.Lpost_getpc11811:
	s_add_u32 s14, s14, (.LBB1_2119-.Lpost_getpc11811)&4294967295
	s_addc_u32 s15, s15, (.LBB1_2119-.Lpost_getpc11811)>>32
	s_setpc_b64 s[14:15]
.LBB1_29731:
	s_getpc_b64 s[14:15]
.Lpost_getpc529:
	s_add_u32 s14, s14, (.LBB1_2120-.Lpost_getpc529)&4294967295
	s_addc_u32 s15, s15, (.LBB1_2120-.Lpost_getpc529)>>32
	s_setpc_b64 s[14:15]
.LBB1_16457:
	s_movk_i32 s4, 0x80
	v_cmp_eq_u16_sdwa s[12:13], v3, s4 src0_sel:BYTE_0 src1_sel:DWORD
	s_mov_b64 s[4:5], -1
                                        ; implicit-def: $sgpr10
	s_and_saveexec_b64 s[8:9], s[12:13]
; %bb.16458:
	s_mov_b32 s10, 0x7f800001
	s_xor_b64 s[4:5], exec, -1
; %bb.16459:
	s_or_b64 exec, exec, s[8:9]
	s_and_b64 s[4:5], s[4:5], exec
	s_or_saveexec_b64 s[6:7], s[6:7]
	v_mov_b32_e32 v2, s10
	s_xor_b64 exec, exec, s[6:7]
	s_cbranch_execnz .LBB1_16460
; %bb.52297:
	s_getpc_b64 s[14:15]
.Lpost_getpc11812:
	s_add_u32 s14, s14, (.LBB1_2122-.Lpost_getpc11812)&4294967295
	s_addc_u32 s15, s15, (.LBB1_2122-.Lpost_getpc11812)>>32
	s_setpc_b64 s[14:15]
.LBB1_16460:
	v_mov_b32_e32 v2, 0
	v_cmp_ne_u16_sdwa s[8:9], v3, v2 src0_sel:BYTE_0 src1_sel:DWORD
	s_andn2_b64 s[4:5], s[4:5], exec
	s_and_b64 s[8:9], s[8:9], exec
	s_or_b64 s[4:5], s[4:5], s[8:9]
	s_or_b64 exec, exec, s[6:7]
	s_and_saveexec_b64 s[6:7], s[4:5]
	s_cbranch_execz .LBB1_29733
; %bb.52299:
	s_getpc_b64 s[14:15]
.Lpost_getpc11813:
	s_add_u32 s14, s14, (.LBB1_2123-.Lpost_getpc11813)&4294967295
	s_addc_u32 s15, s15, (.LBB1_2123-.Lpost_getpc11813)>>32
	s_setpc_b64 s[14:15]
.LBB1_29733:
	s_getpc_b64 s[14:15]
.Lpost_getpc530:
	s_add_u32 s14, s14, (.LBB1_2124-.Lpost_getpc530)&4294967295
	s_addc_u32 s15, s15, (.LBB1_2124-.Lpost_getpc530)>>32
	s_setpc_b64 s[14:15]
.LBB1_16461:
	s_movk_i32 s4, 0x80
	v_cmp_eq_u16_sdwa s[12:13], v3, s4 src0_sel:BYTE_0 src1_sel:DWORD
	s_mov_b64 s[4:5], -1
                                        ; implicit-def: $sgpr10
	s_and_saveexec_b64 s[8:9], s[12:13]
; %bb.16462:
	s_mov_b32 s10, 0x7f800001
	s_xor_b64 s[4:5], exec, -1
; %bb.16463:
	s_or_b64 exec, exec, s[8:9]
	s_and_b64 s[4:5], s[4:5], exec
	s_or_saveexec_b64 s[6:7], s[6:7]
	v_mov_b32_e32 v6, s10
	s_xor_b64 exec, exec, s[6:7]
	s_cbranch_execnz .LBB1_16464
; %bb.52301:
	s_getpc_b64 s[14:15]
.Lpost_getpc11814:
	s_add_u32 s14, s14, (.LBB1_2126-.Lpost_getpc11814)&4294967295
	s_addc_u32 s15, s15, (.LBB1_2126-.Lpost_getpc11814)>>32
	s_setpc_b64 s[14:15]
.LBB1_16464:
	v_mov_b32_e32 v6, 0
	v_cmp_ne_u16_sdwa s[8:9], v3, v6 src0_sel:BYTE_0 src1_sel:DWORD
	s_andn2_b64 s[4:5], s[4:5], exec
	s_and_b64 s[8:9], s[8:9], exec
	s_or_b64 s[4:5], s[4:5], s[8:9]
	s_or_b64 exec, exec, s[6:7]
	s_and_saveexec_b64 s[6:7], s[4:5]
	s_cbranch_execz .LBB1_29735
; %bb.52303:
	s_getpc_b64 s[14:15]
.Lpost_getpc11815:
	s_add_u32 s14, s14, (.LBB1_2127-.Lpost_getpc11815)&4294967295
	s_addc_u32 s15, s15, (.LBB1_2127-.Lpost_getpc11815)>>32
	s_setpc_b64 s[14:15]
.LBB1_29735:
	s_getpc_b64 s[14:15]
.Lpost_getpc531:
	s_add_u32 s14, s14, (.LBB1_2128-.Lpost_getpc531)&4294967295
	s_addc_u32 s15, s15, (.LBB1_2128-.Lpost_getpc531)>>32
	s_setpc_b64 s[14:15]
.LBB1_16465:
	s_movk_i32 s4, 0x80
	v_cmp_eq_u16_e32 vcc, s4, v3
	s_mov_b64 s[4:5], -1
                                        ; implicit-def: $sgpr10
	s_and_saveexec_b64 s[8:9], vcc
; %bb.16466:
	s_mov_b32 s10, 0x7f800001
	s_xor_b64 s[4:5], exec, -1
; %bb.16467:
	s_or_b64 exec, exec, s[8:9]
	s_and_b64 s[4:5], s[4:5], exec
                                        ; implicit-def: $vgpr3
	s_or_saveexec_b64 s[6:7], s[6:7]
	v_mov_b32_e32 v2, s10
	s_xor_b64 exec, exec, s[6:7]
	s_cbranch_execnz .LBB1_16468
; %bb.52305:
	s_getpc_b64 s[14:15]
.Lpost_getpc11816:
	s_add_u32 s14, s14, (.LBB1_2130-.Lpost_getpc11816)&4294967295
	s_addc_u32 s15, s15, (.LBB1_2130-.Lpost_getpc11816)>>32
	s_setpc_b64 s[14:15]
.LBB1_16468:
	v_cmp_ne_u16_e32 vcc, 0, v3
	s_andn2_b64 s[4:5], s[4:5], exec
	s_and_b64 s[8:9], vcc, exec
	v_mov_b32_e32 v2, 0
	s_or_b64 s[4:5], s[4:5], s[8:9]
	s_or_b64 exec, exec, s[6:7]
	s_and_saveexec_b64 s[6:7], s[4:5]
	s_cbranch_execz .LBB1_29737
; %bb.52307:
	s_getpc_b64 s[14:15]
.Lpost_getpc11817:
	s_add_u32 s14, s14, (.LBB1_2131-.Lpost_getpc11817)&4294967295
	s_addc_u32 s15, s15, (.LBB1_2131-.Lpost_getpc11817)>>32
	s_setpc_b64 s[14:15]
.LBB1_29737:
	s_getpc_b64 s[14:15]
.Lpost_getpc532:
	s_add_u32 s14, s14, (.LBB1_2132-.Lpost_getpc532)&4294967295
	s_addc_u32 s15, s15, (.LBB1_2132-.Lpost_getpc532)>>32
	s_setpc_b64 s[14:15]
.LBB1_16469:
	s_movk_i32 s4, 0x80
	v_cmp_eq_u16_e32 vcc, s4, v3
	s_mov_b64 s[4:5], -1
                                        ; implicit-def: $sgpr10
	s_and_saveexec_b64 s[8:9], vcc
; %bb.16470:
	s_mov_b32 s10, 0x7f800001
	s_xor_b64 s[4:5], exec, -1
; %bb.16471:
	s_or_b64 exec, exec, s[8:9]
	s_and_b64 s[4:5], s[4:5], exec
                                        ; implicit-def: $vgpr3
	s_or_saveexec_b64 s[6:7], s[6:7]
	v_mov_b32_e32 v6, s10
	s_xor_b64 exec, exec, s[6:7]
	s_cbranch_execnz .LBB1_16472
; %bb.52309:
	s_getpc_b64 s[14:15]
.Lpost_getpc11818:
	s_add_u32 s14, s14, (.LBB1_2134-.Lpost_getpc11818)&4294967295
	s_addc_u32 s15, s15, (.LBB1_2134-.Lpost_getpc11818)>>32
	s_setpc_b64 s[14:15]
.LBB1_16472:
	v_cmp_ne_u16_e32 vcc, 0, v3
	s_andn2_b64 s[4:5], s[4:5], exec
	s_and_b64 s[8:9], vcc, exec
	v_mov_b32_e32 v6, 0
	s_or_b64 s[4:5], s[4:5], s[8:9]
	s_or_b64 exec, exec, s[6:7]
	s_and_saveexec_b64 s[6:7], s[4:5]
	s_cbranch_execz .LBB1_29739
; %bb.52311:
	s_getpc_b64 s[14:15]
.Lpost_getpc11819:
	s_add_u32 s14, s14, (.LBB1_2135-.Lpost_getpc11819)&4294967295
	s_addc_u32 s15, s15, (.LBB1_2135-.Lpost_getpc11819)>>32
	s_setpc_b64 s[14:15]
.LBB1_29739:
	s_getpc_b64 s[14:15]
.Lpost_getpc533:
	s_add_u32 s14, s14, (.LBB1_2136-.Lpost_getpc533)&4294967295
	s_addc_u32 s15, s15, (.LBB1_2136-.Lpost_getpc533)>>32
	s_setpc_b64 s[14:15]
.LBB1_16473:
	s_movk_i32 s4, 0x80
	v_cmp_eq_u16_sdwa s[12:13], v8, s4 src0_sel:BYTE_3 src1_sel:DWORD
	s_mov_b64 s[4:5], -1
                                        ; implicit-def: $sgpr10
	s_and_saveexec_b64 s[8:9], s[12:13]
; %bb.16474:
	s_mov_b32 s10, 0x7f800001
	s_xor_b64 s[4:5], exec, -1
; %bb.16475:
	s_or_b64 exec, exec, s[8:9]
	s_and_b64 s[4:5], s[4:5], exec
	s_or_saveexec_b64 s[6:7], s[6:7]
	v_mov_b32_e32 v2, s10
	s_xor_b64 exec, exec, s[6:7]
	s_cbranch_execnz .LBB1_16476
; %bb.52313:
	s_getpc_b64 s[14:15]
.Lpost_getpc11820:
	s_add_u32 s14, s14, (.LBB1_2138-.Lpost_getpc11820)&4294967295
	s_addc_u32 s15, s15, (.LBB1_2138-.Lpost_getpc11820)>>32
	s_setpc_b64 s[14:15]
.LBB1_16476:
	v_mov_b32_e32 v2, 0
	v_cmp_ne_u16_sdwa s[8:9], v8, v2 src0_sel:BYTE_3 src1_sel:DWORD
	s_andn2_b64 s[4:5], s[4:5], exec
	s_and_b64 s[8:9], s[8:9], exec
	s_or_b64 s[4:5], s[4:5], s[8:9]
	s_or_b64 exec, exec, s[6:7]
	s_and_saveexec_b64 s[6:7], s[4:5]
	s_cbranch_execz .LBB1_29741
; %bb.52315:
	s_getpc_b64 s[14:15]
.Lpost_getpc11821:
	s_add_u32 s14, s14, (.LBB1_2139-.Lpost_getpc11821)&4294967295
	s_addc_u32 s15, s15, (.LBB1_2139-.Lpost_getpc11821)>>32
	s_setpc_b64 s[14:15]
.LBB1_29741:
	s_getpc_b64 s[14:15]
.Lpost_getpc534:
	s_add_u32 s14, s14, (.LBB1_2140-.Lpost_getpc534)&4294967295
	s_addc_u32 s15, s15, (.LBB1_2140-.Lpost_getpc534)>>32
	s_setpc_b64 s[14:15]
.LBB1_16477:
	s_movk_i32 s4, 0x80
	v_cmp_eq_u16_sdwa s[12:13], v4, s4 src0_sel:BYTE_3 src1_sel:DWORD
	s_mov_b64 s[4:5], -1
                                        ; implicit-def: $sgpr10
	s_and_saveexec_b64 s[8:9], s[12:13]
; %bb.16478:
	s_mov_b32 s10, 0x7f800001
	s_xor_b64 s[4:5], exec, -1
; %bb.16479:
	s_or_b64 exec, exec, s[8:9]
	s_and_b64 s[4:5], s[4:5], exec
	s_or_saveexec_b64 s[6:7], s[6:7]
	v_mov_b32_e32 v3, s10
	s_xor_b64 exec, exec, s[6:7]
	s_cbranch_execnz .LBB1_16480
; %bb.52317:
	s_getpc_b64 s[14:15]
.Lpost_getpc11822:
	s_add_u32 s14, s14, (.LBB1_2142-.Lpost_getpc11822)&4294967295
	s_addc_u32 s15, s15, (.LBB1_2142-.Lpost_getpc11822)>>32
	s_setpc_b64 s[14:15]
.LBB1_16480:
	v_mov_b32_e32 v3, 0
	v_cmp_ne_u16_sdwa s[8:9], v4, v3 src0_sel:BYTE_3 src1_sel:DWORD
	s_andn2_b64 s[4:5], s[4:5], exec
	s_and_b64 s[8:9], s[8:9], exec
	s_or_b64 s[4:5], s[4:5], s[8:9]
	s_or_b64 exec, exec, s[6:7]
	s_and_saveexec_b64 s[6:7], s[4:5]
	s_cbranch_execz .LBB1_29743
; %bb.52319:
	s_getpc_b64 s[14:15]
.Lpost_getpc11823:
	s_add_u32 s14, s14, (.LBB1_2143-.Lpost_getpc11823)&4294967295
	s_addc_u32 s15, s15, (.LBB1_2143-.Lpost_getpc11823)>>32
	s_setpc_b64 s[14:15]
.LBB1_29743:
	s_getpc_b64 s[14:15]
.Lpost_getpc535:
	s_add_u32 s14, s14, (.LBB1_2144-.Lpost_getpc535)&4294967295
	s_addc_u32 s15, s15, (.LBB1_2144-.Lpost_getpc535)>>32
	s_setpc_b64 s[14:15]
.LBB1_16481:
	s_movk_i32 s4, 0x80
	v_cmp_eq_u16_sdwa s[12:13], v9, s4 src0_sel:BYTE_0 src1_sel:DWORD
	s_mov_b64 s[4:5], -1
                                        ; implicit-def: $sgpr10
	s_and_saveexec_b64 s[8:9], s[12:13]
; %bb.16482:
	s_mov_b32 s10, 0x7f800001
	s_xor_b64 s[4:5], exec, -1
; %bb.16483:
	s_or_b64 exec, exec, s[8:9]
	s_and_b64 s[4:5], s[4:5], exec
	s_or_saveexec_b64 s[6:7], s[6:7]
	v_mov_b32_e32 v2, s10
	s_xor_b64 exec, exec, s[6:7]
	s_cbranch_execnz .LBB1_16484
; %bb.52321:
	s_getpc_b64 s[14:15]
.Lpost_getpc11824:
	s_add_u32 s14, s14, (.LBB1_2146-.Lpost_getpc11824)&4294967295
	s_addc_u32 s15, s15, (.LBB1_2146-.Lpost_getpc11824)>>32
	s_setpc_b64 s[14:15]
.LBB1_16484:
	v_mov_b32_e32 v2, 0
	v_cmp_ne_u16_sdwa s[8:9], v9, v2 src0_sel:BYTE_0 src1_sel:DWORD
	s_andn2_b64 s[4:5], s[4:5], exec
	s_and_b64 s[8:9], s[8:9], exec
	s_or_b64 s[4:5], s[4:5], s[8:9]
	s_or_b64 exec, exec, s[6:7]
	s_and_saveexec_b64 s[6:7], s[4:5]
	s_cbranch_execz .LBB1_29745
; %bb.52323:
	s_getpc_b64 s[14:15]
.Lpost_getpc11825:
	s_add_u32 s14, s14, (.LBB1_2147-.Lpost_getpc11825)&4294967295
	s_addc_u32 s15, s15, (.LBB1_2147-.Lpost_getpc11825)>>32
	s_setpc_b64 s[14:15]
.LBB1_29745:
	s_getpc_b64 s[14:15]
.Lpost_getpc536:
	s_add_u32 s14, s14, (.LBB1_2148-.Lpost_getpc536)&4294967295
	s_addc_u32 s15, s15, (.LBB1_2148-.Lpost_getpc536)>>32
	s_setpc_b64 s[14:15]
.LBB1_16485:
	s_movk_i32 s4, 0x80
	v_cmp_eq_u16_sdwa s[12:13], v5, s4 src0_sel:BYTE_0 src1_sel:DWORD
	s_mov_b64 s[4:5], -1
                                        ; implicit-def: $sgpr10
	s_and_saveexec_b64 s[8:9], s[12:13]
; %bb.16486:
	s_mov_b32 s10, 0x7f800001
	s_xor_b64 s[4:5], exec, -1
; %bb.16487:
	s_or_b64 exec, exec, s[8:9]
	s_and_b64 s[4:5], s[4:5], exec
	s_or_saveexec_b64 s[6:7], s[6:7]
	v_mov_b32_e32 v3, s10
	s_xor_b64 exec, exec, s[6:7]
	s_cbranch_execnz .LBB1_16488
; %bb.52325:
	s_getpc_b64 s[14:15]
.Lpost_getpc11826:
	s_add_u32 s14, s14, (.LBB1_2150-.Lpost_getpc11826)&4294967295
	s_addc_u32 s15, s15, (.LBB1_2150-.Lpost_getpc11826)>>32
	s_setpc_b64 s[14:15]
.LBB1_16488:
	v_mov_b32_e32 v3, 0
	v_cmp_ne_u16_sdwa s[8:9], v5, v3 src0_sel:BYTE_0 src1_sel:DWORD
	s_andn2_b64 s[4:5], s[4:5], exec
	s_and_b64 s[8:9], s[8:9], exec
	s_or_b64 s[4:5], s[4:5], s[8:9]
	s_or_b64 exec, exec, s[6:7]
	s_and_saveexec_b64 s[6:7], s[4:5]
	s_cbranch_execz .LBB1_29747
; %bb.52327:
	s_getpc_b64 s[14:15]
.Lpost_getpc11827:
	s_add_u32 s14, s14, (.LBB1_2151-.Lpost_getpc11827)&4294967295
	s_addc_u32 s15, s15, (.LBB1_2151-.Lpost_getpc11827)>>32
	s_setpc_b64 s[14:15]
.LBB1_29747:
	s_getpc_b64 s[14:15]
.Lpost_getpc537:
	s_add_u32 s14, s14, (.LBB1_2152-.Lpost_getpc537)&4294967295
	s_addc_u32 s15, s15, (.LBB1_2152-.Lpost_getpc537)>>32
	s_setpc_b64 s[14:15]
.LBB1_16489:
	s_movk_i32 s4, 0x80
	v_cmp_eq_u16_sdwa s[12:13], v3, s4 src0_sel:BYTE_0 src1_sel:DWORD
	s_mov_b64 s[4:5], -1
                                        ; implicit-def: $sgpr10
	s_and_saveexec_b64 s[8:9], s[12:13]
; %bb.16490:
	s_mov_b32 s10, 0x7f800001
	s_xor_b64 s[4:5], exec, -1
; %bb.16491:
	s_or_b64 exec, exec, s[8:9]
	s_and_b64 s[4:5], s[4:5], exec
	s_or_saveexec_b64 s[6:7], s[6:7]
	v_mov_b32_e32 v2, s10
	s_xor_b64 exec, exec, s[6:7]
	s_cbranch_execnz .LBB1_16492
; %bb.52329:
	s_getpc_b64 s[14:15]
.Lpost_getpc11828:
	s_add_u32 s14, s14, (.LBB1_2154-.Lpost_getpc11828)&4294967295
	s_addc_u32 s15, s15, (.LBB1_2154-.Lpost_getpc11828)>>32
	s_setpc_b64 s[14:15]
.LBB1_16492:
	v_mov_b32_e32 v2, 0
	v_cmp_ne_u16_sdwa s[8:9], v3, v2 src0_sel:BYTE_0 src1_sel:DWORD
	s_andn2_b64 s[4:5], s[4:5], exec
	s_and_b64 s[8:9], s[8:9], exec
	s_or_b64 s[4:5], s[4:5], s[8:9]
	s_or_b64 exec, exec, s[6:7]
	s_and_saveexec_b64 s[6:7], s[4:5]
	s_cbranch_execz .LBB1_29749
; %bb.52331:
	s_getpc_b64 s[14:15]
.Lpost_getpc11829:
	s_add_u32 s14, s14, (.LBB1_2155-.Lpost_getpc11829)&4294967295
	s_addc_u32 s15, s15, (.LBB1_2155-.Lpost_getpc11829)>>32
	s_setpc_b64 s[14:15]
.LBB1_29749:
	s_getpc_b64 s[14:15]
.Lpost_getpc538:
	s_add_u32 s14, s14, (.LBB1_2156-.Lpost_getpc538)&4294967295
	s_addc_u32 s15, s15, (.LBB1_2156-.Lpost_getpc538)>>32
	s_setpc_b64 s[14:15]
.LBB1_16493:
	s_movk_i32 s4, 0x80
	v_cmp_eq_u16_sdwa s[12:13], v3, s4 src0_sel:BYTE_0 src1_sel:DWORD
	s_mov_b64 s[4:5], -1
                                        ; implicit-def: $sgpr10
	s_and_saveexec_b64 s[8:9], s[12:13]
; %bb.16494:
	s_mov_b32 s10, 0x7f800001
	s_xor_b64 s[4:5], exec, -1
; %bb.16495:
	s_or_b64 exec, exec, s[8:9]
	s_and_b64 s[4:5], s[4:5], exec
	s_or_saveexec_b64 s[6:7], s[6:7]
	v_mov_b32_e32 v4, s10
	s_xor_b64 exec, exec, s[6:7]
	s_cbranch_execnz .LBB1_16496
; %bb.52333:
	s_getpc_b64 s[14:15]
.Lpost_getpc11830:
	s_add_u32 s14, s14, (.LBB1_2158-.Lpost_getpc11830)&4294967295
	s_addc_u32 s15, s15, (.LBB1_2158-.Lpost_getpc11830)>>32
	s_setpc_b64 s[14:15]
.LBB1_16496:
	v_mov_b32_e32 v4, 0
	v_cmp_ne_u16_sdwa s[8:9], v3, v4 src0_sel:BYTE_0 src1_sel:DWORD
	s_andn2_b64 s[4:5], s[4:5], exec
	s_and_b64 s[8:9], s[8:9], exec
	s_or_b64 s[4:5], s[4:5], s[8:9]
	s_or_b64 exec, exec, s[6:7]
	s_and_saveexec_b64 s[6:7], s[4:5]
	s_cbranch_execz .LBB1_29751
; %bb.52335:
	s_getpc_b64 s[14:15]
.Lpost_getpc11831:
	s_add_u32 s14, s14, (.LBB1_2159-.Lpost_getpc11831)&4294967295
	s_addc_u32 s15, s15, (.LBB1_2159-.Lpost_getpc11831)>>32
	s_setpc_b64 s[14:15]
.LBB1_29751:
	s_getpc_b64 s[14:15]
.Lpost_getpc539:
	s_add_u32 s14, s14, (.LBB1_2160-.Lpost_getpc539)&4294967295
	s_addc_u32 s15, s15, (.LBB1_2160-.Lpost_getpc539)>>32
	s_setpc_b64 s[14:15]
.LBB1_16497:
	s_movk_i32 s4, 0x80
	v_cmp_eq_u16_e32 vcc, s4, v3
	s_mov_b64 s[4:5], -1
                                        ; implicit-def: $sgpr10
	s_and_saveexec_b64 s[8:9], vcc
; %bb.16498:
	s_mov_b32 s10, 0x7f800001
	s_xor_b64 s[4:5], exec, -1
; %bb.16499:
	s_or_b64 exec, exec, s[8:9]
	s_and_b64 s[4:5], s[4:5], exec
                                        ; implicit-def: $vgpr3
	s_or_saveexec_b64 s[6:7], s[6:7]
	v_mov_b32_e32 v2, s10
	s_xor_b64 exec, exec, s[6:7]
	s_cbranch_execnz .LBB1_16500
; %bb.52337:
	s_getpc_b64 s[14:15]
.Lpost_getpc11832:
	s_add_u32 s14, s14, (.LBB1_2162-.Lpost_getpc11832)&4294967295
	s_addc_u32 s15, s15, (.LBB1_2162-.Lpost_getpc11832)>>32
	s_setpc_b64 s[14:15]
.LBB1_16500:
	v_cmp_ne_u16_e32 vcc, 0, v3
	s_andn2_b64 s[4:5], s[4:5], exec
	s_and_b64 s[8:9], vcc, exec
	v_mov_b32_e32 v2, 0
	s_or_b64 s[4:5], s[4:5], s[8:9]
	s_or_b64 exec, exec, s[6:7]
	s_and_saveexec_b64 s[6:7], s[4:5]
	s_cbranch_execz .LBB1_29753
; %bb.52339:
	s_getpc_b64 s[14:15]
.Lpost_getpc11833:
	s_add_u32 s14, s14, (.LBB1_2163-.Lpost_getpc11833)&4294967295
	s_addc_u32 s15, s15, (.LBB1_2163-.Lpost_getpc11833)>>32
	s_setpc_b64 s[14:15]
.LBB1_29753:
	s_getpc_b64 s[14:15]
.Lpost_getpc540:
	s_add_u32 s14, s14, (.LBB1_2164-.Lpost_getpc540)&4294967295
	s_addc_u32 s15, s15, (.LBB1_2164-.Lpost_getpc540)>>32
	s_setpc_b64 s[14:15]
.LBB1_16501:
	s_movk_i32 s4, 0x80
	v_cmp_eq_u16_e32 vcc, s4, v3
	s_mov_b64 s[4:5], -1
                                        ; implicit-def: $sgpr10
	s_and_saveexec_b64 s[8:9], vcc
; %bb.16502:
	s_mov_b32 s10, 0x7f800001
	s_xor_b64 s[4:5], exec, -1
; %bb.16503:
	s_or_b64 exec, exec, s[8:9]
	s_and_b64 s[4:5], s[4:5], exec
                                        ; implicit-def: $vgpr3
	s_or_saveexec_b64 s[6:7], s[6:7]
	v_mov_b32_e32 v4, s10
	s_xor_b64 exec, exec, s[6:7]
	s_cbranch_execnz .LBB1_16504
; %bb.52341:
	s_getpc_b64 s[14:15]
.Lpost_getpc11834:
	s_add_u32 s14, s14, (.LBB1_2166-.Lpost_getpc11834)&4294967295
	s_addc_u32 s15, s15, (.LBB1_2166-.Lpost_getpc11834)>>32
	s_setpc_b64 s[14:15]
.LBB1_16504:
	v_cmp_ne_u16_e32 vcc, 0, v3
	s_andn2_b64 s[4:5], s[4:5], exec
	s_and_b64 s[8:9], vcc, exec
	v_mov_b32_e32 v4, 0
	s_or_b64 s[4:5], s[4:5], s[8:9]
	s_or_b64 exec, exec, s[6:7]
	s_and_saveexec_b64 s[6:7], s[4:5]
	s_cbranch_execz .LBB1_29755
; %bb.52343:
	s_getpc_b64 s[14:15]
.Lpost_getpc11835:
	s_add_u32 s14, s14, (.LBB1_2167-.Lpost_getpc11835)&4294967295
	s_addc_u32 s15, s15, (.LBB1_2167-.Lpost_getpc11835)>>32
	s_setpc_b64 s[14:15]
.LBB1_29755:
	s_getpc_b64 s[14:15]
.Lpost_getpc541:
	s_add_u32 s14, s14, (.LBB1_2168-.Lpost_getpc541)&4294967295
	s_addc_u32 s15, s15, (.LBB1_2168-.Lpost_getpc541)>>32
	s_setpc_b64 s[14:15]
.LBB1_16505:
	s_movk_i32 s4, 0x80
	v_cmp_eq_u16_sdwa s[12:13], v9, s4 src0_sel:BYTE_3 src1_sel:DWORD
	s_mov_b64 s[4:5], -1
                                        ; implicit-def: $sgpr10
	s_and_saveexec_b64 s[8:9], s[12:13]
; %bb.16506:
	s_mov_b32 s10, 0x7f800001
	s_xor_b64 s[4:5], exec, -1
; %bb.16507:
	s_or_b64 exec, exec, s[8:9]
	s_and_b64 s[4:5], s[4:5], exec
	s_or_saveexec_b64 s[6:7], s[6:7]
	v_mov_b32_e32 v2, s10
	s_xor_b64 exec, exec, s[6:7]
	s_cbranch_execnz .LBB1_16508
; %bb.52345:
	s_getpc_b64 s[14:15]
.Lpost_getpc11836:
	s_add_u32 s14, s14, (.LBB1_2170-.Lpost_getpc11836)&4294967295
	s_addc_u32 s15, s15, (.LBB1_2170-.Lpost_getpc11836)>>32
	s_setpc_b64 s[14:15]
.LBB1_16508:
	v_mov_b32_e32 v2, 0
	v_cmp_ne_u16_sdwa s[8:9], v9, v2 src0_sel:BYTE_3 src1_sel:DWORD
	s_andn2_b64 s[4:5], s[4:5], exec
	s_and_b64 s[8:9], s[8:9], exec
	s_or_b64 s[4:5], s[4:5], s[8:9]
	s_or_b64 exec, exec, s[6:7]
	s_and_saveexec_b64 s[6:7], s[4:5]
	s_cbranch_execz .LBB1_29757
; %bb.52347:
	s_getpc_b64 s[14:15]
.Lpost_getpc11837:
	s_add_u32 s14, s14, (.LBB1_2171-.Lpost_getpc11837)&4294967295
	s_addc_u32 s15, s15, (.LBB1_2171-.Lpost_getpc11837)>>32
	s_setpc_b64 s[14:15]
.LBB1_29757:
	s_getpc_b64 s[14:15]
.Lpost_getpc542:
	s_add_u32 s14, s14, (.LBB1_2172-.Lpost_getpc542)&4294967295
	s_addc_u32 s15, s15, (.LBB1_2172-.Lpost_getpc542)>>32
	s_setpc_b64 s[14:15]
.LBB1_16509:
	s_movk_i32 s4, 0x80
	v_cmp_eq_u16_sdwa s[12:13], v5, s4 src0_sel:BYTE_3 src1_sel:DWORD
	s_mov_b64 s[4:5], -1
                                        ; implicit-def: $sgpr10
	s_and_saveexec_b64 s[8:9], s[12:13]
; %bb.16510:
	s_mov_b32 s10, 0x7f800001
	s_xor_b64 s[4:5], exec, -1
; %bb.16511:
	s_or_b64 exec, exec, s[8:9]
	s_and_b64 s[4:5], s[4:5], exec
	s_or_saveexec_b64 s[6:7], s[6:7]
	v_mov_b32_e32 v3, s10
	s_xor_b64 exec, exec, s[6:7]
	s_cbranch_execnz .LBB1_16512
; %bb.52349:
	s_getpc_b64 s[14:15]
.Lpost_getpc11838:
	s_add_u32 s14, s14, (.LBB1_2174-.Lpost_getpc11838)&4294967295
	s_addc_u32 s15, s15, (.LBB1_2174-.Lpost_getpc11838)>>32
	s_setpc_b64 s[14:15]
.LBB1_16512:
	v_mov_b32_e32 v3, 0
	v_cmp_ne_u16_sdwa s[8:9], v5, v3 src0_sel:BYTE_3 src1_sel:DWORD
	s_andn2_b64 s[4:5], s[4:5], exec
	s_and_b64 s[8:9], s[8:9], exec
	s_or_b64 s[4:5], s[4:5], s[8:9]
	s_or_b64 exec, exec, s[6:7]
	s_and_saveexec_b64 s[6:7], s[4:5]
	s_cbranch_execz .LBB1_29759
; %bb.52351:
	s_getpc_b64 s[14:15]
.Lpost_getpc11839:
	s_add_u32 s14, s14, (.LBB1_2175-.Lpost_getpc11839)&4294967295
	s_addc_u32 s15, s15, (.LBB1_2175-.Lpost_getpc11839)>>32
	s_setpc_b64 s[14:15]
.LBB1_29759:
	s_getpc_b64 s[14:15]
.Lpost_getpc543:
	s_add_u32 s14, s14, (.LBB1_2176-.Lpost_getpc543)&4294967295
	s_addc_u32 s15, s15, (.LBB1_2176-.Lpost_getpc543)>>32
	s_setpc_b64 s[14:15]
.LBB1_16513:
	s_movk_i32 s4, 0x80
	v_cmp_eq_u16_sdwa s[12:13], v6, s4 src0_sel:BYTE_0 src1_sel:DWORD
	s_mov_b64 s[4:5], -1
                                        ; implicit-def: $sgpr10
	s_and_saveexec_b64 s[8:9], s[12:13]
; %bb.16514:
	s_mov_b32 s10, 0x7f800001
	s_xor_b64 s[4:5], exec, -1
; %bb.16515:
	s_or_b64 exec, exec, s[8:9]
	s_and_b64 s[4:5], s[4:5], exec
	s_or_saveexec_b64 s[6:7], s[6:7]
	v_mov_b32_e32 v12, s10
	s_xor_b64 exec, exec, s[6:7]
	s_cbranch_execnz .LBB1_16516
; %bb.52353:
	s_getpc_b64 s[14:15]
.Lpost_getpc11840:
	s_add_u32 s14, s14, (.LBB1_2178-.Lpost_getpc11840)&4294967295
	s_addc_u32 s15, s15, (.LBB1_2178-.Lpost_getpc11840)>>32
	s_setpc_b64 s[14:15]
.LBB1_16516:
	v_mov_b32_e32 v12, 0
	v_cmp_ne_u16_sdwa s[8:9], v6, v12 src0_sel:BYTE_0 src1_sel:DWORD
	s_andn2_b64 s[4:5], s[4:5], exec
	s_and_b64 s[8:9], s[8:9], exec
	s_or_b64 s[4:5], s[4:5], s[8:9]
	s_or_b64 exec, exec, s[6:7]
	s_and_saveexec_b64 s[6:7], s[4:5]
	s_cbranch_execz .LBB1_29761
; %bb.52355:
	s_getpc_b64 s[14:15]
.Lpost_getpc11841:
	s_add_u32 s14, s14, (.LBB1_2179-.Lpost_getpc11841)&4294967295
	s_addc_u32 s15, s15, (.LBB1_2179-.Lpost_getpc11841)>>32
	s_setpc_b64 s[14:15]
.LBB1_29761:
	s_getpc_b64 s[14:15]
.Lpost_getpc544:
	s_add_u32 s14, s14, (.LBB1_2180-.Lpost_getpc544)&4294967295
	s_addc_u32 s15, s15, (.LBB1_2180-.Lpost_getpc544)>>32
	s_setpc_b64 s[14:15]
.LBB1_16517:
	s_movk_i32 s4, 0x80
	v_cmp_eq_u16_sdwa s[12:13], v2, s4 src0_sel:BYTE_0 src1_sel:DWORD
	s_mov_b64 s[4:5], -1
                                        ; implicit-def: $sgpr10
	s_and_saveexec_b64 s[8:9], s[12:13]
; %bb.16518:
	s_mov_b32 s10, 0x7f800001
	s_xor_b64 s[4:5], exec, -1
; %bb.16519:
	s_or_b64 exec, exec, s[8:9]
	s_and_b64 s[4:5], s[4:5], exec
	s_or_saveexec_b64 s[6:7], s[6:7]
	v_mov_b32_e32 v13, s10
	s_xor_b64 exec, exec, s[6:7]
	s_cbranch_execnz .LBB1_16520
; %bb.52357:
	s_getpc_b64 s[14:15]
.Lpost_getpc11842:
	s_add_u32 s14, s14, (.LBB1_2182-.Lpost_getpc11842)&4294967295
	s_addc_u32 s15, s15, (.LBB1_2182-.Lpost_getpc11842)>>32
	s_setpc_b64 s[14:15]
.LBB1_16520:
	v_mov_b32_e32 v13, 0
	v_cmp_ne_u16_sdwa s[8:9], v2, v13 src0_sel:BYTE_0 src1_sel:DWORD
	s_andn2_b64 s[4:5], s[4:5], exec
	s_and_b64 s[8:9], s[8:9], exec
	s_or_b64 s[4:5], s[4:5], s[8:9]
	s_or_b64 exec, exec, s[6:7]
	s_and_saveexec_b64 s[6:7], s[4:5]
	s_cbranch_execz .LBB1_29763
; %bb.52359:
	s_getpc_b64 s[14:15]
.Lpost_getpc11843:
	s_add_u32 s14, s14, (.LBB1_2183-.Lpost_getpc11843)&4294967295
	s_addc_u32 s15, s15, (.LBB1_2183-.Lpost_getpc11843)>>32
	s_setpc_b64 s[14:15]
.LBB1_29763:
	s_getpc_b64 s[14:15]
.Lpost_getpc545:
	s_add_u32 s14, s14, (.LBB1_2184-.Lpost_getpc545)&4294967295
	s_addc_u32 s15, s15, (.LBB1_2184-.Lpost_getpc545)>>32
	s_setpc_b64 s[14:15]
.LBB1_16521:
	s_movk_i32 s4, 0x80
	v_cmp_eq_u16_sdwa s[12:13], v13, s4 src0_sel:BYTE_0 src1_sel:DWORD
	s_mov_b64 s[4:5], -1
                                        ; implicit-def: $sgpr10
	s_and_saveexec_b64 s[8:9], s[12:13]
; %bb.16522:
	s_mov_b32 s10, 0x7f800001
	s_xor_b64 s[4:5], exec, -1
; %bb.16523:
	s_or_b64 exec, exec, s[8:9]
	s_and_b64 s[4:5], s[4:5], exec
	s_or_saveexec_b64 s[6:7], s[6:7]
	v_mov_b32_e32 v12, s10
	s_xor_b64 exec, exec, s[6:7]
	s_cbranch_execnz .LBB1_16524
; %bb.52361:
	s_getpc_b64 s[14:15]
.Lpost_getpc11844:
	s_add_u32 s14, s14, (.LBB1_2186-.Lpost_getpc11844)&4294967295
	s_addc_u32 s15, s15, (.LBB1_2186-.Lpost_getpc11844)>>32
	s_setpc_b64 s[14:15]
.LBB1_16524:
	v_mov_b32_e32 v12, 0
	v_cmp_ne_u16_sdwa s[8:9], v13, v12 src0_sel:BYTE_0 src1_sel:DWORD
	s_andn2_b64 s[4:5], s[4:5], exec
	s_and_b64 s[8:9], s[8:9], exec
	s_or_b64 s[4:5], s[4:5], s[8:9]
	s_or_b64 exec, exec, s[6:7]
	s_and_saveexec_b64 s[6:7], s[4:5]
	s_cbranch_execz .LBB1_29765
; %bb.52363:
	s_getpc_b64 s[14:15]
.Lpost_getpc11845:
	s_add_u32 s14, s14, (.LBB1_2187-.Lpost_getpc11845)&4294967295
	s_addc_u32 s15, s15, (.LBB1_2187-.Lpost_getpc11845)>>32
	s_setpc_b64 s[14:15]
.LBB1_29765:
	s_getpc_b64 s[14:15]
.Lpost_getpc546:
	s_add_u32 s14, s14, (.LBB1_2188-.Lpost_getpc546)&4294967295
	s_addc_u32 s15, s15, (.LBB1_2188-.Lpost_getpc546)>>32
	s_setpc_b64 s[14:15]
.LBB1_16525:
	s_movk_i32 s4, 0x80
	v_cmp_eq_u16_sdwa s[12:13], v13, s4 src0_sel:BYTE_0 src1_sel:DWORD
	s_mov_b64 s[4:5], -1
                                        ; implicit-def: $sgpr10
	s_and_saveexec_b64 s[8:9], s[12:13]
; %bb.16526:
	s_mov_b32 s10, 0x7f800001
	s_xor_b64 s[4:5], exec, -1
; %bb.16527:
	s_or_b64 exec, exec, s[8:9]
	s_and_b64 s[4:5], s[4:5], exec
	s_or_saveexec_b64 s[6:7], s[6:7]
	v_mov_b32_e32 v14, s10
	s_xor_b64 exec, exec, s[6:7]
	s_cbranch_execnz .LBB1_16528
; %bb.52365:
	s_getpc_b64 s[14:15]
.Lpost_getpc11846:
	s_add_u32 s14, s14, (.LBB1_2190-.Lpost_getpc11846)&4294967295
	s_addc_u32 s15, s15, (.LBB1_2190-.Lpost_getpc11846)>>32
	s_setpc_b64 s[14:15]
.LBB1_16528:
	v_mov_b32_e32 v14, 0
	v_cmp_ne_u16_sdwa s[8:9], v13, v14 src0_sel:BYTE_0 src1_sel:DWORD
	s_andn2_b64 s[4:5], s[4:5], exec
	s_and_b64 s[8:9], s[8:9], exec
	s_or_b64 s[4:5], s[4:5], s[8:9]
	s_or_b64 exec, exec, s[6:7]
	s_and_saveexec_b64 s[6:7], s[4:5]
	s_cbranch_execz .LBB1_29767
; %bb.52367:
	s_getpc_b64 s[14:15]
.Lpost_getpc11847:
	s_add_u32 s14, s14, (.LBB1_2191-.Lpost_getpc11847)&4294967295
	s_addc_u32 s15, s15, (.LBB1_2191-.Lpost_getpc11847)>>32
	s_setpc_b64 s[14:15]
.LBB1_29767:
	s_getpc_b64 s[14:15]
.Lpost_getpc547:
	s_add_u32 s14, s14, (.LBB1_2192-.Lpost_getpc547)&4294967295
	s_addc_u32 s15, s15, (.LBB1_2192-.Lpost_getpc547)>>32
	s_setpc_b64 s[14:15]
.LBB1_16529:
	s_movk_i32 s4, 0x80
	v_cmp_eq_u16_e32 vcc, s4, v13
	s_mov_b64 s[4:5], -1
                                        ; implicit-def: $sgpr10
	s_and_saveexec_b64 s[8:9], vcc
; %bb.16530:
	s_mov_b32 s10, 0x7f800001
	s_xor_b64 s[4:5], exec, -1
; %bb.16531:
	s_or_b64 exec, exec, s[8:9]
	s_and_b64 s[4:5], s[4:5], exec
                                        ; implicit-def: $vgpr13
	s_or_saveexec_b64 s[6:7], s[6:7]
	v_mov_b32_e32 v12, s10
	s_xor_b64 exec, exec, s[6:7]
	s_cbranch_execnz .LBB1_16532
; %bb.52369:
	s_getpc_b64 s[14:15]
.Lpost_getpc11848:
	s_add_u32 s14, s14, (.LBB1_2194-.Lpost_getpc11848)&4294967295
	s_addc_u32 s15, s15, (.LBB1_2194-.Lpost_getpc11848)>>32
	s_setpc_b64 s[14:15]
.LBB1_16532:
	v_cmp_ne_u16_e32 vcc, 0, v13
	s_andn2_b64 s[4:5], s[4:5], exec
	s_and_b64 s[8:9], vcc, exec
	v_mov_b32_e32 v12, 0
	s_or_b64 s[4:5], s[4:5], s[8:9]
	s_or_b64 exec, exec, s[6:7]
	s_and_saveexec_b64 s[6:7], s[4:5]
	s_cbranch_execz .LBB1_29769
; %bb.52371:
	s_getpc_b64 s[14:15]
.Lpost_getpc11849:
	s_add_u32 s14, s14, (.LBB1_2195-.Lpost_getpc11849)&4294967295
	s_addc_u32 s15, s15, (.LBB1_2195-.Lpost_getpc11849)>>32
	s_setpc_b64 s[14:15]
.LBB1_29769:
	s_getpc_b64 s[14:15]
.Lpost_getpc548:
	s_add_u32 s14, s14, (.LBB1_2196-.Lpost_getpc548)&4294967295
	s_addc_u32 s15, s15, (.LBB1_2196-.Lpost_getpc548)>>32
	s_setpc_b64 s[14:15]
.LBB1_16533:
	s_movk_i32 s4, 0x80
	v_cmp_eq_u16_e32 vcc, s4, v13
	s_mov_b64 s[4:5], -1
                                        ; implicit-def: $sgpr10
	s_and_saveexec_b64 s[8:9], vcc
; %bb.16534:
	s_mov_b32 s10, 0x7f800001
	s_xor_b64 s[4:5], exec, -1
; %bb.16535:
	s_or_b64 exec, exec, s[8:9]
	s_and_b64 s[4:5], s[4:5], exec
                                        ; implicit-def: $vgpr13
	s_or_saveexec_b64 s[6:7], s[6:7]
	v_mov_b32_e32 v14, s10
	s_xor_b64 exec, exec, s[6:7]
	s_cbranch_execnz .LBB1_16536
; %bb.52373:
	s_getpc_b64 s[14:15]
.Lpost_getpc11850:
	s_add_u32 s14, s14, (.LBB1_2198-.Lpost_getpc11850)&4294967295
	s_addc_u32 s15, s15, (.LBB1_2198-.Lpost_getpc11850)>>32
	s_setpc_b64 s[14:15]
.LBB1_16536:
	v_cmp_ne_u16_e32 vcc, 0, v13
	s_andn2_b64 s[4:5], s[4:5], exec
	s_and_b64 s[8:9], vcc, exec
	v_mov_b32_e32 v14, 0
	s_or_b64 s[4:5], s[4:5], s[8:9]
	s_or_b64 exec, exec, s[6:7]
	s_and_saveexec_b64 s[6:7], s[4:5]
	s_cbranch_execz .LBB1_29771
; %bb.52375:
	s_getpc_b64 s[14:15]
.Lpost_getpc11851:
	s_add_u32 s14, s14, (.LBB1_2199-.Lpost_getpc11851)&4294967295
	s_addc_u32 s15, s15, (.LBB1_2199-.Lpost_getpc11851)>>32
	s_setpc_b64 s[14:15]
.LBB1_29771:
	s_getpc_b64 s[14:15]
.Lpost_getpc549:
	s_add_u32 s14, s14, (.LBB1_2200-.Lpost_getpc549)&4294967295
	s_addc_u32 s15, s15, (.LBB1_2200-.Lpost_getpc549)>>32
	s_setpc_b64 s[14:15]
.LBB1_16537:
	s_movk_i32 s4, 0x80
	v_cmp_eq_u16_sdwa s[12:13], v6, s4 src0_sel:BYTE_3 src1_sel:DWORD
	s_mov_b64 s[4:5], -1
                                        ; implicit-def: $sgpr10
	s_and_saveexec_b64 s[8:9], s[12:13]
; %bb.16538:
	s_mov_b32 s10, 0x7f800001
	s_xor_b64 s[4:5], exec, -1
; %bb.16539:
	s_or_b64 exec, exec, s[8:9]
	s_and_b64 s[4:5], s[4:5], exec
	s_or_saveexec_b64 s[6:7], s[6:7]
	v_mov_b32_e32 v12, s10
	s_xor_b64 exec, exec, s[6:7]
	s_cbranch_execnz .LBB1_16540
; %bb.52377:
	s_getpc_b64 s[14:15]
.Lpost_getpc11852:
	s_add_u32 s14, s14, (.LBB1_2202-.Lpost_getpc11852)&4294967295
	s_addc_u32 s15, s15, (.LBB1_2202-.Lpost_getpc11852)>>32
	s_setpc_b64 s[14:15]
.LBB1_16540:
	v_mov_b32_e32 v12, 0
	v_cmp_ne_u16_sdwa s[8:9], v6, v12 src0_sel:BYTE_3 src1_sel:DWORD
	s_andn2_b64 s[4:5], s[4:5], exec
	s_and_b64 s[8:9], s[8:9], exec
	s_or_b64 s[4:5], s[4:5], s[8:9]
	s_or_b64 exec, exec, s[6:7]
	s_and_saveexec_b64 s[6:7], s[4:5]
	s_cbranch_execz .LBB1_29773
; %bb.52379:
	s_getpc_b64 s[14:15]
.Lpost_getpc11853:
	s_add_u32 s14, s14, (.LBB1_2203-.Lpost_getpc11853)&4294967295
	s_addc_u32 s15, s15, (.LBB1_2203-.Lpost_getpc11853)>>32
	s_setpc_b64 s[14:15]
.LBB1_29773:
	s_getpc_b64 s[14:15]
.Lpost_getpc550:
	s_add_u32 s14, s14, (.LBB1_2204-.Lpost_getpc550)&4294967295
	s_addc_u32 s15, s15, (.LBB1_2204-.Lpost_getpc550)>>32
	s_setpc_b64 s[14:15]
.LBB1_16541:
	s_movk_i32 s4, 0x80
	v_cmp_eq_u16_sdwa s[12:13], v2, s4 src0_sel:BYTE_3 src1_sel:DWORD
	s_mov_b64 s[4:5], -1
                                        ; implicit-def: $sgpr10
	s_and_saveexec_b64 s[8:9], s[12:13]
; %bb.16542:
	s_mov_b32 s10, 0x7f800001
	s_xor_b64 s[4:5], exec, -1
; %bb.16543:
	s_or_b64 exec, exec, s[8:9]
	s_and_b64 s[4:5], s[4:5], exec
	s_or_saveexec_b64 s[6:7], s[6:7]
	v_mov_b32_e32 v6, s10
	s_xor_b64 exec, exec, s[6:7]
	s_cbranch_execnz .LBB1_16544
; %bb.52381:
	s_getpc_b64 s[14:15]
.Lpost_getpc11854:
	s_add_u32 s14, s14, (.LBB1_2206-.Lpost_getpc11854)&4294967295
	s_addc_u32 s15, s15, (.LBB1_2206-.Lpost_getpc11854)>>32
	s_setpc_b64 s[14:15]
.LBB1_16544:
	v_mov_b32_e32 v6, 0
	v_cmp_ne_u16_sdwa s[8:9], v2, v6 src0_sel:BYTE_3 src1_sel:DWORD
	s_andn2_b64 s[4:5], s[4:5], exec
	s_and_b64 s[8:9], s[8:9], exec
	s_or_b64 s[4:5], s[4:5], s[8:9]
	s_or_b64 exec, exec, s[6:7]
	s_and_saveexec_b64 s[6:7], s[4:5]
	s_cbranch_execz .LBB1_29775
; %bb.52383:
	s_getpc_b64 s[14:15]
.Lpost_getpc11855:
	s_add_u32 s14, s14, (.LBB1_2207-.Lpost_getpc11855)&4294967295
	s_addc_u32 s15, s15, (.LBB1_2207-.Lpost_getpc11855)>>32
	s_setpc_b64 s[14:15]
.LBB1_29775:
	s_getpc_b64 s[14:15]
.Lpost_getpc551:
	s_add_u32 s14, s14, (.LBB1_2208-.Lpost_getpc551)&4294967295
	s_addc_u32 s15, s15, (.LBB1_2208-.Lpost_getpc551)>>32
	s_setpc_b64 s[14:15]
.LBB1_16545:
	s_movk_i32 s4, 0x80
	v_cmp_eq_u16_sdwa s[12:13], v7, s4 src0_sel:BYTE_0 src1_sel:DWORD
	s_mov_b64 s[4:5], -1
                                        ; implicit-def: $sgpr10
	s_and_saveexec_b64 s[8:9], s[12:13]
; %bb.16546:
	s_mov_b32 s10, 0x7f800001
	s_xor_b64 s[4:5], exec, -1
; %bb.16547:
	s_or_b64 exec, exec, s[8:9]
	s_and_b64 s[4:5], s[4:5], exec
	s_or_saveexec_b64 s[6:7], s[6:7]
	v_mov_b32_e32 v2, s10
	s_xor_b64 exec, exec, s[6:7]
	s_cbranch_execnz .LBB1_16548
; %bb.52385:
	s_getpc_b64 s[14:15]
.Lpost_getpc11856:
	s_add_u32 s14, s14, (.LBB1_2210-.Lpost_getpc11856)&4294967295
	s_addc_u32 s15, s15, (.LBB1_2210-.Lpost_getpc11856)>>32
	s_setpc_b64 s[14:15]
.LBB1_16548:
	v_mov_b32_e32 v2, 0
	v_cmp_ne_u16_sdwa s[8:9], v7, v2 src0_sel:BYTE_0 src1_sel:DWORD
	s_andn2_b64 s[4:5], s[4:5], exec
	s_and_b64 s[8:9], s[8:9], exec
	s_or_b64 s[4:5], s[4:5], s[8:9]
	s_or_b64 exec, exec, s[6:7]
	s_and_saveexec_b64 s[6:7], s[4:5]
	s_cbranch_execz .LBB1_29777
; %bb.52387:
	s_getpc_b64 s[14:15]
.Lpost_getpc11857:
	s_add_u32 s14, s14, (.LBB1_2211-.Lpost_getpc11857)&4294967295
	s_addc_u32 s15, s15, (.LBB1_2211-.Lpost_getpc11857)>>32
	s_setpc_b64 s[14:15]
.LBB1_29777:
	s_getpc_b64 s[14:15]
.Lpost_getpc552:
	s_add_u32 s14, s14, (.LBB1_2212-.Lpost_getpc552)&4294967295
	s_addc_u32 s15, s15, (.LBB1_2212-.Lpost_getpc552)>>32
	s_setpc_b64 s[14:15]
.LBB1_16549:
	s_movk_i32 s4, 0x80
	v_cmp_eq_u16_sdwa s[12:13], v3, s4 src0_sel:BYTE_0 src1_sel:DWORD
	s_mov_b64 s[4:5], -1
                                        ; implicit-def: $sgpr10
	s_and_saveexec_b64 s[8:9], s[12:13]
; %bb.16550:
	s_mov_b32 s10, 0x7f800001
	s_xor_b64 s[4:5], exec, -1
; %bb.16551:
	s_or_b64 exec, exec, s[8:9]
	s_and_b64 s[4:5], s[4:5], exec
	s_or_saveexec_b64 s[6:7], s[6:7]
	v_mov_b32_e32 v6, s10
	s_xor_b64 exec, exec, s[6:7]
	s_cbranch_execnz .LBB1_16552
; %bb.52389:
	s_getpc_b64 s[14:15]
.Lpost_getpc11858:
	s_add_u32 s14, s14, (.LBB1_2214-.Lpost_getpc11858)&4294967295
	s_addc_u32 s15, s15, (.LBB1_2214-.Lpost_getpc11858)>>32
	s_setpc_b64 s[14:15]
.LBB1_16552:
	v_mov_b32_e32 v6, 0
	v_cmp_ne_u16_sdwa s[8:9], v3, v6 src0_sel:BYTE_0 src1_sel:DWORD
	s_andn2_b64 s[4:5], s[4:5], exec
	s_and_b64 s[8:9], s[8:9], exec
	s_or_b64 s[4:5], s[4:5], s[8:9]
	s_or_b64 exec, exec, s[6:7]
	s_and_saveexec_b64 s[6:7], s[4:5]
	s_cbranch_execz .LBB1_29779
; %bb.52391:
	s_getpc_b64 s[14:15]
.Lpost_getpc11859:
	s_add_u32 s14, s14, (.LBB1_2215-.Lpost_getpc11859)&4294967295
	s_addc_u32 s15, s15, (.LBB1_2215-.Lpost_getpc11859)>>32
	s_setpc_b64 s[14:15]
.LBB1_29779:
	s_getpc_b64 s[14:15]
.Lpost_getpc553:
	s_add_u32 s14, s14, (.LBB1_2216-.Lpost_getpc553)&4294967295
	s_addc_u32 s15, s15, (.LBB1_2216-.Lpost_getpc553)>>32
	s_setpc_b64 s[14:15]
.LBB1_16553:
	s_movk_i32 s4, 0x80
	v_cmp_eq_u16_sdwa s[12:13], v6, s4 src0_sel:BYTE_0 src1_sel:DWORD
	s_mov_b64 s[4:5], -1
                                        ; implicit-def: $sgpr10
	s_and_saveexec_b64 s[8:9], s[12:13]
; %bb.16554:
	s_mov_b32 s10, 0x7f800001
	s_xor_b64 s[4:5], exec, -1
; %bb.16555:
	s_or_b64 exec, exec, s[8:9]
	s_and_b64 s[4:5], s[4:5], exec
	s_or_saveexec_b64 s[6:7], s[6:7]
	v_mov_b32_e32 v2, s10
	s_xor_b64 exec, exec, s[6:7]
	s_cbranch_execnz .LBB1_16556
; %bb.52393:
	s_getpc_b64 s[14:15]
.Lpost_getpc11860:
	s_add_u32 s14, s14, (.LBB1_2218-.Lpost_getpc11860)&4294967295
	s_addc_u32 s15, s15, (.LBB1_2218-.Lpost_getpc11860)>>32
	s_setpc_b64 s[14:15]
.LBB1_16556:
	v_mov_b32_e32 v2, 0
	v_cmp_ne_u16_sdwa s[8:9], v6, v2 src0_sel:BYTE_0 src1_sel:DWORD
	s_andn2_b64 s[4:5], s[4:5], exec
	s_and_b64 s[8:9], s[8:9], exec
	s_or_b64 s[4:5], s[4:5], s[8:9]
	s_or_b64 exec, exec, s[6:7]
	s_and_saveexec_b64 s[6:7], s[4:5]
	s_cbranch_execz .LBB1_29781
; %bb.52395:
	s_getpc_b64 s[14:15]
.Lpost_getpc11861:
	s_add_u32 s14, s14, (.LBB1_2219-.Lpost_getpc11861)&4294967295
	s_addc_u32 s15, s15, (.LBB1_2219-.Lpost_getpc11861)>>32
	s_setpc_b64 s[14:15]
.LBB1_29781:
	s_getpc_b64 s[14:15]
.Lpost_getpc554:
	s_add_u32 s14, s14, (.LBB1_2220-.Lpost_getpc554)&4294967295
	s_addc_u32 s15, s15, (.LBB1_2220-.Lpost_getpc554)>>32
	s_setpc_b64 s[14:15]
.LBB1_16557:
	s_movk_i32 s4, 0x80
	v_cmp_eq_u16_sdwa s[12:13], v6, s4 src0_sel:BYTE_0 src1_sel:DWORD
	s_mov_b64 s[4:5], -1
                                        ; implicit-def: $sgpr10
	s_and_saveexec_b64 s[8:9], s[12:13]
; %bb.16558:
	s_mov_b32 s10, 0x7f800001
	s_xor_b64 s[4:5], exec, -1
; %bb.16559:
	s_or_b64 exec, exec, s[8:9]
	s_and_b64 s[4:5], s[4:5], exec
	s_or_saveexec_b64 s[6:7], s[6:7]
	v_mov_b32_e32 v12, s10
	s_xor_b64 exec, exec, s[6:7]
	s_cbranch_execnz .LBB1_16560
; %bb.52397:
	s_getpc_b64 s[14:15]
.Lpost_getpc11862:
	s_add_u32 s14, s14, (.LBB1_2222-.Lpost_getpc11862)&4294967295
	s_addc_u32 s15, s15, (.LBB1_2222-.Lpost_getpc11862)>>32
	s_setpc_b64 s[14:15]
.LBB1_16560:
	v_mov_b32_e32 v12, 0
	v_cmp_ne_u16_sdwa s[8:9], v6, v12 src0_sel:BYTE_0 src1_sel:DWORD
	s_andn2_b64 s[4:5], s[4:5], exec
	s_and_b64 s[8:9], s[8:9], exec
	s_or_b64 s[4:5], s[4:5], s[8:9]
	s_or_b64 exec, exec, s[6:7]
	s_and_saveexec_b64 s[6:7], s[4:5]
	s_cbranch_execz .LBB1_29783
; %bb.52399:
	s_getpc_b64 s[14:15]
.Lpost_getpc11863:
	s_add_u32 s14, s14, (.LBB1_2223-.Lpost_getpc11863)&4294967295
	s_addc_u32 s15, s15, (.LBB1_2223-.Lpost_getpc11863)>>32
	s_setpc_b64 s[14:15]
.LBB1_29783:
	s_getpc_b64 s[14:15]
.Lpost_getpc555:
	s_add_u32 s14, s14, (.LBB1_2224-.Lpost_getpc555)&4294967295
	s_addc_u32 s15, s15, (.LBB1_2224-.Lpost_getpc555)>>32
	s_setpc_b64 s[14:15]
.LBB1_16561:
	s_movk_i32 s4, 0x80
	v_cmp_eq_u16_e32 vcc, s4, v6
	s_mov_b64 s[4:5], -1
                                        ; implicit-def: $sgpr10
	s_and_saveexec_b64 s[8:9], vcc
; %bb.16562:
	s_mov_b32 s10, 0x7f800001
	s_xor_b64 s[4:5], exec, -1
; %bb.16563:
	s_or_b64 exec, exec, s[8:9]
	s_and_b64 s[4:5], s[4:5], exec
                                        ; implicit-def: $vgpr6
	s_or_saveexec_b64 s[6:7], s[6:7]
	v_mov_b32_e32 v2, s10
	s_xor_b64 exec, exec, s[6:7]
	s_cbranch_execnz .LBB1_16564
; %bb.52401:
	s_getpc_b64 s[14:15]
.Lpost_getpc11864:
	s_add_u32 s14, s14, (.LBB1_2226-.Lpost_getpc11864)&4294967295
	s_addc_u32 s15, s15, (.LBB1_2226-.Lpost_getpc11864)>>32
	s_setpc_b64 s[14:15]
.LBB1_16564:
	v_cmp_ne_u16_e32 vcc, 0, v6
	s_andn2_b64 s[4:5], s[4:5], exec
	s_and_b64 s[8:9], vcc, exec
	v_mov_b32_e32 v2, 0
	s_or_b64 s[4:5], s[4:5], s[8:9]
	s_or_b64 exec, exec, s[6:7]
	s_and_saveexec_b64 s[6:7], s[4:5]
	s_cbranch_execz .LBB1_29785
; %bb.52403:
	s_getpc_b64 s[14:15]
.Lpost_getpc11865:
	s_add_u32 s14, s14, (.LBB1_2227-.Lpost_getpc11865)&4294967295
	s_addc_u32 s15, s15, (.LBB1_2227-.Lpost_getpc11865)>>32
	s_setpc_b64 s[14:15]
.LBB1_29785:
	s_getpc_b64 s[14:15]
.Lpost_getpc556:
	s_add_u32 s14, s14, (.LBB1_2228-.Lpost_getpc556)&4294967295
	s_addc_u32 s15, s15, (.LBB1_2228-.Lpost_getpc556)>>32
	s_setpc_b64 s[14:15]
.LBB1_16565:
	s_movk_i32 s4, 0x80
	v_cmp_eq_u16_e32 vcc, s4, v6
	s_mov_b64 s[4:5], -1
                                        ; implicit-def: $sgpr10
	s_and_saveexec_b64 s[8:9], vcc
; %bb.16566:
	s_mov_b32 s10, 0x7f800001
	s_xor_b64 s[4:5], exec, -1
; %bb.16567:
	s_or_b64 exec, exec, s[8:9]
	s_and_b64 s[4:5], s[4:5], exec
                                        ; implicit-def: $vgpr6
	s_or_saveexec_b64 s[6:7], s[6:7]
	v_mov_b32_e32 v12, s10
	s_xor_b64 exec, exec, s[6:7]
	s_cbranch_execnz .LBB1_16568
; %bb.52405:
	s_getpc_b64 s[14:15]
.Lpost_getpc11866:
	s_add_u32 s14, s14, (.LBB1_2230-.Lpost_getpc11866)&4294967295
	s_addc_u32 s15, s15, (.LBB1_2230-.Lpost_getpc11866)>>32
	s_setpc_b64 s[14:15]
.LBB1_16568:
	v_cmp_ne_u16_e32 vcc, 0, v6
	s_andn2_b64 s[4:5], s[4:5], exec
	s_and_b64 s[8:9], vcc, exec
	v_mov_b32_e32 v12, 0
	s_or_b64 s[4:5], s[4:5], s[8:9]
	s_or_b64 exec, exec, s[6:7]
	s_and_saveexec_b64 s[6:7], s[4:5]
	s_cbranch_execz .LBB1_29787
; %bb.52407:
	s_getpc_b64 s[14:15]
.Lpost_getpc11867:
	s_add_u32 s14, s14, (.LBB1_2231-.Lpost_getpc11867)&4294967295
	s_addc_u32 s15, s15, (.LBB1_2231-.Lpost_getpc11867)>>32
	s_setpc_b64 s[14:15]
.LBB1_29787:
	s_getpc_b64 s[14:15]
.Lpost_getpc557:
	s_add_u32 s14, s14, (.LBB1_2232-.Lpost_getpc557)&4294967295
	s_addc_u32 s15, s15, (.LBB1_2232-.Lpost_getpc557)>>32
	s_setpc_b64 s[14:15]
.LBB1_16569:
	s_movk_i32 s4, 0x80
	v_cmp_eq_u16_sdwa s[12:13], v7, s4 src0_sel:BYTE_3 src1_sel:DWORD
	s_mov_b64 s[4:5], -1
                                        ; implicit-def: $sgpr10
	s_and_saveexec_b64 s[8:9], s[12:13]
; %bb.16570:
	s_mov_b32 s10, 0x7f800001
	s_xor_b64 s[4:5], exec, -1
; %bb.16571:
	s_or_b64 exec, exec, s[8:9]
	s_and_b64 s[4:5], s[4:5], exec
	s_or_saveexec_b64 s[6:7], s[6:7]
	v_mov_b32_e32 v2, s10
	s_xor_b64 exec, exec, s[6:7]
	s_cbranch_execnz .LBB1_16572
; %bb.52409:
	s_getpc_b64 s[14:15]
.Lpost_getpc11868:
	s_add_u32 s14, s14, (.LBB1_2234-.Lpost_getpc11868)&4294967295
	s_addc_u32 s15, s15, (.LBB1_2234-.Lpost_getpc11868)>>32
	s_setpc_b64 s[14:15]
.LBB1_16572:
	v_mov_b32_e32 v2, 0
	v_cmp_ne_u16_sdwa s[8:9], v7, v2 src0_sel:BYTE_3 src1_sel:DWORD
	s_andn2_b64 s[4:5], s[4:5], exec
	s_and_b64 s[8:9], s[8:9], exec
	s_or_b64 s[4:5], s[4:5], s[8:9]
	s_or_b64 exec, exec, s[6:7]
	s_and_saveexec_b64 s[6:7], s[4:5]
	s_cbranch_execz .LBB1_29789
; %bb.52411:
	s_getpc_b64 s[14:15]
.Lpost_getpc11869:
	s_add_u32 s14, s14, (.LBB1_2235-.Lpost_getpc11869)&4294967295
	s_addc_u32 s15, s15, (.LBB1_2235-.Lpost_getpc11869)>>32
	s_setpc_b64 s[14:15]
.LBB1_29789:
	s_getpc_b64 s[14:15]
.Lpost_getpc558:
	s_add_u32 s14, s14, (.LBB1_2236-.Lpost_getpc558)&4294967295
	s_addc_u32 s15, s15, (.LBB1_2236-.Lpost_getpc558)>>32
	s_setpc_b64 s[14:15]
.LBB1_16573:
	s_movk_i32 s4, 0x80
	v_cmp_eq_u16_sdwa s[12:13], v3, s4 src0_sel:BYTE_3 src1_sel:DWORD
	s_mov_b64 s[4:5], -1
                                        ; implicit-def: $sgpr10
	s_and_saveexec_b64 s[8:9], s[12:13]
; %bb.16574:
	s_mov_b32 s10, 0x7f800001
	s_xor_b64 s[4:5], exec, -1
; %bb.16575:
	s_or_b64 exec, exec, s[8:9]
	s_and_b64 s[4:5], s[4:5], exec
	s_or_saveexec_b64 s[6:7], s[6:7]
	v_mov_b32_e32 v6, s10
	s_xor_b64 exec, exec, s[6:7]
	s_cbranch_execnz .LBB1_16576
; %bb.52413:
	s_getpc_b64 s[14:15]
.Lpost_getpc11870:
	s_add_u32 s14, s14, (.LBB1_2238-.Lpost_getpc11870)&4294967295
	s_addc_u32 s15, s15, (.LBB1_2238-.Lpost_getpc11870)>>32
	s_setpc_b64 s[14:15]
.LBB1_16576:
	v_mov_b32_e32 v6, 0
	v_cmp_ne_u16_sdwa s[8:9], v3, v6 src0_sel:BYTE_3 src1_sel:DWORD
	s_andn2_b64 s[4:5], s[4:5], exec
	s_and_b64 s[8:9], s[8:9], exec
	s_or_b64 s[4:5], s[4:5], s[8:9]
	s_or_b64 exec, exec, s[6:7]
	s_and_saveexec_b64 s[6:7], s[4:5]
	s_cbranch_execz .LBB1_29791
; %bb.52415:
	s_getpc_b64 s[14:15]
.Lpost_getpc11871:
	s_add_u32 s14, s14, (.LBB1_2239-.Lpost_getpc11871)&4294967295
	s_addc_u32 s15, s15, (.LBB1_2239-.Lpost_getpc11871)>>32
	s_setpc_b64 s[14:15]
.LBB1_29791:
	s_getpc_b64 s[14:15]
.Lpost_getpc559:
	s_add_u32 s14, s14, (.LBB1_2240-.Lpost_getpc559)&4294967295
	s_addc_u32 s15, s15, (.LBB1_2240-.Lpost_getpc559)>>32
	s_setpc_b64 s[14:15]
.LBB1_16577:
	s_movk_i32 s4, 0x80
	v_cmp_eq_u16_sdwa s[12:13], v8, s4 src0_sel:BYTE_0 src1_sel:DWORD
	s_mov_b64 s[4:5], -1
                                        ; implicit-def: $sgpr10
	s_and_saveexec_b64 s[8:9], s[12:13]
; %bb.16578:
	s_mov_b32 s10, 0x7f800001
	s_xor_b64 s[4:5], exec, -1
; %bb.16579:
	s_or_b64 exec, exec, s[8:9]
	s_and_b64 s[4:5], s[4:5], exec
	s_or_saveexec_b64 s[6:7], s[6:7]
	v_mov_b32_e32 v2, s10
	s_xor_b64 exec, exec, s[6:7]
	s_cbranch_execnz .LBB1_16580
; %bb.52417:
	s_getpc_b64 s[14:15]
.Lpost_getpc11872:
	s_add_u32 s14, s14, (.LBB1_2242-.Lpost_getpc11872)&4294967295
	s_addc_u32 s15, s15, (.LBB1_2242-.Lpost_getpc11872)>>32
	s_setpc_b64 s[14:15]
.LBB1_16580:
	v_mov_b32_e32 v2, 0
	v_cmp_ne_u16_sdwa s[8:9], v8, v2 src0_sel:BYTE_0 src1_sel:DWORD
	s_andn2_b64 s[4:5], s[4:5], exec
	s_and_b64 s[8:9], s[8:9], exec
	s_or_b64 s[4:5], s[4:5], s[8:9]
	s_or_b64 exec, exec, s[6:7]
	s_and_saveexec_b64 s[6:7], s[4:5]
	s_cbranch_execz .LBB1_29793
; %bb.52419:
	s_getpc_b64 s[14:15]
.Lpost_getpc11873:
	s_add_u32 s14, s14, (.LBB1_2243-.Lpost_getpc11873)&4294967295
	s_addc_u32 s15, s15, (.LBB1_2243-.Lpost_getpc11873)>>32
	s_setpc_b64 s[14:15]
.LBB1_29793:
	s_getpc_b64 s[14:15]
.Lpost_getpc560:
	s_add_u32 s14, s14, (.LBB1_2244-.Lpost_getpc560)&4294967295
	s_addc_u32 s15, s15, (.LBB1_2244-.Lpost_getpc560)>>32
	s_setpc_b64 s[14:15]
.LBB1_16581:
	s_movk_i32 s4, 0x80
	v_cmp_eq_u16_sdwa s[12:13], v4, s4 src0_sel:BYTE_0 src1_sel:DWORD
	s_mov_b64 s[4:5], -1
                                        ; implicit-def: $sgpr10
	s_and_saveexec_b64 s[8:9], s[12:13]
; %bb.16582:
	s_mov_b32 s10, 0x7f800001
	s_xor_b64 s[4:5], exec, -1
; %bb.16583:
	s_or_b64 exec, exec, s[8:9]
	s_and_b64 s[4:5], s[4:5], exec
	s_or_saveexec_b64 s[6:7], s[6:7]
	v_mov_b32_e32 v3, s10
	s_xor_b64 exec, exec, s[6:7]
	s_cbranch_execnz .LBB1_16584
; %bb.52421:
	s_getpc_b64 s[14:15]
.Lpost_getpc11874:
	s_add_u32 s14, s14, (.LBB1_2246-.Lpost_getpc11874)&4294967295
	s_addc_u32 s15, s15, (.LBB1_2246-.Lpost_getpc11874)>>32
	s_setpc_b64 s[14:15]
.LBB1_16584:
	v_mov_b32_e32 v3, 0
	v_cmp_ne_u16_sdwa s[8:9], v4, v3 src0_sel:BYTE_0 src1_sel:DWORD
	s_andn2_b64 s[4:5], s[4:5], exec
	s_and_b64 s[8:9], s[8:9], exec
	s_or_b64 s[4:5], s[4:5], s[8:9]
	s_or_b64 exec, exec, s[6:7]
	s_and_saveexec_b64 s[6:7], s[4:5]
	s_cbranch_execz .LBB1_29795
; %bb.52423:
	s_getpc_b64 s[14:15]
.Lpost_getpc11875:
	s_add_u32 s14, s14, (.LBB1_2247-.Lpost_getpc11875)&4294967295
	s_addc_u32 s15, s15, (.LBB1_2247-.Lpost_getpc11875)>>32
	s_setpc_b64 s[14:15]
.LBB1_29795:
	s_getpc_b64 s[14:15]
.Lpost_getpc561:
	s_add_u32 s14, s14, (.LBB1_2248-.Lpost_getpc561)&4294967295
	s_addc_u32 s15, s15, (.LBB1_2248-.Lpost_getpc561)>>32
	s_setpc_b64 s[14:15]
.LBB1_16585:
	s_movk_i32 s4, 0x80
	v_cmp_eq_u16_sdwa s[12:13], v3, s4 src0_sel:BYTE_0 src1_sel:DWORD
	s_mov_b64 s[4:5], -1
                                        ; implicit-def: $sgpr10
	s_and_saveexec_b64 s[8:9], s[12:13]
; %bb.16586:
	s_mov_b32 s10, 0x7f800001
	s_xor_b64 s[4:5], exec, -1
; %bb.16587:
	s_or_b64 exec, exec, s[8:9]
	s_and_b64 s[4:5], s[4:5], exec
	s_or_saveexec_b64 s[6:7], s[6:7]
	v_mov_b32_e32 v2, s10
	s_xor_b64 exec, exec, s[6:7]
	s_cbranch_execnz .LBB1_16588
; %bb.52425:
	s_getpc_b64 s[14:15]
.Lpost_getpc11876:
	s_add_u32 s14, s14, (.LBB1_2250-.Lpost_getpc11876)&4294967295
	s_addc_u32 s15, s15, (.LBB1_2250-.Lpost_getpc11876)>>32
	s_setpc_b64 s[14:15]
.LBB1_16588:
	v_mov_b32_e32 v2, 0
	v_cmp_ne_u16_sdwa s[8:9], v3, v2 src0_sel:BYTE_0 src1_sel:DWORD
	s_andn2_b64 s[4:5], s[4:5], exec
	s_and_b64 s[8:9], s[8:9], exec
	s_or_b64 s[4:5], s[4:5], s[8:9]
	s_or_b64 exec, exec, s[6:7]
	s_and_saveexec_b64 s[6:7], s[4:5]
	s_cbranch_execz .LBB1_29797
; %bb.52427:
	s_getpc_b64 s[14:15]
.Lpost_getpc11877:
	s_add_u32 s14, s14, (.LBB1_2251-.Lpost_getpc11877)&4294967295
	s_addc_u32 s15, s15, (.LBB1_2251-.Lpost_getpc11877)>>32
	s_setpc_b64 s[14:15]
.LBB1_29797:
	s_getpc_b64 s[14:15]
.Lpost_getpc562:
	s_add_u32 s14, s14, (.LBB1_2252-.Lpost_getpc562)&4294967295
	s_addc_u32 s15, s15, (.LBB1_2252-.Lpost_getpc562)>>32
	s_setpc_b64 s[14:15]
.LBB1_16589:
	s_movk_i32 s4, 0x80
	v_cmp_eq_u16_sdwa s[12:13], v3, s4 src0_sel:BYTE_0 src1_sel:DWORD
	s_mov_b64 s[4:5], -1
                                        ; implicit-def: $sgpr10
	s_and_saveexec_b64 s[8:9], s[12:13]
; %bb.16590:
	s_mov_b32 s10, 0x7f800001
	s_xor_b64 s[4:5], exec, -1
; %bb.16591:
	s_or_b64 exec, exec, s[8:9]
	s_and_b64 s[4:5], s[4:5], exec
	s_or_saveexec_b64 s[6:7], s[6:7]
	v_mov_b32_e32 v6, s10
	s_xor_b64 exec, exec, s[6:7]
	s_cbranch_execnz .LBB1_16592
; %bb.52429:
	s_getpc_b64 s[14:15]
.Lpost_getpc11878:
	s_add_u32 s14, s14, (.LBB1_2254-.Lpost_getpc11878)&4294967295
	s_addc_u32 s15, s15, (.LBB1_2254-.Lpost_getpc11878)>>32
	s_setpc_b64 s[14:15]
.LBB1_16592:
	v_mov_b32_e32 v6, 0
	v_cmp_ne_u16_sdwa s[8:9], v3, v6 src0_sel:BYTE_0 src1_sel:DWORD
	s_andn2_b64 s[4:5], s[4:5], exec
	s_and_b64 s[8:9], s[8:9], exec
	s_or_b64 s[4:5], s[4:5], s[8:9]
	s_or_b64 exec, exec, s[6:7]
	s_and_saveexec_b64 s[6:7], s[4:5]
	s_cbranch_execz .LBB1_29799
; %bb.52431:
	s_getpc_b64 s[14:15]
.Lpost_getpc11879:
	s_add_u32 s14, s14, (.LBB1_2255-.Lpost_getpc11879)&4294967295
	s_addc_u32 s15, s15, (.LBB1_2255-.Lpost_getpc11879)>>32
	s_setpc_b64 s[14:15]
.LBB1_29799:
	s_getpc_b64 s[14:15]
.Lpost_getpc563:
	s_add_u32 s14, s14, (.LBB1_2256-.Lpost_getpc563)&4294967295
	s_addc_u32 s15, s15, (.LBB1_2256-.Lpost_getpc563)>>32
	s_setpc_b64 s[14:15]
.LBB1_16593:
	s_movk_i32 s4, 0x80
	v_cmp_eq_u16_e32 vcc, s4, v3
	s_mov_b64 s[4:5], -1
                                        ; implicit-def: $sgpr10
	s_and_saveexec_b64 s[8:9], vcc
; %bb.16594:
	s_mov_b32 s10, 0x7f800001
	s_xor_b64 s[4:5], exec, -1
; %bb.16595:
	s_or_b64 exec, exec, s[8:9]
	s_and_b64 s[4:5], s[4:5], exec
                                        ; implicit-def: $vgpr3
	s_or_saveexec_b64 s[6:7], s[6:7]
	v_mov_b32_e32 v2, s10
	s_xor_b64 exec, exec, s[6:7]
	s_cbranch_execnz .LBB1_16596
; %bb.52433:
	s_getpc_b64 s[14:15]
.Lpost_getpc11880:
	s_add_u32 s14, s14, (.LBB1_2258-.Lpost_getpc11880)&4294967295
	s_addc_u32 s15, s15, (.LBB1_2258-.Lpost_getpc11880)>>32
	s_setpc_b64 s[14:15]
.LBB1_16596:
	v_cmp_ne_u16_e32 vcc, 0, v3
	s_andn2_b64 s[4:5], s[4:5], exec
	s_and_b64 s[8:9], vcc, exec
	v_mov_b32_e32 v2, 0
	s_or_b64 s[4:5], s[4:5], s[8:9]
	s_or_b64 exec, exec, s[6:7]
	s_and_saveexec_b64 s[6:7], s[4:5]
	s_cbranch_execz .LBB1_29801
; %bb.52435:
	s_getpc_b64 s[14:15]
.Lpost_getpc11881:
	s_add_u32 s14, s14, (.LBB1_2259-.Lpost_getpc11881)&4294967295
	s_addc_u32 s15, s15, (.LBB1_2259-.Lpost_getpc11881)>>32
	s_setpc_b64 s[14:15]
.LBB1_29801:
	s_getpc_b64 s[14:15]
.Lpost_getpc564:
	s_add_u32 s14, s14, (.LBB1_2260-.Lpost_getpc564)&4294967295
	s_addc_u32 s15, s15, (.LBB1_2260-.Lpost_getpc564)>>32
	s_setpc_b64 s[14:15]
.LBB1_16597:
	s_movk_i32 s4, 0x80
	v_cmp_eq_u16_e32 vcc, s4, v3
	s_mov_b64 s[4:5], -1
                                        ; implicit-def: $sgpr10
	s_and_saveexec_b64 s[8:9], vcc
; %bb.16598:
	s_mov_b32 s10, 0x7f800001
	s_xor_b64 s[4:5], exec, -1
; %bb.16599:
	s_or_b64 exec, exec, s[8:9]
	s_and_b64 s[4:5], s[4:5], exec
                                        ; implicit-def: $vgpr3
	s_or_saveexec_b64 s[6:7], s[6:7]
	v_mov_b32_e32 v6, s10
	s_xor_b64 exec, exec, s[6:7]
	s_cbranch_execnz .LBB1_16600
; %bb.52437:
	s_getpc_b64 s[14:15]
.Lpost_getpc11882:
	s_add_u32 s14, s14, (.LBB1_2262-.Lpost_getpc11882)&4294967295
	s_addc_u32 s15, s15, (.LBB1_2262-.Lpost_getpc11882)>>32
	s_setpc_b64 s[14:15]
.LBB1_16600:
	v_cmp_ne_u16_e32 vcc, 0, v3
	s_andn2_b64 s[4:5], s[4:5], exec
	s_and_b64 s[8:9], vcc, exec
	v_mov_b32_e32 v6, 0
	s_or_b64 s[4:5], s[4:5], s[8:9]
	s_or_b64 exec, exec, s[6:7]
	s_and_saveexec_b64 s[6:7], s[4:5]
	s_cbranch_execz .LBB1_29803
; %bb.52439:
	s_getpc_b64 s[14:15]
.Lpost_getpc11883:
	s_add_u32 s14, s14, (.LBB1_2263-.Lpost_getpc11883)&4294967295
	s_addc_u32 s15, s15, (.LBB1_2263-.Lpost_getpc11883)>>32
	s_setpc_b64 s[14:15]
.LBB1_29803:
	s_getpc_b64 s[14:15]
.Lpost_getpc565:
	s_add_u32 s14, s14, (.LBB1_2264-.Lpost_getpc565)&4294967295
	s_addc_u32 s15, s15, (.LBB1_2264-.Lpost_getpc565)>>32
	s_setpc_b64 s[14:15]
.LBB1_16601:
	s_movk_i32 s4, 0x80
	v_cmp_eq_u16_sdwa s[12:13], v8, s4 src0_sel:BYTE_3 src1_sel:DWORD
	s_mov_b64 s[4:5], -1
                                        ; implicit-def: $sgpr10
	s_and_saveexec_b64 s[8:9], s[12:13]
; %bb.16602:
	s_mov_b32 s10, 0x7f800001
	s_xor_b64 s[4:5], exec, -1
; %bb.16603:
	s_or_b64 exec, exec, s[8:9]
	s_and_b64 s[4:5], s[4:5], exec
	s_or_saveexec_b64 s[6:7], s[6:7]
	v_mov_b32_e32 v2, s10
	s_xor_b64 exec, exec, s[6:7]
	s_cbranch_execnz .LBB1_16604
; %bb.52441:
	s_getpc_b64 s[14:15]
.Lpost_getpc11884:
	s_add_u32 s14, s14, (.LBB1_2266-.Lpost_getpc11884)&4294967295
	s_addc_u32 s15, s15, (.LBB1_2266-.Lpost_getpc11884)>>32
	s_setpc_b64 s[14:15]
.LBB1_16604:
	v_mov_b32_e32 v2, 0
	v_cmp_ne_u16_sdwa s[8:9], v8, v2 src0_sel:BYTE_3 src1_sel:DWORD
	s_andn2_b64 s[4:5], s[4:5], exec
	s_and_b64 s[8:9], s[8:9], exec
	s_or_b64 s[4:5], s[4:5], s[8:9]
	s_or_b64 exec, exec, s[6:7]
	s_and_saveexec_b64 s[6:7], s[4:5]
	s_cbranch_execz .LBB1_29805
; %bb.52443:
	s_getpc_b64 s[14:15]
.Lpost_getpc11885:
	s_add_u32 s14, s14, (.LBB1_2267-.Lpost_getpc11885)&4294967295
	s_addc_u32 s15, s15, (.LBB1_2267-.Lpost_getpc11885)>>32
	s_setpc_b64 s[14:15]
.LBB1_29805:
	s_getpc_b64 s[14:15]
.Lpost_getpc566:
	s_add_u32 s14, s14, (.LBB1_2268-.Lpost_getpc566)&4294967295
	s_addc_u32 s15, s15, (.LBB1_2268-.Lpost_getpc566)>>32
	s_setpc_b64 s[14:15]
.LBB1_16605:
	s_movk_i32 s4, 0x80
	v_cmp_eq_u16_sdwa s[12:13], v4, s4 src0_sel:BYTE_3 src1_sel:DWORD
	s_mov_b64 s[4:5], -1
                                        ; implicit-def: $sgpr10
	s_and_saveexec_b64 s[8:9], s[12:13]
; %bb.16606:
	s_mov_b32 s10, 0x7f800001
	s_xor_b64 s[4:5], exec, -1
; %bb.16607:
	s_or_b64 exec, exec, s[8:9]
	s_and_b64 s[4:5], s[4:5], exec
	s_or_saveexec_b64 s[6:7], s[6:7]
	v_mov_b32_e32 v3, s10
	s_xor_b64 exec, exec, s[6:7]
	s_cbranch_execnz .LBB1_16608
; %bb.52445:
	s_getpc_b64 s[14:15]
.Lpost_getpc11886:
	s_add_u32 s14, s14, (.LBB1_2270-.Lpost_getpc11886)&4294967295
	s_addc_u32 s15, s15, (.LBB1_2270-.Lpost_getpc11886)>>32
	s_setpc_b64 s[14:15]
.LBB1_16608:
	v_mov_b32_e32 v3, 0
	v_cmp_ne_u16_sdwa s[8:9], v4, v3 src0_sel:BYTE_3 src1_sel:DWORD
	s_andn2_b64 s[4:5], s[4:5], exec
	s_and_b64 s[8:9], s[8:9], exec
	s_or_b64 s[4:5], s[4:5], s[8:9]
	s_or_b64 exec, exec, s[6:7]
	s_and_saveexec_b64 s[6:7], s[4:5]
	s_cbranch_execz .LBB1_29807
; %bb.52447:
	s_getpc_b64 s[14:15]
.Lpost_getpc11887:
	s_add_u32 s14, s14, (.LBB1_2271-.Lpost_getpc11887)&4294967295
	s_addc_u32 s15, s15, (.LBB1_2271-.Lpost_getpc11887)>>32
	s_setpc_b64 s[14:15]
.LBB1_29807:
	s_getpc_b64 s[14:15]
.Lpost_getpc567:
	s_add_u32 s14, s14, (.LBB1_2272-.Lpost_getpc567)&4294967295
	s_addc_u32 s15, s15, (.LBB1_2272-.Lpost_getpc567)>>32
	s_setpc_b64 s[14:15]
.LBB1_16609:
	s_movk_i32 s4, 0x80
	v_cmp_eq_u16_sdwa s[12:13], v9, s4 src0_sel:BYTE_0 src1_sel:DWORD
	s_mov_b64 s[4:5], -1
                                        ; implicit-def: $sgpr10
	s_and_saveexec_b64 s[8:9], s[12:13]
; %bb.16610:
	s_mov_b32 s10, 0x7f800001
	s_xor_b64 s[4:5], exec, -1
; %bb.16611:
	s_or_b64 exec, exec, s[8:9]
	s_and_b64 s[4:5], s[4:5], exec
	s_or_saveexec_b64 s[6:7], s[6:7]
	v_mov_b32_e32 v2, s10
	s_xor_b64 exec, exec, s[6:7]
	s_cbranch_execnz .LBB1_16612
; %bb.52449:
	s_getpc_b64 s[14:15]
.Lpost_getpc11888:
	s_add_u32 s14, s14, (.LBB1_2274-.Lpost_getpc11888)&4294967295
	s_addc_u32 s15, s15, (.LBB1_2274-.Lpost_getpc11888)>>32
	s_setpc_b64 s[14:15]
.LBB1_16612:
	v_mov_b32_e32 v2, 0
	v_cmp_ne_u16_sdwa s[8:9], v9, v2 src0_sel:BYTE_0 src1_sel:DWORD
	s_andn2_b64 s[4:5], s[4:5], exec
	s_and_b64 s[8:9], s[8:9], exec
	s_or_b64 s[4:5], s[4:5], s[8:9]
	s_or_b64 exec, exec, s[6:7]
	s_and_saveexec_b64 s[6:7], s[4:5]
	s_cbranch_execz .LBB1_29809
; %bb.52451:
	s_getpc_b64 s[14:15]
.Lpost_getpc11889:
	s_add_u32 s14, s14, (.LBB1_2275-.Lpost_getpc11889)&4294967295
	s_addc_u32 s15, s15, (.LBB1_2275-.Lpost_getpc11889)>>32
	s_setpc_b64 s[14:15]
.LBB1_29809:
	s_getpc_b64 s[14:15]
.Lpost_getpc568:
	s_add_u32 s14, s14, (.LBB1_2276-.Lpost_getpc568)&4294967295
	s_addc_u32 s15, s15, (.LBB1_2276-.Lpost_getpc568)>>32
	s_setpc_b64 s[14:15]
.LBB1_16613:
	s_movk_i32 s4, 0x80
	v_cmp_eq_u16_sdwa s[12:13], v5, s4 src0_sel:BYTE_0 src1_sel:DWORD
	s_mov_b64 s[4:5], -1
                                        ; implicit-def: $sgpr10
	s_and_saveexec_b64 s[8:9], s[12:13]
; %bb.16614:
	s_mov_b32 s10, 0x7f800001
	s_xor_b64 s[4:5], exec, -1
; %bb.16615:
	s_or_b64 exec, exec, s[8:9]
	s_and_b64 s[4:5], s[4:5], exec
	s_or_saveexec_b64 s[6:7], s[6:7]
	v_mov_b32_e32 v3, s10
	s_xor_b64 exec, exec, s[6:7]
	s_cbranch_execnz .LBB1_16616
; %bb.52453:
	s_getpc_b64 s[14:15]
.Lpost_getpc11890:
	s_add_u32 s14, s14, (.LBB1_2278-.Lpost_getpc11890)&4294967295
	s_addc_u32 s15, s15, (.LBB1_2278-.Lpost_getpc11890)>>32
	s_setpc_b64 s[14:15]
.LBB1_16616:
	v_mov_b32_e32 v3, 0
	v_cmp_ne_u16_sdwa s[8:9], v5, v3 src0_sel:BYTE_0 src1_sel:DWORD
	s_andn2_b64 s[4:5], s[4:5], exec
	s_and_b64 s[8:9], s[8:9], exec
	s_or_b64 s[4:5], s[4:5], s[8:9]
	s_or_b64 exec, exec, s[6:7]
	s_and_saveexec_b64 s[6:7], s[4:5]
	s_cbranch_execz .LBB1_29811
; %bb.52455:
	s_getpc_b64 s[14:15]
.Lpost_getpc11891:
	s_add_u32 s14, s14, (.LBB1_2279-.Lpost_getpc11891)&4294967295
	s_addc_u32 s15, s15, (.LBB1_2279-.Lpost_getpc11891)>>32
	s_setpc_b64 s[14:15]
.LBB1_29811:
	s_getpc_b64 s[14:15]
.Lpost_getpc569:
	s_add_u32 s14, s14, (.LBB1_2280-.Lpost_getpc569)&4294967295
	s_addc_u32 s15, s15, (.LBB1_2280-.Lpost_getpc569)>>32
	s_setpc_b64 s[14:15]
.LBB1_16617:
	s_movk_i32 s4, 0x80
	v_cmp_eq_u16_sdwa s[12:13], v3, s4 src0_sel:BYTE_0 src1_sel:DWORD
	s_mov_b64 s[4:5], -1
                                        ; implicit-def: $sgpr10
	s_and_saveexec_b64 s[8:9], s[12:13]
; %bb.16618:
	s_mov_b32 s10, 0x7f800001
	s_xor_b64 s[4:5], exec, -1
; %bb.16619:
	s_or_b64 exec, exec, s[8:9]
	s_and_b64 s[4:5], s[4:5], exec
	s_or_saveexec_b64 s[6:7], s[6:7]
	v_mov_b32_e32 v2, s10
	s_xor_b64 exec, exec, s[6:7]
	s_cbranch_execnz .LBB1_16620
; %bb.52457:
	s_getpc_b64 s[14:15]
.Lpost_getpc11892:
	s_add_u32 s14, s14, (.LBB1_2282-.Lpost_getpc11892)&4294967295
	s_addc_u32 s15, s15, (.LBB1_2282-.Lpost_getpc11892)>>32
	s_setpc_b64 s[14:15]
.LBB1_16620:
	v_mov_b32_e32 v2, 0
	v_cmp_ne_u16_sdwa s[8:9], v3, v2 src0_sel:BYTE_0 src1_sel:DWORD
	s_andn2_b64 s[4:5], s[4:5], exec
	s_and_b64 s[8:9], s[8:9], exec
	s_or_b64 s[4:5], s[4:5], s[8:9]
	s_or_b64 exec, exec, s[6:7]
	s_and_saveexec_b64 s[6:7], s[4:5]
	s_cbranch_execz .LBB1_29813
; %bb.52459:
	s_getpc_b64 s[14:15]
.Lpost_getpc11893:
	s_add_u32 s14, s14, (.LBB1_2283-.Lpost_getpc11893)&4294967295
	s_addc_u32 s15, s15, (.LBB1_2283-.Lpost_getpc11893)>>32
	s_setpc_b64 s[14:15]
.LBB1_29813:
	s_getpc_b64 s[14:15]
.Lpost_getpc570:
	s_add_u32 s14, s14, (.LBB1_2284-.Lpost_getpc570)&4294967295
	s_addc_u32 s15, s15, (.LBB1_2284-.Lpost_getpc570)>>32
	s_setpc_b64 s[14:15]
.LBB1_16621:
	s_movk_i32 s4, 0x80
	v_cmp_eq_u16_sdwa s[12:13], v3, s4 src0_sel:BYTE_0 src1_sel:DWORD
	s_mov_b64 s[4:5], -1
                                        ; implicit-def: $sgpr10
	s_and_saveexec_b64 s[8:9], s[12:13]
; %bb.16622:
	s_mov_b32 s10, 0x7f800001
	s_xor_b64 s[4:5], exec, -1
; %bb.16623:
	s_or_b64 exec, exec, s[8:9]
	s_and_b64 s[4:5], s[4:5], exec
	s_or_saveexec_b64 s[6:7], s[6:7]
	v_mov_b32_e32 v4, s10
	s_xor_b64 exec, exec, s[6:7]
	s_cbranch_execnz .LBB1_16624
; %bb.52461:
	s_getpc_b64 s[14:15]
.Lpost_getpc11894:
	s_add_u32 s14, s14, (.LBB1_2286-.Lpost_getpc11894)&4294967295
	s_addc_u32 s15, s15, (.LBB1_2286-.Lpost_getpc11894)>>32
	s_setpc_b64 s[14:15]
.LBB1_16624:
	v_mov_b32_e32 v4, 0
	v_cmp_ne_u16_sdwa s[8:9], v3, v4 src0_sel:BYTE_0 src1_sel:DWORD
	s_andn2_b64 s[4:5], s[4:5], exec
	s_and_b64 s[8:9], s[8:9], exec
	s_or_b64 s[4:5], s[4:5], s[8:9]
	s_or_b64 exec, exec, s[6:7]
	s_and_saveexec_b64 s[6:7], s[4:5]
	s_cbranch_execz .LBB1_29815
; %bb.52463:
	s_getpc_b64 s[14:15]
.Lpost_getpc11895:
	s_add_u32 s14, s14, (.LBB1_2287-.Lpost_getpc11895)&4294967295
	s_addc_u32 s15, s15, (.LBB1_2287-.Lpost_getpc11895)>>32
	s_setpc_b64 s[14:15]
.LBB1_29815:
	s_getpc_b64 s[14:15]
.Lpost_getpc571:
	s_add_u32 s14, s14, (.LBB1_2288-.Lpost_getpc571)&4294967295
	s_addc_u32 s15, s15, (.LBB1_2288-.Lpost_getpc571)>>32
	s_setpc_b64 s[14:15]
.LBB1_16625:
	s_movk_i32 s4, 0x80
	v_cmp_eq_u16_e32 vcc, s4, v3
	s_mov_b64 s[4:5], -1
                                        ; implicit-def: $sgpr10
	s_and_saveexec_b64 s[8:9], vcc
; %bb.16626:
	s_mov_b32 s10, 0x7f800001
	s_xor_b64 s[4:5], exec, -1
; %bb.16627:
	s_or_b64 exec, exec, s[8:9]
	s_and_b64 s[4:5], s[4:5], exec
                                        ; implicit-def: $vgpr3
	s_or_saveexec_b64 s[6:7], s[6:7]
	v_mov_b32_e32 v2, s10
	s_xor_b64 exec, exec, s[6:7]
	s_cbranch_execnz .LBB1_16628
; %bb.52465:
	s_getpc_b64 s[14:15]
.Lpost_getpc11896:
	s_add_u32 s14, s14, (.LBB1_2290-.Lpost_getpc11896)&4294967295
	s_addc_u32 s15, s15, (.LBB1_2290-.Lpost_getpc11896)>>32
	s_setpc_b64 s[14:15]
.LBB1_16628:
	v_cmp_ne_u16_e32 vcc, 0, v3
	s_andn2_b64 s[4:5], s[4:5], exec
	s_and_b64 s[8:9], vcc, exec
	v_mov_b32_e32 v2, 0
	s_or_b64 s[4:5], s[4:5], s[8:9]
	s_or_b64 exec, exec, s[6:7]
	s_and_saveexec_b64 s[6:7], s[4:5]
	s_cbranch_execz .LBB1_29817
; %bb.52467:
	s_getpc_b64 s[14:15]
.Lpost_getpc11897:
	s_add_u32 s14, s14, (.LBB1_2291-.Lpost_getpc11897)&4294967295
	s_addc_u32 s15, s15, (.LBB1_2291-.Lpost_getpc11897)>>32
	s_setpc_b64 s[14:15]
.LBB1_29817:
	s_getpc_b64 s[14:15]
.Lpost_getpc572:
	s_add_u32 s14, s14, (.LBB1_2292-.Lpost_getpc572)&4294967295
	s_addc_u32 s15, s15, (.LBB1_2292-.Lpost_getpc572)>>32
	s_setpc_b64 s[14:15]
.LBB1_16629:
	s_movk_i32 s4, 0x80
	v_cmp_eq_u16_e32 vcc, s4, v3
	s_mov_b64 s[4:5], -1
                                        ; implicit-def: $sgpr10
	s_and_saveexec_b64 s[8:9], vcc
; %bb.16630:
	s_mov_b32 s10, 0x7f800001
	s_xor_b64 s[4:5], exec, -1
; %bb.16631:
	s_or_b64 exec, exec, s[8:9]
	s_and_b64 s[4:5], s[4:5], exec
                                        ; implicit-def: $vgpr3
	s_or_saveexec_b64 s[6:7], s[6:7]
	v_mov_b32_e32 v4, s10
	s_xor_b64 exec, exec, s[6:7]
	s_cbranch_execnz .LBB1_16632
; %bb.52469:
	s_getpc_b64 s[14:15]
.Lpost_getpc11898:
	s_add_u32 s14, s14, (.LBB1_2294-.Lpost_getpc11898)&4294967295
	s_addc_u32 s15, s15, (.LBB1_2294-.Lpost_getpc11898)>>32
	s_setpc_b64 s[14:15]
.LBB1_16632:
	v_cmp_ne_u16_e32 vcc, 0, v3
	s_andn2_b64 s[4:5], s[4:5], exec
	s_and_b64 s[8:9], vcc, exec
	v_mov_b32_e32 v4, 0
	s_or_b64 s[4:5], s[4:5], s[8:9]
	s_or_b64 exec, exec, s[6:7]
	s_and_saveexec_b64 s[6:7], s[4:5]
	s_cbranch_execz .LBB1_29819
; %bb.52471:
	s_getpc_b64 s[14:15]
.Lpost_getpc11899:
	s_add_u32 s14, s14, (.LBB1_2295-.Lpost_getpc11899)&4294967295
	s_addc_u32 s15, s15, (.LBB1_2295-.Lpost_getpc11899)>>32
	s_setpc_b64 s[14:15]
.LBB1_29819:
	s_getpc_b64 s[14:15]
.Lpost_getpc573:
	s_add_u32 s14, s14, (.LBB1_2296-.Lpost_getpc573)&4294967295
	s_addc_u32 s15, s15, (.LBB1_2296-.Lpost_getpc573)>>32
	s_setpc_b64 s[14:15]
.LBB1_16633:
	s_movk_i32 s4, 0x80
	v_cmp_eq_u16_sdwa s[12:13], v9, s4 src0_sel:BYTE_3 src1_sel:DWORD
	s_mov_b64 s[4:5], -1
                                        ; implicit-def: $sgpr10
	s_and_saveexec_b64 s[8:9], s[12:13]
; %bb.16634:
	s_mov_b32 s10, 0x7f800001
	s_xor_b64 s[4:5], exec, -1
; %bb.16635:
	s_or_b64 exec, exec, s[8:9]
	s_and_b64 s[4:5], s[4:5], exec
	s_or_saveexec_b64 s[6:7], s[6:7]
	v_mov_b32_e32 v2, s10
	s_xor_b64 exec, exec, s[6:7]
	s_cbranch_execnz .LBB1_16636
; %bb.52473:
	s_getpc_b64 s[14:15]
.Lpost_getpc11900:
	s_add_u32 s14, s14, (.LBB1_2298-.Lpost_getpc11900)&4294967295
	s_addc_u32 s15, s15, (.LBB1_2298-.Lpost_getpc11900)>>32
	s_setpc_b64 s[14:15]
.LBB1_16636:
	v_mov_b32_e32 v2, 0
	v_cmp_ne_u16_sdwa s[8:9], v9, v2 src0_sel:BYTE_3 src1_sel:DWORD
	s_andn2_b64 s[4:5], s[4:5], exec
	s_and_b64 s[8:9], s[8:9], exec
	s_or_b64 s[4:5], s[4:5], s[8:9]
	s_or_b64 exec, exec, s[6:7]
	s_and_saveexec_b64 s[6:7], s[4:5]
	s_cbranch_execz .LBB1_29821
; %bb.52475:
	s_getpc_b64 s[14:15]
.Lpost_getpc11901:
	s_add_u32 s14, s14, (.LBB1_2299-.Lpost_getpc11901)&4294967295
	s_addc_u32 s15, s15, (.LBB1_2299-.Lpost_getpc11901)>>32
	s_setpc_b64 s[14:15]
.LBB1_29821:
	s_getpc_b64 s[14:15]
.Lpost_getpc574:
	s_add_u32 s14, s14, (.LBB1_2300-.Lpost_getpc574)&4294967295
	s_addc_u32 s15, s15, (.LBB1_2300-.Lpost_getpc574)>>32
	s_setpc_b64 s[14:15]
.LBB1_16637:
	s_movk_i32 s4, 0x80
	v_cmp_eq_u16_sdwa s[12:13], v5, s4 src0_sel:BYTE_3 src1_sel:DWORD
	s_mov_b64 s[4:5], -1
                                        ; implicit-def: $sgpr10
	s_and_saveexec_b64 s[8:9], s[12:13]
; %bb.16638:
	s_mov_b32 s10, 0x7f800001
	s_xor_b64 s[4:5], exec, -1
; %bb.16639:
	s_or_b64 exec, exec, s[8:9]
	s_and_b64 s[4:5], s[4:5], exec
	s_or_saveexec_b64 s[6:7], s[6:7]
	v_mov_b32_e32 v3, s10
	s_xor_b64 exec, exec, s[6:7]
	s_cbranch_execnz .LBB1_16640
; %bb.52477:
	s_getpc_b64 s[14:15]
.Lpost_getpc11902:
	s_add_u32 s14, s14, (.LBB1_2302-.Lpost_getpc11902)&4294967295
	s_addc_u32 s15, s15, (.LBB1_2302-.Lpost_getpc11902)>>32
	s_setpc_b64 s[14:15]
.LBB1_16640:
	v_mov_b32_e32 v3, 0
	v_cmp_ne_u16_sdwa s[8:9], v5, v3 src0_sel:BYTE_3 src1_sel:DWORD
	s_andn2_b64 s[4:5], s[4:5], exec
	s_and_b64 s[8:9], s[8:9], exec
	s_or_b64 s[4:5], s[4:5], s[8:9]
	s_or_b64 exec, exec, s[6:7]
	s_and_saveexec_b64 s[6:7], s[4:5]
	s_cbranch_execz .LBB1_29823
; %bb.52479:
	s_getpc_b64 s[14:15]
.Lpost_getpc11903:
	s_add_u32 s14, s14, (.LBB1_2303-.Lpost_getpc11903)&4294967295
	s_addc_u32 s15, s15, (.LBB1_2303-.Lpost_getpc11903)>>32
	s_setpc_b64 s[14:15]
.LBB1_29823:
	s_getpc_b64 s[14:15]
.Lpost_getpc575:
	s_add_u32 s14, s14, (.LBB1_2304-.Lpost_getpc575)&4294967295
	s_addc_u32 s15, s15, (.LBB1_2304-.Lpost_getpc575)>>32
	s_setpc_b64 s[14:15]
.LBB1_16641:
	s_movk_i32 s4, 0x80
	v_cmp_eq_u16_sdwa s[12:13], v6, s4 src0_sel:BYTE_0 src1_sel:DWORD
	s_mov_b64 s[4:5], -1
                                        ; implicit-def: $sgpr10
	s_and_saveexec_b64 s[8:9], s[12:13]
; %bb.16642:
	s_mov_b32 s10, 0x7f800001
	s_xor_b64 s[4:5], exec, -1
; %bb.16643:
	s_or_b64 exec, exec, s[8:9]
	s_and_b64 s[4:5], s[4:5], exec
	s_or_saveexec_b64 s[6:7], s[6:7]
	v_mov_b32_e32 v12, s10
	s_xor_b64 exec, exec, s[6:7]
	s_cbranch_execnz .LBB1_16644
; %bb.52481:
	s_getpc_b64 s[14:15]
.Lpost_getpc11904:
	s_add_u32 s14, s14, (.LBB1_2306-.Lpost_getpc11904)&4294967295
	s_addc_u32 s15, s15, (.LBB1_2306-.Lpost_getpc11904)>>32
	s_setpc_b64 s[14:15]
.LBB1_16644:
	v_mov_b32_e32 v12, 0
	v_cmp_ne_u16_sdwa s[8:9], v6, v12 src0_sel:BYTE_0 src1_sel:DWORD
	s_andn2_b64 s[4:5], s[4:5], exec
	s_and_b64 s[8:9], s[8:9], exec
	s_or_b64 s[4:5], s[4:5], s[8:9]
	s_or_b64 exec, exec, s[6:7]
	s_and_saveexec_b64 s[6:7], s[4:5]
	s_cbranch_execz .LBB1_29825
; %bb.52483:
	s_getpc_b64 s[14:15]
.Lpost_getpc11905:
	s_add_u32 s14, s14, (.LBB1_2307-.Lpost_getpc11905)&4294967295
	s_addc_u32 s15, s15, (.LBB1_2307-.Lpost_getpc11905)>>32
	s_setpc_b64 s[14:15]
.LBB1_29825:
	s_getpc_b64 s[14:15]
.Lpost_getpc576:
	s_add_u32 s14, s14, (.LBB1_2308-.Lpost_getpc576)&4294967295
	s_addc_u32 s15, s15, (.LBB1_2308-.Lpost_getpc576)>>32
	s_setpc_b64 s[14:15]
.LBB1_16645:
	s_movk_i32 s4, 0x80
	v_cmp_eq_u16_sdwa s[12:13], v2, s4 src0_sel:BYTE_0 src1_sel:DWORD
	s_mov_b64 s[4:5], -1
                                        ; implicit-def: $sgpr10
	s_and_saveexec_b64 s[8:9], s[12:13]
; %bb.16646:
	s_mov_b32 s10, 0x7f800001
	s_xor_b64 s[4:5], exec, -1
; %bb.16647:
	s_or_b64 exec, exec, s[8:9]
	s_and_b64 s[4:5], s[4:5], exec
	s_or_saveexec_b64 s[6:7], s[6:7]
	v_mov_b32_e32 v13, s10
	s_xor_b64 exec, exec, s[6:7]
	s_cbranch_execnz .LBB1_16648
; %bb.52485:
	s_getpc_b64 s[14:15]
.Lpost_getpc11906:
	s_add_u32 s14, s14, (.LBB1_2310-.Lpost_getpc11906)&4294967295
	s_addc_u32 s15, s15, (.LBB1_2310-.Lpost_getpc11906)>>32
	s_setpc_b64 s[14:15]
.LBB1_16648:
	v_mov_b32_e32 v13, 0
	v_cmp_ne_u16_sdwa s[8:9], v2, v13 src0_sel:BYTE_0 src1_sel:DWORD
	s_andn2_b64 s[4:5], s[4:5], exec
	s_and_b64 s[8:9], s[8:9], exec
	s_or_b64 s[4:5], s[4:5], s[8:9]
	s_or_b64 exec, exec, s[6:7]
	s_and_saveexec_b64 s[6:7], s[4:5]
	s_cbranch_execz .LBB1_29827
; %bb.52487:
	s_getpc_b64 s[14:15]
.Lpost_getpc11907:
	s_add_u32 s14, s14, (.LBB1_2311-.Lpost_getpc11907)&4294967295
	s_addc_u32 s15, s15, (.LBB1_2311-.Lpost_getpc11907)>>32
	s_setpc_b64 s[14:15]
.LBB1_29827:
	s_getpc_b64 s[14:15]
.Lpost_getpc577:
	s_add_u32 s14, s14, (.LBB1_2312-.Lpost_getpc577)&4294967295
	s_addc_u32 s15, s15, (.LBB1_2312-.Lpost_getpc577)>>32
	s_setpc_b64 s[14:15]
.LBB1_16649:
	s_movk_i32 s4, 0x80
	v_cmp_eq_u16_sdwa s[12:13], v13, s4 src0_sel:BYTE_0 src1_sel:DWORD
	s_mov_b64 s[4:5], -1
                                        ; implicit-def: $sgpr10
	s_and_saveexec_b64 s[8:9], s[12:13]
; %bb.16650:
	s_mov_b32 s10, 0x7f800001
	s_xor_b64 s[4:5], exec, -1
; %bb.16651:
	s_or_b64 exec, exec, s[8:9]
	s_and_b64 s[4:5], s[4:5], exec
	s_or_saveexec_b64 s[6:7], s[6:7]
	v_mov_b32_e32 v12, s10
	s_xor_b64 exec, exec, s[6:7]
	s_cbranch_execnz .LBB1_16652
; %bb.52489:
	s_getpc_b64 s[14:15]
.Lpost_getpc11908:
	s_add_u32 s14, s14, (.LBB1_2314-.Lpost_getpc11908)&4294967295
	s_addc_u32 s15, s15, (.LBB1_2314-.Lpost_getpc11908)>>32
	s_setpc_b64 s[14:15]
.LBB1_16652:
	v_mov_b32_e32 v12, 0
	v_cmp_ne_u16_sdwa s[8:9], v13, v12 src0_sel:BYTE_0 src1_sel:DWORD
	s_andn2_b64 s[4:5], s[4:5], exec
	s_and_b64 s[8:9], s[8:9], exec
	s_or_b64 s[4:5], s[4:5], s[8:9]
	s_or_b64 exec, exec, s[6:7]
	s_and_saveexec_b64 s[6:7], s[4:5]
	s_cbranch_execz .LBB1_29829
; %bb.52491:
	s_getpc_b64 s[14:15]
.Lpost_getpc11909:
	s_add_u32 s14, s14, (.LBB1_2315-.Lpost_getpc11909)&4294967295
	s_addc_u32 s15, s15, (.LBB1_2315-.Lpost_getpc11909)>>32
	s_setpc_b64 s[14:15]
.LBB1_29829:
	s_getpc_b64 s[14:15]
.Lpost_getpc578:
	s_add_u32 s14, s14, (.LBB1_2316-.Lpost_getpc578)&4294967295
	s_addc_u32 s15, s15, (.LBB1_2316-.Lpost_getpc578)>>32
	s_setpc_b64 s[14:15]
.LBB1_16653:
	s_movk_i32 s4, 0x80
	v_cmp_eq_u16_sdwa s[12:13], v13, s4 src0_sel:BYTE_0 src1_sel:DWORD
	s_mov_b64 s[4:5], -1
                                        ; implicit-def: $sgpr10
	s_and_saveexec_b64 s[8:9], s[12:13]
; %bb.16654:
	s_mov_b32 s10, 0x7f800001
	s_xor_b64 s[4:5], exec, -1
; %bb.16655:
	s_or_b64 exec, exec, s[8:9]
	s_and_b64 s[4:5], s[4:5], exec
	s_or_saveexec_b64 s[6:7], s[6:7]
	v_mov_b32_e32 v14, s10
	s_xor_b64 exec, exec, s[6:7]
	s_cbranch_execnz .LBB1_16656
; %bb.52493:
	s_getpc_b64 s[14:15]
.Lpost_getpc11910:
	s_add_u32 s14, s14, (.LBB1_2318-.Lpost_getpc11910)&4294967295
	s_addc_u32 s15, s15, (.LBB1_2318-.Lpost_getpc11910)>>32
	s_setpc_b64 s[14:15]
.LBB1_16656:
	v_mov_b32_e32 v14, 0
	v_cmp_ne_u16_sdwa s[8:9], v13, v14 src0_sel:BYTE_0 src1_sel:DWORD
	s_andn2_b64 s[4:5], s[4:5], exec
	s_and_b64 s[8:9], s[8:9], exec
	s_or_b64 s[4:5], s[4:5], s[8:9]
	s_or_b64 exec, exec, s[6:7]
	s_and_saveexec_b64 s[6:7], s[4:5]
	s_cbranch_execz .LBB1_29831
; %bb.52495:
	s_getpc_b64 s[14:15]
.Lpost_getpc11911:
	s_add_u32 s14, s14, (.LBB1_2319-.Lpost_getpc11911)&4294967295
	s_addc_u32 s15, s15, (.LBB1_2319-.Lpost_getpc11911)>>32
	s_setpc_b64 s[14:15]
.LBB1_29831:
	s_getpc_b64 s[14:15]
.Lpost_getpc579:
	s_add_u32 s14, s14, (.LBB1_2320-.Lpost_getpc579)&4294967295
	s_addc_u32 s15, s15, (.LBB1_2320-.Lpost_getpc579)>>32
	s_setpc_b64 s[14:15]
.LBB1_16657:
	s_movk_i32 s4, 0x80
	v_cmp_eq_u16_e32 vcc, s4, v13
	s_mov_b64 s[4:5], -1
                                        ; implicit-def: $sgpr10
	s_and_saveexec_b64 s[8:9], vcc
; %bb.16658:
	s_mov_b32 s10, 0x7f800001
	s_xor_b64 s[4:5], exec, -1
; %bb.16659:
	s_or_b64 exec, exec, s[8:9]
	s_and_b64 s[4:5], s[4:5], exec
                                        ; implicit-def: $vgpr13
	s_or_saveexec_b64 s[6:7], s[6:7]
	v_mov_b32_e32 v12, s10
	s_xor_b64 exec, exec, s[6:7]
	s_cbranch_execnz .LBB1_16660
; %bb.52497:
	s_getpc_b64 s[14:15]
.Lpost_getpc11912:
	s_add_u32 s14, s14, (.LBB1_2322-.Lpost_getpc11912)&4294967295
	s_addc_u32 s15, s15, (.LBB1_2322-.Lpost_getpc11912)>>32
	s_setpc_b64 s[14:15]
.LBB1_16660:
	v_cmp_ne_u16_e32 vcc, 0, v13
	s_andn2_b64 s[4:5], s[4:5], exec
	s_and_b64 s[8:9], vcc, exec
	v_mov_b32_e32 v12, 0
	s_or_b64 s[4:5], s[4:5], s[8:9]
	s_or_b64 exec, exec, s[6:7]
	s_and_saveexec_b64 s[6:7], s[4:5]
	s_cbranch_execz .LBB1_29833
; %bb.52499:
	s_getpc_b64 s[14:15]
.Lpost_getpc11913:
	s_add_u32 s14, s14, (.LBB1_2323-.Lpost_getpc11913)&4294967295
	s_addc_u32 s15, s15, (.LBB1_2323-.Lpost_getpc11913)>>32
	s_setpc_b64 s[14:15]
.LBB1_29833:
	s_getpc_b64 s[14:15]
.Lpost_getpc580:
	s_add_u32 s14, s14, (.LBB1_2324-.Lpost_getpc580)&4294967295
	s_addc_u32 s15, s15, (.LBB1_2324-.Lpost_getpc580)>>32
	s_setpc_b64 s[14:15]
.LBB1_16661:
	s_movk_i32 s4, 0x80
	v_cmp_eq_u16_e32 vcc, s4, v13
	s_mov_b64 s[4:5], -1
                                        ; implicit-def: $sgpr10
	s_and_saveexec_b64 s[8:9], vcc
; %bb.16662:
	s_mov_b32 s10, 0x7f800001
	s_xor_b64 s[4:5], exec, -1
; %bb.16663:
	s_or_b64 exec, exec, s[8:9]
	s_and_b64 s[4:5], s[4:5], exec
                                        ; implicit-def: $vgpr13
	s_or_saveexec_b64 s[6:7], s[6:7]
	v_mov_b32_e32 v14, s10
	s_xor_b64 exec, exec, s[6:7]
	s_cbranch_execnz .LBB1_16664
; %bb.52501:
	s_getpc_b64 s[14:15]
.Lpost_getpc11914:
	s_add_u32 s14, s14, (.LBB1_2326-.Lpost_getpc11914)&4294967295
	s_addc_u32 s15, s15, (.LBB1_2326-.Lpost_getpc11914)>>32
	s_setpc_b64 s[14:15]
.LBB1_16664:
	v_cmp_ne_u16_e32 vcc, 0, v13
	s_andn2_b64 s[4:5], s[4:5], exec
	s_and_b64 s[8:9], vcc, exec
	v_mov_b32_e32 v14, 0
	s_or_b64 s[4:5], s[4:5], s[8:9]
	s_or_b64 exec, exec, s[6:7]
	s_and_saveexec_b64 s[6:7], s[4:5]
	s_cbranch_execz .LBB1_29835
; %bb.52503:
	s_getpc_b64 s[14:15]
.Lpost_getpc11915:
	s_add_u32 s14, s14, (.LBB1_2327-.Lpost_getpc11915)&4294967295
	s_addc_u32 s15, s15, (.LBB1_2327-.Lpost_getpc11915)>>32
	s_setpc_b64 s[14:15]
.LBB1_29835:
	s_getpc_b64 s[14:15]
.Lpost_getpc581:
	s_add_u32 s14, s14, (.LBB1_2328-.Lpost_getpc581)&4294967295
	s_addc_u32 s15, s15, (.LBB1_2328-.Lpost_getpc581)>>32
	s_setpc_b64 s[14:15]
.LBB1_16665:
	s_movk_i32 s4, 0x80
	v_cmp_eq_u16_sdwa s[12:13], v6, s4 src0_sel:BYTE_3 src1_sel:DWORD
	s_mov_b64 s[4:5], -1
                                        ; implicit-def: $sgpr10
	s_and_saveexec_b64 s[8:9], s[12:13]
; %bb.16666:
	s_mov_b32 s10, 0x7f800001
	s_xor_b64 s[4:5], exec, -1
; %bb.16667:
	s_or_b64 exec, exec, s[8:9]
	s_and_b64 s[4:5], s[4:5], exec
	s_or_saveexec_b64 s[6:7], s[6:7]
	v_mov_b32_e32 v12, s10
	s_xor_b64 exec, exec, s[6:7]
	s_cbranch_execnz .LBB1_16668
; %bb.52505:
	s_getpc_b64 s[14:15]
.Lpost_getpc11916:
	s_add_u32 s14, s14, (.LBB1_2330-.Lpost_getpc11916)&4294967295
	s_addc_u32 s15, s15, (.LBB1_2330-.Lpost_getpc11916)>>32
	s_setpc_b64 s[14:15]
.LBB1_16668:
	v_mov_b32_e32 v12, 0
	v_cmp_ne_u16_sdwa s[8:9], v6, v12 src0_sel:BYTE_3 src1_sel:DWORD
	s_andn2_b64 s[4:5], s[4:5], exec
	s_and_b64 s[8:9], s[8:9], exec
	s_or_b64 s[4:5], s[4:5], s[8:9]
	s_or_b64 exec, exec, s[6:7]
	s_and_saveexec_b64 s[6:7], s[4:5]
	s_cbranch_execz .LBB1_29837
; %bb.52507:
	s_getpc_b64 s[14:15]
.Lpost_getpc11917:
	s_add_u32 s14, s14, (.LBB1_2331-.Lpost_getpc11917)&4294967295
	s_addc_u32 s15, s15, (.LBB1_2331-.Lpost_getpc11917)>>32
	s_setpc_b64 s[14:15]
.LBB1_29837:
	s_getpc_b64 s[14:15]
.Lpost_getpc582:
	s_add_u32 s14, s14, (.LBB1_2332-.Lpost_getpc582)&4294967295
	s_addc_u32 s15, s15, (.LBB1_2332-.Lpost_getpc582)>>32
	s_setpc_b64 s[14:15]
.LBB1_16669:
	s_movk_i32 s4, 0x80
	v_cmp_eq_u16_sdwa s[12:13], v2, s4 src0_sel:BYTE_3 src1_sel:DWORD
	s_mov_b64 s[4:5], -1
                                        ; implicit-def: $sgpr10
	s_and_saveexec_b64 s[8:9], s[12:13]
; %bb.16670:
	s_mov_b32 s10, 0x7f800001
	s_xor_b64 s[4:5], exec, -1
; %bb.16671:
	s_or_b64 exec, exec, s[8:9]
	s_and_b64 s[4:5], s[4:5], exec
	s_or_saveexec_b64 s[6:7], s[6:7]
	v_mov_b32_e32 v6, s10
	s_xor_b64 exec, exec, s[6:7]
	s_cbranch_execnz .LBB1_16672
; %bb.52509:
	s_getpc_b64 s[14:15]
.Lpost_getpc11918:
	s_add_u32 s14, s14, (.LBB1_2334-.Lpost_getpc11918)&4294967295
	s_addc_u32 s15, s15, (.LBB1_2334-.Lpost_getpc11918)>>32
	s_setpc_b64 s[14:15]
.LBB1_16672:
	v_mov_b32_e32 v6, 0
	v_cmp_ne_u16_sdwa s[8:9], v2, v6 src0_sel:BYTE_3 src1_sel:DWORD
	s_andn2_b64 s[4:5], s[4:5], exec
	s_and_b64 s[8:9], s[8:9], exec
	s_or_b64 s[4:5], s[4:5], s[8:9]
	s_or_b64 exec, exec, s[6:7]
	s_and_saveexec_b64 s[6:7], s[4:5]
	s_cbranch_execz .LBB1_29839
; %bb.52511:
	s_getpc_b64 s[14:15]
.Lpost_getpc11919:
	s_add_u32 s14, s14, (.LBB1_2335-.Lpost_getpc11919)&4294967295
	s_addc_u32 s15, s15, (.LBB1_2335-.Lpost_getpc11919)>>32
	s_setpc_b64 s[14:15]
.LBB1_29839:
	s_getpc_b64 s[14:15]
.Lpost_getpc583:
	s_add_u32 s14, s14, (.LBB1_2336-.Lpost_getpc583)&4294967295
	s_addc_u32 s15, s15, (.LBB1_2336-.Lpost_getpc583)>>32
	s_setpc_b64 s[14:15]
.LBB1_16673:
	s_movk_i32 s4, 0x80
	v_cmp_eq_u16_sdwa s[12:13], v7, s4 src0_sel:BYTE_0 src1_sel:DWORD
	s_mov_b64 s[4:5], -1
                                        ; implicit-def: $sgpr10
	s_and_saveexec_b64 s[8:9], s[12:13]
; %bb.16674:
	s_mov_b32 s10, 0x7f800001
	s_xor_b64 s[4:5], exec, -1
; %bb.16675:
	s_or_b64 exec, exec, s[8:9]
	s_and_b64 s[4:5], s[4:5], exec
	s_or_saveexec_b64 s[6:7], s[6:7]
	v_mov_b32_e32 v2, s10
	s_xor_b64 exec, exec, s[6:7]
	s_cbranch_execnz .LBB1_16676
; %bb.52513:
	s_getpc_b64 s[14:15]
.Lpost_getpc11920:
	s_add_u32 s14, s14, (.LBB1_2338-.Lpost_getpc11920)&4294967295
	s_addc_u32 s15, s15, (.LBB1_2338-.Lpost_getpc11920)>>32
	s_setpc_b64 s[14:15]
.LBB1_16676:
	v_mov_b32_e32 v2, 0
	v_cmp_ne_u16_sdwa s[8:9], v7, v2 src0_sel:BYTE_0 src1_sel:DWORD
	s_andn2_b64 s[4:5], s[4:5], exec
	s_and_b64 s[8:9], s[8:9], exec
	s_or_b64 s[4:5], s[4:5], s[8:9]
	s_or_b64 exec, exec, s[6:7]
	s_and_saveexec_b64 s[6:7], s[4:5]
	s_cbranch_execz .LBB1_29841
; %bb.52515:
	s_getpc_b64 s[14:15]
.Lpost_getpc11921:
	s_add_u32 s14, s14, (.LBB1_2339-.Lpost_getpc11921)&4294967295
	s_addc_u32 s15, s15, (.LBB1_2339-.Lpost_getpc11921)>>32
	s_setpc_b64 s[14:15]
.LBB1_29841:
	s_getpc_b64 s[14:15]
.Lpost_getpc584:
	s_add_u32 s14, s14, (.LBB1_2340-.Lpost_getpc584)&4294967295
	s_addc_u32 s15, s15, (.LBB1_2340-.Lpost_getpc584)>>32
	s_setpc_b64 s[14:15]
.LBB1_16677:
	s_movk_i32 s4, 0x80
	v_cmp_eq_u16_sdwa s[12:13], v3, s4 src0_sel:BYTE_0 src1_sel:DWORD
	s_mov_b64 s[4:5], -1
                                        ; implicit-def: $sgpr10
	s_and_saveexec_b64 s[8:9], s[12:13]
; %bb.16678:
	s_mov_b32 s10, 0x7f800001
	s_xor_b64 s[4:5], exec, -1
; %bb.16679:
	s_or_b64 exec, exec, s[8:9]
	s_and_b64 s[4:5], s[4:5], exec
	s_or_saveexec_b64 s[6:7], s[6:7]
	v_mov_b32_e32 v6, s10
	s_xor_b64 exec, exec, s[6:7]
	s_cbranch_execnz .LBB1_16680
; %bb.52517:
	s_getpc_b64 s[14:15]
.Lpost_getpc11922:
	s_add_u32 s14, s14, (.LBB1_2342-.Lpost_getpc11922)&4294967295
	s_addc_u32 s15, s15, (.LBB1_2342-.Lpost_getpc11922)>>32
	s_setpc_b64 s[14:15]
.LBB1_16680:
	v_mov_b32_e32 v6, 0
	v_cmp_ne_u16_sdwa s[8:9], v3, v6 src0_sel:BYTE_0 src1_sel:DWORD
	s_andn2_b64 s[4:5], s[4:5], exec
	s_and_b64 s[8:9], s[8:9], exec
	s_or_b64 s[4:5], s[4:5], s[8:9]
	s_or_b64 exec, exec, s[6:7]
	s_and_saveexec_b64 s[6:7], s[4:5]
	s_cbranch_execz .LBB1_29843
; %bb.52519:
	s_getpc_b64 s[14:15]
.Lpost_getpc11923:
	s_add_u32 s14, s14, (.LBB1_2343-.Lpost_getpc11923)&4294967295
	s_addc_u32 s15, s15, (.LBB1_2343-.Lpost_getpc11923)>>32
	s_setpc_b64 s[14:15]
.LBB1_29843:
	s_getpc_b64 s[14:15]
.Lpost_getpc585:
	s_add_u32 s14, s14, (.LBB1_2344-.Lpost_getpc585)&4294967295
	s_addc_u32 s15, s15, (.LBB1_2344-.Lpost_getpc585)>>32
	s_setpc_b64 s[14:15]
.LBB1_16681:
	s_movk_i32 s4, 0x80
	v_cmp_eq_u16_sdwa s[12:13], v6, s4 src0_sel:BYTE_0 src1_sel:DWORD
	s_mov_b64 s[4:5], -1
                                        ; implicit-def: $sgpr10
	s_and_saveexec_b64 s[8:9], s[12:13]
; %bb.16682:
	s_mov_b32 s10, 0x7f800001
	s_xor_b64 s[4:5], exec, -1
; %bb.16683:
	s_or_b64 exec, exec, s[8:9]
	s_and_b64 s[4:5], s[4:5], exec
	s_or_saveexec_b64 s[6:7], s[6:7]
	v_mov_b32_e32 v2, s10
	s_xor_b64 exec, exec, s[6:7]
	s_cbranch_execnz .LBB1_16684
; %bb.52521:
	s_getpc_b64 s[14:15]
.Lpost_getpc11924:
	s_add_u32 s14, s14, (.LBB1_2346-.Lpost_getpc11924)&4294967295
	s_addc_u32 s15, s15, (.LBB1_2346-.Lpost_getpc11924)>>32
	s_setpc_b64 s[14:15]
.LBB1_16684:
	v_mov_b32_e32 v2, 0
	v_cmp_ne_u16_sdwa s[8:9], v6, v2 src0_sel:BYTE_0 src1_sel:DWORD
	s_andn2_b64 s[4:5], s[4:5], exec
	s_and_b64 s[8:9], s[8:9], exec
	s_or_b64 s[4:5], s[4:5], s[8:9]
	s_or_b64 exec, exec, s[6:7]
	s_and_saveexec_b64 s[6:7], s[4:5]
	s_cbranch_execz .LBB1_29845
; %bb.52523:
	s_getpc_b64 s[14:15]
.Lpost_getpc11925:
	s_add_u32 s14, s14, (.LBB1_2347-.Lpost_getpc11925)&4294967295
	s_addc_u32 s15, s15, (.LBB1_2347-.Lpost_getpc11925)>>32
	s_setpc_b64 s[14:15]
.LBB1_29845:
	s_getpc_b64 s[14:15]
.Lpost_getpc586:
	s_add_u32 s14, s14, (.LBB1_2348-.Lpost_getpc586)&4294967295
	s_addc_u32 s15, s15, (.LBB1_2348-.Lpost_getpc586)>>32
	s_setpc_b64 s[14:15]
.LBB1_16685:
	s_movk_i32 s4, 0x80
	v_cmp_eq_u16_sdwa s[12:13], v6, s4 src0_sel:BYTE_0 src1_sel:DWORD
	s_mov_b64 s[4:5], -1
                                        ; implicit-def: $sgpr10
	s_and_saveexec_b64 s[8:9], s[12:13]
; %bb.16686:
	s_mov_b32 s10, 0x7f800001
	s_xor_b64 s[4:5], exec, -1
; %bb.16687:
	s_or_b64 exec, exec, s[8:9]
	s_and_b64 s[4:5], s[4:5], exec
	s_or_saveexec_b64 s[6:7], s[6:7]
	v_mov_b32_e32 v12, s10
	s_xor_b64 exec, exec, s[6:7]
	s_cbranch_execnz .LBB1_16688
; %bb.52525:
	s_getpc_b64 s[14:15]
.Lpost_getpc11926:
	s_add_u32 s14, s14, (.LBB1_2350-.Lpost_getpc11926)&4294967295
	s_addc_u32 s15, s15, (.LBB1_2350-.Lpost_getpc11926)>>32
	s_setpc_b64 s[14:15]
.LBB1_16688:
	v_mov_b32_e32 v12, 0
	v_cmp_ne_u16_sdwa s[8:9], v6, v12 src0_sel:BYTE_0 src1_sel:DWORD
	s_andn2_b64 s[4:5], s[4:5], exec
	s_and_b64 s[8:9], s[8:9], exec
	s_or_b64 s[4:5], s[4:5], s[8:9]
	s_or_b64 exec, exec, s[6:7]
	s_and_saveexec_b64 s[6:7], s[4:5]
	s_cbranch_execz .LBB1_29847
; %bb.52527:
	s_getpc_b64 s[14:15]
.Lpost_getpc11927:
	s_add_u32 s14, s14, (.LBB1_2351-.Lpost_getpc11927)&4294967295
	s_addc_u32 s15, s15, (.LBB1_2351-.Lpost_getpc11927)>>32
	s_setpc_b64 s[14:15]
.LBB1_29847:
	s_getpc_b64 s[14:15]
.Lpost_getpc587:
	s_add_u32 s14, s14, (.LBB1_2352-.Lpost_getpc587)&4294967295
	s_addc_u32 s15, s15, (.LBB1_2352-.Lpost_getpc587)>>32
	s_setpc_b64 s[14:15]
.LBB1_16689:
	s_movk_i32 s4, 0x80
	v_cmp_eq_u16_e32 vcc, s4, v6
	s_mov_b64 s[4:5], -1
                                        ; implicit-def: $sgpr10
	s_and_saveexec_b64 s[8:9], vcc
; %bb.16690:
	s_mov_b32 s10, 0x7f800001
	s_xor_b64 s[4:5], exec, -1
; %bb.16691:
	s_or_b64 exec, exec, s[8:9]
	s_and_b64 s[4:5], s[4:5], exec
                                        ; implicit-def: $vgpr6
	s_or_saveexec_b64 s[6:7], s[6:7]
	v_mov_b32_e32 v2, s10
	s_xor_b64 exec, exec, s[6:7]
	s_cbranch_execnz .LBB1_16692
; %bb.52529:
	s_getpc_b64 s[14:15]
.Lpost_getpc11928:
	s_add_u32 s14, s14, (.LBB1_2354-.Lpost_getpc11928)&4294967295
	s_addc_u32 s15, s15, (.LBB1_2354-.Lpost_getpc11928)>>32
	s_setpc_b64 s[14:15]
.LBB1_16692:
	v_cmp_ne_u16_e32 vcc, 0, v6
	s_andn2_b64 s[4:5], s[4:5], exec
	s_and_b64 s[8:9], vcc, exec
	v_mov_b32_e32 v2, 0
	s_or_b64 s[4:5], s[4:5], s[8:9]
	s_or_b64 exec, exec, s[6:7]
	s_and_saveexec_b64 s[6:7], s[4:5]
	s_cbranch_execz .LBB1_29849
; %bb.52531:
	s_getpc_b64 s[14:15]
.Lpost_getpc11929:
	s_add_u32 s14, s14, (.LBB1_2355-.Lpost_getpc11929)&4294967295
	s_addc_u32 s15, s15, (.LBB1_2355-.Lpost_getpc11929)>>32
	s_setpc_b64 s[14:15]
.LBB1_29849:
	s_getpc_b64 s[14:15]
.Lpost_getpc588:
	s_add_u32 s14, s14, (.LBB1_2356-.Lpost_getpc588)&4294967295
	s_addc_u32 s15, s15, (.LBB1_2356-.Lpost_getpc588)>>32
	s_setpc_b64 s[14:15]
.LBB1_16693:
	s_movk_i32 s4, 0x80
	v_cmp_eq_u16_e32 vcc, s4, v6
	s_mov_b64 s[4:5], -1
                                        ; implicit-def: $sgpr10
	s_and_saveexec_b64 s[8:9], vcc
; %bb.16694:
	s_mov_b32 s10, 0x7f800001
	s_xor_b64 s[4:5], exec, -1
; %bb.16695:
	s_or_b64 exec, exec, s[8:9]
	s_and_b64 s[4:5], s[4:5], exec
                                        ; implicit-def: $vgpr6
	s_or_saveexec_b64 s[6:7], s[6:7]
	v_mov_b32_e32 v12, s10
	s_xor_b64 exec, exec, s[6:7]
	s_cbranch_execnz .LBB1_16696
; %bb.52533:
	s_getpc_b64 s[14:15]
.Lpost_getpc11930:
	s_add_u32 s14, s14, (.LBB1_2358-.Lpost_getpc11930)&4294967295
	s_addc_u32 s15, s15, (.LBB1_2358-.Lpost_getpc11930)>>32
	s_setpc_b64 s[14:15]
.LBB1_16696:
	v_cmp_ne_u16_e32 vcc, 0, v6
	s_andn2_b64 s[4:5], s[4:5], exec
	s_and_b64 s[8:9], vcc, exec
	v_mov_b32_e32 v12, 0
	s_or_b64 s[4:5], s[4:5], s[8:9]
	s_or_b64 exec, exec, s[6:7]
	s_and_saveexec_b64 s[6:7], s[4:5]
	s_cbranch_execz .LBB1_29851
; %bb.52535:
	s_getpc_b64 s[14:15]
.Lpost_getpc11931:
	s_add_u32 s14, s14, (.LBB1_2359-.Lpost_getpc11931)&4294967295
	s_addc_u32 s15, s15, (.LBB1_2359-.Lpost_getpc11931)>>32
	s_setpc_b64 s[14:15]
.LBB1_29851:
	s_getpc_b64 s[14:15]
.Lpost_getpc589:
	s_add_u32 s14, s14, (.LBB1_2360-.Lpost_getpc589)&4294967295
	s_addc_u32 s15, s15, (.LBB1_2360-.Lpost_getpc589)>>32
	s_setpc_b64 s[14:15]
.LBB1_16697:
	s_movk_i32 s4, 0x80
	v_cmp_eq_u16_sdwa s[12:13], v7, s4 src0_sel:BYTE_3 src1_sel:DWORD
	s_mov_b64 s[4:5], -1
                                        ; implicit-def: $sgpr10
	s_and_saveexec_b64 s[8:9], s[12:13]
; %bb.16698:
	s_mov_b32 s10, 0x7f800001
	s_xor_b64 s[4:5], exec, -1
; %bb.16699:
	s_or_b64 exec, exec, s[8:9]
	s_and_b64 s[4:5], s[4:5], exec
	s_or_saveexec_b64 s[6:7], s[6:7]
	v_mov_b32_e32 v2, s10
	s_xor_b64 exec, exec, s[6:7]
	s_cbranch_execnz .LBB1_16700
; %bb.52537:
	s_getpc_b64 s[14:15]
.Lpost_getpc11932:
	s_add_u32 s14, s14, (.LBB1_2362-.Lpost_getpc11932)&4294967295
	s_addc_u32 s15, s15, (.LBB1_2362-.Lpost_getpc11932)>>32
	s_setpc_b64 s[14:15]
.LBB1_16700:
	v_mov_b32_e32 v2, 0
	v_cmp_ne_u16_sdwa s[8:9], v7, v2 src0_sel:BYTE_3 src1_sel:DWORD
	s_andn2_b64 s[4:5], s[4:5], exec
	s_and_b64 s[8:9], s[8:9], exec
	s_or_b64 s[4:5], s[4:5], s[8:9]
	s_or_b64 exec, exec, s[6:7]
	s_and_saveexec_b64 s[6:7], s[4:5]
	s_cbranch_execz .LBB1_29853
; %bb.52539:
	s_getpc_b64 s[14:15]
.Lpost_getpc11933:
	s_add_u32 s14, s14, (.LBB1_2363-.Lpost_getpc11933)&4294967295
	s_addc_u32 s15, s15, (.LBB1_2363-.Lpost_getpc11933)>>32
	s_setpc_b64 s[14:15]
.LBB1_29853:
	s_getpc_b64 s[14:15]
.Lpost_getpc590:
	s_add_u32 s14, s14, (.LBB1_2364-.Lpost_getpc590)&4294967295
	s_addc_u32 s15, s15, (.LBB1_2364-.Lpost_getpc590)>>32
	s_setpc_b64 s[14:15]
.LBB1_16701:
	s_movk_i32 s4, 0x80
	v_cmp_eq_u16_sdwa s[12:13], v3, s4 src0_sel:BYTE_3 src1_sel:DWORD
	s_mov_b64 s[4:5], -1
                                        ; implicit-def: $sgpr10
	s_and_saveexec_b64 s[8:9], s[12:13]
; %bb.16702:
	s_mov_b32 s10, 0x7f800001
	s_xor_b64 s[4:5], exec, -1
; %bb.16703:
	s_or_b64 exec, exec, s[8:9]
	s_and_b64 s[4:5], s[4:5], exec
	s_or_saveexec_b64 s[6:7], s[6:7]
	v_mov_b32_e32 v6, s10
	s_xor_b64 exec, exec, s[6:7]
	s_cbranch_execnz .LBB1_16704
; %bb.52541:
	s_getpc_b64 s[14:15]
.Lpost_getpc11934:
	s_add_u32 s14, s14, (.LBB1_2366-.Lpost_getpc11934)&4294967295
	s_addc_u32 s15, s15, (.LBB1_2366-.Lpost_getpc11934)>>32
	s_setpc_b64 s[14:15]
.LBB1_16704:
	v_mov_b32_e32 v6, 0
	v_cmp_ne_u16_sdwa s[8:9], v3, v6 src0_sel:BYTE_3 src1_sel:DWORD
	s_andn2_b64 s[4:5], s[4:5], exec
	s_and_b64 s[8:9], s[8:9], exec
	s_or_b64 s[4:5], s[4:5], s[8:9]
	s_or_b64 exec, exec, s[6:7]
	s_and_saveexec_b64 s[6:7], s[4:5]
	s_cbranch_execz .LBB1_29855
; %bb.52543:
	s_getpc_b64 s[14:15]
.Lpost_getpc11935:
	s_add_u32 s14, s14, (.LBB1_2367-.Lpost_getpc11935)&4294967295
	s_addc_u32 s15, s15, (.LBB1_2367-.Lpost_getpc11935)>>32
	s_setpc_b64 s[14:15]
.LBB1_29855:
	s_getpc_b64 s[14:15]
.Lpost_getpc591:
	s_add_u32 s14, s14, (.LBB1_2368-.Lpost_getpc591)&4294967295
	s_addc_u32 s15, s15, (.LBB1_2368-.Lpost_getpc591)>>32
	s_setpc_b64 s[14:15]
.LBB1_16705:
	s_movk_i32 s4, 0x80
	v_cmp_eq_u16_sdwa s[12:13], v8, s4 src0_sel:BYTE_0 src1_sel:DWORD
	s_mov_b64 s[4:5], -1
                                        ; implicit-def: $sgpr10
	s_and_saveexec_b64 s[8:9], s[12:13]
; %bb.16706:
	s_mov_b32 s10, 0x7f800001
	s_xor_b64 s[4:5], exec, -1
; %bb.16707:
	s_or_b64 exec, exec, s[8:9]
	s_and_b64 s[4:5], s[4:5], exec
	s_or_saveexec_b64 s[6:7], s[6:7]
	v_mov_b32_e32 v2, s10
	s_xor_b64 exec, exec, s[6:7]
	s_cbranch_execnz .LBB1_16708
; %bb.52545:
	s_getpc_b64 s[14:15]
.Lpost_getpc11936:
	s_add_u32 s14, s14, (.LBB1_2370-.Lpost_getpc11936)&4294967295
	s_addc_u32 s15, s15, (.LBB1_2370-.Lpost_getpc11936)>>32
	s_setpc_b64 s[14:15]
.LBB1_16708:
	v_mov_b32_e32 v2, 0
	v_cmp_ne_u16_sdwa s[8:9], v8, v2 src0_sel:BYTE_0 src1_sel:DWORD
	s_andn2_b64 s[4:5], s[4:5], exec
	s_and_b64 s[8:9], s[8:9], exec
	s_or_b64 s[4:5], s[4:5], s[8:9]
	s_or_b64 exec, exec, s[6:7]
	s_and_saveexec_b64 s[6:7], s[4:5]
	s_cbranch_execz .LBB1_29857
; %bb.52547:
	s_getpc_b64 s[14:15]
.Lpost_getpc11937:
	s_add_u32 s14, s14, (.LBB1_2371-.Lpost_getpc11937)&4294967295
	s_addc_u32 s15, s15, (.LBB1_2371-.Lpost_getpc11937)>>32
	s_setpc_b64 s[14:15]
.LBB1_29857:
	s_getpc_b64 s[14:15]
.Lpost_getpc592:
	s_add_u32 s14, s14, (.LBB1_2372-.Lpost_getpc592)&4294967295
	s_addc_u32 s15, s15, (.LBB1_2372-.Lpost_getpc592)>>32
	s_setpc_b64 s[14:15]
.LBB1_16709:
	s_movk_i32 s4, 0x80
	v_cmp_eq_u16_sdwa s[12:13], v4, s4 src0_sel:BYTE_0 src1_sel:DWORD
	s_mov_b64 s[4:5], -1
                                        ; implicit-def: $sgpr10
	s_and_saveexec_b64 s[8:9], s[12:13]
; %bb.16710:
	s_mov_b32 s10, 0x7f800001
	s_xor_b64 s[4:5], exec, -1
; %bb.16711:
	s_or_b64 exec, exec, s[8:9]
	s_and_b64 s[4:5], s[4:5], exec
	s_or_saveexec_b64 s[6:7], s[6:7]
	v_mov_b32_e32 v3, s10
	s_xor_b64 exec, exec, s[6:7]
	s_cbranch_execnz .LBB1_16712
; %bb.52549:
	s_getpc_b64 s[14:15]
.Lpost_getpc11938:
	s_add_u32 s14, s14, (.LBB1_2374-.Lpost_getpc11938)&4294967295
	s_addc_u32 s15, s15, (.LBB1_2374-.Lpost_getpc11938)>>32
	s_setpc_b64 s[14:15]
.LBB1_16712:
	v_mov_b32_e32 v3, 0
	v_cmp_ne_u16_sdwa s[8:9], v4, v3 src0_sel:BYTE_0 src1_sel:DWORD
	s_andn2_b64 s[4:5], s[4:5], exec
	s_and_b64 s[8:9], s[8:9], exec
	s_or_b64 s[4:5], s[4:5], s[8:9]
	s_or_b64 exec, exec, s[6:7]
	s_and_saveexec_b64 s[6:7], s[4:5]
	s_cbranch_execz .LBB1_29859
; %bb.52551:
	s_getpc_b64 s[14:15]
.Lpost_getpc11939:
	s_add_u32 s14, s14, (.LBB1_2375-.Lpost_getpc11939)&4294967295
	s_addc_u32 s15, s15, (.LBB1_2375-.Lpost_getpc11939)>>32
	s_setpc_b64 s[14:15]
.LBB1_29859:
	s_getpc_b64 s[14:15]
.Lpost_getpc593:
	s_add_u32 s14, s14, (.LBB1_2376-.Lpost_getpc593)&4294967295
	s_addc_u32 s15, s15, (.LBB1_2376-.Lpost_getpc593)>>32
	s_setpc_b64 s[14:15]
.LBB1_16713:
	s_movk_i32 s4, 0x80
	v_cmp_eq_u16_sdwa s[12:13], v3, s4 src0_sel:BYTE_0 src1_sel:DWORD
	s_mov_b64 s[4:5], -1
                                        ; implicit-def: $sgpr10
	s_and_saveexec_b64 s[8:9], s[12:13]
; %bb.16714:
	s_mov_b32 s10, 0x7f800001
	s_xor_b64 s[4:5], exec, -1
; %bb.16715:
	s_or_b64 exec, exec, s[8:9]
	s_and_b64 s[4:5], s[4:5], exec
	s_or_saveexec_b64 s[6:7], s[6:7]
	v_mov_b32_e32 v2, s10
	s_xor_b64 exec, exec, s[6:7]
	s_cbranch_execnz .LBB1_16716
; %bb.52553:
	s_getpc_b64 s[14:15]
.Lpost_getpc11940:
	s_add_u32 s14, s14, (.LBB1_2378-.Lpost_getpc11940)&4294967295
	s_addc_u32 s15, s15, (.LBB1_2378-.Lpost_getpc11940)>>32
	s_setpc_b64 s[14:15]
.LBB1_16716:
	v_mov_b32_e32 v2, 0
	v_cmp_ne_u16_sdwa s[8:9], v3, v2 src0_sel:BYTE_0 src1_sel:DWORD
	s_andn2_b64 s[4:5], s[4:5], exec
	s_and_b64 s[8:9], s[8:9], exec
	s_or_b64 s[4:5], s[4:5], s[8:9]
	s_or_b64 exec, exec, s[6:7]
	s_and_saveexec_b64 s[6:7], s[4:5]
	s_cbranch_execz .LBB1_29861
; %bb.52555:
	s_getpc_b64 s[14:15]
.Lpost_getpc11941:
	s_add_u32 s14, s14, (.LBB1_2379-.Lpost_getpc11941)&4294967295
	s_addc_u32 s15, s15, (.LBB1_2379-.Lpost_getpc11941)>>32
	s_setpc_b64 s[14:15]
.LBB1_29861:
	s_getpc_b64 s[14:15]
.Lpost_getpc594:
	s_add_u32 s14, s14, (.LBB1_2380-.Lpost_getpc594)&4294967295
	s_addc_u32 s15, s15, (.LBB1_2380-.Lpost_getpc594)>>32
	s_setpc_b64 s[14:15]
.LBB1_16717:
	s_movk_i32 s4, 0x80
	v_cmp_eq_u16_sdwa s[12:13], v3, s4 src0_sel:BYTE_0 src1_sel:DWORD
	s_mov_b64 s[4:5], -1
                                        ; implicit-def: $sgpr10
	s_and_saveexec_b64 s[8:9], s[12:13]
; %bb.16718:
	s_mov_b32 s10, 0x7f800001
	s_xor_b64 s[4:5], exec, -1
; %bb.16719:
	s_or_b64 exec, exec, s[8:9]
	s_and_b64 s[4:5], s[4:5], exec
	s_or_saveexec_b64 s[6:7], s[6:7]
	v_mov_b32_e32 v6, s10
	s_xor_b64 exec, exec, s[6:7]
	s_cbranch_execnz .LBB1_16720
; %bb.52557:
	s_getpc_b64 s[14:15]
.Lpost_getpc11942:
	s_add_u32 s14, s14, (.LBB1_2382-.Lpost_getpc11942)&4294967295
	s_addc_u32 s15, s15, (.LBB1_2382-.Lpost_getpc11942)>>32
	s_setpc_b64 s[14:15]
.LBB1_16720:
	v_mov_b32_e32 v6, 0
	v_cmp_ne_u16_sdwa s[8:9], v3, v6 src0_sel:BYTE_0 src1_sel:DWORD
	s_andn2_b64 s[4:5], s[4:5], exec
	s_and_b64 s[8:9], s[8:9], exec
	s_or_b64 s[4:5], s[4:5], s[8:9]
	s_or_b64 exec, exec, s[6:7]
	s_and_saveexec_b64 s[6:7], s[4:5]
	s_cbranch_execz .LBB1_29863
; %bb.52559:
	s_getpc_b64 s[14:15]
.Lpost_getpc11943:
	s_add_u32 s14, s14, (.LBB1_2383-.Lpost_getpc11943)&4294967295
	s_addc_u32 s15, s15, (.LBB1_2383-.Lpost_getpc11943)>>32
	s_setpc_b64 s[14:15]
.LBB1_29863:
	s_getpc_b64 s[14:15]
.Lpost_getpc595:
	s_add_u32 s14, s14, (.LBB1_2384-.Lpost_getpc595)&4294967295
	s_addc_u32 s15, s15, (.LBB1_2384-.Lpost_getpc595)>>32
	s_setpc_b64 s[14:15]
.LBB1_16721:
	s_movk_i32 s4, 0x80
	v_cmp_eq_u16_e32 vcc, s4, v3
	s_mov_b64 s[4:5], -1
                                        ; implicit-def: $sgpr10
	s_and_saveexec_b64 s[8:9], vcc
; %bb.16722:
	s_mov_b32 s10, 0x7f800001
	s_xor_b64 s[4:5], exec, -1
; %bb.16723:
	s_or_b64 exec, exec, s[8:9]
	s_and_b64 s[4:5], s[4:5], exec
                                        ; implicit-def: $vgpr3
	s_or_saveexec_b64 s[6:7], s[6:7]
	v_mov_b32_e32 v2, s10
	s_xor_b64 exec, exec, s[6:7]
	s_cbranch_execnz .LBB1_16724
; %bb.52561:
	s_getpc_b64 s[14:15]
.Lpost_getpc11944:
	s_add_u32 s14, s14, (.LBB1_2386-.Lpost_getpc11944)&4294967295
	s_addc_u32 s15, s15, (.LBB1_2386-.Lpost_getpc11944)>>32
	s_setpc_b64 s[14:15]
.LBB1_16724:
	v_cmp_ne_u16_e32 vcc, 0, v3
	s_andn2_b64 s[4:5], s[4:5], exec
	s_and_b64 s[8:9], vcc, exec
	v_mov_b32_e32 v2, 0
	s_or_b64 s[4:5], s[4:5], s[8:9]
	s_or_b64 exec, exec, s[6:7]
	s_and_saveexec_b64 s[6:7], s[4:5]
	s_cbranch_execz .LBB1_29865
; %bb.52563:
	s_getpc_b64 s[14:15]
.Lpost_getpc11945:
	s_add_u32 s14, s14, (.LBB1_2387-.Lpost_getpc11945)&4294967295
	s_addc_u32 s15, s15, (.LBB1_2387-.Lpost_getpc11945)>>32
	s_setpc_b64 s[14:15]
.LBB1_29865:
	s_getpc_b64 s[14:15]
.Lpost_getpc596:
	s_add_u32 s14, s14, (.LBB1_2388-.Lpost_getpc596)&4294967295
	s_addc_u32 s15, s15, (.LBB1_2388-.Lpost_getpc596)>>32
	s_setpc_b64 s[14:15]
.LBB1_16725:
	s_movk_i32 s4, 0x80
	v_cmp_eq_u16_e32 vcc, s4, v3
	s_mov_b64 s[4:5], -1
                                        ; implicit-def: $sgpr10
	s_and_saveexec_b64 s[8:9], vcc
; %bb.16726:
	s_mov_b32 s10, 0x7f800001
	s_xor_b64 s[4:5], exec, -1
; %bb.16727:
	s_or_b64 exec, exec, s[8:9]
	s_and_b64 s[4:5], s[4:5], exec
                                        ; implicit-def: $vgpr3
	s_or_saveexec_b64 s[6:7], s[6:7]
	v_mov_b32_e32 v6, s10
	s_xor_b64 exec, exec, s[6:7]
	s_cbranch_execnz .LBB1_16728
; %bb.52565:
	s_getpc_b64 s[14:15]
.Lpost_getpc11946:
	s_add_u32 s14, s14, (.LBB1_2390-.Lpost_getpc11946)&4294967295
	s_addc_u32 s15, s15, (.LBB1_2390-.Lpost_getpc11946)>>32
	s_setpc_b64 s[14:15]
.LBB1_16728:
	v_cmp_ne_u16_e32 vcc, 0, v3
	s_andn2_b64 s[4:5], s[4:5], exec
	s_and_b64 s[8:9], vcc, exec
	v_mov_b32_e32 v6, 0
	s_or_b64 s[4:5], s[4:5], s[8:9]
	s_or_b64 exec, exec, s[6:7]
	s_and_saveexec_b64 s[6:7], s[4:5]
	s_cbranch_execz .LBB1_29867
; %bb.52567:
	s_getpc_b64 s[14:15]
.Lpost_getpc11947:
	s_add_u32 s14, s14, (.LBB1_2391-.Lpost_getpc11947)&4294967295
	s_addc_u32 s15, s15, (.LBB1_2391-.Lpost_getpc11947)>>32
	s_setpc_b64 s[14:15]
.LBB1_29867:
	s_getpc_b64 s[14:15]
.Lpost_getpc597:
	s_add_u32 s14, s14, (.LBB1_2392-.Lpost_getpc597)&4294967295
	s_addc_u32 s15, s15, (.LBB1_2392-.Lpost_getpc597)>>32
	s_setpc_b64 s[14:15]
.LBB1_16729:
	s_movk_i32 s4, 0x80
	v_cmp_eq_u16_sdwa s[12:13], v8, s4 src0_sel:BYTE_3 src1_sel:DWORD
	s_mov_b64 s[4:5], -1
                                        ; implicit-def: $sgpr10
	s_and_saveexec_b64 s[8:9], s[12:13]
; %bb.16730:
	s_mov_b32 s10, 0x7f800001
	s_xor_b64 s[4:5], exec, -1
; %bb.16731:
	s_or_b64 exec, exec, s[8:9]
	s_and_b64 s[4:5], s[4:5], exec
	s_or_saveexec_b64 s[6:7], s[6:7]
	v_mov_b32_e32 v2, s10
	s_xor_b64 exec, exec, s[6:7]
	s_cbranch_execnz .LBB1_16732
; %bb.52569:
	s_getpc_b64 s[14:15]
.Lpost_getpc11948:
	s_add_u32 s14, s14, (.LBB1_2394-.Lpost_getpc11948)&4294967295
	s_addc_u32 s15, s15, (.LBB1_2394-.Lpost_getpc11948)>>32
	s_setpc_b64 s[14:15]
.LBB1_16732:
	v_mov_b32_e32 v2, 0
	v_cmp_ne_u16_sdwa s[8:9], v8, v2 src0_sel:BYTE_3 src1_sel:DWORD
	s_andn2_b64 s[4:5], s[4:5], exec
	s_and_b64 s[8:9], s[8:9], exec
	s_or_b64 s[4:5], s[4:5], s[8:9]
	s_or_b64 exec, exec, s[6:7]
	s_and_saveexec_b64 s[6:7], s[4:5]
	s_cbranch_execz .LBB1_29869
; %bb.52571:
	s_getpc_b64 s[14:15]
.Lpost_getpc11949:
	s_add_u32 s14, s14, (.LBB1_2395-.Lpost_getpc11949)&4294967295
	s_addc_u32 s15, s15, (.LBB1_2395-.Lpost_getpc11949)>>32
	s_setpc_b64 s[14:15]
.LBB1_29869:
	s_getpc_b64 s[14:15]
.Lpost_getpc598:
	s_add_u32 s14, s14, (.LBB1_2396-.Lpost_getpc598)&4294967295
	s_addc_u32 s15, s15, (.LBB1_2396-.Lpost_getpc598)>>32
	s_setpc_b64 s[14:15]
.LBB1_16733:
	s_movk_i32 s4, 0x80
	v_cmp_eq_u16_sdwa s[12:13], v4, s4 src0_sel:BYTE_3 src1_sel:DWORD
	s_mov_b64 s[4:5], -1
                                        ; implicit-def: $sgpr10
	s_and_saveexec_b64 s[8:9], s[12:13]
; %bb.16734:
	s_mov_b32 s10, 0x7f800001
	s_xor_b64 s[4:5], exec, -1
; %bb.16735:
	s_or_b64 exec, exec, s[8:9]
	s_and_b64 s[4:5], s[4:5], exec
	s_or_saveexec_b64 s[6:7], s[6:7]
	v_mov_b32_e32 v3, s10
	s_xor_b64 exec, exec, s[6:7]
	s_cbranch_execnz .LBB1_16736
; %bb.52573:
	s_getpc_b64 s[14:15]
.Lpost_getpc11950:
	s_add_u32 s14, s14, (.LBB1_2398-.Lpost_getpc11950)&4294967295
	s_addc_u32 s15, s15, (.LBB1_2398-.Lpost_getpc11950)>>32
	s_setpc_b64 s[14:15]
.LBB1_16736:
	v_mov_b32_e32 v3, 0
	v_cmp_ne_u16_sdwa s[8:9], v4, v3 src0_sel:BYTE_3 src1_sel:DWORD
	s_andn2_b64 s[4:5], s[4:5], exec
	s_and_b64 s[8:9], s[8:9], exec
	s_or_b64 s[4:5], s[4:5], s[8:9]
	s_or_b64 exec, exec, s[6:7]
	s_and_saveexec_b64 s[6:7], s[4:5]
	s_cbranch_execz .LBB1_29871
; %bb.52575:
	s_getpc_b64 s[14:15]
.Lpost_getpc11951:
	s_add_u32 s14, s14, (.LBB1_2399-.Lpost_getpc11951)&4294967295
	s_addc_u32 s15, s15, (.LBB1_2399-.Lpost_getpc11951)>>32
	s_setpc_b64 s[14:15]
.LBB1_29871:
	s_getpc_b64 s[14:15]
.Lpost_getpc599:
	s_add_u32 s14, s14, (.LBB1_2400-.Lpost_getpc599)&4294967295
	s_addc_u32 s15, s15, (.LBB1_2400-.Lpost_getpc599)>>32
	s_setpc_b64 s[14:15]
.LBB1_16737:
	s_movk_i32 s4, 0x80
	v_cmp_eq_u16_sdwa s[12:13], v9, s4 src0_sel:BYTE_0 src1_sel:DWORD
	s_mov_b64 s[4:5], -1
                                        ; implicit-def: $sgpr10
	s_and_saveexec_b64 s[8:9], s[12:13]
; %bb.16738:
	s_mov_b32 s10, 0x7f800001
	s_xor_b64 s[4:5], exec, -1
; %bb.16739:
	s_or_b64 exec, exec, s[8:9]
	s_and_b64 s[4:5], s[4:5], exec
	s_or_saveexec_b64 s[6:7], s[6:7]
	v_mov_b32_e32 v2, s10
	s_xor_b64 exec, exec, s[6:7]
	s_cbranch_execnz .LBB1_16740
; %bb.52577:
	s_getpc_b64 s[14:15]
.Lpost_getpc11952:
	s_add_u32 s14, s14, (.LBB1_2402-.Lpost_getpc11952)&4294967295
	s_addc_u32 s15, s15, (.LBB1_2402-.Lpost_getpc11952)>>32
	s_setpc_b64 s[14:15]
.LBB1_16740:
	v_mov_b32_e32 v2, 0
	v_cmp_ne_u16_sdwa s[8:9], v9, v2 src0_sel:BYTE_0 src1_sel:DWORD
	s_andn2_b64 s[4:5], s[4:5], exec
	s_and_b64 s[8:9], s[8:9], exec
	s_or_b64 s[4:5], s[4:5], s[8:9]
	s_or_b64 exec, exec, s[6:7]
	s_and_saveexec_b64 s[6:7], s[4:5]
	s_cbranch_execz .LBB1_29873
; %bb.52579:
	s_getpc_b64 s[14:15]
.Lpost_getpc11953:
	s_add_u32 s14, s14, (.LBB1_2403-.Lpost_getpc11953)&4294967295
	s_addc_u32 s15, s15, (.LBB1_2403-.Lpost_getpc11953)>>32
	s_setpc_b64 s[14:15]
.LBB1_29873:
	s_getpc_b64 s[14:15]
.Lpost_getpc600:
	s_add_u32 s14, s14, (.LBB1_2404-.Lpost_getpc600)&4294967295
	s_addc_u32 s15, s15, (.LBB1_2404-.Lpost_getpc600)>>32
	s_setpc_b64 s[14:15]
.LBB1_16741:
	s_movk_i32 s4, 0x80
	v_cmp_eq_u16_sdwa s[12:13], v5, s4 src0_sel:BYTE_0 src1_sel:DWORD
	s_mov_b64 s[4:5], -1
                                        ; implicit-def: $sgpr10
	s_and_saveexec_b64 s[8:9], s[12:13]
; %bb.16742:
	s_mov_b32 s10, 0x7f800001
	s_xor_b64 s[4:5], exec, -1
; %bb.16743:
	s_or_b64 exec, exec, s[8:9]
	s_and_b64 s[4:5], s[4:5], exec
	s_or_saveexec_b64 s[6:7], s[6:7]
	v_mov_b32_e32 v3, s10
	s_xor_b64 exec, exec, s[6:7]
	s_cbranch_execnz .LBB1_16744
; %bb.52581:
	s_getpc_b64 s[14:15]
.Lpost_getpc11954:
	s_add_u32 s14, s14, (.LBB1_2406-.Lpost_getpc11954)&4294967295
	s_addc_u32 s15, s15, (.LBB1_2406-.Lpost_getpc11954)>>32
	s_setpc_b64 s[14:15]
.LBB1_16744:
	v_mov_b32_e32 v3, 0
	v_cmp_ne_u16_sdwa s[8:9], v5, v3 src0_sel:BYTE_0 src1_sel:DWORD
	s_andn2_b64 s[4:5], s[4:5], exec
	s_and_b64 s[8:9], s[8:9], exec
	s_or_b64 s[4:5], s[4:5], s[8:9]
	s_or_b64 exec, exec, s[6:7]
	s_and_saveexec_b64 s[6:7], s[4:5]
	s_cbranch_execz .LBB1_29875
; %bb.52583:
	s_getpc_b64 s[14:15]
.Lpost_getpc11955:
	s_add_u32 s14, s14, (.LBB1_2407-.Lpost_getpc11955)&4294967295
	s_addc_u32 s15, s15, (.LBB1_2407-.Lpost_getpc11955)>>32
	s_setpc_b64 s[14:15]
.LBB1_29875:
	s_getpc_b64 s[14:15]
.Lpost_getpc601:
	s_add_u32 s14, s14, (.LBB1_2408-.Lpost_getpc601)&4294967295
	s_addc_u32 s15, s15, (.LBB1_2408-.Lpost_getpc601)>>32
	s_setpc_b64 s[14:15]
.LBB1_16745:
	s_movk_i32 s4, 0x80
	v_cmp_eq_u16_sdwa s[12:13], v3, s4 src0_sel:BYTE_0 src1_sel:DWORD
	s_mov_b64 s[4:5], -1
                                        ; implicit-def: $sgpr10
	s_and_saveexec_b64 s[8:9], s[12:13]
; %bb.16746:
	s_mov_b32 s10, 0x7f800001
	s_xor_b64 s[4:5], exec, -1
; %bb.16747:
	s_or_b64 exec, exec, s[8:9]
	s_and_b64 s[4:5], s[4:5], exec
	s_or_saveexec_b64 s[6:7], s[6:7]
	v_mov_b32_e32 v2, s10
	s_xor_b64 exec, exec, s[6:7]
	s_cbranch_execnz .LBB1_16748
; %bb.52585:
	s_getpc_b64 s[14:15]
.Lpost_getpc11956:
	s_add_u32 s14, s14, (.LBB1_2410-.Lpost_getpc11956)&4294967295
	s_addc_u32 s15, s15, (.LBB1_2410-.Lpost_getpc11956)>>32
	s_setpc_b64 s[14:15]
.LBB1_16748:
	v_mov_b32_e32 v2, 0
	v_cmp_ne_u16_sdwa s[8:9], v3, v2 src0_sel:BYTE_0 src1_sel:DWORD
	s_andn2_b64 s[4:5], s[4:5], exec
	s_and_b64 s[8:9], s[8:9], exec
	s_or_b64 s[4:5], s[4:5], s[8:9]
	s_or_b64 exec, exec, s[6:7]
	s_and_saveexec_b64 s[6:7], s[4:5]
	s_cbranch_execz .LBB1_29877
; %bb.52587:
	s_getpc_b64 s[14:15]
.Lpost_getpc11957:
	s_add_u32 s14, s14, (.LBB1_2411-.Lpost_getpc11957)&4294967295
	s_addc_u32 s15, s15, (.LBB1_2411-.Lpost_getpc11957)>>32
	s_setpc_b64 s[14:15]
.LBB1_29877:
	s_getpc_b64 s[14:15]
.Lpost_getpc602:
	s_add_u32 s14, s14, (.LBB1_2412-.Lpost_getpc602)&4294967295
	s_addc_u32 s15, s15, (.LBB1_2412-.Lpost_getpc602)>>32
	s_setpc_b64 s[14:15]
.LBB1_16749:
	s_movk_i32 s4, 0x80
	v_cmp_eq_u16_sdwa s[12:13], v3, s4 src0_sel:BYTE_0 src1_sel:DWORD
	s_mov_b64 s[4:5], -1
                                        ; implicit-def: $sgpr10
	s_and_saveexec_b64 s[8:9], s[12:13]
; %bb.16750:
	s_mov_b32 s10, 0x7f800001
	s_xor_b64 s[4:5], exec, -1
; %bb.16751:
	s_or_b64 exec, exec, s[8:9]
	s_and_b64 s[4:5], s[4:5], exec
	s_or_saveexec_b64 s[6:7], s[6:7]
	v_mov_b32_e32 v4, s10
	s_xor_b64 exec, exec, s[6:7]
	s_cbranch_execnz .LBB1_16752
; %bb.52589:
	s_getpc_b64 s[14:15]
.Lpost_getpc11958:
	s_add_u32 s14, s14, (.LBB1_2414-.Lpost_getpc11958)&4294967295
	s_addc_u32 s15, s15, (.LBB1_2414-.Lpost_getpc11958)>>32
	s_setpc_b64 s[14:15]
.LBB1_16752:
	v_mov_b32_e32 v4, 0
	v_cmp_ne_u16_sdwa s[8:9], v3, v4 src0_sel:BYTE_0 src1_sel:DWORD
	s_andn2_b64 s[4:5], s[4:5], exec
	s_and_b64 s[8:9], s[8:9], exec
	s_or_b64 s[4:5], s[4:5], s[8:9]
	s_or_b64 exec, exec, s[6:7]
	s_and_saveexec_b64 s[6:7], s[4:5]
	s_cbranch_execz .LBB1_29879
; %bb.52591:
	s_getpc_b64 s[14:15]
.Lpost_getpc11959:
	s_add_u32 s14, s14, (.LBB1_2415-.Lpost_getpc11959)&4294967295
	s_addc_u32 s15, s15, (.LBB1_2415-.Lpost_getpc11959)>>32
	s_setpc_b64 s[14:15]
.LBB1_29879:
	s_getpc_b64 s[14:15]
.Lpost_getpc603:
	s_add_u32 s14, s14, (.LBB1_2416-.Lpost_getpc603)&4294967295
	s_addc_u32 s15, s15, (.LBB1_2416-.Lpost_getpc603)>>32
	s_setpc_b64 s[14:15]
.LBB1_16753:
	s_movk_i32 s4, 0x80
	v_cmp_eq_u16_e32 vcc, s4, v3
	s_mov_b64 s[4:5], -1
                                        ; implicit-def: $sgpr10
	s_and_saveexec_b64 s[8:9], vcc
; %bb.16754:
	s_mov_b32 s10, 0x7f800001
	s_xor_b64 s[4:5], exec, -1
; %bb.16755:
	s_or_b64 exec, exec, s[8:9]
	s_and_b64 s[4:5], s[4:5], exec
                                        ; implicit-def: $vgpr3
	s_or_saveexec_b64 s[6:7], s[6:7]
	v_mov_b32_e32 v2, s10
	s_xor_b64 exec, exec, s[6:7]
	s_cbranch_execnz .LBB1_16756
; %bb.52593:
	s_getpc_b64 s[14:15]
.Lpost_getpc11960:
	s_add_u32 s14, s14, (.LBB1_2418-.Lpost_getpc11960)&4294967295
	s_addc_u32 s15, s15, (.LBB1_2418-.Lpost_getpc11960)>>32
	s_setpc_b64 s[14:15]
.LBB1_16756:
	v_cmp_ne_u16_e32 vcc, 0, v3
	s_andn2_b64 s[4:5], s[4:5], exec
	s_and_b64 s[8:9], vcc, exec
	v_mov_b32_e32 v2, 0
	s_or_b64 s[4:5], s[4:5], s[8:9]
	s_or_b64 exec, exec, s[6:7]
	s_and_saveexec_b64 s[6:7], s[4:5]
	s_cbranch_execz .LBB1_29881
; %bb.52595:
	s_getpc_b64 s[14:15]
.Lpost_getpc11961:
	s_add_u32 s14, s14, (.LBB1_2419-.Lpost_getpc11961)&4294967295
	s_addc_u32 s15, s15, (.LBB1_2419-.Lpost_getpc11961)>>32
	s_setpc_b64 s[14:15]
.LBB1_29881:
	s_getpc_b64 s[14:15]
.Lpost_getpc604:
	s_add_u32 s14, s14, (.LBB1_2420-.Lpost_getpc604)&4294967295
	s_addc_u32 s15, s15, (.LBB1_2420-.Lpost_getpc604)>>32
	s_setpc_b64 s[14:15]
.LBB1_16757:
	s_movk_i32 s4, 0x80
	v_cmp_eq_u16_e32 vcc, s4, v3
	s_mov_b64 s[4:5], -1
                                        ; implicit-def: $sgpr10
	s_and_saveexec_b64 s[8:9], vcc
; %bb.16758:
	s_mov_b32 s10, 0x7f800001
	s_xor_b64 s[4:5], exec, -1
; %bb.16759:
	s_or_b64 exec, exec, s[8:9]
	s_and_b64 s[4:5], s[4:5], exec
                                        ; implicit-def: $vgpr3
	s_or_saveexec_b64 s[6:7], s[6:7]
	v_mov_b32_e32 v4, s10
	s_xor_b64 exec, exec, s[6:7]
	s_cbranch_execnz .LBB1_16760
; %bb.52597:
	s_getpc_b64 s[14:15]
.Lpost_getpc11962:
	s_add_u32 s14, s14, (.LBB1_2422-.Lpost_getpc11962)&4294967295
	s_addc_u32 s15, s15, (.LBB1_2422-.Lpost_getpc11962)>>32
	s_setpc_b64 s[14:15]
.LBB1_16760:
	v_cmp_ne_u16_e32 vcc, 0, v3
	s_andn2_b64 s[4:5], s[4:5], exec
	s_and_b64 s[8:9], vcc, exec
	v_mov_b32_e32 v4, 0
	s_or_b64 s[4:5], s[4:5], s[8:9]
	s_or_b64 exec, exec, s[6:7]
	s_and_saveexec_b64 s[6:7], s[4:5]
	s_cbranch_execz .LBB1_29883
; %bb.52599:
	s_getpc_b64 s[14:15]
.Lpost_getpc11963:
	s_add_u32 s14, s14, (.LBB1_2423-.Lpost_getpc11963)&4294967295
	s_addc_u32 s15, s15, (.LBB1_2423-.Lpost_getpc11963)>>32
	s_setpc_b64 s[14:15]
.LBB1_29883:
	s_getpc_b64 s[14:15]
.Lpost_getpc605:
	s_add_u32 s14, s14, (.LBB1_2424-.Lpost_getpc605)&4294967295
	s_addc_u32 s15, s15, (.LBB1_2424-.Lpost_getpc605)>>32
	s_setpc_b64 s[14:15]
.LBB1_16761:
	s_movk_i32 s4, 0x80
	v_cmp_eq_u16_sdwa s[12:13], v9, s4 src0_sel:BYTE_3 src1_sel:DWORD
	s_mov_b64 s[4:5], -1
                                        ; implicit-def: $sgpr10
	s_and_saveexec_b64 s[8:9], s[12:13]
; %bb.16762:
	s_mov_b32 s10, 0x7f800001
	s_xor_b64 s[4:5], exec, -1
; %bb.16763:
	s_or_b64 exec, exec, s[8:9]
	s_and_b64 s[4:5], s[4:5], exec
	s_or_saveexec_b64 s[6:7], s[6:7]
	v_mov_b32_e32 v2, s10
	s_xor_b64 exec, exec, s[6:7]
	s_cbranch_execnz .LBB1_16764
; %bb.52601:
	s_getpc_b64 s[14:15]
.Lpost_getpc11964:
	s_add_u32 s14, s14, (.LBB1_2426-.Lpost_getpc11964)&4294967295
	s_addc_u32 s15, s15, (.LBB1_2426-.Lpost_getpc11964)>>32
	s_setpc_b64 s[14:15]
.LBB1_16764:
	v_mov_b32_e32 v2, 0
	v_cmp_ne_u16_sdwa s[8:9], v9, v2 src0_sel:BYTE_3 src1_sel:DWORD
	s_andn2_b64 s[4:5], s[4:5], exec
	s_and_b64 s[8:9], s[8:9], exec
	s_or_b64 s[4:5], s[4:5], s[8:9]
	s_or_b64 exec, exec, s[6:7]
	s_and_saveexec_b64 s[6:7], s[4:5]
	s_cbranch_execz .LBB1_29885
; %bb.52603:
	s_getpc_b64 s[14:15]
.Lpost_getpc11965:
	s_add_u32 s14, s14, (.LBB1_2427-.Lpost_getpc11965)&4294967295
	s_addc_u32 s15, s15, (.LBB1_2427-.Lpost_getpc11965)>>32
	s_setpc_b64 s[14:15]
.LBB1_29885:
	s_getpc_b64 s[14:15]
.Lpost_getpc606:
	s_add_u32 s14, s14, (.LBB1_2428-.Lpost_getpc606)&4294967295
	s_addc_u32 s15, s15, (.LBB1_2428-.Lpost_getpc606)>>32
	s_setpc_b64 s[14:15]
.LBB1_16765:
	s_movk_i32 s4, 0x80
	v_cmp_eq_u16_sdwa s[12:13], v5, s4 src0_sel:BYTE_3 src1_sel:DWORD
	s_mov_b64 s[4:5], -1
                                        ; implicit-def: $sgpr10
	s_and_saveexec_b64 s[8:9], s[12:13]
; %bb.16766:
	s_mov_b32 s10, 0x7f800001
	s_xor_b64 s[4:5], exec, -1
; %bb.16767:
	s_or_b64 exec, exec, s[8:9]
	s_and_b64 s[4:5], s[4:5], exec
	s_or_saveexec_b64 s[6:7], s[6:7]
	v_mov_b32_e32 v3, s10
	s_xor_b64 exec, exec, s[6:7]
	s_cbranch_execnz .LBB1_16768
; %bb.52605:
	s_getpc_b64 s[14:15]
.Lpost_getpc11966:
	s_add_u32 s14, s14, (.LBB1_2430-.Lpost_getpc11966)&4294967295
	s_addc_u32 s15, s15, (.LBB1_2430-.Lpost_getpc11966)>>32
	s_setpc_b64 s[14:15]
.LBB1_16768:
	v_mov_b32_e32 v3, 0
	v_cmp_ne_u16_sdwa s[8:9], v5, v3 src0_sel:BYTE_3 src1_sel:DWORD
	s_andn2_b64 s[4:5], s[4:5], exec
	s_and_b64 s[8:9], s[8:9], exec
	s_or_b64 s[4:5], s[4:5], s[8:9]
	s_or_b64 exec, exec, s[6:7]
	s_and_saveexec_b64 s[6:7], s[4:5]
	s_cbranch_execz .LBB1_29887
; %bb.52607:
	s_getpc_b64 s[14:15]
.Lpost_getpc11967:
	s_add_u32 s14, s14, (.LBB1_2431-.Lpost_getpc11967)&4294967295
	s_addc_u32 s15, s15, (.LBB1_2431-.Lpost_getpc11967)>>32
	s_setpc_b64 s[14:15]
.LBB1_29887:
	s_getpc_b64 s[14:15]
.Lpost_getpc607:
	s_add_u32 s14, s14, (.LBB1_2432-.Lpost_getpc607)&4294967295
	s_addc_u32 s15, s15, (.LBB1_2432-.Lpost_getpc607)>>32
	s_setpc_b64 s[14:15]
.LBB1_16769:
	s_movk_i32 s4, 0x80
	v_cmp_eq_u16_sdwa s[12:13], v6, s4 src0_sel:BYTE_0 src1_sel:DWORD
	s_mov_b64 s[4:5], -1
                                        ; implicit-def: $sgpr10
	s_and_saveexec_b64 s[8:9], s[12:13]
; %bb.16770:
	s_mov_b32 s10, 0x7f800001
	s_xor_b64 s[4:5], exec, -1
; %bb.16771:
	s_or_b64 exec, exec, s[8:9]
	s_and_b64 s[4:5], s[4:5], exec
	s_or_saveexec_b64 s[6:7], s[6:7]
	v_mov_b32_e32 v12, s10
	s_xor_b64 exec, exec, s[6:7]
	s_cbranch_execnz .LBB1_16772
; %bb.52609:
	s_getpc_b64 s[14:15]
.Lpost_getpc11968:
	s_add_u32 s14, s14, (.LBB1_2434-.Lpost_getpc11968)&4294967295
	s_addc_u32 s15, s15, (.LBB1_2434-.Lpost_getpc11968)>>32
	s_setpc_b64 s[14:15]
.LBB1_16772:
	v_mov_b32_e32 v12, 0
	v_cmp_ne_u16_sdwa s[8:9], v6, v12 src0_sel:BYTE_0 src1_sel:DWORD
	s_andn2_b64 s[4:5], s[4:5], exec
	s_and_b64 s[8:9], s[8:9], exec
	s_or_b64 s[4:5], s[4:5], s[8:9]
	s_or_b64 exec, exec, s[6:7]
	s_and_saveexec_b64 s[6:7], s[4:5]
	s_cbranch_execz .LBB1_29889
; %bb.52611:
	s_getpc_b64 s[14:15]
.Lpost_getpc11969:
	s_add_u32 s14, s14, (.LBB1_2435-.Lpost_getpc11969)&4294967295
	s_addc_u32 s15, s15, (.LBB1_2435-.Lpost_getpc11969)>>32
	s_setpc_b64 s[14:15]
.LBB1_29889:
	s_getpc_b64 s[14:15]
.Lpost_getpc608:
	s_add_u32 s14, s14, (.LBB1_2436-.Lpost_getpc608)&4294967295
	s_addc_u32 s15, s15, (.LBB1_2436-.Lpost_getpc608)>>32
	s_setpc_b64 s[14:15]
.LBB1_16773:
	s_movk_i32 s4, 0x80
	v_cmp_eq_u16_sdwa s[12:13], v2, s4 src0_sel:BYTE_0 src1_sel:DWORD
	s_mov_b64 s[4:5], -1
                                        ; implicit-def: $sgpr10
	s_and_saveexec_b64 s[8:9], s[12:13]
; %bb.16774:
	s_mov_b32 s10, 0x7f800001
	s_xor_b64 s[4:5], exec, -1
; %bb.16775:
	s_or_b64 exec, exec, s[8:9]
	s_and_b64 s[4:5], s[4:5], exec
	s_or_saveexec_b64 s[6:7], s[6:7]
	v_mov_b32_e32 v13, s10
	s_xor_b64 exec, exec, s[6:7]
	s_cbranch_execnz .LBB1_16776
; %bb.52613:
	s_getpc_b64 s[14:15]
.Lpost_getpc11970:
	s_add_u32 s14, s14, (.LBB1_2438-.Lpost_getpc11970)&4294967295
	s_addc_u32 s15, s15, (.LBB1_2438-.Lpost_getpc11970)>>32
	s_setpc_b64 s[14:15]
.LBB1_16776:
	v_mov_b32_e32 v13, 0
	v_cmp_ne_u16_sdwa s[8:9], v2, v13 src0_sel:BYTE_0 src1_sel:DWORD
	s_andn2_b64 s[4:5], s[4:5], exec
	s_and_b64 s[8:9], s[8:9], exec
	s_or_b64 s[4:5], s[4:5], s[8:9]
	s_or_b64 exec, exec, s[6:7]
	s_and_saveexec_b64 s[6:7], s[4:5]
	s_cbranch_execz .LBB1_29891
; %bb.52615:
	s_getpc_b64 s[14:15]
.Lpost_getpc11971:
	s_add_u32 s14, s14, (.LBB1_2439-.Lpost_getpc11971)&4294967295
	s_addc_u32 s15, s15, (.LBB1_2439-.Lpost_getpc11971)>>32
	s_setpc_b64 s[14:15]
.LBB1_29891:
	s_getpc_b64 s[14:15]
.Lpost_getpc609:
	s_add_u32 s14, s14, (.LBB1_2440-.Lpost_getpc609)&4294967295
	s_addc_u32 s15, s15, (.LBB1_2440-.Lpost_getpc609)>>32
	s_setpc_b64 s[14:15]
.LBB1_16777:
	s_movk_i32 s4, 0x80
	v_cmp_eq_u16_sdwa s[12:13], v13, s4 src0_sel:BYTE_0 src1_sel:DWORD
	s_mov_b64 s[4:5], -1
                                        ; implicit-def: $sgpr10
	s_and_saveexec_b64 s[8:9], s[12:13]
; %bb.16778:
	s_mov_b32 s10, 0x7f800001
	s_xor_b64 s[4:5], exec, -1
; %bb.16779:
	s_or_b64 exec, exec, s[8:9]
	s_and_b64 s[4:5], s[4:5], exec
	s_or_saveexec_b64 s[6:7], s[6:7]
	v_mov_b32_e32 v12, s10
	s_xor_b64 exec, exec, s[6:7]
	s_cbranch_execnz .LBB1_16780
; %bb.52617:
	s_getpc_b64 s[14:15]
.Lpost_getpc11972:
	s_add_u32 s14, s14, (.LBB1_2442-.Lpost_getpc11972)&4294967295
	s_addc_u32 s15, s15, (.LBB1_2442-.Lpost_getpc11972)>>32
	s_setpc_b64 s[14:15]
.LBB1_16780:
	v_mov_b32_e32 v12, 0
	v_cmp_ne_u16_sdwa s[8:9], v13, v12 src0_sel:BYTE_0 src1_sel:DWORD
	s_andn2_b64 s[4:5], s[4:5], exec
	s_and_b64 s[8:9], s[8:9], exec
	s_or_b64 s[4:5], s[4:5], s[8:9]
	s_or_b64 exec, exec, s[6:7]
	s_and_saveexec_b64 s[6:7], s[4:5]
	s_cbranch_execz .LBB1_29893
; %bb.52619:
	s_getpc_b64 s[14:15]
.Lpost_getpc11973:
	s_add_u32 s14, s14, (.LBB1_2443-.Lpost_getpc11973)&4294967295
	s_addc_u32 s15, s15, (.LBB1_2443-.Lpost_getpc11973)>>32
	s_setpc_b64 s[14:15]
.LBB1_29893:
	s_getpc_b64 s[14:15]
.Lpost_getpc610:
	s_add_u32 s14, s14, (.LBB1_2444-.Lpost_getpc610)&4294967295
	s_addc_u32 s15, s15, (.LBB1_2444-.Lpost_getpc610)>>32
	s_setpc_b64 s[14:15]
.LBB1_16781:
	s_movk_i32 s4, 0x80
	v_cmp_eq_u16_sdwa s[12:13], v13, s4 src0_sel:BYTE_0 src1_sel:DWORD
	s_mov_b64 s[4:5], -1
                                        ; implicit-def: $sgpr10
	s_and_saveexec_b64 s[8:9], s[12:13]
; %bb.16782:
	s_mov_b32 s10, 0x7f800001
	s_xor_b64 s[4:5], exec, -1
; %bb.16783:
	s_or_b64 exec, exec, s[8:9]
	s_and_b64 s[4:5], s[4:5], exec
	s_or_saveexec_b64 s[6:7], s[6:7]
	v_mov_b32_e32 v14, s10
	s_xor_b64 exec, exec, s[6:7]
	s_cbranch_execnz .LBB1_16784
; %bb.52621:
	s_getpc_b64 s[14:15]
.Lpost_getpc11974:
	s_add_u32 s14, s14, (.LBB1_2446-.Lpost_getpc11974)&4294967295
	s_addc_u32 s15, s15, (.LBB1_2446-.Lpost_getpc11974)>>32
	s_setpc_b64 s[14:15]
.LBB1_16784:
	v_mov_b32_e32 v14, 0
	v_cmp_ne_u16_sdwa s[8:9], v13, v14 src0_sel:BYTE_0 src1_sel:DWORD
	s_andn2_b64 s[4:5], s[4:5], exec
	s_and_b64 s[8:9], s[8:9], exec
	s_or_b64 s[4:5], s[4:5], s[8:9]
	s_or_b64 exec, exec, s[6:7]
	s_and_saveexec_b64 s[6:7], s[4:5]
	s_cbranch_execz .LBB1_29895
; %bb.52623:
	s_getpc_b64 s[14:15]
.Lpost_getpc11975:
	s_add_u32 s14, s14, (.LBB1_2447-.Lpost_getpc11975)&4294967295
	s_addc_u32 s15, s15, (.LBB1_2447-.Lpost_getpc11975)>>32
	s_setpc_b64 s[14:15]
.LBB1_29895:
	s_getpc_b64 s[14:15]
.Lpost_getpc611:
	s_add_u32 s14, s14, (.LBB1_2448-.Lpost_getpc611)&4294967295
	s_addc_u32 s15, s15, (.LBB1_2448-.Lpost_getpc611)>>32
	s_setpc_b64 s[14:15]
.LBB1_16785:
	s_movk_i32 s4, 0x80
	v_cmp_eq_u16_e32 vcc, s4, v13
	s_mov_b64 s[4:5], -1
                                        ; implicit-def: $sgpr10
	s_and_saveexec_b64 s[8:9], vcc
; %bb.16786:
	s_mov_b32 s10, 0x7f800001
	s_xor_b64 s[4:5], exec, -1
; %bb.16787:
	s_or_b64 exec, exec, s[8:9]
	s_and_b64 s[4:5], s[4:5], exec
                                        ; implicit-def: $vgpr13
	s_or_saveexec_b64 s[6:7], s[6:7]
	v_mov_b32_e32 v12, s10
	s_xor_b64 exec, exec, s[6:7]
	s_cbranch_execnz .LBB1_16788
; %bb.52625:
	s_getpc_b64 s[14:15]
.Lpost_getpc11976:
	s_add_u32 s14, s14, (.LBB1_2450-.Lpost_getpc11976)&4294967295
	s_addc_u32 s15, s15, (.LBB1_2450-.Lpost_getpc11976)>>32
	s_setpc_b64 s[14:15]
.LBB1_16788:
	v_cmp_ne_u16_e32 vcc, 0, v13
	s_andn2_b64 s[4:5], s[4:5], exec
	s_and_b64 s[8:9], vcc, exec
	v_mov_b32_e32 v12, 0
	s_or_b64 s[4:5], s[4:5], s[8:9]
	s_or_b64 exec, exec, s[6:7]
	s_and_saveexec_b64 s[6:7], s[4:5]
	s_cbranch_execz .LBB1_29897
; %bb.52627:
	s_getpc_b64 s[14:15]
.Lpost_getpc11977:
	s_add_u32 s14, s14, (.LBB1_2451-.Lpost_getpc11977)&4294967295
	s_addc_u32 s15, s15, (.LBB1_2451-.Lpost_getpc11977)>>32
	s_setpc_b64 s[14:15]
.LBB1_29897:
	s_getpc_b64 s[14:15]
.Lpost_getpc612:
	s_add_u32 s14, s14, (.LBB1_2452-.Lpost_getpc612)&4294967295
	s_addc_u32 s15, s15, (.LBB1_2452-.Lpost_getpc612)>>32
	s_setpc_b64 s[14:15]
.LBB1_16789:
	s_movk_i32 s4, 0x80
	v_cmp_eq_u16_e32 vcc, s4, v13
	s_mov_b64 s[4:5], -1
                                        ; implicit-def: $sgpr10
	s_and_saveexec_b64 s[8:9], vcc
; %bb.16790:
	s_mov_b32 s10, 0x7f800001
	s_xor_b64 s[4:5], exec, -1
; %bb.16791:
	s_or_b64 exec, exec, s[8:9]
	s_and_b64 s[4:5], s[4:5], exec
                                        ; implicit-def: $vgpr13
	s_or_saveexec_b64 s[6:7], s[6:7]
	v_mov_b32_e32 v14, s10
	s_xor_b64 exec, exec, s[6:7]
	s_cbranch_execnz .LBB1_16792
; %bb.52629:
	s_getpc_b64 s[14:15]
.Lpost_getpc11978:
	s_add_u32 s14, s14, (.LBB1_2454-.Lpost_getpc11978)&4294967295
	s_addc_u32 s15, s15, (.LBB1_2454-.Lpost_getpc11978)>>32
	s_setpc_b64 s[14:15]
.LBB1_16792:
	v_cmp_ne_u16_e32 vcc, 0, v13
	s_andn2_b64 s[4:5], s[4:5], exec
	s_and_b64 s[8:9], vcc, exec
	v_mov_b32_e32 v14, 0
	s_or_b64 s[4:5], s[4:5], s[8:9]
	s_or_b64 exec, exec, s[6:7]
	s_and_saveexec_b64 s[6:7], s[4:5]
	s_cbranch_execz .LBB1_29899
; %bb.52631:
	s_getpc_b64 s[14:15]
.Lpost_getpc11979:
	s_add_u32 s14, s14, (.LBB1_2455-.Lpost_getpc11979)&4294967295
	s_addc_u32 s15, s15, (.LBB1_2455-.Lpost_getpc11979)>>32
	s_setpc_b64 s[14:15]
.LBB1_29899:
	s_getpc_b64 s[14:15]
.Lpost_getpc613:
	s_add_u32 s14, s14, (.LBB1_2456-.Lpost_getpc613)&4294967295
	s_addc_u32 s15, s15, (.LBB1_2456-.Lpost_getpc613)>>32
	s_setpc_b64 s[14:15]
.LBB1_16793:
	s_movk_i32 s4, 0x80
	v_cmp_eq_u16_sdwa s[12:13], v6, s4 src0_sel:BYTE_3 src1_sel:DWORD
	s_mov_b64 s[4:5], -1
                                        ; implicit-def: $sgpr10
	s_and_saveexec_b64 s[8:9], s[12:13]
; %bb.16794:
	s_mov_b32 s10, 0x7f800001
	s_xor_b64 s[4:5], exec, -1
; %bb.16795:
	s_or_b64 exec, exec, s[8:9]
	s_and_b64 s[4:5], s[4:5], exec
	s_or_saveexec_b64 s[6:7], s[6:7]
	v_mov_b32_e32 v12, s10
	s_xor_b64 exec, exec, s[6:7]
	s_cbranch_execnz .LBB1_16796
; %bb.52633:
	s_getpc_b64 s[14:15]
.Lpost_getpc11980:
	s_add_u32 s14, s14, (.LBB1_2458-.Lpost_getpc11980)&4294967295
	s_addc_u32 s15, s15, (.LBB1_2458-.Lpost_getpc11980)>>32
	s_setpc_b64 s[14:15]
.LBB1_16796:
	v_mov_b32_e32 v12, 0
	v_cmp_ne_u16_sdwa s[8:9], v6, v12 src0_sel:BYTE_3 src1_sel:DWORD
	s_andn2_b64 s[4:5], s[4:5], exec
	s_and_b64 s[8:9], s[8:9], exec
	s_or_b64 s[4:5], s[4:5], s[8:9]
	s_or_b64 exec, exec, s[6:7]
	s_and_saveexec_b64 s[6:7], s[4:5]
	s_cbranch_execz .LBB1_29901
; %bb.52635:
	s_getpc_b64 s[14:15]
.Lpost_getpc11981:
	s_add_u32 s14, s14, (.LBB1_2459-.Lpost_getpc11981)&4294967295
	s_addc_u32 s15, s15, (.LBB1_2459-.Lpost_getpc11981)>>32
	s_setpc_b64 s[14:15]
.LBB1_29901:
	s_getpc_b64 s[14:15]
.Lpost_getpc614:
	s_add_u32 s14, s14, (.LBB1_2460-.Lpost_getpc614)&4294967295
	s_addc_u32 s15, s15, (.LBB1_2460-.Lpost_getpc614)>>32
	s_setpc_b64 s[14:15]
.LBB1_16797:
	s_movk_i32 s4, 0x80
	v_cmp_eq_u16_sdwa s[12:13], v2, s4 src0_sel:BYTE_3 src1_sel:DWORD
	s_mov_b64 s[4:5], -1
                                        ; implicit-def: $sgpr10
	s_and_saveexec_b64 s[8:9], s[12:13]
; %bb.16798:
	s_mov_b32 s10, 0x7f800001
	s_xor_b64 s[4:5], exec, -1
; %bb.16799:
	s_or_b64 exec, exec, s[8:9]
	s_and_b64 s[4:5], s[4:5], exec
	s_or_saveexec_b64 s[6:7], s[6:7]
	v_mov_b32_e32 v6, s10
	s_xor_b64 exec, exec, s[6:7]
	s_cbranch_execnz .LBB1_16800
; %bb.52637:
	s_getpc_b64 s[14:15]
.Lpost_getpc11982:
	s_add_u32 s14, s14, (.LBB1_2462-.Lpost_getpc11982)&4294967295
	s_addc_u32 s15, s15, (.LBB1_2462-.Lpost_getpc11982)>>32
	s_setpc_b64 s[14:15]
.LBB1_16800:
	v_mov_b32_e32 v6, 0
	v_cmp_ne_u16_sdwa s[8:9], v2, v6 src0_sel:BYTE_3 src1_sel:DWORD
	s_andn2_b64 s[4:5], s[4:5], exec
	s_and_b64 s[8:9], s[8:9], exec
	s_or_b64 s[4:5], s[4:5], s[8:9]
	s_or_b64 exec, exec, s[6:7]
	s_and_saveexec_b64 s[6:7], s[4:5]
	s_cbranch_execz .LBB1_29903
; %bb.52639:
	s_getpc_b64 s[14:15]
.Lpost_getpc11983:
	s_add_u32 s14, s14, (.LBB1_2463-.Lpost_getpc11983)&4294967295
	s_addc_u32 s15, s15, (.LBB1_2463-.Lpost_getpc11983)>>32
	s_setpc_b64 s[14:15]
.LBB1_29903:
	s_getpc_b64 s[14:15]
.Lpost_getpc615:
	s_add_u32 s14, s14, (.LBB1_2464-.Lpost_getpc615)&4294967295
	s_addc_u32 s15, s15, (.LBB1_2464-.Lpost_getpc615)>>32
	s_setpc_b64 s[14:15]
.LBB1_16801:
	s_movk_i32 s4, 0x80
	v_cmp_eq_u16_sdwa s[12:13], v7, s4 src0_sel:BYTE_0 src1_sel:DWORD
	s_mov_b64 s[4:5], -1
                                        ; implicit-def: $sgpr10
	s_and_saveexec_b64 s[8:9], s[12:13]
; %bb.16802:
	s_mov_b32 s10, 0x7f800001
	s_xor_b64 s[4:5], exec, -1
; %bb.16803:
	s_or_b64 exec, exec, s[8:9]
	s_and_b64 s[4:5], s[4:5], exec
	s_or_saveexec_b64 s[6:7], s[6:7]
	v_mov_b32_e32 v2, s10
	s_xor_b64 exec, exec, s[6:7]
	s_cbranch_execnz .LBB1_16804
; %bb.52641:
	s_getpc_b64 s[14:15]
.Lpost_getpc11984:
	s_add_u32 s14, s14, (.LBB1_2466-.Lpost_getpc11984)&4294967295
	s_addc_u32 s15, s15, (.LBB1_2466-.Lpost_getpc11984)>>32
	s_setpc_b64 s[14:15]
.LBB1_16804:
	v_mov_b32_e32 v2, 0
	v_cmp_ne_u16_sdwa s[8:9], v7, v2 src0_sel:BYTE_0 src1_sel:DWORD
	s_andn2_b64 s[4:5], s[4:5], exec
	s_and_b64 s[8:9], s[8:9], exec
	s_or_b64 s[4:5], s[4:5], s[8:9]
	s_or_b64 exec, exec, s[6:7]
	s_and_saveexec_b64 s[6:7], s[4:5]
	s_cbranch_execz .LBB1_29905
; %bb.52643:
	s_getpc_b64 s[14:15]
.Lpost_getpc11985:
	s_add_u32 s14, s14, (.LBB1_2467-.Lpost_getpc11985)&4294967295
	s_addc_u32 s15, s15, (.LBB1_2467-.Lpost_getpc11985)>>32
	s_setpc_b64 s[14:15]
.LBB1_29905:
	s_getpc_b64 s[14:15]
.Lpost_getpc616:
	s_add_u32 s14, s14, (.LBB1_2468-.Lpost_getpc616)&4294967295
	s_addc_u32 s15, s15, (.LBB1_2468-.Lpost_getpc616)>>32
	s_setpc_b64 s[14:15]
.LBB1_16805:
	s_movk_i32 s4, 0x80
	v_cmp_eq_u16_sdwa s[12:13], v3, s4 src0_sel:BYTE_0 src1_sel:DWORD
	s_mov_b64 s[4:5], -1
                                        ; implicit-def: $sgpr10
	s_and_saveexec_b64 s[8:9], s[12:13]
; %bb.16806:
	s_mov_b32 s10, 0x7f800001
	s_xor_b64 s[4:5], exec, -1
; %bb.16807:
	s_or_b64 exec, exec, s[8:9]
	s_and_b64 s[4:5], s[4:5], exec
	s_or_saveexec_b64 s[6:7], s[6:7]
	v_mov_b32_e32 v6, s10
	s_xor_b64 exec, exec, s[6:7]
	s_cbranch_execnz .LBB1_16808
; %bb.52645:
	s_getpc_b64 s[14:15]
.Lpost_getpc11986:
	s_add_u32 s14, s14, (.LBB1_2470-.Lpost_getpc11986)&4294967295
	s_addc_u32 s15, s15, (.LBB1_2470-.Lpost_getpc11986)>>32
	s_setpc_b64 s[14:15]
.LBB1_16808:
	v_mov_b32_e32 v6, 0
	v_cmp_ne_u16_sdwa s[8:9], v3, v6 src0_sel:BYTE_0 src1_sel:DWORD
	s_andn2_b64 s[4:5], s[4:5], exec
	s_and_b64 s[8:9], s[8:9], exec
	s_or_b64 s[4:5], s[4:5], s[8:9]
	s_or_b64 exec, exec, s[6:7]
	s_and_saveexec_b64 s[6:7], s[4:5]
	s_cbranch_execz .LBB1_29907
; %bb.52647:
	s_getpc_b64 s[14:15]
.Lpost_getpc11987:
	s_add_u32 s14, s14, (.LBB1_2471-.Lpost_getpc11987)&4294967295
	s_addc_u32 s15, s15, (.LBB1_2471-.Lpost_getpc11987)>>32
	s_setpc_b64 s[14:15]
.LBB1_29907:
	s_getpc_b64 s[14:15]
.Lpost_getpc617:
	s_add_u32 s14, s14, (.LBB1_2472-.Lpost_getpc617)&4294967295
	s_addc_u32 s15, s15, (.LBB1_2472-.Lpost_getpc617)>>32
	s_setpc_b64 s[14:15]
.LBB1_16809:
	s_movk_i32 s4, 0x80
	v_cmp_eq_u16_sdwa s[12:13], v6, s4 src0_sel:BYTE_0 src1_sel:DWORD
	s_mov_b64 s[4:5], -1
                                        ; implicit-def: $sgpr10
	s_and_saveexec_b64 s[8:9], s[12:13]
; %bb.16810:
	s_mov_b32 s10, 0x7f800001
	s_xor_b64 s[4:5], exec, -1
; %bb.16811:
	s_or_b64 exec, exec, s[8:9]
	s_and_b64 s[4:5], s[4:5], exec
	s_or_saveexec_b64 s[6:7], s[6:7]
	v_mov_b32_e32 v2, s10
	s_xor_b64 exec, exec, s[6:7]
	s_cbranch_execnz .LBB1_16812
; %bb.52649:
	s_getpc_b64 s[14:15]
.Lpost_getpc11988:
	s_add_u32 s14, s14, (.LBB1_2474-.Lpost_getpc11988)&4294967295
	s_addc_u32 s15, s15, (.LBB1_2474-.Lpost_getpc11988)>>32
	s_setpc_b64 s[14:15]
.LBB1_16812:
	v_mov_b32_e32 v2, 0
	v_cmp_ne_u16_sdwa s[8:9], v6, v2 src0_sel:BYTE_0 src1_sel:DWORD
	s_andn2_b64 s[4:5], s[4:5], exec
	s_and_b64 s[8:9], s[8:9], exec
	s_or_b64 s[4:5], s[4:5], s[8:9]
	s_or_b64 exec, exec, s[6:7]
	s_and_saveexec_b64 s[6:7], s[4:5]
	s_cbranch_execz .LBB1_29909
; %bb.52651:
	s_getpc_b64 s[14:15]
.Lpost_getpc11989:
	s_add_u32 s14, s14, (.LBB1_2475-.Lpost_getpc11989)&4294967295
	s_addc_u32 s15, s15, (.LBB1_2475-.Lpost_getpc11989)>>32
	s_setpc_b64 s[14:15]
.LBB1_29909:
	s_getpc_b64 s[14:15]
.Lpost_getpc618:
	s_add_u32 s14, s14, (.LBB1_2476-.Lpost_getpc618)&4294967295
	s_addc_u32 s15, s15, (.LBB1_2476-.Lpost_getpc618)>>32
	s_setpc_b64 s[14:15]
.LBB1_16813:
	s_movk_i32 s4, 0x80
	v_cmp_eq_u16_sdwa s[12:13], v6, s4 src0_sel:BYTE_0 src1_sel:DWORD
	s_mov_b64 s[4:5], -1
                                        ; implicit-def: $sgpr10
	s_and_saveexec_b64 s[8:9], s[12:13]
; %bb.16814:
	s_mov_b32 s10, 0x7f800001
	s_xor_b64 s[4:5], exec, -1
; %bb.16815:
	s_or_b64 exec, exec, s[8:9]
	s_and_b64 s[4:5], s[4:5], exec
	s_or_saveexec_b64 s[6:7], s[6:7]
	v_mov_b32_e32 v12, s10
	s_xor_b64 exec, exec, s[6:7]
	s_cbranch_execnz .LBB1_16816
; %bb.52653:
	s_getpc_b64 s[14:15]
.Lpost_getpc11990:
	s_add_u32 s14, s14, (.LBB1_2478-.Lpost_getpc11990)&4294967295
	s_addc_u32 s15, s15, (.LBB1_2478-.Lpost_getpc11990)>>32
	s_setpc_b64 s[14:15]
.LBB1_16816:
	v_mov_b32_e32 v12, 0
	v_cmp_ne_u16_sdwa s[8:9], v6, v12 src0_sel:BYTE_0 src1_sel:DWORD
	s_andn2_b64 s[4:5], s[4:5], exec
	s_and_b64 s[8:9], s[8:9], exec
	s_or_b64 s[4:5], s[4:5], s[8:9]
	s_or_b64 exec, exec, s[6:7]
	s_and_saveexec_b64 s[6:7], s[4:5]
	s_cbranch_execz .LBB1_29911
; %bb.52655:
	s_getpc_b64 s[14:15]
.Lpost_getpc11991:
	s_add_u32 s14, s14, (.LBB1_2479-.Lpost_getpc11991)&4294967295
	s_addc_u32 s15, s15, (.LBB1_2479-.Lpost_getpc11991)>>32
	s_setpc_b64 s[14:15]
.LBB1_29911:
	s_getpc_b64 s[14:15]
.Lpost_getpc619:
	s_add_u32 s14, s14, (.LBB1_2480-.Lpost_getpc619)&4294967295
	s_addc_u32 s15, s15, (.LBB1_2480-.Lpost_getpc619)>>32
	s_setpc_b64 s[14:15]
.LBB1_16817:
	s_movk_i32 s4, 0x80
	v_cmp_eq_u16_e32 vcc, s4, v6
	s_mov_b64 s[4:5], -1
                                        ; implicit-def: $sgpr10
	s_and_saveexec_b64 s[8:9], vcc
; %bb.16818:
	s_mov_b32 s10, 0x7f800001
	s_xor_b64 s[4:5], exec, -1
; %bb.16819:
	s_or_b64 exec, exec, s[8:9]
	s_and_b64 s[4:5], s[4:5], exec
                                        ; implicit-def: $vgpr6
	s_or_saveexec_b64 s[6:7], s[6:7]
	v_mov_b32_e32 v2, s10
	s_xor_b64 exec, exec, s[6:7]
	s_cbranch_execnz .LBB1_16820
; %bb.52657:
	s_getpc_b64 s[14:15]
.Lpost_getpc11992:
	s_add_u32 s14, s14, (.LBB1_2482-.Lpost_getpc11992)&4294967295
	s_addc_u32 s15, s15, (.LBB1_2482-.Lpost_getpc11992)>>32
	s_setpc_b64 s[14:15]
.LBB1_16820:
	v_cmp_ne_u16_e32 vcc, 0, v6
	s_andn2_b64 s[4:5], s[4:5], exec
	s_and_b64 s[8:9], vcc, exec
	v_mov_b32_e32 v2, 0
	s_or_b64 s[4:5], s[4:5], s[8:9]
	s_or_b64 exec, exec, s[6:7]
	s_and_saveexec_b64 s[6:7], s[4:5]
	s_cbranch_execz .LBB1_29913
; %bb.52659:
	s_getpc_b64 s[14:15]
.Lpost_getpc11993:
	s_add_u32 s14, s14, (.LBB1_2483-.Lpost_getpc11993)&4294967295
	s_addc_u32 s15, s15, (.LBB1_2483-.Lpost_getpc11993)>>32
	s_setpc_b64 s[14:15]
.LBB1_29913:
	s_getpc_b64 s[14:15]
.Lpost_getpc620:
	s_add_u32 s14, s14, (.LBB1_2484-.Lpost_getpc620)&4294967295
	s_addc_u32 s15, s15, (.LBB1_2484-.Lpost_getpc620)>>32
	s_setpc_b64 s[14:15]
.LBB1_16821:
	s_movk_i32 s4, 0x80
	v_cmp_eq_u16_e32 vcc, s4, v6
	s_mov_b64 s[4:5], -1
                                        ; implicit-def: $sgpr10
	s_and_saveexec_b64 s[8:9], vcc
; %bb.16822:
	s_mov_b32 s10, 0x7f800001
	s_xor_b64 s[4:5], exec, -1
; %bb.16823:
	s_or_b64 exec, exec, s[8:9]
	s_and_b64 s[4:5], s[4:5], exec
                                        ; implicit-def: $vgpr6
	s_or_saveexec_b64 s[6:7], s[6:7]
	v_mov_b32_e32 v12, s10
	s_xor_b64 exec, exec, s[6:7]
	s_cbranch_execnz .LBB1_16824
; %bb.52661:
	s_getpc_b64 s[14:15]
.Lpost_getpc11994:
	s_add_u32 s14, s14, (.LBB1_2486-.Lpost_getpc11994)&4294967295
	s_addc_u32 s15, s15, (.LBB1_2486-.Lpost_getpc11994)>>32
	s_setpc_b64 s[14:15]
.LBB1_16824:
	v_cmp_ne_u16_e32 vcc, 0, v6
	s_andn2_b64 s[4:5], s[4:5], exec
	s_and_b64 s[8:9], vcc, exec
	v_mov_b32_e32 v12, 0
	s_or_b64 s[4:5], s[4:5], s[8:9]
	s_or_b64 exec, exec, s[6:7]
	s_and_saveexec_b64 s[6:7], s[4:5]
	s_cbranch_execz .LBB1_29915
; %bb.52663:
	s_getpc_b64 s[14:15]
.Lpost_getpc11995:
	s_add_u32 s14, s14, (.LBB1_2487-.Lpost_getpc11995)&4294967295
	s_addc_u32 s15, s15, (.LBB1_2487-.Lpost_getpc11995)>>32
	s_setpc_b64 s[14:15]
.LBB1_29915:
	s_getpc_b64 s[14:15]
.Lpost_getpc621:
	s_add_u32 s14, s14, (.LBB1_2488-.Lpost_getpc621)&4294967295
	s_addc_u32 s15, s15, (.LBB1_2488-.Lpost_getpc621)>>32
	s_setpc_b64 s[14:15]
.LBB1_16825:
	s_movk_i32 s4, 0x80
	v_cmp_eq_u16_sdwa s[12:13], v7, s4 src0_sel:BYTE_3 src1_sel:DWORD
	s_mov_b64 s[4:5], -1
                                        ; implicit-def: $sgpr10
	s_and_saveexec_b64 s[8:9], s[12:13]
; %bb.16826:
	s_mov_b32 s10, 0x7f800001
	s_xor_b64 s[4:5], exec, -1
; %bb.16827:
	s_or_b64 exec, exec, s[8:9]
	s_and_b64 s[4:5], s[4:5], exec
	s_or_saveexec_b64 s[6:7], s[6:7]
	v_mov_b32_e32 v2, s10
	s_xor_b64 exec, exec, s[6:7]
	s_cbranch_execnz .LBB1_16828
; %bb.52665:
	s_getpc_b64 s[14:15]
.Lpost_getpc11996:
	s_add_u32 s14, s14, (.LBB1_2490-.Lpost_getpc11996)&4294967295
	s_addc_u32 s15, s15, (.LBB1_2490-.Lpost_getpc11996)>>32
	s_setpc_b64 s[14:15]
.LBB1_16828:
	v_mov_b32_e32 v2, 0
	v_cmp_ne_u16_sdwa s[8:9], v7, v2 src0_sel:BYTE_3 src1_sel:DWORD
	s_andn2_b64 s[4:5], s[4:5], exec
	s_and_b64 s[8:9], s[8:9], exec
	s_or_b64 s[4:5], s[4:5], s[8:9]
	s_or_b64 exec, exec, s[6:7]
	s_and_saveexec_b64 s[6:7], s[4:5]
	s_cbranch_execz .LBB1_29917
; %bb.52667:
	s_getpc_b64 s[14:15]
.Lpost_getpc11997:
	s_add_u32 s14, s14, (.LBB1_2491-.Lpost_getpc11997)&4294967295
	s_addc_u32 s15, s15, (.LBB1_2491-.Lpost_getpc11997)>>32
	s_setpc_b64 s[14:15]
.LBB1_29917:
	s_getpc_b64 s[14:15]
.Lpost_getpc622:
	s_add_u32 s14, s14, (.LBB1_2492-.Lpost_getpc622)&4294967295
	s_addc_u32 s15, s15, (.LBB1_2492-.Lpost_getpc622)>>32
	s_setpc_b64 s[14:15]
.LBB1_16829:
	s_movk_i32 s4, 0x80
	v_cmp_eq_u16_sdwa s[12:13], v3, s4 src0_sel:BYTE_3 src1_sel:DWORD
	s_mov_b64 s[4:5], -1
                                        ; implicit-def: $sgpr10
	s_and_saveexec_b64 s[8:9], s[12:13]
; %bb.16830:
	s_mov_b32 s10, 0x7f800001
	s_xor_b64 s[4:5], exec, -1
; %bb.16831:
	s_or_b64 exec, exec, s[8:9]
	s_and_b64 s[4:5], s[4:5], exec
	s_or_saveexec_b64 s[6:7], s[6:7]
	v_mov_b32_e32 v6, s10
	s_xor_b64 exec, exec, s[6:7]
	s_cbranch_execnz .LBB1_16832
; %bb.52669:
	s_getpc_b64 s[14:15]
.Lpost_getpc11998:
	s_add_u32 s14, s14, (.LBB1_2494-.Lpost_getpc11998)&4294967295
	s_addc_u32 s15, s15, (.LBB1_2494-.Lpost_getpc11998)>>32
	s_setpc_b64 s[14:15]
.LBB1_16832:
	v_mov_b32_e32 v6, 0
	v_cmp_ne_u16_sdwa s[8:9], v3, v6 src0_sel:BYTE_3 src1_sel:DWORD
	s_andn2_b64 s[4:5], s[4:5], exec
	s_and_b64 s[8:9], s[8:9], exec
	s_or_b64 s[4:5], s[4:5], s[8:9]
	s_or_b64 exec, exec, s[6:7]
	s_and_saveexec_b64 s[6:7], s[4:5]
	s_cbranch_execz .LBB1_29919
; %bb.52671:
	s_getpc_b64 s[14:15]
.Lpost_getpc11999:
	s_add_u32 s14, s14, (.LBB1_2495-.Lpost_getpc11999)&4294967295
	s_addc_u32 s15, s15, (.LBB1_2495-.Lpost_getpc11999)>>32
	s_setpc_b64 s[14:15]
.LBB1_29919:
	s_getpc_b64 s[14:15]
.Lpost_getpc623:
	s_add_u32 s14, s14, (.LBB1_2496-.Lpost_getpc623)&4294967295
	s_addc_u32 s15, s15, (.LBB1_2496-.Lpost_getpc623)>>32
	s_setpc_b64 s[14:15]
.LBB1_16833:
	s_movk_i32 s4, 0x80
	v_cmp_eq_u16_sdwa s[12:13], v8, s4 src0_sel:BYTE_0 src1_sel:DWORD
	s_mov_b64 s[4:5], -1
                                        ; implicit-def: $sgpr10
	s_and_saveexec_b64 s[8:9], s[12:13]
; %bb.16834:
	s_mov_b32 s10, 0x7f800001
	s_xor_b64 s[4:5], exec, -1
; %bb.16835:
	s_or_b64 exec, exec, s[8:9]
	s_and_b64 s[4:5], s[4:5], exec
	s_or_saveexec_b64 s[6:7], s[6:7]
	v_mov_b32_e32 v2, s10
	s_xor_b64 exec, exec, s[6:7]
	s_cbranch_execnz .LBB1_16836
; %bb.52673:
	s_getpc_b64 s[14:15]
.Lpost_getpc12000:
	s_add_u32 s14, s14, (.LBB1_2498-.Lpost_getpc12000)&4294967295
	s_addc_u32 s15, s15, (.LBB1_2498-.Lpost_getpc12000)>>32
	s_setpc_b64 s[14:15]
.LBB1_16836:
	v_mov_b32_e32 v2, 0
	v_cmp_ne_u16_sdwa s[8:9], v8, v2 src0_sel:BYTE_0 src1_sel:DWORD
	s_andn2_b64 s[4:5], s[4:5], exec
	s_and_b64 s[8:9], s[8:9], exec
	s_or_b64 s[4:5], s[4:5], s[8:9]
	s_or_b64 exec, exec, s[6:7]
	s_and_saveexec_b64 s[6:7], s[4:5]
	s_cbranch_execz .LBB1_29921
; %bb.52675:
	s_getpc_b64 s[14:15]
.Lpost_getpc12001:
	s_add_u32 s14, s14, (.LBB1_2499-.Lpost_getpc12001)&4294967295
	s_addc_u32 s15, s15, (.LBB1_2499-.Lpost_getpc12001)>>32
	s_setpc_b64 s[14:15]
.LBB1_29921:
	s_getpc_b64 s[14:15]
.Lpost_getpc624:
	s_add_u32 s14, s14, (.LBB1_2500-.Lpost_getpc624)&4294967295
	s_addc_u32 s15, s15, (.LBB1_2500-.Lpost_getpc624)>>32
	s_setpc_b64 s[14:15]
.LBB1_16837:
	s_movk_i32 s4, 0x80
	v_cmp_eq_u16_sdwa s[12:13], v4, s4 src0_sel:BYTE_0 src1_sel:DWORD
	s_mov_b64 s[4:5], -1
                                        ; implicit-def: $sgpr10
	s_and_saveexec_b64 s[8:9], s[12:13]
; %bb.16838:
	s_mov_b32 s10, 0x7f800001
	s_xor_b64 s[4:5], exec, -1
; %bb.16839:
	s_or_b64 exec, exec, s[8:9]
	s_and_b64 s[4:5], s[4:5], exec
	s_or_saveexec_b64 s[6:7], s[6:7]
	v_mov_b32_e32 v3, s10
	s_xor_b64 exec, exec, s[6:7]
	s_cbranch_execnz .LBB1_16840
; %bb.52677:
	s_getpc_b64 s[14:15]
.Lpost_getpc12002:
	s_add_u32 s14, s14, (.LBB1_2502-.Lpost_getpc12002)&4294967295
	s_addc_u32 s15, s15, (.LBB1_2502-.Lpost_getpc12002)>>32
	s_setpc_b64 s[14:15]
.LBB1_16840:
	v_mov_b32_e32 v3, 0
	v_cmp_ne_u16_sdwa s[8:9], v4, v3 src0_sel:BYTE_0 src1_sel:DWORD
	s_andn2_b64 s[4:5], s[4:5], exec
	s_and_b64 s[8:9], s[8:9], exec
	s_or_b64 s[4:5], s[4:5], s[8:9]
	s_or_b64 exec, exec, s[6:7]
	s_and_saveexec_b64 s[6:7], s[4:5]
	s_cbranch_execz .LBB1_29923
; %bb.52679:
	s_getpc_b64 s[14:15]
.Lpost_getpc12003:
	s_add_u32 s14, s14, (.LBB1_2503-.Lpost_getpc12003)&4294967295
	s_addc_u32 s15, s15, (.LBB1_2503-.Lpost_getpc12003)>>32
	s_setpc_b64 s[14:15]
.LBB1_29923:
	s_getpc_b64 s[14:15]
.Lpost_getpc625:
	s_add_u32 s14, s14, (.LBB1_2504-.Lpost_getpc625)&4294967295
	s_addc_u32 s15, s15, (.LBB1_2504-.Lpost_getpc625)>>32
	s_setpc_b64 s[14:15]
.LBB1_16841:
	s_movk_i32 s4, 0x80
	v_cmp_eq_u16_sdwa s[12:13], v3, s4 src0_sel:BYTE_0 src1_sel:DWORD
	s_mov_b64 s[4:5], -1
                                        ; implicit-def: $sgpr10
	s_and_saveexec_b64 s[8:9], s[12:13]
; %bb.16842:
	s_mov_b32 s10, 0x7f800001
	s_xor_b64 s[4:5], exec, -1
; %bb.16843:
	s_or_b64 exec, exec, s[8:9]
	s_and_b64 s[4:5], s[4:5], exec
	s_or_saveexec_b64 s[6:7], s[6:7]
	v_mov_b32_e32 v2, s10
	s_xor_b64 exec, exec, s[6:7]
	s_cbranch_execnz .LBB1_16844
; %bb.52681:
	s_getpc_b64 s[14:15]
.Lpost_getpc12004:
	s_add_u32 s14, s14, (.LBB1_2506-.Lpost_getpc12004)&4294967295
	s_addc_u32 s15, s15, (.LBB1_2506-.Lpost_getpc12004)>>32
	s_setpc_b64 s[14:15]
.LBB1_16844:
	v_mov_b32_e32 v2, 0
	v_cmp_ne_u16_sdwa s[8:9], v3, v2 src0_sel:BYTE_0 src1_sel:DWORD
	s_andn2_b64 s[4:5], s[4:5], exec
	s_and_b64 s[8:9], s[8:9], exec
	s_or_b64 s[4:5], s[4:5], s[8:9]
	s_or_b64 exec, exec, s[6:7]
	s_and_saveexec_b64 s[6:7], s[4:5]
	s_cbranch_execz .LBB1_29925
; %bb.52683:
	s_getpc_b64 s[14:15]
.Lpost_getpc12005:
	s_add_u32 s14, s14, (.LBB1_2507-.Lpost_getpc12005)&4294967295
	s_addc_u32 s15, s15, (.LBB1_2507-.Lpost_getpc12005)>>32
	s_setpc_b64 s[14:15]
.LBB1_29925:
	s_getpc_b64 s[14:15]
.Lpost_getpc626:
	s_add_u32 s14, s14, (.LBB1_2508-.Lpost_getpc626)&4294967295
	s_addc_u32 s15, s15, (.LBB1_2508-.Lpost_getpc626)>>32
	s_setpc_b64 s[14:15]
.LBB1_16845:
	s_movk_i32 s4, 0x80
	v_cmp_eq_u16_sdwa s[12:13], v3, s4 src0_sel:BYTE_0 src1_sel:DWORD
	s_mov_b64 s[4:5], -1
                                        ; implicit-def: $sgpr10
	s_and_saveexec_b64 s[8:9], s[12:13]
; %bb.16846:
	s_mov_b32 s10, 0x7f800001
	s_xor_b64 s[4:5], exec, -1
; %bb.16847:
	s_or_b64 exec, exec, s[8:9]
	s_and_b64 s[4:5], s[4:5], exec
	s_or_saveexec_b64 s[6:7], s[6:7]
	v_mov_b32_e32 v6, s10
	s_xor_b64 exec, exec, s[6:7]
	s_cbranch_execnz .LBB1_16848
; %bb.52685:
	s_getpc_b64 s[14:15]
.Lpost_getpc12006:
	s_add_u32 s14, s14, (.LBB1_2510-.Lpost_getpc12006)&4294967295
	s_addc_u32 s15, s15, (.LBB1_2510-.Lpost_getpc12006)>>32
	s_setpc_b64 s[14:15]
.LBB1_16848:
	v_mov_b32_e32 v6, 0
	v_cmp_ne_u16_sdwa s[8:9], v3, v6 src0_sel:BYTE_0 src1_sel:DWORD
	s_andn2_b64 s[4:5], s[4:5], exec
	s_and_b64 s[8:9], s[8:9], exec
	s_or_b64 s[4:5], s[4:5], s[8:9]
	s_or_b64 exec, exec, s[6:7]
	s_and_saveexec_b64 s[6:7], s[4:5]
	s_cbranch_execz .LBB1_29927
; %bb.52687:
	s_getpc_b64 s[14:15]
.Lpost_getpc12007:
	s_add_u32 s14, s14, (.LBB1_2511-.Lpost_getpc12007)&4294967295
	s_addc_u32 s15, s15, (.LBB1_2511-.Lpost_getpc12007)>>32
	s_setpc_b64 s[14:15]
.LBB1_29927:
	s_getpc_b64 s[14:15]
.Lpost_getpc627:
	s_add_u32 s14, s14, (.LBB1_2512-.Lpost_getpc627)&4294967295
	s_addc_u32 s15, s15, (.LBB1_2512-.Lpost_getpc627)>>32
	s_setpc_b64 s[14:15]
.LBB1_16849:
	s_movk_i32 s4, 0x80
	v_cmp_eq_u16_e32 vcc, s4, v3
	s_mov_b64 s[4:5], -1
                                        ; implicit-def: $sgpr10
	s_and_saveexec_b64 s[8:9], vcc
; %bb.16850:
	s_mov_b32 s10, 0x7f800001
	s_xor_b64 s[4:5], exec, -1
; %bb.16851:
	s_or_b64 exec, exec, s[8:9]
	s_and_b64 s[4:5], s[4:5], exec
                                        ; implicit-def: $vgpr3
	s_or_saveexec_b64 s[6:7], s[6:7]
	v_mov_b32_e32 v2, s10
	s_xor_b64 exec, exec, s[6:7]
	s_cbranch_execnz .LBB1_16852
; %bb.52689:
	s_getpc_b64 s[14:15]
.Lpost_getpc12008:
	s_add_u32 s14, s14, (.LBB1_2514-.Lpost_getpc12008)&4294967295
	s_addc_u32 s15, s15, (.LBB1_2514-.Lpost_getpc12008)>>32
	s_setpc_b64 s[14:15]
.LBB1_16852:
	v_cmp_ne_u16_e32 vcc, 0, v3
	s_andn2_b64 s[4:5], s[4:5], exec
	s_and_b64 s[8:9], vcc, exec
	v_mov_b32_e32 v2, 0
	s_or_b64 s[4:5], s[4:5], s[8:9]
	s_or_b64 exec, exec, s[6:7]
	s_and_saveexec_b64 s[6:7], s[4:5]
	s_cbranch_execz .LBB1_29929
; %bb.52691:
	s_getpc_b64 s[14:15]
.Lpost_getpc12009:
	s_add_u32 s14, s14, (.LBB1_2515-.Lpost_getpc12009)&4294967295
	s_addc_u32 s15, s15, (.LBB1_2515-.Lpost_getpc12009)>>32
	s_setpc_b64 s[14:15]
.LBB1_29929:
	s_getpc_b64 s[14:15]
.Lpost_getpc628:
	s_add_u32 s14, s14, (.LBB1_2516-.Lpost_getpc628)&4294967295
	s_addc_u32 s15, s15, (.LBB1_2516-.Lpost_getpc628)>>32
	s_setpc_b64 s[14:15]
.LBB1_16853:
	s_movk_i32 s4, 0x80
	v_cmp_eq_u16_e32 vcc, s4, v3
	s_mov_b64 s[4:5], -1
                                        ; implicit-def: $sgpr10
	s_and_saveexec_b64 s[8:9], vcc
; %bb.16854:
	s_mov_b32 s10, 0x7f800001
	s_xor_b64 s[4:5], exec, -1
; %bb.16855:
	s_or_b64 exec, exec, s[8:9]
	s_and_b64 s[4:5], s[4:5], exec
                                        ; implicit-def: $vgpr3
	s_or_saveexec_b64 s[6:7], s[6:7]
	v_mov_b32_e32 v6, s10
	s_xor_b64 exec, exec, s[6:7]
	s_cbranch_execnz .LBB1_16856
; %bb.52693:
	s_getpc_b64 s[14:15]
.Lpost_getpc12010:
	s_add_u32 s14, s14, (.LBB1_2518-.Lpost_getpc12010)&4294967295
	s_addc_u32 s15, s15, (.LBB1_2518-.Lpost_getpc12010)>>32
	s_setpc_b64 s[14:15]
.LBB1_16856:
	v_cmp_ne_u16_e32 vcc, 0, v3
	s_andn2_b64 s[4:5], s[4:5], exec
	s_and_b64 s[8:9], vcc, exec
	v_mov_b32_e32 v6, 0
	s_or_b64 s[4:5], s[4:5], s[8:9]
	s_or_b64 exec, exec, s[6:7]
	s_and_saveexec_b64 s[6:7], s[4:5]
	s_cbranch_execz .LBB1_29931
; %bb.52695:
	s_getpc_b64 s[14:15]
.Lpost_getpc12011:
	s_add_u32 s14, s14, (.LBB1_2519-.Lpost_getpc12011)&4294967295
	s_addc_u32 s15, s15, (.LBB1_2519-.Lpost_getpc12011)>>32
	s_setpc_b64 s[14:15]
.LBB1_29931:
	s_getpc_b64 s[14:15]
.Lpost_getpc629:
	s_add_u32 s14, s14, (.LBB1_2520-.Lpost_getpc629)&4294967295
	s_addc_u32 s15, s15, (.LBB1_2520-.Lpost_getpc629)>>32
	s_setpc_b64 s[14:15]
.LBB1_16857:
	s_movk_i32 s4, 0x80
	v_cmp_eq_u16_sdwa s[12:13], v8, s4 src0_sel:BYTE_3 src1_sel:DWORD
	s_mov_b64 s[4:5], -1
                                        ; implicit-def: $sgpr10
	s_and_saveexec_b64 s[8:9], s[12:13]
; %bb.16858:
	s_mov_b32 s10, 0x7f800001
	s_xor_b64 s[4:5], exec, -1
; %bb.16859:
	s_or_b64 exec, exec, s[8:9]
	s_and_b64 s[4:5], s[4:5], exec
	s_or_saveexec_b64 s[6:7], s[6:7]
	v_mov_b32_e32 v2, s10
	s_xor_b64 exec, exec, s[6:7]
	s_cbranch_execnz .LBB1_16860
; %bb.52697:
	s_getpc_b64 s[14:15]
.Lpost_getpc12012:
	s_add_u32 s14, s14, (.LBB1_2522-.Lpost_getpc12012)&4294967295
	s_addc_u32 s15, s15, (.LBB1_2522-.Lpost_getpc12012)>>32
	s_setpc_b64 s[14:15]
.LBB1_16860:
	v_mov_b32_e32 v2, 0
	v_cmp_ne_u16_sdwa s[8:9], v8, v2 src0_sel:BYTE_3 src1_sel:DWORD
	s_andn2_b64 s[4:5], s[4:5], exec
	s_and_b64 s[8:9], s[8:9], exec
	s_or_b64 s[4:5], s[4:5], s[8:9]
	s_or_b64 exec, exec, s[6:7]
	s_and_saveexec_b64 s[6:7], s[4:5]
	s_cbranch_execz .LBB1_29933
; %bb.52699:
	s_getpc_b64 s[14:15]
.Lpost_getpc12013:
	s_add_u32 s14, s14, (.LBB1_2523-.Lpost_getpc12013)&4294967295
	s_addc_u32 s15, s15, (.LBB1_2523-.Lpost_getpc12013)>>32
	s_setpc_b64 s[14:15]
.LBB1_29933:
	s_getpc_b64 s[14:15]
.Lpost_getpc630:
	s_add_u32 s14, s14, (.LBB1_2524-.Lpost_getpc630)&4294967295
	s_addc_u32 s15, s15, (.LBB1_2524-.Lpost_getpc630)>>32
	s_setpc_b64 s[14:15]
.LBB1_16861:
	s_movk_i32 s4, 0x80
	v_cmp_eq_u16_sdwa s[12:13], v4, s4 src0_sel:BYTE_3 src1_sel:DWORD
	s_mov_b64 s[4:5], -1
                                        ; implicit-def: $sgpr10
	s_and_saveexec_b64 s[8:9], s[12:13]
; %bb.16862:
	s_mov_b32 s10, 0x7f800001
	s_xor_b64 s[4:5], exec, -1
; %bb.16863:
	s_or_b64 exec, exec, s[8:9]
	s_and_b64 s[4:5], s[4:5], exec
	s_or_saveexec_b64 s[6:7], s[6:7]
	v_mov_b32_e32 v3, s10
	s_xor_b64 exec, exec, s[6:7]
	s_cbranch_execnz .LBB1_16864
; %bb.52701:
	s_getpc_b64 s[14:15]
.Lpost_getpc12014:
	s_add_u32 s14, s14, (.LBB1_2526-.Lpost_getpc12014)&4294967295
	s_addc_u32 s15, s15, (.LBB1_2526-.Lpost_getpc12014)>>32
	s_setpc_b64 s[14:15]
.LBB1_16864:
	v_mov_b32_e32 v3, 0
	v_cmp_ne_u16_sdwa s[8:9], v4, v3 src0_sel:BYTE_3 src1_sel:DWORD
	s_andn2_b64 s[4:5], s[4:5], exec
	s_and_b64 s[8:9], s[8:9], exec
	s_or_b64 s[4:5], s[4:5], s[8:9]
	s_or_b64 exec, exec, s[6:7]
	s_and_saveexec_b64 s[6:7], s[4:5]
	s_cbranch_execz .LBB1_29935
; %bb.52703:
	s_getpc_b64 s[14:15]
.Lpost_getpc12015:
	s_add_u32 s14, s14, (.LBB1_2527-.Lpost_getpc12015)&4294967295
	s_addc_u32 s15, s15, (.LBB1_2527-.Lpost_getpc12015)>>32
	s_setpc_b64 s[14:15]
.LBB1_29935:
	s_getpc_b64 s[14:15]
.Lpost_getpc631:
	s_add_u32 s14, s14, (.LBB1_2528-.Lpost_getpc631)&4294967295
	s_addc_u32 s15, s15, (.LBB1_2528-.Lpost_getpc631)>>32
	s_setpc_b64 s[14:15]
.LBB1_16865:
	s_movk_i32 s4, 0x80
	v_cmp_eq_u16_sdwa s[12:13], v9, s4 src0_sel:BYTE_0 src1_sel:DWORD
	s_mov_b64 s[4:5], -1
                                        ; implicit-def: $sgpr10
	s_and_saveexec_b64 s[8:9], s[12:13]
; %bb.16866:
	s_mov_b32 s10, 0x7f800001
	s_xor_b64 s[4:5], exec, -1
; %bb.16867:
	s_or_b64 exec, exec, s[8:9]
	s_and_b64 s[4:5], s[4:5], exec
	s_or_saveexec_b64 s[6:7], s[6:7]
	v_mov_b32_e32 v2, s10
	s_xor_b64 exec, exec, s[6:7]
	s_cbranch_execnz .LBB1_16868
; %bb.52705:
	s_getpc_b64 s[14:15]
.Lpost_getpc12016:
	s_add_u32 s14, s14, (.LBB1_2530-.Lpost_getpc12016)&4294967295
	s_addc_u32 s15, s15, (.LBB1_2530-.Lpost_getpc12016)>>32
	s_setpc_b64 s[14:15]
.LBB1_16868:
	v_mov_b32_e32 v2, 0
	v_cmp_ne_u16_sdwa s[8:9], v9, v2 src0_sel:BYTE_0 src1_sel:DWORD
	s_andn2_b64 s[4:5], s[4:5], exec
	s_and_b64 s[8:9], s[8:9], exec
	s_or_b64 s[4:5], s[4:5], s[8:9]
	s_or_b64 exec, exec, s[6:7]
	s_and_saveexec_b64 s[6:7], s[4:5]
	s_cbranch_execz .LBB1_29937
; %bb.52707:
	s_getpc_b64 s[14:15]
.Lpost_getpc12017:
	s_add_u32 s14, s14, (.LBB1_2531-.Lpost_getpc12017)&4294967295
	s_addc_u32 s15, s15, (.LBB1_2531-.Lpost_getpc12017)>>32
	s_setpc_b64 s[14:15]
.LBB1_29937:
	s_getpc_b64 s[14:15]
.Lpost_getpc632:
	s_add_u32 s14, s14, (.LBB1_2532-.Lpost_getpc632)&4294967295
	s_addc_u32 s15, s15, (.LBB1_2532-.Lpost_getpc632)>>32
	s_setpc_b64 s[14:15]
.LBB1_16869:
	s_movk_i32 s4, 0x80
	v_cmp_eq_u16_sdwa s[12:13], v5, s4 src0_sel:BYTE_0 src1_sel:DWORD
	s_mov_b64 s[4:5], -1
                                        ; implicit-def: $sgpr10
	s_and_saveexec_b64 s[8:9], s[12:13]
; %bb.16870:
	s_mov_b32 s10, 0x7f800001
	s_xor_b64 s[4:5], exec, -1
; %bb.16871:
	s_or_b64 exec, exec, s[8:9]
	s_and_b64 s[4:5], s[4:5], exec
	s_or_saveexec_b64 s[6:7], s[6:7]
	v_mov_b32_e32 v3, s10
	s_xor_b64 exec, exec, s[6:7]
	s_cbranch_execnz .LBB1_16872
; %bb.52709:
	s_getpc_b64 s[14:15]
.Lpost_getpc12018:
	s_add_u32 s14, s14, (.LBB1_2534-.Lpost_getpc12018)&4294967295
	s_addc_u32 s15, s15, (.LBB1_2534-.Lpost_getpc12018)>>32
	s_setpc_b64 s[14:15]
.LBB1_16872:
	v_mov_b32_e32 v3, 0
	v_cmp_ne_u16_sdwa s[8:9], v5, v3 src0_sel:BYTE_0 src1_sel:DWORD
	s_andn2_b64 s[4:5], s[4:5], exec
	s_and_b64 s[8:9], s[8:9], exec
	s_or_b64 s[4:5], s[4:5], s[8:9]
	s_or_b64 exec, exec, s[6:7]
	s_and_saveexec_b64 s[6:7], s[4:5]
	s_cbranch_execz .LBB1_29939
; %bb.52711:
	s_getpc_b64 s[14:15]
.Lpost_getpc12019:
	s_add_u32 s14, s14, (.LBB1_2535-.Lpost_getpc12019)&4294967295
	s_addc_u32 s15, s15, (.LBB1_2535-.Lpost_getpc12019)>>32
	s_setpc_b64 s[14:15]
.LBB1_29939:
	s_getpc_b64 s[14:15]
.Lpost_getpc633:
	s_add_u32 s14, s14, (.LBB1_2536-.Lpost_getpc633)&4294967295
	s_addc_u32 s15, s15, (.LBB1_2536-.Lpost_getpc633)>>32
	s_setpc_b64 s[14:15]
.LBB1_16873:
	s_movk_i32 s4, 0x80
	v_cmp_eq_u16_sdwa s[12:13], v3, s4 src0_sel:BYTE_0 src1_sel:DWORD
	s_mov_b64 s[4:5], -1
                                        ; implicit-def: $sgpr10
	s_and_saveexec_b64 s[8:9], s[12:13]
; %bb.16874:
	s_mov_b32 s10, 0x7f800001
	s_xor_b64 s[4:5], exec, -1
; %bb.16875:
	s_or_b64 exec, exec, s[8:9]
	s_and_b64 s[4:5], s[4:5], exec
	s_or_saveexec_b64 s[6:7], s[6:7]
	v_mov_b32_e32 v2, s10
	s_xor_b64 exec, exec, s[6:7]
	s_cbranch_execnz .LBB1_16876
; %bb.52713:
	s_getpc_b64 s[14:15]
.Lpost_getpc12020:
	s_add_u32 s14, s14, (.LBB1_2538-.Lpost_getpc12020)&4294967295
	s_addc_u32 s15, s15, (.LBB1_2538-.Lpost_getpc12020)>>32
	s_setpc_b64 s[14:15]
.LBB1_16876:
	v_mov_b32_e32 v2, 0
	v_cmp_ne_u16_sdwa s[8:9], v3, v2 src0_sel:BYTE_0 src1_sel:DWORD
	s_andn2_b64 s[4:5], s[4:5], exec
	s_and_b64 s[8:9], s[8:9], exec
	s_or_b64 s[4:5], s[4:5], s[8:9]
	s_or_b64 exec, exec, s[6:7]
	s_and_saveexec_b64 s[6:7], s[4:5]
	s_cbranch_execz .LBB1_29941
; %bb.52715:
	s_getpc_b64 s[14:15]
.Lpost_getpc12021:
	s_add_u32 s14, s14, (.LBB1_2539-.Lpost_getpc12021)&4294967295
	s_addc_u32 s15, s15, (.LBB1_2539-.Lpost_getpc12021)>>32
	s_setpc_b64 s[14:15]
.LBB1_29941:
	s_getpc_b64 s[14:15]
.Lpost_getpc634:
	s_add_u32 s14, s14, (.LBB1_2540-.Lpost_getpc634)&4294967295
	s_addc_u32 s15, s15, (.LBB1_2540-.Lpost_getpc634)>>32
	s_setpc_b64 s[14:15]
.LBB1_16877:
	s_movk_i32 s4, 0x80
	v_cmp_eq_u16_sdwa s[12:13], v3, s4 src0_sel:BYTE_0 src1_sel:DWORD
	s_mov_b64 s[4:5], -1
                                        ; implicit-def: $sgpr10
	s_and_saveexec_b64 s[8:9], s[12:13]
; %bb.16878:
	s_mov_b32 s10, 0x7f800001
	s_xor_b64 s[4:5], exec, -1
; %bb.16879:
	s_or_b64 exec, exec, s[8:9]
	s_and_b64 s[4:5], s[4:5], exec
	s_or_saveexec_b64 s[6:7], s[6:7]
	v_mov_b32_e32 v4, s10
	s_xor_b64 exec, exec, s[6:7]
	s_cbranch_execnz .LBB1_16880
; %bb.52717:
	s_getpc_b64 s[14:15]
.Lpost_getpc12022:
	s_add_u32 s14, s14, (.LBB1_2542-.Lpost_getpc12022)&4294967295
	s_addc_u32 s15, s15, (.LBB1_2542-.Lpost_getpc12022)>>32
	s_setpc_b64 s[14:15]
.LBB1_16880:
	v_mov_b32_e32 v4, 0
	v_cmp_ne_u16_sdwa s[8:9], v3, v4 src0_sel:BYTE_0 src1_sel:DWORD
	s_andn2_b64 s[4:5], s[4:5], exec
	s_and_b64 s[8:9], s[8:9], exec
	s_or_b64 s[4:5], s[4:5], s[8:9]
	s_or_b64 exec, exec, s[6:7]
	s_and_saveexec_b64 s[6:7], s[4:5]
	s_cbranch_execz .LBB1_29943
; %bb.52719:
	s_getpc_b64 s[14:15]
.Lpost_getpc12023:
	s_add_u32 s14, s14, (.LBB1_2543-.Lpost_getpc12023)&4294967295
	s_addc_u32 s15, s15, (.LBB1_2543-.Lpost_getpc12023)>>32
	s_setpc_b64 s[14:15]
.LBB1_29943:
	s_getpc_b64 s[14:15]
.Lpost_getpc635:
	s_add_u32 s14, s14, (.LBB1_2544-.Lpost_getpc635)&4294967295
	s_addc_u32 s15, s15, (.LBB1_2544-.Lpost_getpc635)>>32
	s_setpc_b64 s[14:15]
.LBB1_16881:
	s_movk_i32 s4, 0x80
	v_cmp_eq_u16_e32 vcc, s4, v3
	s_mov_b64 s[4:5], -1
                                        ; implicit-def: $sgpr10
	s_and_saveexec_b64 s[8:9], vcc
; %bb.16882:
	s_mov_b32 s10, 0x7f800001
	s_xor_b64 s[4:5], exec, -1
; %bb.16883:
	s_or_b64 exec, exec, s[8:9]
	s_and_b64 s[4:5], s[4:5], exec
                                        ; implicit-def: $vgpr3
	s_or_saveexec_b64 s[6:7], s[6:7]
	v_mov_b32_e32 v2, s10
	s_xor_b64 exec, exec, s[6:7]
	s_cbranch_execnz .LBB1_16884
; %bb.52721:
	s_getpc_b64 s[14:15]
.Lpost_getpc12024:
	s_add_u32 s14, s14, (.LBB1_2546-.Lpost_getpc12024)&4294967295
	s_addc_u32 s15, s15, (.LBB1_2546-.Lpost_getpc12024)>>32
	s_setpc_b64 s[14:15]
.LBB1_16884:
	v_cmp_ne_u16_e32 vcc, 0, v3
	s_andn2_b64 s[4:5], s[4:5], exec
	s_and_b64 s[8:9], vcc, exec
	v_mov_b32_e32 v2, 0
	s_or_b64 s[4:5], s[4:5], s[8:9]
	s_or_b64 exec, exec, s[6:7]
	s_and_saveexec_b64 s[6:7], s[4:5]
	s_cbranch_execz .LBB1_29945
; %bb.52723:
	s_getpc_b64 s[14:15]
.Lpost_getpc12025:
	s_add_u32 s14, s14, (.LBB1_2547-.Lpost_getpc12025)&4294967295
	s_addc_u32 s15, s15, (.LBB1_2547-.Lpost_getpc12025)>>32
	s_setpc_b64 s[14:15]
.LBB1_29945:
	s_getpc_b64 s[14:15]
.Lpost_getpc636:
	s_add_u32 s14, s14, (.LBB1_2548-.Lpost_getpc636)&4294967295
	s_addc_u32 s15, s15, (.LBB1_2548-.Lpost_getpc636)>>32
	s_setpc_b64 s[14:15]
.LBB1_16885:
	s_movk_i32 s4, 0x80
	v_cmp_eq_u16_e32 vcc, s4, v3
	s_mov_b64 s[4:5], -1
                                        ; implicit-def: $sgpr10
	s_and_saveexec_b64 s[8:9], vcc
; %bb.16886:
	s_mov_b32 s10, 0x7f800001
	s_xor_b64 s[4:5], exec, -1
; %bb.16887:
	s_or_b64 exec, exec, s[8:9]
	s_and_b64 s[4:5], s[4:5], exec
                                        ; implicit-def: $vgpr3
	s_or_saveexec_b64 s[6:7], s[6:7]
	v_mov_b32_e32 v4, s10
	s_xor_b64 exec, exec, s[6:7]
	s_cbranch_execnz .LBB1_16888
; %bb.52725:
	s_getpc_b64 s[14:15]
.Lpost_getpc12026:
	s_add_u32 s14, s14, (.LBB1_2550-.Lpost_getpc12026)&4294967295
	s_addc_u32 s15, s15, (.LBB1_2550-.Lpost_getpc12026)>>32
	s_setpc_b64 s[14:15]
.LBB1_16888:
	v_cmp_ne_u16_e32 vcc, 0, v3
	s_andn2_b64 s[4:5], s[4:5], exec
	s_and_b64 s[8:9], vcc, exec
	v_mov_b32_e32 v4, 0
	s_or_b64 s[4:5], s[4:5], s[8:9]
	s_or_b64 exec, exec, s[6:7]
	s_and_saveexec_b64 s[6:7], s[4:5]
	s_cbranch_execz .LBB1_29947
; %bb.52727:
	s_getpc_b64 s[14:15]
.Lpost_getpc12027:
	s_add_u32 s14, s14, (.LBB1_2551-.Lpost_getpc12027)&4294967295
	s_addc_u32 s15, s15, (.LBB1_2551-.Lpost_getpc12027)>>32
	s_setpc_b64 s[14:15]
.LBB1_29947:
	s_getpc_b64 s[14:15]
.Lpost_getpc637:
	s_add_u32 s14, s14, (.LBB1_2552-.Lpost_getpc637)&4294967295
	s_addc_u32 s15, s15, (.LBB1_2552-.Lpost_getpc637)>>32
	s_setpc_b64 s[14:15]
.LBB1_16889:
	s_movk_i32 s4, 0x80
	v_cmp_eq_u16_sdwa s[12:13], v9, s4 src0_sel:BYTE_3 src1_sel:DWORD
	s_mov_b64 s[4:5], -1
                                        ; implicit-def: $sgpr10
	s_and_saveexec_b64 s[8:9], s[12:13]
; %bb.16890:
	s_mov_b32 s10, 0x7f800001
	s_xor_b64 s[4:5], exec, -1
; %bb.16891:
	s_or_b64 exec, exec, s[8:9]
	s_and_b64 s[4:5], s[4:5], exec
	s_or_saveexec_b64 s[6:7], s[6:7]
	v_mov_b32_e32 v2, s10
	s_xor_b64 exec, exec, s[6:7]
	s_cbranch_execnz .LBB1_16892
; %bb.52729:
	s_getpc_b64 s[14:15]
.Lpost_getpc12028:
	s_add_u32 s14, s14, (.LBB1_2554-.Lpost_getpc12028)&4294967295
	s_addc_u32 s15, s15, (.LBB1_2554-.Lpost_getpc12028)>>32
	s_setpc_b64 s[14:15]
.LBB1_16892:
	v_mov_b32_e32 v2, 0
	v_cmp_ne_u16_sdwa s[8:9], v9, v2 src0_sel:BYTE_3 src1_sel:DWORD
	s_andn2_b64 s[4:5], s[4:5], exec
	s_and_b64 s[8:9], s[8:9], exec
	s_or_b64 s[4:5], s[4:5], s[8:9]
	s_or_b64 exec, exec, s[6:7]
	s_and_saveexec_b64 s[6:7], s[4:5]
	s_cbranch_execz .LBB1_29949
; %bb.52731:
	s_getpc_b64 s[14:15]
.Lpost_getpc12029:
	s_add_u32 s14, s14, (.LBB1_2555-.Lpost_getpc12029)&4294967295
	s_addc_u32 s15, s15, (.LBB1_2555-.Lpost_getpc12029)>>32
	s_setpc_b64 s[14:15]
.LBB1_29949:
	s_getpc_b64 s[14:15]
.Lpost_getpc638:
	s_add_u32 s14, s14, (.LBB1_2556-.Lpost_getpc638)&4294967295
	s_addc_u32 s15, s15, (.LBB1_2556-.Lpost_getpc638)>>32
	s_setpc_b64 s[14:15]
.LBB1_16893:
	s_movk_i32 s4, 0x80
	v_cmp_eq_u16_sdwa s[12:13], v5, s4 src0_sel:BYTE_3 src1_sel:DWORD
	s_mov_b64 s[4:5], -1
                                        ; implicit-def: $sgpr10
	s_and_saveexec_b64 s[8:9], s[12:13]
; %bb.16894:
	s_mov_b32 s10, 0x7f800001
	s_xor_b64 s[4:5], exec, -1
; %bb.16895:
	s_or_b64 exec, exec, s[8:9]
	s_and_b64 s[4:5], s[4:5], exec
	s_or_saveexec_b64 s[6:7], s[6:7]
	v_mov_b32_e32 v3, s10
	s_xor_b64 exec, exec, s[6:7]
	s_cbranch_execnz .LBB1_16896
; %bb.52733:
	s_getpc_b64 s[14:15]
.Lpost_getpc12030:
	s_add_u32 s14, s14, (.LBB1_2558-.Lpost_getpc12030)&4294967295
	s_addc_u32 s15, s15, (.LBB1_2558-.Lpost_getpc12030)>>32
	s_setpc_b64 s[14:15]
.LBB1_16896:
	v_mov_b32_e32 v3, 0
	v_cmp_ne_u16_sdwa s[8:9], v5, v3 src0_sel:BYTE_3 src1_sel:DWORD
	s_andn2_b64 s[4:5], s[4:5], exec
	s_and_b64 s[8:9], s[8:9], exec
	s_or_b64 s[4:5], s[4:5], s[8:9]
	s_or_b64 exec, exec, s[6:7]
	s_and_saveexec_b64 s[6:7], s[4:5]
	s_cbranch_execz .LBB1_29951
; %bb.52735:
	s_getpc_b64 s[14:15]
.Lpost_getpc12031:
	s_add_u32 s14, s14, (.LBB1_2559-.Lpost_getpc12031)&4294967295
	s_addc_u32 s15, s15, (.LBB1_2559-.Lpost_getpc12031)>>32
	s_setpc_b64 s[14:15]
.LBB1_29951:
	s_getpc_b64 s[14:15]
.Lpost_getpc639:
	s_add_u32 s14, s14, (.LBB1_2560-.Lpost_getpc639)&4294967295
	s_addc_u32 s15, s15, (.LBB1_2560-.Lpost_getpc639)>>32
	s_setpc_b64 s[14:15]
.LBB1_16897:
	s_movk_i32 s4, 0x80
	v_cmp_eq_u16_sdwa s[12:13], v6, s4 src0_sel:BYTE_0 src1_sel:DWORD
	s_mov_b64 s[4:5], -1
                                        ; implicit-def: $sgpr10
	s_and_saveexec_b64 s[8:9], s[12:13]
; %bb.16898:
	s_mov_b32 s10, 0x7f800001
	s_xor_b64 s[4:5], exec, -1
; %bb.16899:
	s_or_b64 exec, exec, s[8:9]
	s_and_b64 s[4:5], s[4:5], exec
	s_or_saveexec_b64 s[6:7], s[6:7]
	v_mov_b32_e32 v12, s10
	s_xor_b64 exec, exec, s[6:7]
	s_cbranch_execnz .LBB1_16900
; %bb.52737:
	s_getpc_b64 s[14:15]
.Lpost_getpc12032:
	s_add_u32 s14, s14, (.LBB1_2562-.Lpost_getpc12032)&4294967295
	s_addc_u32 s15, s15, (.LBB1_2562-.Lpost_getpc12032)>>32
	s_setpc_b64 s[14:15]
.LBB1_16900:
	v_mov_b32_e32 v12, 0
	v_cmp_ne_u16_sdwa s[8:9], v6, v12 src0_sel:BYTE_0 src1_sel:DWORD
	s_andn2_b64 s[4:5], s[4:5], exec
	s_and_b64 s[8:9], s[8:9], exec
	s_or_b64 s[4:5], s[4:5], s[8:9]
	s_or_b64 exec, exec, s[6:7]
	s_and_saveexec_b64 s[6:7], s[4:5]
	s_cbranch_execz .LBB1_29953
; %bb.52739:
	s_getpc_b64 s[14:15]
.Lpost_getpc12033:
	s_add_u32 s14, s14, (.LBB1_2563-.Lpost_getpc12033)&4294967295
	s_addc_u32 s15, s15, (.LBB1_2563-.Lpost_getpc12033)>>32
	s_setpc_b64 s[14:15]
.LBB1_29953:
	s_getpc_b64 s[14:15]
.Lpost_getpc640:
	s_add_u32 s14, s14, (.LBB1_2564-.Lpost_getpc640)&4294967295
	s_addc_u32 s15, s15, (.LBB1_2564-.Lpost_getpc640)>>32
	s_setpc_b64 s[14:15]
.LBB1_16901:
	s_movk_i32 s4, 0x80
	v_cmp_eq_u16_sdwa s[12:13], v2, s4 src0_sel:BYTE_0 src1_sel:DWORD
	s_mov_b64 s[4:5], -1
                                        ; implicit-def: $sgpr10
	s_and_saveexec_b64 s[8:9], s[12:13]
; %bb.16902:
	s_mov_b32 s10, 0x7f800001
	s_xor_b64 s[4:5], exec, -1
; %bb.16903:
	s_or_b64 exec, exec, s[8:9]
	s_and_b64 s[4:5], s[4:5], exec
	s_or_saveexec_b64 s[6:7], s[6:7]
	v_mov_b32_e32 v13, s10
	s_xor_b64 exec, exec, s[6:7]
	s_cbranch_execnz .LBB1_16904
; %bb.52741:
	s_getpc_b64 s[14:15]
.Lpost_getpc12034:
	s_add_u32 s14, s14, (.LBB1_2566-.Lpost_getpc12034)&4294967295
	s_addc_u32 s15, s15, (.LBB1_2566-.Lpost_getpc12034)>>32
	s_setpc_b64 s[14:15]
.LBB1_16904:
	v_mov_b32_e32 v13, 0
	v_cmp_ne_u16_sdwa s[8:9], v2, v13 src0_sel:BYTE_0 src1_sel:DWORD
	s_andn2_b64 s[4:5], s[4:5], exec
	s_and_b64 s[8:9], s[8:9], exec
	s_or_b64 s[4:5], s[4:5], s[8:9]
	s_or_b64 exec, exec, s[6:7]
	s_and_saveexec_b64 s[6:7], s[4:5]
	s_cbranch_execz .LBB1_29955
; %bb.52743:
	s_getpc_b64 s[14:15]
.Lpost_getpc12035:
	s_add_u32 s14, s14, (.LBB1_2567-.Lpost_getpc12035)&4294967295
	s_addc_u32 s15, s15, (.LBB1_2567-.Lpost_getpc12035)>>32
	s_setpc_b64 s[14:15]
.LBB1_29955:
	s_getpc_b64 s[14:15]
.Lpost_getpc641:
	s_add_u32 s14, s14, (.LBB1_2568-.Lpost_getpc641)&4294967295
	s_addc_u32 s15, s15, (.LBB1_2568-.Lpost_getpc641)>>32
	s_setpc_b64 s[14:15]
.LBB1_16905:
	s_movk_i32 s4, 0x80
	v_cmp_eq_u16_sdwa s[12:13], v13, s4 src0_sel:BYTE_0 src1_sel:DWORD
	s_mov_b64 s[4:5], -1
                                        ; implicit-def: $sgpr10
	s_and_saveexec_b64 s[8:9], s[12:13]
; %bb.16906:
	s_mov_b32 s10, 0x7f800001
	s_xor_b64 s[4:5], exec, -1
; %bb.16907:
	s_or_b64 exec, exec, s[8:9]
	s_and_b64 s[4:5], s[4:5], exec
	s_or_saveexec_b64 s[6:7], s[6:7]
	v_mov_b32_e32 v12, s10
	s_xor_b64 exec, exec, s[6:7]
	s_cbranch_execnz .LBB1_16908
; %bb.52745:
	s_getpc_b64 s[14:15]
.Lpost_getpc12036:
	s_add_u32 s14, s14, (.LBB1_2570-.Lpost_getpc12036)&4294967295
	s_addc_u32 s15, s15, (.LBB1_2570-.Lpost_getpc12036)>>32
	s_setpc_b64 s[14:15]
.LBB1_16908:
	v_mov_b32_e32 v12, 0
	v_cmp_ne_u16_sdwa s[8:9], v13, v12 src0_sel:BYTE_0 src1_sel:DWORD
	s_andn2_b64 s[4:5], s[4:5], exec
	s_and_b64 s[8:9], s[8:9], exec
	s_or_b64 s[4:5], s[4:5], s[8:9]
	s_or_b64 exec, exec, s[6:7]
	s_and_saveexec_b64 s[6:7], s[4:5]
	s_cbranch_execz .LBB1_29957
; %bb.52747:
	s_getpc_b64 s[14:15]
.Lpost_getpc12037:
	s_add_u32 s14, s14, (.LBB1_2571-.Lpost_getpc12037)&4294967295
	s_addc_u32 s15, s15, (.LBB1_2571-.Lpost_getpc12037)>>32
	s_setpc_b64 s[14:15]
.LBB1_29957:
	s_getpc_b64 s[14:15]
.Lpost_getpc642:
	s_add_u32 s14, s14, (.LBB1_2572-.Lpost_getpc642)&4294967295
	s_addc_u32 s15, s15, (.LBB1_2572-.Lpost_getpc642)>>32
	s_setpc_b64 s[14:15]
.LBB1_16909:
	s_movk_i32 s4, 0x80
	v_cmp_eq_u16_sdwa s[12:13], v13, s4 src0_sel:BYTE_0 src1_sel:DWORD
	s_mov_b64 s[4:5], -1
                                        ; implicit-def: $sgpr10
	s_and_saveexec_b64 s[8:9], s[12:13]
; %bb.16910:
	s_mov_b32 s10, 0x7f800001
	s_xor_b64 s[4:5], exec, -1
; %bb.16911:
	s_or_b64 exec, exec, s[8:9]
	s_and_b64 s[4:5], s[4:5], exec
	s_or_saveexec_b64 s[6:7], s[6:7]
	v_mov_b32_e32 v14, s10
	s_xor_b64 exec, exec, s[6:7]
	s_cbranch_execnz .LBB1_16912
; %bb.52749:
	s_getpc_b64 s[14:15]
.Lpost_getpc12038:
	s_add_u32 s14, s14, (.LBB1_2574-.Lpost_getpc12038)&4294967295
	s_addc_u32 s15, s15, (.LBB1_2574-.Lpost_getpc12038)>>32
	s_setpc_b64 s[14:15]
.LBB1_16912:
	v_mov_b32_e32 v14, 0
	v_cmp_ne_u16_sdwa s[8:9], v13, v14 src0_sel:BYTE_0 src1_sel:DWORD
	s_andn2_b64 s[4:5], s[4:5], exec
	s_and_b64 s[8:9], s[8:9], exec
	s_or_b64 s[4:5], s[4:5], s[8:9]
	s_or_b64 exec, exec, s[6:7]
	s_and_saveexec_b64 s[6:7], s[4:5]
	s_cbranch_execz .LBB1_29959
; %bb.52751:
	s_getpc_b64 s[14:15]
.Lpost_getpc12039:
	s_add_u32 s14, s14, (.LBB1_2575-.Lpost_getpc12039)&4294967295
	s_addc_u32 s15, s15, (.LBB1_2575-.Lpost_getpc12039)>>32
	s_setpc_b64 s[14:15]
.LBB1_29959:
	s_getpc_b64 s[14:15]
.Lpost_getpc643:
	s_add_u32 s14, s14, (.LBB1_2576-.Lpost_getpc643)&4294967295
	s_addc_u32 s15, s15, (.LBB1_2576-.Lpost_getpc643)>>32
	s_setpc_b64 s[14:15]
.LBB1_16913:
	s_movk_i32 s4, 0x80
	v_cmp_eq_u16_e32 vcc, s4, v13
	s_mov_b64 s[4:5], -1
                                        ; implicit-def: $sgpr10
	s_and_saveexec_b64 s[8:9], vcc
; %bb.16914:
	s_mov_b32 s10, 0x7f800001
	s_xor_b64 s[4:5], exec, -1
; %bb.16915:
	s_or_b64 exec, exec, s[8:9]
	s_and_b64 s[4:5], s[4:5], exec
                                        ; implicit-def: $vgpr13
	s_or_saveexec_b64 s[6:7], s[6:7]
	v_mov_b32_e32 v12, s10
	s_xor_b64 exec, exec, s[6:7]
	s_cbranch_execnz .LBB1_16916
; %bb.52753:
	s_getpc_b64 s[14:15]
.Lpost_getpc12040:
	s_add_u32 s14, s14, (.LBB1_2578-.Lpost_getpc12040)&4294967295
	s_addc_u32 s15, s15, (.LBB1_2578-.Lpost_getpc12040)>>32
	s_setpc_b64 s[14:15]
.LBB1_16916:
	v_cmp_ne_u16_e32 vcc, 0, v13
	s_andn2_b64 s[4:5], s[4:5], exec
	s_and_b64 s[8:9], vcc, exec
	v_mov_b32_e32 v12, 0
	s_or_b64 s[4:5], s[4:5], s[8:9]
	s_or_b64 exec, exec, s[6:7]
	s_and_saveexec_b64 s[6:7], s[4:5]
	s_cbranch_execz .LBB1_29961
; %bb.52755:
	s_getpc_b64 s[14:15]
.Lpost_getpc12041:
	s_add_u32 s14, s14, (.LBB1_2579-.Lpost_getpc12041)&4294967295
	s_addc_u32 s15, s15, (.LBB1_2579-.Lpost_getpc12041)>>32
	s_setpc_b64 s[14:15]
.LBB1_29961:
	s_getpc_b64 s[14:15]
.Lpost_getpc644:
	s_add_u32 s14, s14, (.LBB1_2580-.Lpost_getpc644)&4294967295
	s_addc_u32 s15, s15, (.LBB1_2580-.Lpost_getpc644)>>32
	s_setpc_b64 s[14:15]
.LBB1_16917:
	s_movk_i32 s4, 0x80
	v_cmp_eq_u16_e32 vcc, s4, v13
	s_mov_b64 s[4:5], -1
                                        ; implicit-def: $sgpr10
	s_and_saveexec_b64 s[8:9], vcc
; %bb.16918:
	s_mov_b32 s10, 0x7f800001
	s_xor_b64 s[4:5], exec, -1
; %bb.16919:
	s_or_b64 exec, exec, s[8:9]
	s_and_b64 s[4:5], s[4:5], exec
                                        ; implicit-def: $vgpr13
	s_or_saveexec_b64 s[6:7], s[6:7]
	v_mov_b32_e32 v14, s10
	s_xor_b64 exec, exec, s[6:7]
	s_cbranch_execnz .LBB1_16920
; %bb.52757:
	s_getpc_b64 s[14:15]
.Lpost_getpc12042:
	s_add_u32 s14, s14, (.LBB1_2582-.Lpost_getpc12042)&4294967295
	s_addc_u32 s15, s15, (.LBB1_2582-.Lpost_getpc12042)>>32
	s_setpc_b64 s[14:15]
.LBB1_16920:
	v_cmp_ne_u16_e32 vcc, 0, v13
	s_andn2_b64 s[4:5], s[4:5], exec
	s_and_b64 s[8:9], vcc, exec
	v_mov_b32_e32 v14, 0
	s_or_b64 s[4:5], s[4:5], s[8:9]
	s_or_b64 exec, exec, s[6:7]
	s_and_saveexec_b64 s[6:7], s[4:5]
	s_cbranch_execz .LBB1_29963
; %bb.52759:
	s_getpc_b64 s[14:15]
.Lpost_getpc12043:
	s_add_u32 s14, s14, (.LBB1_2583-.Lpost_getpc12043)&4294967295
	s_addc_u32 s15, s15, (.LBB1_2583-.Lpost_getpc12043)>>32
	s_setpc_b64 s[14:15]
.LBB1_29963:
	s_getpc_b64 s[14:15]
.Lpost_getpc645:
	s_add_u32 s14, s14, (.LBB1_2584-.Lpost_getpc645)&4294967295
	s_addc_u32 s15, s15, (.LBB1_2584-.Lpost_getpc645)>>32
	s_setpc_b64 s[14:15]
.LBB1_16921:
	s_movk_i32 s4, 0x80
	v_cmp_eq_u16_sdwa s[12:13], v6, s4 src0_sel:BYTE_3 src1_sel:DWORD
	s_mov_b64 s[4:5], -1
                                        ; implicit-def: $sgpr10
	s_and_saveexec_b64 s[8:9], s[12:13]
; %bb.16922:
	s_mov_b32 s10, 0x7f800001
	s_xor_b64 s[4:5], exec, -1
; %bb.16923:
	s_or_b64 exec, exec, s[8:9]
	s_and_b64 s[4:5], s[4:5], exec
	s_or_saveexec_b64 s[6:7], s[6:7]
	v_mov_b32_e32 v12, s10
	s_xor_b64 exec, exec, s[6:7]
	s_cbranch_execnz .LBB1_16924
; %bb.52761:
	s_getpc_b64 s[14:15]
.Lpost_getpc12044:
	s_add_u32 s14, s14, (.LBB1_2586-.Lpost_getpc12044)&4294967295
	s_addc_u32 s15, s15, (.LBB1_2586-.Lpost_getpc12044)>>32
	s_setpc_b64 s[14:15]
.LBB1_16924:
	v_mov_b32_e32 v12, 0
	v_cmp_ne_u16_sdwa s[8:9], v6, v12 src0_sel:BYTE_3 src1_sel:DWORD
	s_andn2_b64 s[4:5], s[4:5], exec
	s_and_b64 s[8:9], s[8:9], exec
	s_or_b64 s[4:5], s[4:5], s[8:9]
	s_or_b64 exec, exec, s[6:7]
	s_and_saveexec_b64 s[6:7], s[4:5]
	s_cbranch_execz .LBB1_29965
; %bb.52763:
	s_getpc_b64 s[14:15]
.Lpost_getpc12045:
	s_add_u32 s14, s14, (.LBB1_2587-.Lpost_getpc12045)&4294967295
	s_addc_u32 s15, s15, (.LBB1_2587-.Lpost_getpc12045)>>32
	s_setpc_b64 s[14:15]
.LBB1_29965:
	s_getpc_b64 s[14:15]
.Lpost_getpc646:
	s_add_u32 s14, s14, (.LBB1_2588-.Lpost_getpc646)&4294967295
	s_addc_u32 s15, s15, (.LBB1_2588-.Lpost_getpc646)>>32
	s_setpc_b64 s[14:15]
.LBB1_16925:
	s_movk_i32 s4, 0x80
	v_cmp_eq_u16_sdwa s[12:13], v2, s4 src0_sel:BYTE_3 src1_sel:DWORD
	s_mov_b64 s[4:5], -1
                                        ; implicit-def: $sgpr10
	s_and_saveexec_b64 s[8:9], s[12:13]
; %bb.16926:
	s_mov_b32 s10, 0x7f800001
	s_xor_b64 s[4:5], exec, -1
; %bb.16927:
	s_or_b64 exec, exec, s[8:9]
	s_and_b64 s[4:5], s[4:5], exec
	s_or_saveexec_b64 s[6:7], s[6:7]
	v_mov_b32_e32 v6, s10
	s_xor_b64 exec, exec, s[6:7]
	s_cbranch_execnz .LBB1_16928
; %bb.52765:
	s_getpc_b64 s[14:15]
.Lpost_getpc12046:
	s_add_u32 s14, s14, (.LBB1_2590-.Lpost_getpc12046)&4294967295
	s_addc_u32 s15, s15, (.LBB1_2590-.Lpost_getpc12046)>>32
	s_setpc_b64 s[14:15]
.LBB1_16928:
	v_mov_b32_e32 v6, 0
	v_cmp_ne_u16_sdwa s[8:9], v2, v6 src0_sel:BYTE_3 src1_sel:DWORD
	s_andn2_b64 s[4:5], s[4:5], exec
	s_and_b64 s[8:9], s[8:9], exec
	s_or_b64 s[4:5], s[4:5], s[8:9]
	s_or_b64 exec, exec, s[6:7]
	s_and_saveexec_b64 s[6:7], s[4:5]
	s_cbranch_execz .LBB1_29967
; %bb.52767:
	s_getpc_b64 s[14:15]
.Lpost_getpc12047:
	s_add_u32 s14, s14, (.LBB1_2591-.Lpost_getpc12047)&4294967295
	s_addc_u32 s15, s15, (.LBB1_2591-.Lpost_getpc12047)>>32
	s_setpc_b64 s[14:15]
.LBB1_29967:
	s_getpc_b64 s[14:15]
.Lpost_getpc647:
	s_add_u32 s14, s14, (.LBB1_2592-.Lpost_getpc647)&4294967295
	s_addc_u32 s15, s15, (.LBB1_2592-.Lpost_getpc647)>>32
	s_setpc_b64 s[14:15]
.LBB1_16929:
	s_movk_i32 s4, 0x80
	v_cmp_eq_u16_sdwa s[12:13], v7, s4 src0_sel:BYTE_0 src1_sel:DWORD
	s_mov_b64 s[4:5], -1
                                        ; implicit-def: $sgpr10
	s_and_saveexec_b64 s[8:9], s[12:13]
; %bb.16930:
	s_mov_b32 s10, 0x7f800001
	s_xor_b64 s[4:5], exec, -1
; %bb.16931:
	s_or_b64 exec, exec, s[8:9]
	s_and_b64 s[4:5], s[4:5], exec
	s_or_saveexec_b64 s[6:7], s[6:7]
	v_mov_b32_e32 v2, s10
	s_xor_b64 exec, exec, s[6:7]
	s_cbranch_execnz .LBB1_16932
; %bb.52769:
	s_getpc_b64 s[14:15]
.Lpost_getpc12048:
	s_add_u32 s14, s14, (.LBB1_2594-.Lpost_getpc12048)&4294967295
	s_addc_u32 s15, s15, (.LBB1_2594-.Lpost_getpc12048)>>32
	s_setpc_b64 s[14:15]
.LBB1_16932:
	v_mov_b32_e32 v2, 0
	v_cmp_ne_u16_sdwa s[8:9], v7, v2 src0_sel:BYTE_0 src1_sel:DWORD
	s_andn2_b64 s[4:5], s[4:5], exec
	s_and_b64 s[8:9], s[8:9], exec
	s_or_b64 s[4:5], s[4:5], s[8:9]
	s_or_b64 exec, exec, s[6:7]
	s_and_saveexec_b64 s[6:7], s[4:5]
	s_cbranch_execz .LBB1_29969
; %bb.52771:
	s_getpc_b64 s[14:15]
.Lpost_getpc12049:
	s_add_u32 s14, s14, (.LBB1_2595-.Lpost_getpc12049)&4294967295
	s_addc_u32 s15, s15, (.LBB1_2595-.Lpost_getpc12049)>>32
	s_setpc_b64 s[14:15]
.LBB1_29969:
	s_getpc_b64 s[14:15]
.Lpost_getpc648:
	s_add_u32 s14, s14, (.LBB1_2596-.Lpost_getpc648)&4294967295
	s_addc_u32 s15, s15, (.LBB1_2596-.Lpost_getpc648)>>32
	s_setpc_b64 s[14:15]
.LBB1_16933:
	s_movk_i32 s4, 0x80
	v_cmp_eq_u16_sdwa s[12:13], v3, s4 src0_sel:BYTE_0 src1_sel:DWORD
	s_mov_b64 s[4:5], -1
                                        ; implicit-def: $sgpr10
	s_and_saveexec_b64 s[8:9], s[12:13]
; %bb.16934:
	s_mov_b32 s10, 0x7f800001
	s_xor_b64 s[4:5], exec, -1
; %bb.16935:
	s_or_b64 exec, exec, s[8:9]
	s_and_b64 s[4:5], s[4:5], exec
	s_or_saveexec_b64 s[6:7], s[6:7]
	v_mov_b32_e32 v6, s10
	s_xor_b64 exec, exec, s[6:7]
	s_cbranch_execnz .LBB1_16936
; %bb.52773:
	s_getpc_b64 s[14:15]
.Lpost_getpc12050:
	s_add_u32 s14, s14, (.LBB1_2598-.Lpost_getpc12050)&4294967295
	s_addc_u32 s15, s15, (.LBB1_2598-.Lpost_getpc12050)>>32
	s_setpc_b64 s[14:15]
.LBB1_16936:
	v_mov_b32_e32 v6, 0
	v_cmp_ne_u16_sdwa s[8:9], v3, v6 src0_sel:BYTE_0 src1_sel:DWORD
	s_andn2_b64 s[4:5], s[4:5], exec
	s_and_b64 s[8:9], s[8:9], exec
	s_or_b64 s[4:5], s[4:5], s[8:9]
	s_or_b64 exec, exec, s[6:7]
	s_and_saveexec_b64 s[6:7], s[4:5]
	s_cbranch_execz .LBB1_29971
; %bb.52775:
	s_getpc_b64 s[14:15]
.Lpost_getpc12051:
	s_add_u32 s14, s14, (.LBB1_2599-.Lpost_getpc12051)&4294967295
	s_addc_u32 s15, s15, (.LBB1_2599-.Lpost_getpc12051)>>32
	s_setpc_b64 s[14:15]
.LBB1_29971:
	s_getpc_b64 s[14:15]
.Lpost_getpc649:
	s_add_u32 s14, s14, (.LBB1_2600-.Lpost_getpc649)&4294967295
	s_addc_u32 s15, s15, (.LBB1_2600-.Lpost_getpc649)>>32
	s_setpc_b64 s[14:15]
.LBB1_16937:
	s_movk_i32 s4, 0x80
	v_cmp_eq_u16_sdwa s[12:13], v6, s4 src0_sel:BYTE_0 src1_sel:DWORD
	s_mov_b64 s[4:5], -1
                                        ; implicit-def: $sgpr10
	s_and_saveexec_b64 s[8:9], s[12:13]
; %bb.16938:
	s_mov_b32 s10, 0x7f800001
	s_xor_b64 s[4:5], exec, -1
; %bb.16939:
	s_or_b64 exec, exec, s[8:9]
	s_and_b64 s[4:5], s[4:5], exec
	s_or_saveexec_b64 s[6:7], s[6:7]
	v_mov_b32_e32 v2, s10
	s_xor_b64 exec, exec, s[6:7]
	s_cbranch_execnz .LBB1_16940
; %bb.52777:
	s_getpc_b64 s[14:15]
.Lpost_getpc12052:
	s_add_u32 s14, s14, (.LBB1_2602-.Lpost_getpc12052)&4294967295
	s_addc_u32 s15, s15, (.LBB1_2602-.Lpost_getpc12052)>>32
	s_setpc_b64 s[14:15]
.LBB1_16940:
	v_mov_b32_e32 v2, 0
	v_cmp_ne_u16_sdwa s[8:9], v6, v2 src0_sel:BYTE_0 src1_sel:DWORD
	s_andn2_b64 s[4:5], s[4:5], exec
	s_and_b64 s[8:9], s[8:9], exec
	s_or_b64 s[4:5], s[4:5], s[8:9]
	s_or_b64 exec, exec, s[6:7]
	s_and_saveexec_b64 s[6:7], s[4:5]
	s_cbranch_execz .LBB1_29973
; %bb.52779:
	s_getpc_b64 s[14:15]
.Lpost_getpc12053:
	s_add_u32 s14, s14, (.LBB1_2603-.Lpost_getpc12053)&4294967295
	s_addc_u32 s15, s15, (.LBB1_2603-.Lpost_getpc12053)>>32
	s_setpc_b64 s[14:15]
.LBB1_29973:
	s_getpc_b64 s[14:15]
.Lpost_getpc650:
	s_add_u32 s14, s14, (.LBB1_2604-.Lpost_getpc650)&4294967295
	s_addc_u32 s15, s15, (.LBB1_2604-.Lpost_getpc650)>>32
	s_setpc_b64 s[14:15]
.LBB1_16941:
	s_movk_i32 s4, 0x80
	v_cmp_eq_u16_sdwa s[12:13], v6, s4 src0_sel:BYTE_0 src1_sel:DWORD
	s_mov_b64 s[4:5], -1
                                        ; implicit-def: $sgpr10
	s_and_saveexec_b64 s[8:9], s[12:13]
; %bb.16942:
	s_mov_b32 s10, 0x7f800001
	s_xor_b64 s[4:5], exec, -1
; %bb.16943:
	s_or_b64 exec, exec, s[8:9]
	s_and_b64 s[4:5], s[4:5], exec
	s_or_saveexec_b64 s[6:7], s[6:7]
	v_mov_b32_e32 v12, s10
	s_xor_b64 exec, exec, s[6:7]
	s_cbranch_execnz .LBB1_16944
; %bb.52781:
	s_getpc_b64 s[14:15]
.Lpost_getpc12054:
	s_add_u32 s14, s14, (.LBB1_2606-.Lpost_getpc12054)&4294967295
	s_addc_u32 s15, s15, (.LBB1_2606-.Lpost_getpc12054)>>32
	s_setpc_b64 s[14:15]
.LBB1_16944:
	v_mov_b32_e32 v12, 0
	v_cmp_ne_u16_sdwa s[8:9], v6, v12 src0_sel:BYTE_0 src1_sel:DWORD
	s_andn2_b64 s[4:5], s[4:5], exec
	s_and_b64 s[8:9], s[8:9], exec
	s_or_b64 s[4:5], s[4:5], s[8:9]
	s_or_b64 exec, exec, s[6:7]
	s_and_saveexec_b64 s[6:7], s[4:5]
	s_cbranch_execz .LBB1_29975
; %bb.52783:
	s_getpc_b64 s[14:15]
.Lpost_getpc12055:
	s_add_u32 s14, s14, (.LBB1_2607-.Lpost_getpc12055)&4294967295
	s_addc_u32 s15, s15, (.LBB1_2607-.Lpost_getpc12055)>>32
	s_setpc_b64 s[14:15]
.LBB1_29975:
	s_getpc_b64 s[14:15]
.Lpost_getpc651:
	s_add_u32 s14, s14, (.LBB1_2608-.Lpost_getpc651)&4294967295
	s_addc_u32 s15, s15, (.LBB1_2608-.Lpost_getpc651)>>32
	s_setpc_b64 s[14:15]
.LBB1_16945:
	s_movk_i32 s4, 0x80
	v_cmp_eq_u16_e32 vcc, s4, v6
	s_mov_b64 s[4:5], -1
                                        ; implicit-def: $sgpr10
	s_and_saveexec_b64 s[8:9], vcc
; %bb.16946:
	s_mov_b32 s10, 0x7f800001
	s_xor_b64 s[4:5], exec, -1
; %bb.16947:
	s_or_b64 exec, exec, s[8:9]
	s_and_b64 s[4:5], s[4:5], exec
                                        ; implicit-def: $vgpr6
	s_or_saveexec_b64 s[6:7], s[6:7]
	v_mov_b32_e32 v2, s10
	s_xor_b64 exec, exec, s[6:7]
	s_cbranch_execnz .LBB1_16948
; %bb.52785:
	s_getpc_b64 s[14:15]
.Lpost_getpc12056:
	s_add_u32 s14, s14, (.LBB1_2610-.Lpost_getpc12056)&4294967295
	s_addc_u32 s15, s15, (.LBB1_2610-.Lpost_getpc12056)>>32
	s_setpc_b64 s[14:15]
.LBB1_16948:
	v_cmp_ne_u16_e32 vcc, 0, v6
	s_andn2_b64 s[4:5], s[4:5], exec
	s_and_b64 s[8:9], vcc, exec
	v_mov_b32_e32 v2, 0
	s_or_b64 s[4:5], s[4:5], s[8:9]
	s_or_b64 exec, exec, s[6:7]
	s_and_saveexec_b64 s[6:7], s[4:5]
	s_cbranch_execz .LBB1_29977
; %bb.52787:
	s_getpc_b64 s[14:15]
.Lpost_getpc12057:
	s_add_u32 s14, s14, (.LBB1_2611-.Lpost_getpc12057)&4294967295
	s_addc_u32 s15, s15, (.LBB1_2611-.Lpost_getpc12057)>>32
	s_setpc_b64 s[14:15]
.LBB1_29977:
	s_getpc_b64 s[14:15]
.Lpost_getpc652:
	s_add_u32 s14, s14, (.LBB1_2612-.Lpost_getpc652)&4294967295
	s_addc_u32 s15, s15, (.LBB1_2612-.Lpost_getpc652)>>32
	s_setpc_b64 s[14:15]
.LBB1_16949:
	s_movk_i32 s4, 0x80
	v_cmp_eq_u16_e32 vcc, s4, v6
	s_mov_b64 s[4:5], -1
                                        ; implicit-def: $sgpr10
	s_and_saveexec_b64 s[8:9], vcc
; %bb.16950:
	s_mov_b32 s10, 0x7f800001
	s_xor_b64 s[4:5], exec, -1
; %bb.16951:
	s_or_b64 exec, exec, s[8:9]
	s_and_b64 s[4:5], s[4:5], exec
                                        ; implicit-def: $vgpr6
	s_or_saveexec_b64 s[6:7], s[6:7]
	v_mov_b32_e32 v12, s10
	s_xor_b64 exec, exec, s[6:7]
	s_cbranch_execnz .LBB1_16952
; %bb.52789:
	s_getpc_b64 s[14:15]
.Lpost_getpc12058:
	s_add_u32 s14, s14, (.LBB1_2614-.Lpost_getpc12058)&4294967295
	s_addc_u32 s15, s15, (.LBB1_2614-.Lpost_getpc12058)>>32
	s_setpc_b64 s[14:15]
.LBB1_16952:
	v_cmp_ne_u16_e32 vcc, 0, v6
	s_andn2_b64 s[4:5], s[4:5], exec
	s_and_b64 s[8:9], vcc, exec
	v_mov_b32_e32 v12, 0
	s_or_b64 s[4:5], s[4:5], s[8:9]
	s_or_b64 exec, exec, s[6:7]
	s_and_saveexec_b64 s[6:7], s[4:5]
	s_cbranch_execz .LBB1_29979
; %bb.52791:
	s_getpc_b64 s[14:15]
.Lpost_getpc12059:
	s_add_u32 s14, s14, (.LBB1_2615-.Lpost_getpc12059)&4294967295
	s_addc_u32 s15, s15, (.LBB1_2615-.Lpost_getpc12059)>>32
	s_setpc_b64 s[14:15]
.LBB1_29979:
	s_getpc_b64 s[14:15]
.Lpost_getpc653:
	s_add_u32 s14, s14, (.LBB1_2616-.Lpost_getpc653)&4294967295
	s_addc_u32 s15, s15, (.LBB1_2616-.Lpost_getpc653)>>32
	s_setpc_b64 s[14:15]
.LBB1_16953:
	s_movk_i32 s4, 0x80
	v_cmp_eq_u16_sdwa s[12:13], v7, s4 src0_sel:BYTE_3 src1_sel:DWORD
	s_mov_b64 s[4:5], -1
                                        ; implicit-def: $sgpr10
	s_and_saveexec_b64 s[8:9], s[12:13]
; %bb.16954:
	s_mov_b32 s10, 0x7f800001
	s_xor_b64 s[4:5], exec, -1
; %bb.16955:
	s_or_b64 exec, exec, s[8:9]
	s_and_b64 s[4:5], s[4:5], exec
	s_or_saveexec_b64 s[6:7], s[6:7]
	v_mov_b32_e32 v2, s10
	s_xor_b64 exec, exec, s[6:7]
	s_cbranch_execnz .LBB1_16956
; %bb.52793:
	s_getpc_b64 s[14:15]
.Lpost_getpc12060:
	s_add_u32 s14, s14, (.LBB1_2618-.Lpost_getpc12060)&4294967295
	s_addc_u32 s15, s15, (.LBB1_2618-.Lpost_getpc12060)>>32
	s_setpc_b64 s[14:15]
.LBB1_16956:
	v_mov_b32_e32 v2, 0
	v_cmp_ne_u16_sdwa s[8:9], v7, v2 src0_sel:BYTE_3 src1_sel:DWORD
	s_andn2_b64 s[4:5], s[4:5], exec
	s_and_b64 s[8:9], s[8:9], exec
	s_or_b64 s[4:5], s[4:5], s[8:9]
	s_or_b64 exec, exec, s[6:7]
	s_and_saveexec_b64 s[6:7], s[4:5]
	s_cbranch_execz .LBB1_29981
; %bb.52795:
	s_getpc_b64 s[14:15]
.Lpost_getpc12061:
	s_add_u32 s14, s14, (.LBB1_2619-.Lpost_getpc12061)&4294967295
	s_addc_u32 s15, s15, (.LBB1_2619-.Lpost_getpc12061)>>32
	s_setpc_b64 s[14:15]
.LBB1_29981:
	s_getpc_b64 s[14:15]
.Lpost_getpc654:
	s_add_u32 s14, s14, (.LBB1_2620-.Lpost_getpc654)&4294967295
	s_addc_u32 s15, s15, (.LBB1_2620-.Lpost_getpc654)>>32
	s_setpc_b64 s[14:15]
.LBB1_16957:
	s_movk_i32 s4, 0x80
	v_cmp_eq_u16_sdwa s[12:13], v3, s4 src0_sel:BYTE_3 src1_sel:DWORD
	s_mov_b64 s[4:5], -1
                                        ; implicit-def: $sgpr10
	s_and_saveexec_b64 s[8:9], s[12:13]
; %bb.16958:
	s_mov_b32 s10, 0x7f800001
	s_xor_b64 s[4:5], exec, -1
; %bb.16959:
	s_or_b64 exec, exec, s[8:9]
	s_and_b64 s[4:5], s[4:5], exec
	s_or_saveexec_b64 s[6:7], s[6:7]
	v_mov_b32_e32 v6, s10
	s_xor_b64 exec, exec, s[6:7]
	s_cbranch_execnz .LBB1_16960
; %bb.52797:
	s_getpc_b64 s[14:15]
.Lpost_getpc12062:
	s_add_u32 s14, s14, (.LBB1_2622-.Lpost_getpc12062)&4294967295
	s_addc_u32 s15, s15, (.LBB1_2622-.Lpost_getpc12062)>>32
	s_setpc_b64 s[14:15]
.LBB1_16960:
	v_mov_b32_e32 v6, 0
	v_cmp_ne_u16_sdwa s[8:9], v3, v6 src0_sel:BYTE_3 src1_sel:DWORD
	s_andn2_b64 s[4:5], s[4:5], exec
	s_and_b64 s[8:9], s[8:9], exec
	s_or_b64 s[4:5], s[4:5], s[8:9]
	s_or_b64 exec, exec, s[6:7]
	s_and_saveexec_b64 s[6:7], s[4:5]
	s_cbranch_execz .LBB1_29983
; %bb.52799:
	s_getpc_b64 s[14:15]
.Lpost_getpc12063:
	s_add_u32 s14, s14, (.LBB1_2623-.Lpost_getpc12063)&4294967295
	s_addc_u32 s15, s15, (.LBB1_2623-.Lpost_getpc12063)>>32
	s_setpc_b64 s[14:15]
.LBB1_29983:
	s_getpc_b64 s[14:15]
.Lpost_getpc655:
	s_add_u32 s14, s14, (.LBB1_2624-.Lpost_getpc655)&4294967295
	s_addc_u32 s15, s15, (.LBB1_2624-.Lpost_getpc655)>>32
	s_setpc_b64 s[14:15]
.LBB1_16961:
	s_movk_i32 s4, 0x80
	v_cmp_eq_u16_sdwa s[12:13], v8, s4 src0_sel:BYTE_0 src1_sel:DWORD
	s_mov_b64 s[4:5], -1
                                        ; implicit-def: $sgpr10
	s_and_saveexec_b64 s[8:9], s[12:13]
; %bb.16962:
	s_mov_b32 s10, 0x7f800001
	s_xor_b64 s[4:5], exec, -1
; %bb.16963:
	s_or_b64 exec, exec, s[8:9]
	s_and_b64 s[4:5], s[4:5], exec
	s_or_saveexec_b64 s[6:7], s[6:7]
	v_mov_b32_e32 v2, s10
	s_xor_b64 exec, exec, s[6:7]
	s_cbranch_execnz .LBB1_16964
; %bb.52801:
	s_getpc_b64 s[14:15]
.Lpost_getpc12064:
	s_add_u32 s14, s14, (.LBB1_2626-.Lpost_getpc12064)&4294967295
	s_addc_u32 s15, s15, (.LBB1_2626-.Lpost_getpc12064)>>32
	s_setpc_b64 s[14:15]
.LBB1_16964:
	v_mov_b32_e32 v2, 0
	v_cmp_ne_u16_sdwa s[8:9], v8, v2 src0_sel:BYTE_0 src1_sel:DWORD
	s_andn2_b64 s[4:5], s[4:5], exec
	s_and_b64 s[8:9], s[8:9], exec
	s_or_b64 s[4:5], s[4:5], s[8:9]
	s_or_b64 exec, exec, s[6:7]
	s_and_saveexec_b64 s[6:7], s[4:5]
	s_cbranch_execz .LBB1_29985
; %bb.52803:
	s_getpc_b64 s[14:15]
.Lpost_getpc12065:
	s_add_u32 s14, s14, (.LBB1_2627-.Lpost_getpc12065)&4294967295
	s_addc_u32 s15, s15, (.LBB1_2627-.Lpost_getpc12065)>>32
	s_setpc_b64 s[14:15]
.LBB1_29985:
	s_getpc_b64 s[14:15]
.Lpost_getpc656:
	s_add_u32 s14, s14, (.LBB1_2628-.Lpost_getpc656)&4294967295
	s_addc_u32 s15, s15, (.LBB1_2628-.Lpost_getpc656)>>32
	s_setpc_b64 s[14:15]
.LBB1_16965:
	s_movk_i32 s4, 0x80
	v_cmp_eq_u16_sdwa s[12:13], v4, s4 src0_sel:BYTE_0 src1_sel:DWORD
	s_mov_b64 s[4:5], -1
                                        ; implicit-def: $sgpr10
	s_and_saveexec_b64 s[8:9], s[12:13]
; %bb.16966:
	s_mov_b32 s10, 0x7f800001
	s_xor_b64 s[4:5], exec, -1
; %bb.16967:
	s_or_b64 exec, exec, s[8:9]
	s_and_b64 s[4:5], s[4:5], exec
	s_or_saveexec_b64 s[6:7], s[6:7]
	v_mov_b32_e32 v3, s10
	s_xor_b64 exec, exec, s[6:7]
	s_cbranch_execnz .LBB1_16968
; %bb.52805:
	s_getpc_b64 s[14:15]
.Lpost_getpc12066:
	s_add_u32 s14, s14, (.LBB1_2630-.Lpost_getpc12066)&4294967295
	s_addc_u32 s15, s15, (.LBB1_2630-.Lpost_getpc12066)>>32
	s_setpc_b64 s[14:15]
.LBB1_16968:
	v_mov_b32_e32 v3, 0
	v_cmp_ne_u16_sdwa s[8:9], v4, v3 src0_sel:BYTE_0 src1_sel:DWORD
	s_andn2_b64 s[4:5], s[4:5], exec
	s_and_b64 s[8:9], s[8:9], exec
	s_or_b64 s[4:5], s[4:5], s[8:9]
	s_or_b64 exec, exec, s[6:7]
	s_and_saveexec_b64 s[6:7], s[4:5]
	s_cbranch_execz .LBB1_29987
; %bb.52807:
	s_getpc_b64 s[14:15]
.Lpost_getpc12067:
	s_add_u32 s14, s14, (.LBB1_2631-.Lpost_getpc12067)&4294967295
	s_addc_u32 s15, s15, (.LBB1_2631-.Lpost_getpc12067)>>32
	s_setpc_b64 s[14:15]
.LBB1_29987:
	s_getpc_b64 s[14:15]
.Lpost_getpc657:
	s_add_u32 s14, s14, (.LBB1_2632-.Lpost_getpc657)&4294967295
	s_addc_u32 s15, s15, (.LBB1_2632-.Lpost_getpc657)>>32
	s_setpc_b64 s[14:15]
.LBB1_16969:
	s_movk_i32 s4, 0x80
	v_cmp_eq_u16_sdwa s[12:13], v3, s4 src0_sel:BYTE_0 src1_sel:DWORD
	s_mov_b64 s[4:5], -1
                                        ; implicit-def: $sgpr10
	s_and_saveexec_b64 s[8:9], s[12:13]
; %bb.16970:
	s_mov_b32 s10, 0x7f800001
	s_xor_b64 s[4:5], exec, -1
; %bb.16971:
	s_or_b64 exec, exec, s[8:9]
	s_and_b64 s[4:5], s[4:5], exec
	s_or_saveexec_b64 s[6:7], s[6:7]
	v_mov_b32_e32 v2, s10
	s_xor_b64 exec, exec, s[6:7]
	s_cbranch_execnz .LBB1_16972
; %bb.52809:
	s_getpc_b64 s[14:15]
.Lpost_getpc12068:
	s_add_u32 s14, s14, (.LBB1_2634-.Lpost_getpc12068)&4294967295
	s_addc_u32 s15, s15, (.LBB1_2634-.Lpost_getpc12068)>>32
	s_setpc_b64 s[14:15]
.LBB1_16972:
	v_mov_b32_e32 v2, 0
	v_cmp_ne_u16_sdwa s[8:9], v3, v2 src0_sel:BYTE_0 src1_sel:DWORD
	s_andn2_b64 s[4:5], s[4:5], exec
	s_and_b64 s[8:9], s[8:9], exec
	s_or_b64 s[4:5], s[4:5], s[8:9]
	s_or_b64 exec, exec, s[6:7]
	s_and_saveexec_b64 s[6:7], s[4:5]
	s_cbranch_execz .LBB1_29989
; %bb.52811:
	s_getpc_b64 s[14:15]
.Lpost_getpc12069:
	s_add_u32 s14, s14, (.LBB1_2635-.Lpost_getpc12069)&4294967295
	s_addc_u32 s15, s15, (.LBB1_2635-.Lpost_getpc12069)>>32
	s_setpc_b64 s[14:15]
.LBB1_29989:
	s_getpc_b64 s[14:15]
.Lpost_getpc658:
	s_add_u32 s14, s14, (.LBB1_2636-.Lpost_getpc658)&4294967295
	s_addc_u32 s15, s15, (.LBB1_2636-.Lpost_getpc658)>>32
	s_setpc_b64 s[14:15]
.LBB1_16973:
	s_movk_i32 s4, 0x80
	v_cmp_eq_u16_sdwa s[12:13], v3, s4 src0_sel:BYTE_0 src1_sel:DWORD
	s_mov_b64 s[4:5], -1
                                        ; implicit-def: $sgpr10
	s_and_saveexec_b64 s[8:9], s[12:13]
; %bb.16974:
	s_mov_b32 s10, 0x7f800001
	s_xor_b64 s[4:5], exec, -1
; %bb.16975:
	s_or_b64 exec, exec, s[8:9]
	s_and_b64 s[4:5], s[4:5], exec
	s_or_saveexec_b64 s[6:7], s[6:7]
	v_mov_b32_e32 v6, s10
	s_xor_b64 exec, exec, s[6:7]
	s_cbranch_execnz .LBB1_16976
; %bb.52813:
	s_getpc_b64 s[14:15]
.Lpost_getpc12070:
	s_add_u32 s14, s14, (.LBB1_2638-.Lpost_getpc12070)&4294967295
	s_addc_u32 s15, s15, (.LBB1_2638-.Lpost_getpc12070)>>32
	s_setpc_b64 s[14:15]
.LBB1_16976:
	v_mov_b32_e32 v6, 0
	v_cmp_ne_u16_sdwa s[8:9], v3, v6 src0_sel:BYTE_0 src1_sel:DWORD
	s_andn2_b64 s[4:5], s[4:5], exec
	s_and_b64 s[8:9], s[8:9], exec
	s_or_b64 s[4:5], s[4:5], s[8:9]
	s_or_b64 exec, exec, s[6:7]
	s_and_saveexec_b64 s[6:7], s[4:5]
	s_cbranch_execz .LBB1_29991
; %bb.52815:
	s_getpc_b64 s[14:15]
.Lpost_getpc12071:
	s_add_u32 s14, s14, (.LBB1_2639-.Lpost_getpc12071)&4294967295
	s_addc_u32 s15, s15, (.LBB1_2639-.Lpost_getpc12071)>>32
	s_setpc_b64 s[14:15]
.LBB1_29991:
	s_getpc_b64 s[14:15]
.Lpost_getpc659:
	s_add_u32 s14, s14, (.LBB1_2640-.Lpost_getpc659)&4294967295
	s_addc_u32 s15, s15, (.LBB1_2640-.Lpost_getpc659)>>32
	s_setpc_b64 s[14:15]
.LBB1_16977:
	s_movk_i32 s4, 0x80
	v_cmp_eq_u16_e32 vcc, s4, v3
	s_mov_b64 s[4:5], -1
                                        ; implicit-def: $sgpr10
	s_and_saveexec_b64 s[8:9], vcc
; %bb.16978:
	s_mov_b32 s10, 0x7f800001
	s_xor_b64 s[4:5], exec, -1
; %bb.16979:
	s_or_b64 exec, exec, s[8:9]
	s_and_b64 s[4:5], s[4:5], exec
                                        ; implicit-def: $vgpr3
	s_or_saveexec_b64 s[6:7], s[6:7]
	v_mov_b32_e32 v2, s10
	s_xor_b64 exec, exec, s[6:7]
	s_cbranch_execnz .LBB1_16980
; %bb.52817:
	s_getpc_b64 s[14:15]
.Lpost_getpc12072:
	s_add_u32 s14, s14, (.LBB1_2642-.Lpost_getpc12072)&4294967295
	s_addc_u32 s15, s15, (.LBB1_2642-.Lpost_getpc12072)>>32
	s_setpc_b64 s[14:15]
.LBB1_16980:
	v_cmp_ne_u16_e32 vcc, 0, v3
	s_andn2_b64 s[4:5], s[4:5], exec
	s_and_b64 s[8:9], vcc, exec
	v_mov_b32_e32 v2, 0
	s_or_b64 s[4:5], s[4:5], s[8:9]
	s_or_b64 exec, exec, s[6:7]
	s_and_saveexec_b64 s[6:7], s[4:5]
	s_cbranch_execz .LBB1_29993
; %bb.52819:
	s_getpc_b64 s[14:15]
.Lpost_getpc12073:
	s_add_u32 s14, s14, (.LBB1_2643-.Lpost_getpc12073)&4294967295
	s_addc_u32 s15, s15, (.LBB1_2643-.Lpost_getpc12073)>>32
	s_setpc_b64 s[14:15]
.LBB1_29993:
	s_getpc_b64 s[14:15]
.Lpost_getpc660:
	s_add_u32 s14, s14, (.LBB1_2644-.Lpost_getpc660)&4294967295
	s_addc_u32 s15, s15, (.LBB1_2644-.Lpost_getpc660)>>32
	s_setpc_b64 s[14:15]
.LBB1_16981:
	s_movk_i32 s4, 0x80
	v_cmp_eq_u16_e32 vcc, s4, v3
	s_mov_b64 s[4:5], -1
                                        ; implicit-def: $sgpr10
	s_and_saveexec_b64 s[8:9], vcc
; %bb.16982:
	s_mov_b32 s10, 0x7f800001
	s_xor_b64 s[4:5], exec, -1
; %bb.16983:
	s_or_b64 exec, exec, s[8:9]
	s_and_b64 s[4:5], s[4:5], exec
                                        ; implicit-def: $vgpr3
	s_or_saveexec_b64 s[6:7], s[6:7]
	v_mov_b32_e32 v6, s10
	s_xor_b64 exec, exec, s[6:7]
	s_cbranch_execnz .LBB1_16984
; %bb.52821:
	s_getpc_b64 s[14:15]
.Lpost_getpc12074:
	s_add_u32 s14, s14, (.LBB1_2646-.Lpost_getpc12074)&4294967295
	s_addc_u32 s15, s15, (.LBB1_2646-.Lpost_getpc12074)>>32
	s_setpc_b64 s[14:15]
.LBB1_16984:
	v_cmp_ne_u16_e32 vcc, 0, v3
	s_andn2_b64 s[4:5], s[4:5], exec
	s_and_b64 s[8:9], vcc, exec
	v_mov_b32_e32 v6, 0
	s_or_b64 s[4:5], s[4:5], s[8:9]
	s_or_b64 exec, exec, s[6:7]
	s_and_saveexec_b64 s[6:7], s[4:5]
	s_cbranch_execz .LBB1_29995
; %bb.52823:
	s_getpc_b64 s[14:15]
.Lpost_getpc12075:
	s_add_u32 s14, s14, (.LBB1_2647-.Lpost_getpc12075)&4294967295
	s_addc_u32 s15, s15, (.LBB1_2647-.Lpost_getpc12075)>>32
	s_setpc_b64 s[14:15]
.LBB1_29995:
	s_getpc_b64 s[14:15]
.Lpost_getpc661:
	s_add_u32 s14, s14, (.LBB1_2648-.Lpost_getpc661)&4294967295
	s_addc_u32 s15, s15, (.LBB1_2648-.Lpost_getpc661)>>32
	s_setpc_b64 s[14:15]
.LBB1_16985:
	s_movk_i32 s4, 0x80
	v_cmp_eq_u16_sdwa s[12:13], v8, s4 src0_sel:BYTE_3 src1_sel:DWORD
	s_mov_b64 s[4:5], -1
                                        ; implicit-def: $sgpr10
	s_and_saveexec_b64 s[8:9], s[12:13]
; %bb.16986:
	s_mov_b32 s10, 0x7f800001
	s_xor_b64 s[4:5], exec, -1
; %bb.16987:
	s_or_b64 exec, exec, s[8:9]
	s_and_b64 s[4:5], s[4:5], exec
	s_or_saveexec_b64 s[6:7], s[6:7]
	v_mov_b32_e32 v2, s10
	s_xor_b64 exec, exec, s[6:7]
	s_cbranch_execnz .LBB1_16988
; %bb.52825:
	s_getpc_b64 s[14:15]
.Lpost_getpc12076:
	s_add_u32 s14, s14, (.LBB1_2650-.Lpost_getpc12076)&4294967295
	s_addc_u32 s15, s15, (.LBB1_2650-.Lpost_getpc12076)>>32
	s_setpc_b64 s[14:15]
.LBB1_16988:
	v_mov_b32_e32 v2, 0
	v_cmp_ne_u16_sdwa s[8:9], v8, v2 src0_sel:BYTE_3 src1_sel:DWORD
	s_andn2_b64 s[4:5], s[4:5], exec
	s_and_b64 s[8:9], s[8:9], exec
	s_or_b64 s[4:5], s[4:5], s[8:9]
	s_or_b64 exec, exec, s[6:7]
	s_and_saveexec_b64 s[6:7], s[4:5]
	s_cbranch_execz .LBB1_29997
; %bb.52827:
	s_getpc_b64 s[14:15]
.Lpost_getpc12077:
	s_add_u32 s14, s14, (.LBB1_2651-.Lpost_getpc12077)&4294967295
	s_addc_u32 s15, s15, (.LBB1_2651-.Lpost_getpc12077)>>32
	s_setpc_b64 s[14:15]
.LBB1_29997:
	s_getpc_b64 s[14:15]
.Lpost_getpc662:
	s_add_u32 s14, s14, (.LBB1_2652-.Lpost_getpc662)&4294967295
	s_addc_u32 s15, s15, (.LBB1_2652-.Lpost_getpc662)>>32
	s_setpc_b64 s[14:15]
.LBB1_16989:
	s_movk_i32 s4, 0x80
	v_cmp_eq_u16_sdwa s[12:13], v4, s4 src0_sel:BYTE_3 src1_sel:DWORD
	s_mov_b64 s[4:5], -1
                                        ; implicit-def: $sgpr10
	s_and_saveexec_b64 s[8:9], s[12:13]
; %bb.16990:
	s_mov_b32 s10, 0x7f800001
	s_xor_b64 s[4:5], exec, -1
; %bb.16991:
	s_or_b64 exec, exec, s[8:9]
	s_and_b64 s[4:5], s[4:5], exec
	s_or_saveexec_b64 s[6:7], s[6:7]
	v_mov_b32_e32 v3, s10
	s_xor_b64 exec, exec, s[6:7]
	s_cbranch_execnz .LBB1_16992
; %bb.52829:
	s_getpc_b64 s[14:15]
.Lpost_getpc12078:
	s_add_u32 s14, s14, (.LBB1_2654-.Lpost_getpc12078)&4294967295
	s_addc_u32 s15, s15, (.LBB1_2654-.Lpost_getpc12078)>>32
	s_setpc_b64 s[14:15]
.LBB1_16992:
	v_mov_b32_e32 v3, 0
	v_cmp_ne_u16_sdwa s[8:9], v4, v3 src0_sel:BYTE_3 src1_sel:DWORD
	s_andn2_b64 s[4:5], s[4:5], exec
	s_and_b64 s[8:9], s[8:9], exec
	s_or_b64 s[4:5], s[4:5], s[8:9]
	s_or_b64 exec, exec, s[6:7]
	s_and_saveexec_b64 s[6:7], s[4:5]
	s_cbranch_execz .LBB1_29999
; %bb.52831:
	s_getpc_b64 s[14:15]
.Lpost_getpc12079:
	s_add_u32 s14, s14, (.LBB1_2655-.Lpost_getpc12079)&4294967295
	s_addc_u32 s15, s15, (.LBB1_2655-.Lpost_getpc12079)>>32
	s_setpc_b64 s[14:15]
.LBB1_29999:
	s_getpc_b64 s[14:15]
.Lpost_getpc663:
	s_add_u32 s14, s14, (.LBB1_2656-.Lpost_getpc663)&4294967295
	s_addc_u32 s15, s15, (.LBB1_2656-.Lpost_getpc663)>>32
	s_setpc_b64 s[14:15]
.LBB1_16993:
	s_movk_i32 s4, 0x80
	v_cmp_eq_u16_sdwa s[12:13], v9, s4 src0_sel:BYTE_0 src1_sel:DWORD
	s_mov_b64 s[4:5], -1
                                        ; implicit-def: $sgpr10
	s_and_saveexec_b64 s[8:9], s[12:13]
; %bb.16994:
	s_mov_b32 s10, 0x7f800001
	s_xor_b64 s[4:5], exec, -1
; %bb.16995:
	s_or_b64 exec, exec, s[8:9]
	s_and_b64 s[4:5], s[4:5], exec
	s_or_saveexec_b64 s[6:7], s[6:7]
	v_mov_b32_e32 v2, s10
	s_xor_b64 exec, exec, s[6:7]
	s_cbranch_execnz .LBB1_16996
; %bb.52833:
	s_getpc_b64 s[14:15]
.Lpost_getpc12080:
	s_add_u32 s14, s14, (.LBB1_2658-.Lpost_getpc12080)&4294967295
	s_addc_u32 s15, s15, (.LBB1_2658-.Lpost_getpc12080)>>32
	s_setpc_b64 s[14:15]
.LBB1_16996:
	v_mov_b32_e32 v2, 0
	v_cmp_ne_u16_sdwa s[8:9], v9, v2 src0_sel:BYTE_0 src1_sel:DWORD
	s_andn2_b64 s[4:5], s[4:5], exec
	s_and_b64 s[8:9], s[8:9], exec
	s_or_b64 s[4:5], s[4:5], s[8:9]
	s_or_b64 exec, exec, s[6:7]
	s_and_saveexec_b64 s[6:7], s[4:5]
	s_cbranch_execz .LBB1_30001
; %bb.52835:
	s_getpc_b64 s[14:15]
.Lpost_getpc12081:
	s_add_u32 s14, s14, (.LBB1_2659-.Lpost_getpc12081)&4294967295
	s_addc_u32 s15, s15, (.LBB1_2659-.Lpost_getpc12081)>>32
	s_setpc_b64 s[14:15]
.LBB1_30001:
	s_getpc_b64 s[14:15]
.Lpost_getpc664:
	s_add_u32 s14, s14, (.LBB1_2660-.Lpost_getpc664)&4294967295
	s_addc_u32 s15, s15, (.LBB1_2660-.Lpost_getpc664)>>32
	s_setpc_b64 s[14:15]
.LBB1_16997:
	s_movk_i32 s4, 0x80
	v_cmp_eq_u16_sdwa s[12:13], v5, s4 src0_sel:BYTE_0 src1_sel:DWORD
	s_mov_b64 s[4:5], -1
                                        ; implicit-def: $sgpr10
	s_and_saveexec_b64 s[8:9], s[12:13]
; %bb.16998:
	s_mov_b32 s10, 0x7f800001
	s_xor_b64 s[4:5], exec, -1
; %bb.16999:
	s_or_b64 exec, exec, s[8:9]
	s_and_b64 s[4:5], s[4:5], exec
	s_or_saveexec_b64 s[6:7], s[6:7]
	v_mov_b32_e32 v3, s10
	s_xor_b64 exec, exec, s[6:7]
	s_cbranch_execnz .LBB1_17000
; %bb.52837:
	s_getpc_b64 s[14:15]
.Lpost_getpc12082:
	s_add_u32 s14, s14, (.LBB1_2662-.Lpost_getpc12082)&4294967295
	s_addc_u32 s15, s15, (.LBB1_2662-.Lpost_getpc12082)>>32
	s_setpc_b64 s[14:15]
.LBB1_17000:
	v_mov_b32_e32 v3, 0
	v_cmp_ne_u16_sdwa s[8:9], v5, v3 src0_sel:BYTE_0 src1_sel:DWORD
	s_andn2_b64 s[4:5], s[4:5], exec
	s_and_b64 s[8:9], s[8:9], exec
	s_or_b64 s[4:5], s[4:5], s[8:9]
	s_or_b64 exec, exec, s[6:7]
	s_and_saveexec_b64 s[6:7], s[4:5]
	s_cbranch_execz .LBB1_30003
; %bb.52839:
	s_getpc_b64 s[14:15]
.Lpost_getpc12083:
	s_add_u32 s14, s14, (.LBB1_2663-.Lpost_getpc12083)&4294967295
	s_addc_u32 s15, s15, (.LBB1_2663-.Lpost_getpc12083)>>32
	s_setpc_b64 s[14:15]
.LBB1_30003:
	s_getpc_b64 s[14:15]
.Lpost_getpc665:
	s_add_u32 s14, s14, (.LBB1_2664-.Lpost_getpc665)&4294967295
	s_addc_u32 s15, s15, (.LBB1_2664-.Lpost_getpc665)>>32
	s_setpc_b64 s[14:15]
.LBB1_17001:
	s_movk_i32 s4, 0x80
	v_cmp_eq_u16_sdwa s[12:13], v3, s4 src0_sel:BYTE_0 src1_sel:DWORD
	s_mov_b64 s[4:5], -1
                                        ; implicit-def: $sgpr10
	s_and_saveexec_b64 s[8:9], s[12:13]
; %bb.17002:
	s_mov_b32 s10, 0x7f800001
	s_xor_b64 s[4:5], exec, -1
; %bb.17003:
	s_or_b64 exec, exec, s[8:9]
	s_and_b64 s[4:5], s[4:5], exec
	s_or_saveexec_b64 s[6:7], s[6:7]
	v_mov_b32_e32 v2, s10
	s_xor_b64 exec, exec, s[6:7]
	s_cbranch_execnz .LBB1_17004
; %bb.52841:
	s_getpc_b64 s[14:15]
.Lpost_getpc12084:
	s_add_u32 s14, s14, (.LBB1_2666-.Lpost_getpc12084)&4294967295
	s_addc_u32 s15, s15, (.LBB1_2666-.Lpost_getpc12084)>>32
	s_setpc_b64 s[14:15]
.LBB1_17004:
	v_mov_b32_e32 v2, 0
	v_cmp_ne_u16_sdwa s[8:9], v3, v2 src0_sel:BYTE_0 src1_sel:DWORD
	s_andn2_b64 s[4:5], s[4:5], exec
	s_and_b64 s[8:9], s[8:9], exec
	s_or_b64 s[4:5], s[4:5], s[8:9]
	s_or_b64 exec, exec, s[6:7]
	s_and_saveexec_b64 s[6:7], s[4:5]
	s_cbranch_execz .LBB1_30005
; %bb.52843:
	s_getpc_b64 s[14:15]
.Lpost_getpc12085:
	s_add_u32 s14, s14, (.LBB1_2667-.Lpost_getpc12085)&4294967295
	s_addc_u32 s15, s15, (.LBB1_2667-.Lpost_getpc12085)>>32
	s_setpc_b64 s[14:15]
.LBB1_30005:
	s_getpc_b64 s[14:15]
.Lpost_getpc666:
	s_add_u32 s14, s14, (.LBB1_2668-.Lpost_getpc666)&4294967295
	s_addc_u32 s15, s15, (.LBB1_2668-.Lpost_getpc666)>>32
	s_setpc_b64 s[14:15]
.LBB1_17005:
	s_movk_i32 s4, 0x80
	v_cmp_eq_u16_sdwa s[12:13], v3, s4 src0_sel:BYTE_0 src1_sel:DWORD
	s_mov_b64 s[4:5], -1
                                        ; implicit-def: $sgpr10
	s_and_saveexec_b64 s[8:9], s[12:13]
; %bb.17006:
	s_mov_b32 s10, 0x7f800001
	s_xor_b64 s[4:5], exec, -1
; %bb.17007:
	s_or_b64 exec, exec, s[8:9]
	s_and_b64 s[4:5], s[4:5], exec
	s_or_saveexec_b64 s[6:7], s[6:7]
	v_mov_b32_e32 v4, s10
	s_xor_b64 exec, exec, s[6:7]
	s_cbranch_execnz .LBB1_17008
; %bb.52845:
	s_getpc_b64 s[14:15]
.Lpost_getpc12086:
	s_add_u32 s14, s14, (.LBB1_2670-.Lpost_getpc12086)&4294967295
	s_addc_u32 s15, s15, (.LBB1_2670-.Lpost_getpc12086)>>32
	s_setpc_b64 s[14:15]
.LBB1_17008:
	v_mov_b32_e32 v4, 0
	v_cmp_ne_u16_sdwa s[8:9], v3, v4 src0_sel:BYTE_0 src1_sel:DWORD
	s_andn2_b64 s[4:5], s[4:5], exec
	s_and_b64 s[8:9], s[8:9], exec
	s_or_b64 s[4:5], s[4:5], s[8:9]
	s_or_b64 exec, exec, s[6:7]
	s_and_saveexec_b64 s[6:7], s[4:5]
	s_cbranch_execz .LBB1_30007
; %bb.52847:
	s_getpc_b64 s[14:15]
.Lpost_getpc12087:
	s_add_u32 s14, s14, (.LBB1_2671-.Lpost_getpc12087)&4294967295
	s_addc_u32 s15, s15, (.LBB1_2671-.Lpost_getpc12087)>>32
	s_setpc_b64 s[14:15]
.LBB1_30007:
	s_getpc_b64 s[14:15]
.Lpost_getpc667:
	s_add_u32 s14, s14, (.LBB1_2672-.Lpost_getpc667)&4294967295
	s_addc_u32 s15, s15, (.LBB1_2672-.Lpost_getpc667)>>32
	s_setpc_b64 s[14:15]
.LBB1_17009:
	s_movk_i32 s4, 0x80
	v_cmp_eq_u16_e32 vcc, s4, v3
	s_mov_b64 s[4:5], -1
                                        ; implicit-def: $sgpr10
	s_and_saveexec_b64 s[8:9], vcc
; %bb.17010:
	s_mov_b32 s10, 0x7f800001
	s_xor_b64 s[4:5], exec, -1
; %bb.17011:
	s_or_b64 exec, exec, s[8:9]
	s_and_b64 s[4:5], s[4:5], exec
                                        ; implicit-def: $vgpr3
	s_or_saveexec_b64 s[6:7], s[6:7]
	v_mov_b32_e32 v2, s10
	s_xor_b64 exec, exec, s[6:7]
	s_cbranch_execnz .LBB1_17012
; %bb.52849:
	s_getpc_b64 s[14:15]
.Lpost_getpc12088:
	s_add_u32 s14, s14, (.LBB1_2674-.Lpost_getpc12088)&4294967295
	s_addc_u32 s15, s15, (.LBB1_2674-.Lpost_getpc12088)>>32
	s_setpc_b64 s[14:15]
.LBB1_17012:
	v_cmp_ne_u16_e32 vcc, 0, v3
	s_andn2_b64 s[4:5], s[4:5], exec
	s_and_b64 s[8:9], vcc, exec
	v_mov_b32_e32 v2, 0
	s_or_b64 s[4:5], s[4:5], s[8:9]
	s_or_b64 exec, exec, s[6:7]
	s_and_saveexec_b64 s[6:7], s[4:5]
	s_cbranch_execz .LBB1_30009
; %bb.52851:
	s_getpc_b64 s[14:15]
.Lpost_getpc12089:
	s_add_u32 s14, s14, (.LBB1_2675-.Lpost_getpc12089)&4294967295
	s_addc_u32 s15, s15, (.LBB1_2675-.Lpost_getpc12089)>>32
	s_setpc_b64 s[14:15]
.LBB1_30009:
	s_getpc_b64 s[14:15]
.Lpost_getpc668:
	s_add_u32 s14, s14, (.LBB1_2676-.Lpost_getpc668)&4294967295
	s_addc_u32 s15, s15, (.LBB1_2676-.Lpost_getpc668)>>32
	s_setpc_b64 s[14:15]
.LBB1_17013:
	s_movk_i32 s4, 0x80
	v_cmp_eq_u16_e32 vcc, s4, v3
	s_mov_b64 s[4:5], -1
                                        ; implicit-def: $sgpr10
	s_and_saveexec_b64 s[8:9], vcc
; %bb.17014:
	s_mov_b32 s10, 0x7f800001
	s_xor_b64 s[4:5], exec, -1
; %bb.17015:
	s_or_b64 exec, exec, s[8:9]
	s_and_b64 s[4:5], s[4:5], exec
                                        ; implicit-def: $vgpr3
	s_or_saveexec_b64 s[6:7], s[6:7]
	v_mov_b32_e32 v4, s10
	s_xor_b64 exec, exec, s[6:7]
	s_cbranch_execnz .LBB1_17016
; %bb.52853:
	s_getpc_b64 s[14:15]
.Lpost_getpc12090:
	s_add_u32 s14, s14, (.LBB1_2678-.Lpost_getpc12090)&4294967295
	s_addc_u32 s15, s15, (.LBB1_2678-.Lpost_getpc12090)>>32
	s_setpc_b64 s[14:15]
.LBB1_17016:
	v_cmp_ne_u16_e32 vcc, 0, v3
	s_andn2_b64 s[4:5], s[4:5], exec
	s_and_b64 s[8:9], vcc, exec
	v_mov_b32_e32 v4, 0
	s_or_b64 s[4:5], s[4:5], s[8:9]
	s_or_b64 exec, exec, s[6:7]
	s_and_saveexec_b64 s[6:7], s[4:5]
	s_cbranch_execz .LBB1_30011
; %bb.52855:
	s_getpc_b64 s[14:15]
.Lpost_getpc12091:
	s_add_u32 s14, s14, (.LBB1_2679-.Lpost_getpc12091)&4294967295
	s_addc_u32 s15, s15, (.LBB1_2679-.Lpost_getpc12091)>>32
	s_setpc_b64 s[14:15]
.LBB1_30011:
	s_getpc_b64 s[14:15]
.Lpost_getpc669:
	s_add_u32 s14, s14, (.LBB1_2680-.Lpost_getpc669)&4294967295
	s_addc_u32 s15, s15, (.LBB1_2680-.Lpost_getpc669)>>32
	s_setpc_b64 s[14:15]
.LBB1_17017:
	s_movk_i32 s4, 0x80
	v_cmp_eq_u16_sdwa s[12:13], v9, s4 src0_sel:BYTE_3 src1_sel:DWORD
	s_mov_b64 s[4:5], -1
                                        ; implicit-def: $sgpr10
	s_and_saveexec_b64 s[8:9], s[12:13]
; %bb.17018:
	s_mov_b32 s10, 0x7f800001
	s_xor_b64 s[4:5], exec, -1
; %bb.17019:
	s_or_b64 exec, exec, s[8:9]
	s_and_b64 s[4:5], s[4:5], exec
	s_or_saveexec_b64 s[6:7], s[6:7]
	v_mov_b32_e32 v2, s10
	s_xor_b64 exec, exec, s[6:7]
	s_cbranch_execnz .LBB1_17020
; %bb.52857:
	s_getpc_b64 s[14:15]
.Lpost_getpc12092:
	s_add_u32 s14, s14, (.LBB1_2682-.Lpost_getpc12092)&4294967295
	s_addc_u32 s15, s15, (.LBB1_2682-.Lpost_getpc12092)>>32
	s_setpc_b64 s[14:15]
.LBB1_17020:
	v_mov_b32_e32 v2, 0
	v_cmp_ne_u16_sdwa s[8:9], v9, v2 src0_sel:BYTE_3 src1_sel:DWORD
	s_andn2_b64 s[4:5], s[4:5], exec
	s_and_b64 s[8:9], s[8:9], exec
	s_or_b64 s[4:5], s[4:5], s[8:9]
	s_or_b64 exec, exec, s[6:7]
	s_and_saveexec_b64 s[6:7], s[4:5]
	s_cbranch_execz .LBB1_30013
; %bb.52859:
	s_getpc_b64 s[14:15]
.Lpost_getpc12093:
	s_add_u32 s14, s14, (.LBB1_2683-.Lpost_getpc12093)&4294967295
	s_addc_u32 s15, s15, (.LBB1_2683-.Lpost_getpc12093)>>32
	s_setpc_b64 s[14:15]
.LBB1_30013:
	s_getpc_b64 s[14:15]
.Lpost_getpc670:
	s_add_u32 s14, s14, (.LBB1_2684-.Lpost_getpc670)&4294967295
	s_addc_u32 s15, s15, (.LBB1_2684-.Lpost_getpc670)>>32
	s_setpc_b64 s[14:15]
.LBB1_17021:
	s_movk_i32 s4, 0x80
	v_cmp_eq_u16_sdwa s[12:13], v5, s4 src0_sel:BYTE_3 src1_sel:DWORD
	s_mov_b64 s[4:5], -1
                                        ; implicit-def: $sgpr10
	s_and_saveexec_b64 s[8:9], s[12:13]
; %bb.17022:
	s_mov_b32 s10, 0x7f800001
	s_xor_b64 s[4:5], exec, -1
; %bb.17023:
	s_or_b64 exec, exec, s[8:9]
	s_and_b64 s[4:5], s[4:5], exec
	s_or_saveexec_b64 s[6:7], s[6:7]
	v_mov_b32_e32 v3, s10
	s_xor_b64 exec, exec, s[6:7]
	s_cbranch_execnz .LBB1_17024
; %bb.52861:
	s_getpc_b64 s[14:15]
.Lpost_getpc12094:
	s_add_u32 s14, s14, (.LBB1_2686-.Lpost_getpc12094)&4294967295
	s_addc_u32 s15, s15, (.LBB1_2686-.Lpost_getpc12094)>>32
	s_setpc_b64 s[14:15]
.LBB1_17024:
	v_mov_b32_e32 v3, 0
	v_cmp_ne_u16_sdwa s[8:9], v5, v3 src0_sel:BYTE_3 src1_sel:DWORD
	s_andn2_b64 s[4:5], s[4:5], exec
	s_and_b64 s[8:9], s[8:9], exec
	s_or_b64 s[4:5], s[4:5], s[8:9]
	s_or_b64 exec, exec, s[6:7]
	s_and_saveexec_b64 s[6:7], s[4:5]
	s_cbranch_execz .LBB1_30015
; %bb.52863:
	s_getpc_b64 s[14:15]
.Lpost_getpc12095:
	s_add_u32 s14, s14, (.LBB1_2687-.Lpost_getpc12095)&4294967295
	s_addc_u32 s15, s15, (.LBB1_2687-.Lpost_getpc12095)>>32
	s_setpc_b64 s[14:15]
.LBB1_30015:
	s_getpc_b64 s[14:15]
.Lpost_getpc671:
	s_add_u32 s14, s14, (.LBB1_2688-.Lpost_getpc671)&4294967295
	s_addc_u32 s15, s15, (.LBB1_2688-.Lpost_getpc671)>>32
	s_setpc_b64 s[14:15]
.LBB1_17025:
	s_movk_i32 s4, 0x80
	v_cmp_eq_u16_sdwa s[12:13], v6, s4 src0_sel:BYTE_0 src1_sel:DWORD
	s_mov_b64 s[4:5], -1
                                        ; implicit-def: $sgpr10
	s_and_saveexec_b64 s[8:9], s[12:13]
; %bb.17026:
	s_mov_b32 s10, 0x7f800001
	s_xor_b64 s[4:5], exec, -1
; %bb.17027:
	s_or_b64 exec, exec, s[8:9]
	s_and_b64 s[4:5], s[4:5], exec
	s_or_saveexec_b64 s[6:7], s[6:7]
	v_mov_b32_e32 v12, s10
	s_xor_b64 exec, exec, s[6:7]
	s_cbranch_execnz .LBB1_17028
; %bb.52865:
	s_getpc_b64 s[14:15]
.Lpost_getpc12096:
	s_add_u32 s14, s14, (.LBB1_2690-.Lpost_getpc12096)&4294967295
	s_addc_u32 s15, s15, (.LBB1_2690-.Lpost_getpc12096)>>32
	s_setpc_b64 s[14:15]
.LBB1_17028:
	v_mov_b32_e32 v12, 0
	v_cmp_ne_u16_sdwa s[8:9], v6, v12 src0_sel:BYTE_0 src1_sel:DWORD
	s_andn2_b64 s[4:5], s[4:5], exec
	s_and_b64 s[8:9], s[8:9], exec
	s_or_b64 s[4:5], s[4:5], s[8:9]
	s_or_b64 exec, exec, s[6:7]
	s_and_saveexec_b64 s[6:7], s[4:5]
	s_cbranch_execz .LBB1_30017
; %bb.52867:
	s_getpc_b64 s[14:15]
.Lpost_getpc12097:
	s_add_u32 s14, s14, (.LBB1_2691-.Lpost_getpc12097)&4294967295
	s_addc_u32 s15, s15, (.LBB1_2691-.Lpost_getpc12097)>>32
	s_setpc_b64 s[14:15]
.LBB1_30017:
	s_getpc_b64 s[14:15]
.Lpost_getpc672:
	s_add_u32 s14, s14, (.LBB1_2692-.Lpost_getpc672)&4294967295
	s_addc_u32 s15, s15, (.LBB1_2692-.Lpost_getpc672)>>32
	s_setpc_b64 s[14:15]
.LBB1_17029:
	s_movk_i32 s4, 0x80
	v_cmp_eq_u16_sdwa s[12:13], v2, s4 src0_sel:BYTE_0 src1_sel:DWORD
	s_mov_b64 s[4:5], -1
                                        ; implicit-def: $sgpr10
	s_and_saveexec_b64 s[8:9], s[12:13]
; %bb.17030:
	s_mov_b32 s10, 0x7f800001
	s_xor_b64 s[4:5], exec, -1
; %bb.17031:
	s_or_b64 exec, exec, s[8:9]
	s_and_b64 s[4:5], s[4:5], exec
	s_or_saveexec_b64 s[6:7], s[6:7]
	v_mov_b32_e32 v13, s10
	s_xor_b64 exec, exec, s[6:7]
	s_cbranch_execnz .LBB1_17032
; %bb.52869:
	s_getpc_b64 s[14:15]
.Lpost_getpc12098:
	s_add_u32 s14, s14, (.LBB1_2694-.Lpost_getpc12098)&4294967295
	s_addc_u32 s15, s15, (.LBB1_2694-.Lpost_getpc12098)>>32
	s_setpc_b64 s[14:15]
.LBB1_17032:
	v_mov_b32_e32 v13, 0
	v_cmp_ne_u16_sdwa s[8:9], v2, v13 src0_sel:BYTE_0 src1_sel:DWORD
	s_andn2_b64 s[4:5], s[4:5], exec
	s_and_b64 s[8:9], s[8:9], exec
	s_or_b64 s[4:5], s[4:5], s[8:9]
	s_or_b64 exec, exec, s[6:7]
	s_and_saveexec_b64 s[6:7], s[4:5]
	s_cbranch_execz .LBB1_30019
; %bb.52871:
	s_getpc_b64 s[14:15]
.Lpost_getpc12099:
	s_add_u32 s14, s14, (.LBB1_2695-.Lpost_getpc12099)&4294967295
	s_addc_u32 s15, s15, (.LBB1_2695-.Lpost_getpc12099)>>32
	s_setpc_b64 s[14:15]
.LBB1_30019:
	s_getpc_b64 s[14:15]
.Lpost_getpc673:
	s_add_u32 s14, s14, (.LBB1_2696-.Lpost_getpc673)&4294967295
	s_addc_u32 s15, s15, (.LBB1_2696-.Lpost_getpc673)>>32
	s_setpc_b64 s[14:15]
.LBB1_17033:
	s_movk_i32 s4, 0x80
	v_cmp_eq_u16_sdwa s[12:13], v13, s4 src0_sel:BYTE_0 src1_sel:DWORD
	s_mov_b64 s[4:5], -1
                                        ; implicit-def: $sgpr10
	s_and_saveexec_b64 s[8:9], s[12:13]
; %bb.17034:
	s_mov_b32 s10, 0x7f800001
	s_xor_b64 s[4:5], exec, -1
; %bb.17035:
	s_or_b64 exec, exec, s[8:9]
	s_and_b64 s[4:5], s[4:5], exec
	s_or_saveexec_b64 s[6:7], s[6:7]
	v_mov_b32_e32 v12, s10
	s_xor_b64 exec, exec, s[6:7]
	s_cbranch_execnz .LBB1_17036
; %bb.52873:
	s_getpc_b64 s[14:15]
.Lpost_getpc12100:
	s_add_u32 s14, s14, (.LBB1_2698-.Lpost_getpc12100)&4294967295
	s_addc_u32 s15, s15, (.LBB1_2698-.Lpost_getpc12100)>>32
	s_setpc_b64 s[14:15]
.LBB1_17036:
	v_mov_b32_e32 v12, 0
	v_cmp_ne_u16_sdwa s[8:9], v13, v12 src0_sel:BYTE_0 src1_sel:DWORD
	s_andn2_b64 s[4:5], s[4:5], exec
	s_and_b64 s[8:9], s[8:9], exec
	s_or_b64 s[4:5], s[4:5], s[8:9]
	s_or_b64 exec, exec, s[6:7]
	s_and_saveexec_b64 s[6:7], s[4:5]
	s_cbranch_execz .LBB1_30021
; %bb.52875:
	s_getpc_b64 s[14:15]
.Lpost_getpc12101:
	s_add_u32 s14, s14, (.LBB1_2699-.Lpost_getpc12101)&4294967295
	s_addc_u32 s15, s15, (.LBB1_2699-.Lpost_getpc12101)>>32
	s_setpc_b64 s[14:15]
.LBB1_30021:
	s_getpc_b64 s[14:15]
.Lpost_getpc674:
	s_add_u32 s14, s14, (.LBB1_2700-.Lpost_getpc674)&4294967295
	s_addc_u32 s15, s15, (.LBB1_2700-.Lpost_getpc674)>>32
	s_setpc_b64 s[14:15]
.LBB1_17037:
	s_movk_i32 s4, 0x80
	v_cmp_eq_u16_sdwa s[12:13], v13, s4 src0_sel:BYTE_0 src1_sel:DWORD
	s_mov_b64 s[4:5], -1
                                        ; implicit-def: $sgpr10
	s_and_saveexec_b64 s[8:9], s[12:13]
; %bb.17038:
	s_mov_b32 s10, 0x7f800001
	s_xor_b64 s[4:5], exec, -1
; %bb.17039:
	s_or_b64 exec, exec, s[8:9]
	s_and_b64 s[4:5], s[4:5], exec
	s_or_saveexec_b64 s[6:7], s[6:7]
	v_mov_b32_e32 v14, s10
	s_xor_b64 exec, exec, s[6:7]
	s_cbranch_execnz .LBB1_17040
; %bb.52877:
	s_getpc_b64 s[14:15]
.Lpost_getpc12102:
	s_add_u32 s14, s14, (.LBB1_2702-.Lpost_getpc12102)&4294967295
	s_addc_u32 s15, s15, (.LBB1_2702-.Lpost_getpc12102)>>32
	s_setpc_b64 s[14:15]
.LBB1_17040:
	v_mov_b32_e32 v14, 0
	v_cmp_ne_u16_sdwa s[8:9], v13, v14 src0_sel:BYTE_0 src1_sel:DWORD
	s_andn2_b64 s[4:5], s[4:5], exec
	s_and_b64 s[8:9], s[8:9], exec
	s_or_b64 s[4:5], s[4:5], s[8:9]
	s_or_b64 exec, exec, s[6:7]
	s_and_saveexec_b64 s[6:7], s[4:5]
	s_cbranch_execz .LBB1_30023
; %bb.52879:
	s_getpc_b64 s[14:15]
.Lpost_getpc12103:
	s_add_u32 s14, s14, (.LBB1_2703-.Lpost_getpc12103)&4294967295
	s_addc_u32 s15, s15, (.LBB1_2703-.Lpost_getpc12103)>>32
	s_setpc_b64 s[14:15]
.LBB1_30023:
	s_getpc_b64 s[14:15]
.Lpost_getpc675:
	s_add_u32 s14, s14, (.LBB1_2704-.Lpost_getpc675)&4294967295
	s_addc_u32 s15, s15, (.LBB1_2704-.Lpost_getpc675)>>32
	s_setpc_b64 s[14:15]
.LBB1_17041:
	s_movk_i32 s4, 0x80
	v_cmp_eq_u16_e32 vcc, s4, v13
	s_mov_b64 s[4:5], -1
                                        ; implicit-def: $sgpr10
	s_and_saveexec_b64 s[8:9], vcc
; %bb.17042:
	s_mov_b32 s10, 0x7f800001
	s_xor_b64 s[4:5], exec, -1
; %bb.17043:
	s_or_b64 exec, exec, s[8:9]
	s_and_b64 s[4:5], s[4:5], exec
                                        ; implicit-def: $vgpr13
	s_or_saveexec_b64 s[6:7], s[6:7]
	v_mov_b32_e32 v12, s10
	s_xor_b64 exec, exec, s[6:7]
	s_cbranch_execnz .LBB1_17044
; %bb.52881:
	s_getpc_b64 s[14:15]
.Lpost_getpc12104:
	s_add_u32 s14, s14, (.LBB1_2706-.Lpost_getpc12104)&4294967295
	s_addc_u32 s15, s15, (.LBB1_2706-.Lpost_getpc12104)>>32
	s_setpc_b64 s[14:15]
.LBB1_17044:
	v_cmp_ne_u16_e32 vcc, 0, v13
	s_andn2_b64 s[4:5], s[4:5], exec
	s_and_b64 s[8:9], vcc, exec
	v_mov_b32_e32 v12, 0
	s_or_b64 s[4:5], s[4:5], s[8:9]
	s_or_b64 exec, exec, s[6:7]
	s_and_saveexec_b64 s[6:7], s[4:5]
	s_cbranch_execz .LBB1_30025
; %bb.52883:
	s_getpc_b64 s[14:15]
.Lpost_getpc12105:
	s_add_u32 s14, s14, (.LBB1_2707-.Lpost_getpc12105)&4294967295
	s_addc_u32 s15, s15, (.LBB1_2707-.Lpost_getpc12105)>>32
	s_setpc_b64 s[14:15]
.LBB1_30025:
	s_getpc_b64 s[14:15]
.Lpost_getpc676:
	s_add_u32 s14, s14, (.LBB1_2708-.Lpost_getpc676)&4294967295
	s_addc_u32 s15, s15, (.LBB1_2708-.Lpost_getpc676)>>32
	s_setpc_b64 s[14:15]
.LBB1_17045:
	s_movk_i32 s4, 0x80
	v_cmp_eq_u16_e32 vcc, s4, v13
	s_mov_b64 s[4:5], -1
                                        ; implicit-def: $sgpr10
	s_and_saveexec_b64 s[8:9], vcc
; %bb.17046:
	s_mov_b32 s10, 0x7f800001
	s_xor_b64 s[4:5], exec, -1
; %bb.17047:
	s_or_b64 exec, exec, s[8:9]
	s_and_b64 s[4:5], s[4:5], exec
                                        ; implicit-def: $vgpr13
	s_or_saveexec_b64 s[6:7], s[6:7]
	v_mov_b32_e32 v14, s10
	s_xor_b64 exec, exec, s[6:7]
	s_cbranch_execnz .LBB1_17048
; %bb.52885:
	s_getpc_b64 s[14:15]
.Lpost_getpc12106:
	s_add_u32 s14, s14, (.LBB1_2710-.Lpost_getpc12106)&4294967295
	s_addc_u32 s15, s15, (.LBB1_2710-.Lpost_getpc12106)>>32
	s_setpc_b64 s[14:15]
.LBB1_17048:
	v_cmp_ne_u16_e32 vcc, 0, v13
	s_andn2_b64 s[4:5], s[4:5], exec
	s_and_b64 s[8:9], vcc, exec
	v_mov_b32_e32 v14, 0
	s_or_b64 s[4:5], s[4:5], s[8:9]
	s_or_b64 exec, exec, s[6:7]
	s_and_saveexec_b64 s[6:7], s[4:5]
	s_cbranch_execz .LBB1_30027
; %bb.52887:
	s_getpc_b64 s[14:15]
.Lpost_getpc12107:
	s_add_u32 s14, s14, (.LBB1_2711-.Lpost_getpc12107)&4294967295
	s_addc_u32 s15, s15, (.LBB1_2711-.Lpost_getpc12107)>>32
	s_setpc_b64 s[14:15]
.LBB1_30027:
	s_getpc_b64 s[14:15]
.Lpost_getpc677:
	s_add_u32 s14, s14, (.LBB1_2712-.Lpost_getpc677)&4294967295
	s_addc_u32 s15, s15, (.LBB1_2712-.Lpost_getpc677)>>32
	s_setpc_b64 s[14:15]
.LBB1_17049:
	s_movk_i32 s4, 0x80
	v_cmp_eq_u16_sdwa s[12:13], v6, s4 src0_sel:BYTE_3 src1_sel:DWORD
	s_mov_b64 s[4:5], -1
                                        ; implicit-def: $sgpr10
	s_and_saveexec_b64 s[8:9], s[12:13]
; %bb.17050:
	s_mov_b32 s10, 0x7f800001
	s_xor_b64 s[4:5], exec, -1
; %bb.17051:
	s_or_b64 exec, exec, s[8:9]
	s_and_b64 s[4:5], s[4:5], exec
	s_or_saveexec_b64 s[6:7], s[6:7]
	v_mov_b32_e32 v12, s10
	s_xor_b64 exec, exec, s[6:7]
	s_cbranch_execnz .LBB1_17052
; %bb.52889:
	s_getpc_b64 s[14:15]
.Lpost_getpc12108:
	s_add_u32 s14, s14, (.LBB1_2714-.Lpost_getpc12108)&4294967295
	s_addc_u32 s15, s15, (.LBB1_2714-.Lpost_getpc12108)>>32
	s_setpc_b64 s[14:15]
.LBB1_17052:
	v_mov_b32_e32 v12, 0
	v_cmp_ne_u16_sdwa s[8:9], v6, v12 src0_sel:BYTE_3 src1_sel:DWORD
	s_andn2_b64 s[4:5], s[4:5], exec
	s_and_b64 s[8:9], s[8:9], exec
	s_or_b64 s[4:5], s[4:5], s[8:9]
	s_or_b64 exec, exec, s[6:7]
	s_and_saveexec_b64 s[6:7], s[4:5]
	s_cbranch_execz .LBB1_30029
; %bb.52891:
	s_getpc_b64 s[14:15]
.Lpost_getpc12109:
	s_add_u32 s14, s14, (.LBB1_2715-.Lpost_getpc12109)&4294967295
	s_addc_u32 s15, s15, (.LBB1_2715-.Lpost_getpc12109)>>32
	s_setpc_b64 s[14:15]
.LBB1_30029:
	s_getpc_b64 s[14:15]
.Lpost_getpc678:
	s_add_u32 s14, s14, (.LBB1_2716-.Lpost_getpc678)&4294967295
	s_addc_u32 s15, s15, (.LBB1_2716-.Lpost_getpc678)>>32
	s_setpc_b64 s[14:15]
.LBB1_17053:
	s_movk_i32 s4, 0x80
	v_cmp_eq_u16_sdwa s[12:13], v2, s4 src0_sel:BYTE_3 src1_sel:DWORD
	s_mov_b64 s[4:5], -1
                                        ; implicit-def: $sgpr10
	s_and_saveexec_b64 s[8:9], s[12:13]
; %bb.17054:
	s_mov_b32 s10, 0x7f800001
	s_xor_b64 s[4:5], exec, -1
; %bb.17055:
	s_or_b64 exec, exec, s[8:9]
	s_and_b64 s[4:5], s[4:5], exec
	s_or_saveexec_b64 s[6:7], s[6:7]
	v_mov_b32_e32 v6, s10
	s_xor_b64 exec, exec, s[6:7]
	s_cbranch_execnz .LBB1_17056
; %bb.52893:
	s_getpc_b64 s[14:15]
.Lpost_getpc12110:
	s_add_u32 s14, s14, (.LBB1_2718-.Lpost_getpc12110)&4294967295
	s_addc_u32 s15, s15, (.LBB1_2718-.Lpost_getpc12110)>>32
	s_setpc_b64 s[14:15]
.LBB1_17056:
	v_mov_b32_e32 v6, 0
	v_cmp_ne_u16_sdwa s[8:9], v2, v6 src0_sel:BYTE_3 src1_sel:DWORD
	s_andn2_b64 s[4:5], s[4:5], exec
	s_and_b64 s[8:9], s[8:9], exec
	s_or_b64 s[4:5], s[4:5], s[8:9]
	s_or_b64 exec, exec, s[6:7]
	s_and_saveexec_b64 s[6:7], s[4:5]
	s_cbranch_execz .LBB1_30031
; %bb.52895:
	s_getpc_b64 s[14:15]
.Lpost_getpc12111:
	s_add_u32 s14, s14, (.LBB1_2719-.Lpost_getpc12111)&4294967295
	s_addc_u32 s15, s15, (.LBB1_2719-.Lpost_getpc12111)>>32
	s_setpc_b64 s[14:15]
.LBB1_30031:
	s_getpc_b64 s[14:15]
.Lpost_getpc679:
	s_add_u32 s14, s14, (.LBB1_2720-.Lpost_getpc679)&4294967295
	s_addc_u32 s15, s15, (.LBB1_2720-.Lpost_getpc679)>>32
	s_setpc_b64 s[14:15]
.LBB1_17057:
	s_movk_i32 s4, 0x80
	v_cmp_eq_u16_sdwa s[12:13], v7, s4 src0_sel:BYTE_0 src1_sel:DWORD
	s_mov_b64 s[4:5], -1
                                        ; implicit-def: $sgpr10
	s_and_saveexec_b64 s[8:9], s[12:13]
; %bb.17058:
	s_mov_b32 s10, 0x7f800001
	s_xor_b64 s[4:5], exec, -1
; %bb.17059:
	s_or_b64 exec, exec, s[8:9]
	s_and_b64 s[4:5], s[4:5], exec
	s_or_saveexec_b64 s[6:7], s[6:7]
	v_mov_b32_e32 v2, s10
	s_xor_b64 exec, exec, s[6:7]
	s_cbranch_execnz .LBB1_17060
; %bb.52897:
	s_getpc_b64 s[14:15]
.Lpost_getpc12112:
	s_add_u32 s14, s14, (.LBB1_2722-.Lpost_getpc12112)&4294967295
	s_addc_u32 s15, s15, (.LBB1_2722-.Lpost_getpc12112)>>32
	s_setpc_b64 s[14:15]
.LBB1_17060:
	v_mov_b32_e32 v2, 0
	v_cmp_ne_u16_sdwa s[8:9], v7, v2 src0_sel:BYTE_0 src1_sel:DWORD
	s_andn2_b64 s[4:5], s[4:5], exec
	s_and_b64 s[8:9], s[8:9], exec
	s_or_b64 s[4:5], s[4:5], s[8:9]
	s_or_b64 exec, exec, s[6:7]
	s_and_saveexec_b64 s[6:7], s[4:5]
	s_cbranch_execz .LBB1_30033
; %bb.52899:
	s_getpc_b64 s[14:15]
.Lpost_getpc12113:
	s_add_u32 s14, s14, (.LBB1_2723-.Lpost_getpc12113)&4294967295
	s_addc_u32 s15, s15, (.LBB1_2723-.Lpost_getpc12113)>>32
	s_setpc_b64 s[14:15]
.LBB1_30033:
	s_getpc_b64 s[14:15]
.Lpost_getpc680:
	s_add_u32 s14, s14, (.LBB1_2724-.Lpost_getpc680)&4294967295
	s_addc_u32 s15, s15, (.LBB1_2724-.Lpost_getpc680)>>32
	s_setpc_b64 s[14:15]
.LBB1_17061:
	s_movk_i32 s4, 0x80
	v_cmp_eq_u16_sdwa s[12:13], v3, s4 src0_sel:BYTE_0 src1_sel:DWORD
	s_mov_b64 s[4:5], -1
                                        ; implicit-def: $sgpr10
	s_and_saveexec_b64 s[8:9], s[12:13]
; %bb.17062:
	s_mov_b32 s10, 0x7f800001
	s_xor_b64 s[4:5], exec, -1
; %bb.17063:
	s_or_b64 exec, exec, s[8:9]
	s_and_b64 s[4:5], s[4:5], exec
	s_or_saveexec_b64 s[6:7], s[6:7]
	v_mov_b32_e32 v6, s10
	s_xor_b64 exec, exec, s[6:7]
	s_cbranch_execnz .LBB1_17064
; %bb.52901:
	s_getpc_b64 s[14:15]
.Lpost_getpc12114:
	s_add_u32 s14, s14, (.LBB1_2726-.Lpost_getpc12114)&4294967295
	s_addc_u32 s15, s15, (.LBB1_2726-.Lpost_getpc12114)>>32
	s_setpc_b64 s[14:15]
.LBB1_17064:
	v_mov_b32_e32 v6, 0
	v_cmp_ne_u16_sdwa s[8:9], v3, v6 src0_sel:BYTE_0 src1_sel:DWORD
	s_andn2_b64 s[4:5], s[4:5], exec
	s_and_b64 s[8:9], s[8:9], exec
	s_or_b64 s[4:5], s[4:5], s[8:9]
	s_or_b64 exec, exec, s[6:7]
	s_and_saveexec_b64 s[6:7], s[4:5]
	s_cbranch_execz .LBB1_30035
; %bb.52903:
	s_getpc_b64 s[14:15]
.Lpost_getpc12115:
	s_add_u32 s14, s14, (.LBB1_2727-.Lpost_getpc12115)&4294967295
	s_addc_u32 s15, s15, (.LBB1_2727-.Lpost_getpc12115)>>32
	s_setpc_b64 s[14:15]
.LBB1_30035:
	s_getpc_b64 s[14:15]
.Lpost_getpc681:
	s_add_u32 s14, s14, (.LBB1_2728-.Lpost_getpc681)&4294967295
	s_addc_u32 s15, s15, (.LBB1_2728-.Lpost_getpc681)>>32
	s_setpc_b64 s[14:15]
.LBB1_17065:
	s_movk_i32 s4, 0x80
	v_cmp_eq_u16_sdwa s[12:13], v6, s4 src0_sel:BYTE_0 src1_sel:DWORD
	s_mov_b64 s[4:5], -1
                                        ; implicit-def: $sgpr10
	s_and_saveexec_b64 s[8:9], s[12:13]
; %bb.17066:
	s_mov_b32 s10, 0x7f800001
	s_xor_b64 s[4:5], exec, -1
; %bb.17067:
	s_or_b64 exec, exec, s[8:9]
	s_and_b64 s[4:5], s[4:5], exec
	s_or_saveexec_b64 s[6:7], s[6:7]
	v_mov_b32_e32 v2, s10
	s_xor_b64 exec, exec, s[6:7]
	s_cbranch_execnz .LBB1_17068
; %bb.52905:
	s_getpc_b64 s[14:15]
.Lpost_getpc12116:
	s_add_u32 s14, s14, (.LBB1_2730-.Lpost_getpc12116)&4294967295
	s_addc_u32 s15, s15, (.LBB1_2730-.Lpost_getpc12116)>>32
	s_setpc_b64 s[14:15]
.LBB1_17068:
	v_mov_b32_e32 v2, 0
	v_cmp_ne_u16_sdwa s[8:9], v6, v2 src0_sel:BYTE_0 src1_sel:DWORD
	s_andn2_b64 s[4:5], s[4:5], exec
	s_and_b64 s[8:9], s[8:9], exec
	s_or_b64 s[4:5], s[4:5], s[8:9]
	s_or_b64 exec, exec, s[6:7]
	s_and_saveexec_b64 s[6:7], s[4:5]
	s_cbranch_execz .LBB1_30037
; %bb.52907:
	s_getpc_b64 s[14:15]
.Lpost_getpc12117:
	s_add_u32 s14, s14, (.LBB1_2731-.Lpost_getpc12117)&4294967295
	s_addc_u32 s15, s15, (.LBB1_2731-.Lpost_getpc12117)>>32
	s_setpc_b64 s[14:15]
.LBB1_30037:
	s_getpc_b64 s[14:15]
.Lpost_getpc682:
	s_add_u32 s14, s14, (.LBB1_2732-.Lpost_getpc682)&4294967295
	s_addc_u32 s15, s15, (.LBB1_2732-.Lpost_getpc682)>>32
	s_setpc_b64 s[14:15]
.LBB1_17069:
	s_movk_i32 s4, 0x80
	v_cmp_eq_u16_sdwa s[12:13], v6, s4 src0_sel:BYTE_0 src1_sel:DWORD
	s_mov_b64 s[4:5], -1
                                        ; implicit-def: $sgpr10
	s_and_saveexec_b64 s[8:9], s[12:13]
; %bb.17070:
	s_mov_b32 s10, 0x7f800001
	s_xor_b64 s[4:5], exec, -1
; %bb.17071:
	s_or_b64 exec, exec, s[8:9]
	s_and_b64 s[4:5], s[4:5], exec
	s_or_saveexec_b64 s[6:7], s[6:7]
	v_mov_b32_e32 v12, s10
	s_xor_b64 exec, exec, s[6:7]
	s_cbranch_execnz .LBB1_17072
; %bb.52909:
	s_getpc_b64 s[14:15]
.Lpost_getpc12118:
	s_add_u32 s14, s14, (.LBB1_2734-.Lpost_getpc12118)&4294967295
	s_addc_u32 s15, s15, (.LBB1_2734-.Lpost_getpc12118)>>32
	s_setpc_b64 s[14:15]
.LBB1_17072:
	v_mov_b32_e32 v12, 0
	v_cmp_ne_u16_sdwa s[8:9], v6, v12 src0_sel:BYTE_0 src1_sel:DWORD
	s_andn2_b64 s[4:5], s[4:5], exec
	s_and_b64 s[8:9], s[8:9], exec
	s_or_b64 s[4:5], s[4:5], s[8:9]
	s_or_b64 exec, exec, s[6:7]
	s_and_saveexec_b64 s[6:7], s[4:5]
	s_cbranch_execz .LBB1_30039
; %bb.52911:
	s_getpc_b64 s[14:15]
.Lpost_getpc12119:
	s_add_u32 s14, s14, (.LBB1_2735-.Lpost_getpc12119)&4294967295
	s_addc_u32 s15, s15, (.LBB1_2735-.Lpost_getpc12119)>>32
	s_setpc_b64 s[14:15]
.LBB1_30039:
	s_getpc_b64 s[14:15]
.Lpost_getpc683:
	s_add_u32 s14, s14, (.LBB1_2736-.Lpost_getpc683)&4294967295
	s_addc_u32 s15, s15, (.LBB1_2736-.Lpost_getpc683)>>32
	s_setpc_b64 s[14:15]
.LBB1_17073:
	s_movk_i32 s4, 0x80
	v_cmp_eq_u16_e32 vcc, s4, v6
	s_mov_b64 s[4:5], -1
                                        ; implicit-def: $sgpr10
	s_and_saveexec_b64 s[8:9], vcc
; %bb.17074:
	s_mov_b32 s10, 0x7f800001
	s_xor_b64 s[4:5], exec, -1
; %bb.17075:
	s_or_b64 exec, exec, s[8:9]
	s_and_b64 s[4:5], s[4:5], exec
                                        ; implicit-def: $vgpr6
	s_or_saveexec_b64 s[6:7], s[6:7]
	v_mov_b32_e32 v2, s10
	s_xor_b64 exec, exec, s[6:7]
	s_cbranch_execnz .LBB1_17076
; %bb.52913:
	s_getpc_b64 s[14:15]
.Lpost_getpc12120:
	s_add_u32 s14, s14, (.LBB1_2738-.Lpost_getpc12120)&4294967295
	s_addc_u32 s15, s15, (.LBB1_2738-.Lpost_getpc12120)>>32
	s_setpc_b64 s[14:15]
.LBB1_17076:
	v_cmp_ne_u16_e32 vcc, 0, v6
	s_andn2_b64 s[4:5], s[4:5], exec
	s_and_b64 s[8:9], vcc, exec
	v_mov_b32_e32 v2, 0
	s_or_b64 s[4:5], s[4:5], s[8:9]
	s_or_b64 exec, exec, s[6:7]
	s_and_saveexec_b64 s[6:7], s[4:5]
	s_cbranch_execz .LBB1_30041
; %bb.52915:
	s_getpc_b64 s[14:15]
.Lpost_getpc12121:
	s_add_u32 s14, s14, (.LBB1_2739-.Lpost_getpc12121)&4294967295
	s_addc_u32 s15, s15, (.LBB1_2739-.Lpost_getpc12121)>>32
	s_setpc_b64 s[14:15]
.LBB1_30041:
	s_getpc_b64 s[14:15]
.Lpost_getpc684:
	s_add_u32 s14, s14, (.LBB1_2740-.Lpost_getpc684)&4294967295
	s_addc_u32 s15, s15, (.LBB1_2740-.Lpost_getpc684)>>32
	s_setpc_b64 s[14:15]
.LBB1_17077:
	s_movk_i32 s4, 0x80
	v_cmp_eq_u16_e32 vcc, s4, v6
	s_mov_b64 s[4:5], -1
                                        ; implicit-def: $sgpr10
	s_and_saveexec_b64 s[8:9], vcc
; %bb.17078:
	s_mov_b32 s10, 0x7f800001
	s_xor_b64 s[4:5], exec, -1
; %bb.17079:
	s_or_b64 exec, exec, s[8:9]
	s_and_b64 s[4:5], s[4:5], exec
                                        ; implicit-def: $vgpr6
	s_or_saveexec_b64 s[6:7], s[6:7]
	v_mov_b32_e32 v12, s10
	s_xor_b64 exec, exec, s[6:7]
	s_cbranch_execnz .LBB1_17080
; %bb.52917:
	s_getpc_b64 s[14:15]
.Lpost_getpc12122:
	s_add_u32 s14, s14, (.LBB1_2742-.Lpost_getpc12122)&4294967295
	s_addc_u32 s15, s15, (.LBB1_2742-.Lpost_getpc12122)>>32
	s_setpc_b64 s[14:15]
.LBB1_17080:
	v_cmp_ne_u16_e32 vcc, 0, v6
	s_andn2_b64 s[4:5], s[4:5], exec
	s_and_b64 s[8:9], vcc, exec
	v_mov_b32_e32 v12, 0
	s_or_b64 s[4:5], s[4:5], s[8:9]
	s_or_b64 exec, exec, s[6:7]
	s_and_saveexec_b64 s[6:7], s[4:5]
	s_cbranch_execz .LBB1_30043
; %bb.52919:
	s_getpc_b64 s[14:15]
.Lpost_getpc12123:
	s_add_u32 s14, s14, (.LBB1_2743-.Lpost_getpc12123)&4294967295
	s_addc_u32 s15, s15, (.LBB1_2743-.Lpost_getpc12123)>>32
	s_setpc_b64 s[14:15]
.LBB1_30043:
	s_getpc_b64 s[14:15]
.Lpost_getpc685:
	s_add_u32 s14, s14, (.LBB1_2744-.Lpost_getpc685)&4294967295
	s_addc_u32 s15, s15, (.LBB1_2744-.Lpost_getpc685)>>32
	s_setpc_b64 s[14:15]
.LBB1_17081:
	s_movk_i32 s4, 0x80
	v_cmp_eq_u16_sdwa s[12:13], v7, s4 src0_sel:BYTE_3 src1_sel:DWORD
	s_mov_b64 s[4:5], -1
                                        ; implicit-def: $sgpr10
	s_and_saveexec_b64 s[8:9], s[12:13]
; %bb.17082:
	s_mov_b32 s10, 0x7f800001
	s_xor_b64 s[4:5], exec, -1
; %bb.17083:
	s_or_b64 exec, exec, s[8:9]
	s_and_b64 s[4:5], s[4:5], exec
	s_or_saveexec_b64 s[6:7], s[6:7]
	v_mov_b32_e32 v2, s10
	s_xor_b64 exec, exec, s[6:7]
	s_cbranch_execnz .LBB1_17084
; %bb.52921:
	s_getpc_b64 s[14:15]
.Lpost_getpc12124:
	s_add_u32 s14, s14, (.LBB1_2746-.Lpost_getpc12124)&4294967295
	s_addc_u32 s15, s15, (.LBB1_2746-.Lpost_getpc12124)>>32
	s_setpc_b64 s[14:15]
.LBB1_17084:
	v_mov_b32_e32 v2, 0
	v_cmp_ne_u16_sdwa s[8:9], v7, v2 src0_sel:BYTE_3 src1_sel:DWORD
	s_andn2_b64 s[4:5], s[4:5], exec
	s_and_b64 s[8:9], s[8:9], exec
	s_or_b64 s[4:5], s[4:5], s[8:9]
	s_or_b64 exec, exec, s[6:7]
	s_and_saveexec_b64 s[6:7], s[4:5]
	s_cbranch_execz .LBB1_30045
; %bb.52923:
	s_getpc_b64 s[14:15]
.Lpost_getpc12125:
	s_add_u32 s14, s14, (.LBB1_2747-.Lpost_getpc12125)&4294967295
	s_addc_u32 s15, s15, (.LBB1_2747-.Lpost_getpc12125)>>32
	s_setpc_b64 s[14:15]
.LBB1_30045:
	s_getpc_b64 s[14:15]
.Lpost_getpc686:
	s_add_u32 s14, s14, (.LBB1_2748-.Lpost_getpc686)&4294967295
	s_addc_u32 s15, s15, (.LBB1_2748-.Lpost_getpc686)>>32
	s_setpc_b64 s[14:15]
.LBB1_17085:
	s_movk_i32 s4, 0x80
	v_cmp_eq_u16_sdwa s[12:13], v3, s4 src0_sel:BYTE_3 src1_sel:DWORD
	s_mov_b64 s[4:5], -1
                                        ; implicit-def: $sgpr10
	s_and_saveexec_b64 s[8:9], s[12:13]
; %bb.17086:
	s_mov_b32 s10, 0x7f800001
	s_xor_b64 s[4:5], exec, -1
; %bb.17087:
	s_or_b64 exec, exec, s[8:9]
	s_and_b64 s[4:5], s[4:5], exec
	s_or_saveexec_b64 s[6:7], s[6:7]
	v_mov_b32_e32 v6, s10
	s_xor_b64 exec, exec, s[6:7]
	s_cbranch_execnz .LBB1_17088
; %bb.52925:
	s_getpc_b64 s[14:15]
.Lpost_getpc12126:
	s_add_u32 s14, s14, (.LBB1_2750-.Lpost_getpc12126)&4294967295
	s_addc_u32 s15, s15, (.LBB1_2750-.Lpost_getpc12126)>>32
	s_setpc_b64 s[14:15]
.LBB1_17088:
	v_mov_b32_e32 v6, 0
	v_cmp_ne_u16_sdwa s[8:9], v3, v6 src0_sel:BYTE_3 src1_sel:DWORD
	s_andn2_b64 s[4:5], s[4:5], exec
	s_and_b64 s[8:9], s[8:9], exec
	s_or_b64 s[4:5], s[4:5], s[8:9]
	s_or_b64 exec, exec, s[6:7]
	s_and_saveexec_b64 s[6:7], s[4:5]
	s_cbranch_execz .LBB1_30047
; %bb.52927:
	s_getpc_b64 s[14:15]
.Lpost_getpc12127:
	s_add_u32 s14, s14, (.LBB1_2751-.Lpost_getpc12127)&4294967295
	s_addc_u32 s15, s15, (.LBB1_2751-.Lpost_getpc12127)>>32
	s_setpc_b64 s[14:15]
.LBB1_30047:
	s_getpc_b64 s[14:15]
.Lpost_getpc687:
	s_add_u32 s14, s14, (.LBB1_2752-.Lpost_getpc687)&4294967295
	s_addc_u32 s15, s15, (.LBB1_2752-.Lpost_getpc687)>>32
	s_setpc_b64 s[14:15]
.LBB1_17089:
	s_movk_i32 s4, 0x80
	v_cmp_eq_u16_sdwa s[12:13], v8, s4 src0_sel:BYTE_0 src1_sel:DWORD
	s_mov_b64 s[4:5], -1
                                        ; implicit-def: $sgpr10
	s_and_saveexec_b64 s[8:9], s[12:13]
; %bb.17090:
	s_mov_b32 s10, 0x7f800001
	s_xor_b64 s[4:5], exec, -1
; %bb.17091:
	s_or_b64 exec, exec, s[8:9]
	s_and_b64 s[4:5], s[4:5], exec
	s_or_saveexec_b64 s[6:7], s[6:7]
	v_mov_b32_e32 v2, s10
	s_xor_b64 exec, exec, s[6:7]
	s_cbranch_execnz .LBB1_17092
; %bb.52929:
	s_getpc_b64 s[14:15]
.Lpost_getpc12128:
	s_add_u32 s14, s14, (.LBB1_2754-.Lpost_getpc12128)&4294967295
	s_addc_u32 s15, s15, (.LBB1_2754-.Lpost_getpc12128)>>32
	s_setpc_b64 s[14:15]
.LBB1_17092:
	v_mov_b32_e32 v2, 0
	v_cmp_ne_u16_sdwa s[8:9], v8, v2 src0_sel:BYTE_0 src1_sel:DWORD
	s_andn2_b64 s[4:5], s[4:5], exec
	s_and_b64 s[8:9], s[8:9], exec
	s_or_b64 s[4:5], s[4:5], s[8:9]
	s_or_b64 exec, exec, s[6:7]
	s_and_saveexec_b64 s[6:7], s[4:5]
	s_cbranch_execz .LBB1_30049
; %bb.52931:
	s_getpc_b64 s[14:15]
.Lpost_getpc12129:
	s_add_u32 s14, s14, (.LBB1_2755-.Lpost_getpc12129)&4294967295
	s_addc_u32 s15, s15, (.LBB1_2755-.Lpost_getpc12129)>>32
	s_setpc_b64 s[14:15]
.LBB1_30049:
	s_getpc_b64 s[14:15]
.Lpost_getpc688:
	s_add_u32 s14, s14, (.LBB1_2756-.Lpost_getpc688)&4294967295
	s_addc_u32 s15, s15, (.LBB1_2756-.Lpost_getpc688)>>32
	s_setpc_b64 s[14:15]
.LBB1_17093:
	s_movk_i32 s4, 0x80
	v_cmp_eq_u16_sdwa s[12:13], v4, s4 src0_sel:BYTE_0 src1_sel:DWORD
	s_mov_b64 s[4:5], -1
                                        ; implicit-def: $sgpr10
	s_and_saveexec_b64 s[8:9], s[12:13]
; %bb.17094:
	s_mov_b32 s10, 0x7f800001
	s_xor_b64 s[4:5], exec, -1
; %bb.17095:
	s_or_b64 exec, exec, s[8:9]
	s_and_b64 s[4:5], s[4:5], exec
	s_or_saveexec_b64 s[6:7], s[6:7]
	v_mov_b32_e32 v3, s10
	s_xor_b64 exec, exec, s[6:7]
	s_cbranch_execnz .LBB1_17096
; %bb.52933:
	s_getpc_b64 s[14:15]
.Lpost_getpc12130:
	s_add_u32 s14, s14, (.LBB1_2758-.Lpost_getpc12130)&4294967295
	s_addc_u32 s15, s15, (.LBB1_2758-.Lpost_getpc12130)>>32
	s_setpc_b64 s[14:15]
.LBB1_17096:
	v_mov_b32_e32 v3, 0
	v_cmp_ne_u16_sdwa s[8:9], v4, v3 src0_sel:BYTE_0 src1_sel:DWORD
	s_andn2_b64 s[4:5], s[4:5], exec
	s_and_b64 s[8:9], s[8:9], exec
	s_or_b64 s[4:5], s[4:5], s[8:9]
	s_or_b64 exec, exec, s[6:7]
	s_and_saveexec_b64 s[6:7], s[4:5]
	s_cbranch_execz .LBB1_30051
; %bb.52935:
	s_getpc_b64 s[14:15]
.Lpost_getpc12131:
	s_add_u32 s14, s14, (.LBB1_2759-.Lpost_getpc12131)&4294967295
	s_addc_u32 s15, s15, (.LBB1_2759-.Lpost_getpc12131)>>32
	s_setpc_b64 s[14:15]
.LBB1_30051:
	s_getpc_b64 s[14:15]
.Lpost_getpc689:
	s_add_u32 s14, s14, (.LBB1_2760-.Lpost_getpc689)&4294967295
	s_addc_u32 s15, s15, (.LBB1_2760-.Lpost_getpc689)>>32
	s_setpc_b64 s[14:15]
.LBB1_17097:
	s_movk_i32 s4, 0x80
	v_cmp_eq_u16_sdwa s[12:13], v3, s4 src0_sel:BYTE_0 src1_sel:DWORD
	s_mov_b64 s[4:5], -1
                                        ; implicit-def: $sgpr10
	s_and_saveexec_b64 s[8:9], s[12:13]
; %bb.17098:
	s_mov_b32 s10, 0x7f800001
	s_xor_b64 s[4:5], exec, -1
; %bb.17099:
	s_or_b64 exec, exec, s[8:9]
	s_and_b64 s[4:5], s[4:5], exec
	s_or_saveexec_b64 s[6:7], s[6:7]
	v_mov_b32_e32 v2, s10
	s_xor_b64 exec, exec, s[6:7]
	s_cbranch_execnz .LBB1_17100
; %bb.52937:
	s_getpc_b64 s[14:15]
.Lpost_getpc12132:
	s_add_u32 s14, s14, (.LBB1_2762-.Lpost_getpc12132)&4294967295
	s_addc_u32 s15, s15, (.LBB1_2762-.Lpost_getpc12132)>>32
	s_setpc_b64 s[14:15]
.LBB1_17100:
	v_mov_b32_e32 v2, 0
	v_cmp_ne_u16_sdwa s[8:9], v3, v2 src0_sel:BYTE_0 src1_sel:DWORD
	s_andn2_b64 s[4:5], s[4:5], exec
	s_and_b64 s[8:9], s[8:9], exec
	s_or_b64 s[4:5], s[4:5], s[8:9]
	s_or_b64 exec, exec, s[6:7]
	s_and_saveexec_b64 s[6:7], s[4:5]
	s_cbranch_execz .LBB1_30053
; %bb.52939:
	s_getpc_b64 s[14:15]
.Lpost_getpc12133:
	s_add_u32 s14, s14, (.LBB1_2763-.Lpost_getpc12133)&4294967295
	s_addc_u32 s15, s15, (.LBB1_2763-.Lpost_getpc12133)>>32
	s_setpc_b64 s[14:15]
.LBB1_30053:
	s_getpc_b64 s[14:15]
.Lpost_getpc690:
	s_add_u32 s14, s14, (.LBB1_2764-.Lpost_getpc690)&4294967295
	s_addc_u32 s15, s15, (.LBB1_2764-.Lpost_getpc690)>>32
	s_setpc_b64 s[14:15]
.LBB1_17101:
	s_movk_i32 s4, 0x80
	v_cmp_eq_u16_sdwa s[12:13], v3, s4 src0_sel:BYTE_0 src1_sel:DWORD
	s_mov_b64 s[4:5], -1
                                        ; implicit-def: $sgpr10
	s_and_saveexec_b64 s[8:9], s[12:13]
; %bb.17102:
	s_mov_b32 s10, 0x7f800001
	s_xor_b64 s[4:5], exec, -1
; %bb.17103:
	s_or_b64 exec, exec, s[8:9]
	s_and_b64 s[4:5], s[4:5], exec
	s_or_saveexec_b64 s[6:7], s[6:7]
	v_mov_b32_e32 v6, s10
	s_xor_b64 exec, exec, s[6:7]
	s_cbranch_execnz .LBB1_17104
; %bb.52941:
	s_getpc_b64 s[14:15]
.Lpost_getpc12134:
	s_add_u32 s14, s14, (.LBB1_2766-.Lpost_getpc12134)&4294967295
	s_addc_u32 s15, s15, (.LBB1_2766-.Lpost_getpc12134)>>32
	s_setpc_b64 s[14:15]
.LBB1_17104:
	v_mov_b32_e32 v6, 0
	v_cmp_ne_u16_sdwa s[8:9], v3, v6 src0_sel:BYTE_0 src1_sel:DWORD
	s_andn2_b64 s[4:5], s[4:5], exec
	s_and_b64 s[8:9], s[8:9], exec
	s_or_b64 s[4:5], s[4:5], s[8:9]
	s_or_b64 exec, exec, s[6:7]
	s_and_saveexec_b64 s[6:7], s[4:5]
	s_cbranch_execz .LBB1_30055
; %bb.52943:
	s_getpc_b64 s[14:15]
.Lpost_getpc12135:
	s_add_u32 s14, s14, (.LBB1_2767-.Lpost_getpc12135)&4294967295
	s_addc_u32 s15, s15, (.LBB1_2767-.Lpost_getpc12135)>>32
	s_setpc_b64 s[14:15]
.LBB1_30055:
	s_getpc_b64 s[14:15]
.Lpost_getpc691:
	s_add_u32 s14, s14, (.LBB1_2768-.Lpost_getpc691)&4294967295
	s_addc_u32 s15, s15, (.LBB1_2768-.Lpost_getpc691)>>32
	s_setpc_b64 s[14:15]
.LBB1_17105:
	s_movk_i32 s4, 0x80
	v_cmp_eq_u16_e32 vcc, s4, v3
	s_mov_b64 s[4:5], -1
                                        ; implicit-def: $sgpr10
	s_and_saveexec_b64 s[8:9], vcc
; %bb.17106:
	s_mov_b32 s10, 0x7f800001
	s_xor_b64 s[4:5], exec, -1
; %bb.17107:
	s_or_b64 exec, exec, s[8:9]
	s_and_b64 s[4:5], s[4:5], exec
                                        ; implicit-def: $vgpr3
	s_or_saveexec_b64 s[6:7], s[6:7]
	v_mov_b32_e32 v2, s10
	s_xor_b64 exec, exec, s[6:7]
	s_cbranch_execnz .LBB1_17108
; %bb.52945:
	s_getpc_b64 s[14:15]
.Lpost_getpc12136:
	s_add_u32 s14, s14, (.LBB1_2770-.Lpost_getpc12136)&4294967295
	s_addc_u32 s15, s15, (.LBB1_2770-.Lpost_getpc12136)>>32
	s_setpc_b64 s[14:15]
.LBB1_17108:
	v_cmp_ne_u16_e32 vcc, 0, v3
	s_andn2_b64 s[4:5], s[4:5], exec
	s_and_b64 s[8:9], vcc, exec
	v_mov_b32_e32 v2, 0
	s_or_b64 s[4:5], s[4:5], s[8:9]
	s_or_b64 exec, exec, s[6:7]
	s_and_saveexec_b64 s[6:7], s[4:5]
	s_cbranch_execz .LBB1_30057
; %bb.52947:
	s_getpc_b64 s[14:15]
.Lpost_getpc12137:
	s_add_u32 s14, s14, (.LBB1_2771-.Lpost_getpc12137)&4294967295
	s_addc_u32 s15, s15, (.LBB1_2771-.Lpost_getpc12137)>>32
	s_setpc_b64 s[14:15]
.LBB1_30057:
	s_getpc_b64 s[14:15]
.Lpost_getpc692:
	s_add_u32 s14, s14, (.LBB1_2772-.Lpost_getpc692)&4294967295
	s_addc_u32 s15, s15, (.LBB1_2772-.Lpost_getpc692)>>32
	s_setpc_b64 s[14:15]
.LBB1_17109:
	s_movk_i32 s4, 0x80
	v_cmp_eq_u16_e32 vcc, s4, v3
	s_mov_b64 s[4:5], -1
                                        ; implicit-def: $sgpr10
	s_and_saveexec_b64 s[8:9], vcc
; %bb.17110:
	s_mov_b32 s10, 0x7f800001
	s_xor_b64 s[4:5], exec, -1
; %bb.17111:
	s_or_b64 exec, exec, s[8:9]
	s_and_b64 s[4:5], s[4:5], exec
                                        ; implicit-def: $vgpr3
	s_or_saveexec_b64 s[6:7], s[6:7]
	v_mov_b32_e32 v6, s10
	s_xor_b64 exec, exec, s[6:7]
	s_cbranch_execnz .LBB1_17112
; %bb.52949:
	s_getpc_b64 s[14:15]
.Lpost_getpc12138:
	s_add_u32 s14, s14, (.LBB1_2774-.Lpost_getpc12138)&4294967295
	s_addc_u32 s15, s15, (.LBB1_2774-.Lpost_getpc12138)>>32
	s_setpc_b64 s[14:15]
.LBB1_17112:
	v_cmp_ne_u16_e32 vcc, 0, v3
	s_andn2_b64 s[4:5], s[4:5], exec
	s_and_b64 s[8:9], vcc, exec
	v_mov_b32_e32 v6, 0
	s_or_b64 s[4:5], s[4:5], s[8:9]
	s_or_b64 exec, exec, s[6:7]
	s_and_saveexec_b64 s[6:7], s[4:5]
	s_cbranch_execz .LBB1_30059
; %bb.52951:
	s_getpc_b64 s[14:15]
.Lpost_getpc12139:
	s_add_u32 s14, s14, (.LBB1_2775-.Lpost_getpc12139)&4294967295
	s_addc_u32 s15, s15, (.LBB1_2775-.Lpost_getpc12139)>>32
	s_setpc_b64 s[14:15]
.LBB1_30059:
	s_getpc_b64 s[14:15]
.Lpost_getpc693:
	s_add_u32 s14, s14, (.LBB1_2776-.Lpost_getpc693)&4294967295
	s_addc_u32 s15, s15, (.LBB1_2776-.Lpost_getpc693)>>32
	s_setpc_b64 s[14:15]
.LBB1_17113:
	s_movk_i32 s4, 0x80
	v_cmp_eq_u16_sdwa s[12:13], v8, s4 src0_sel:BYTE_3 src1_sel:DWORD
	s_mov_b64 s[4:5], -1
                                        ; implicit-def: $sgpr10
	s_and_saveexec_b64 s[8:9], s[12:13]
; %bb.17114:
	s_mov_b32 s10, 0x7f800001
	s_xor_b64 s[4:5], exec, -1
; %bb.17115:
	s_or_b64 exec, exec, s[8:9]
	s_and_b64 s[4:5], s[4:5], exec
	s_or_saveexec_b64 s[6:7], s[6:7]
	v_mov_b32_e32 v2, s10
	s_xor_b64 exec, exec, s[6:7]
	s_cbranch_execnz .LBB1_17116
; %bb.52953:
	s_getpc_b64 s[14:15]
.Lpost_getpc12140:
	s_add_u32 s14, s14, (.LBB1_2778-.Lpost_getpc12140)&4294967295
	s_addc_u32 s15, s15, (.LBB1_2778-.Lpost_getpc12140)>>32
	s_setpc_b64 s[14:15]
.LBB1_17116:
	v_mov_b32_e32 v2, 0
	v_cmp_ne_u16_sdwa s[8:9], v8, v2 src0_sel:BYTE_3 src1_sel:DWORD
	s_andn2_b64 s[4:5], s[4:5], exec
	s_and_b64 s[8:9], s[8:9], exec
	s_or_b64 s[4:5], s[4:5], s[8:9]
	s_or_b64 exec, exec, s[6:7]
	s_and_saveexec_b64 s[6:7], s[4:5]
	s_cbranch_execz .LBB1_30061
; %bb.52955:
	s_getpc_b64 s[14:15]
.Lpost_getpc12141:
	s_add_u32 s14, s14, (.LBB1_2779-.Lpost_getpc12141)&4294967295
	s_addc_u32 s15, s15, (.LBB1_2779-.Lpost_getpc12141)>>32
	s_setpc_b64 s[14:15]
.LBB1_30061:
	s_getpc_b64 s[14:15]
.Lpost_getpc694:
	s_add_u32 s14, s14, (.LBB1_2780-.Lpost_getpc694)&4294967295
	s_addc_u32 s15, s15, (.LBB1_2780-.Lpost_getpc694)>>32
	s_setpc_b64 s[14:15]
.LBB1_17117:
	s_movk_i32 s4, 0x80
	v_cmp_eq_u16_sdwa s[12:13], v4, s4 src0_sel:BYTE_3 src1_sel:DWORD
	s_mov_b64 s[4:5], -1
                                        ; implicit-def: $sgpr10
	s_and_saveexec_b64 s[8:9], s[12:13]
; %bb.17118:
	s_mov_b32 s10, 0x7f800001
	s_xor_b64 s[4:5], exec, -1
; %bb.17119:
	s_or_b64 exec, exec, s[8:9]
	s_and_b64 s[4:5], s[4:5], exec
	s_or_saveexec_b64 s[6:7], s[6:7]
	v_mov_b32_e32 v3, s10
	s_xor_b64 exec, exec, s[6:7]
	s_cbranch_execnz .LBB1_17120
; %bb.52957:
	s_getpc_b64 s[14:15]
.Lpost_getpc12142:
	s_add_u32 s14, s14, (.LBB1_2782-.Lpost_getpc12142)&4294967295
	s_addc_u32 s15, s15, (.LBB1_2782-.Lpost_getpc12142)>>32
	s_setpc_b64 s[14:15]
.LBB1_17120:
	v_mov_b32_e32 v3, 0
	v_cmp_ne_u16_sdwa s[8:9], v4, v3 src0_sel:BYTE_3 src1_sel:DWORD
	s_andn2_b64 s[4:5], s[4:5], exec
	s_and_b64 s[8:9], s[8:9], exec
	s_or_b64 s[4:5], s[4:5], s[8:9]
	s_or_b64 exec, exec, s[6:7]
	s_and_saveexec_b64 s[6:7], s[4:5]
	s_cbranch_execz .LBB1_30063
; %bb.52959:
	s_getpc_b64 s[14:15]
.Lpost_getpc12143:
	s_add_u32 s14, s14, (.LBB1_2783-.Lpost_getpc12143)&4294967295
	s_addc_u32 s15, s15, (.LBB1_2783-.Lpost_getpc12143)>>32
	s_setpc_b64 s[14:15]
.LBB1_30063:
	s_getpc_b64 s[14:15]
.Lpost_getpc695:
	s_add_u32 s14, s14, (.LBB1_2784-.Lpost_getpc695)&4294967295
	s_addc_u32 s15, s15, (.LBB1_2784-.Lpost_getpc695)>>32
	s_setpc_b64 s[14:15]
.LBB1_17121:
	s_movk_i32 s4, 0x80
	v_cmp_eq_u16_sdwa s[12:13], v9, s4 src0_sel:BYTE_0 src1_sel:DWORD
	s_mov_b64 s[4:5], -1
                                        ; implicit-def: $sgpr10
	s_and_saveexec_b64 s[8:9], s[12:13]
; %bb.17122:
	s_mov_b32 s10, 0x7f800001
	s_xor_b64 s[4:5], exec, -1
; %bb.17123:
	s_or_b64 exec, exec, s[8:9]
	s_and_b64 s[4:5], s[4:5], exec
	s_or_saveexec_b64 s[6:7], s[6:7]
	v_mov_b32_e32 v2, s10
	s_xor_b64 exec, exec, s[6:7]
	s_cbranch_execnz .LBB1_17124
; %bb.52961:
	s_getpc_b64 s[14:15]
.Lpost_getpc12144:
	s_add_u32 s14, s14, (.LBB1_2786-.Lpost_getpc12144)&4294967295
	s_addc_u32 s15, s15, (.LBB1_2786-.Lpost_getpc12144)>>32
	s_setpc_b64 s[14:15]
.LBB1_17124:
	v_mov_b32_e32 v2, 0
	v_cmp_ne_u16_sdwa s[8:9], v9, v2 src0_sel:BYTE_0 src1_sel:DWORD
	s_andn2_b64 s[4:5], s[4:5], exec
	s_and_b64 s[8:9], s[8:9], exec
	s_or_b64 s[4:5], s[4:5], s[8:9]
	s_or_b64 exec, exec, s[6:7]
	s_and_saveexec_b64 s[6:7], s[4:5]
	s_cbranch_execz .LBB1_30065
; %bb.52963:
	s_getpc_b64 s[14:15]
.Lpost_getpc12145:
	s_add_u32 s14, s14, (.LBB1_2787-.Lpost_getpc12145)&4294967295
	s_addc_u32 s15, s15, (.LBB1_2787-.Lpost_getpc12145)>>32
	s_setpc_b64 s[14:15]
.LBB1_30065:
	s_getpc_b64 s[14:15]
.Lpost_getpc696:
	s_add_u32 s14, s14, (.LBB1_2788-.Lpost_getpc696)&4294967295
	s_addc_u32 s15, s15, (.LBB1_2788-.Lpost_getpc696)>>32
	s_setpc_b64 s[14:15]
.LBB1_17125:
	s_movk_i32 s4, 0x80
	v_cmp_eq_u16_sdwa s[12:13], v5, s4 src0_sel:BYTE_0 src1_sel:DWORD
	s_mov_b64 s[4:5], -1
                                        ; implicit-def: $sgpr10
	s_and_saveexec_b64 s[8:9], s[12:13]
; %bb.17126:
	s_mov_b32 s10, 0x7f800001
	s_xor_b64 s[4:5], exec, -1
; %bb.17127:
	s_or_b64 exec, exec, s[8:9]
	s_and_b64 s[4:5], s[4:5], exec
	s_or_saveexec_b64 s[6:7], s[6:7]
	v_mov_b32_e32 v3, s10
	s_xor_b64 exec, exec, s[6:7]
	s_cbranch_execnz .LBB1_17128
; %bb.52965:
	s_getpc_b64 s[14:15]
.Lpost_getpc12146:
	s_add_u32 s14, s14, (.LBB1_2790-.Lpost_getpc12146)&4294967295
	s_addc_u32 s15, s15, (.LBB1_2790-.Lpost_getpc12146)>>32
	s_setpc_b64 s[14:15]
.LBB1_17128:
	v_mov_b32_e32 v3, 0
	v_cmp_ne_u16_sdwa s[8:9], v5, v3 src0_sel:BYTE_0 src1_sel:DWORD
	s_andn2_b64 s[4:5], s[4:5], exec
	s_and_b64 s[8:9], s[8:9], exec
	s_or_b64 s[4:5], s[4:5], s[8:9]
	s_or_b64 exec, exec, s[6:7]
	s_and_saveexec_b64 s[6:7], s[4:5]
	s_cbranch_execz .LBB1_30067
; %bb.52967:
	s_getpc_b64 s[14:15]
.Lpost_getpc12147:
	s_add_u32 s14, s14, (.LBB1_2791-.Lpost_getpc12147)&4294967295
	s_addc_u32 s15, s15, (.LBB1_2791-.Lpost_getpc12147)>>32
	s_setpc_b64 s[14:15]
.LBB1_30067:
	s_getpc_b64 s[14:15]
.Lpost_getpc697:
	s_add_u32 s14, s14, (.LBB1_2792-.Lpost_getpc697)&4294967295
	s_addc_u32 s15, s15, (.LBB1_2792-.Lpost_getpc697)>>32
	s_setpc_b64 s[14:15]
.LBB1_17129:
	s_movk_i32 s4, 0x80
	v_cmp_eq_u16_sdwa s[12:13], v3, s4 src0_sel:BYTE_0 src1_sel:DWORD
	s_mov_b64 s[4:5], -1
                                        ; implicit-def: $sgpr10
	s_and_saveexec_b64 s[8:9], s[12:13]
; %bb.17130:
	s_mov_b32 s10, 0x7f800001
	s_xor_b64 s[4:5], exec, -1
; %bb.17131:
	s_or_b64 exec, exec, s[8:9]
	s_and_b64 s[4:5], s[4:5], exec
	s_or_saveexec_b64 s[6:7], s[6:7]
	v_mov_b32_e32 v2, s10
	s_xor_b64 exec, exec, s[6:7]
	s_cbranch_execnz .LBB1_17132
; %bb.52969:
	s_getpc_b64 s[14:15]
.Lpost_getpc12148:
	s_add_u32 s14, s14, (.LBB1_2794-.Lpost_getpc12148)&4294967295
	s_addc_u32 s15, s15, (.LBB1_2794-.Lpost_getpc12148)>>32
	s_setpc_b64 s[14:15]
.LBB1_17132:
	v_mov_b32_e32 v2, 0
	v_cmp_ne_u16_sdwa s[8:9], v3, v2 src0_sel:BYTE_0 src1_sel:DWORD
	s_andn2_b64 s[4:5], s[4:5], exec
	s_and_b64 s[8:9], s[8:9], exec
	s_or_b64 s[4:5], s[4:5], s[8:9]
	s_or_b64 exec, exec, s[6:7]
	s_and_saveexec_b64 s[6:7], s[4:5]
	s_cbranch_execz .LBB1_30069
; %bb.52971:
	s_getpc_b64 s[14:15]
.Lpost_getpc12149:
	s_add_u32 s14, s14, (.LBB1_2795-.Lpost_getpc12149)&4294967295
	s_addc_u32 s15, s15, (.LBB1_2795-.Lpost_getpc12149)>>32
	s_setpc_b64 s[14:15]
.LBB1_30069:
	s_getpc_b64 s[14:15]
.Lpost_getpc698:
	s_add_u32 s14, s14, (.LBB1_2796-.Lpost_getpc698)&4294967295
	s_addc_u32 s15, s15, (.LBB1_2796-.Lpost_getpc698)>>32
	s_setpc_b64 s[14:15]
.LBB1_17133:
	s_movk_i32 s4, 0x80
	v_cmp_eq_u16_sdwa s[12:13], v3, s4 src0_sel:BYTE_0 src1_sel:DWORD
	s_mov_b64 s[4:5], -1
                                        ; implicit-def: $sgpr10
	s_and_saveexec_b64 s[8:9], s[12:13]
; %bb.17134:
	s_mov_b32 s10, 0x7f800001
	s_xor_b64 s[4:5], exec, -1
; %bb.17135:
	s_or_b64 exec, exec, s[8:9]
	s_and_b64 s[4:5], s[4:5], exec
	s_or_saveexec_b64 s[6:7], s[6:7]
	v_mov_b32_e32 v4, s10
	s_xor_b64 exec, exec, s[6:7]
	s_cbranch_execnz .LBB1_17136
; %bb.52973:
	s_getpc_b64 s[14:15]
.Lpost_getpc12150:
	s_add_u32 s14, s14, (.LBB1_2798-.Lpost_getpc12150)&4294967295
	s_addc_u32 s15, s15, (.LBB1_2798-.Lpost_getpc12150)>>32
	s_setpc_b64 s[14:15]
.LBB1_17136:
	v_mov_b32_e32 v4, 0
	v_cmp_ne_u16_sdwa s[8:9], v3, v4 src0_sel:BYTE_0 src1_sel:DWORD
	s_andn2_b64 s[4:5], s[4:5], exec
	s_and_b64 s[8:9], s[8:9], exec
	s_or_b64 s[4:5], s[4:5], s[8:9]
	s_or_b64 exec, exec, s[6:7]
	s_and_saveexec_b64 s[6:7], s[4:5]
	s_cbranch_execz .LBB1_30071
; %bb.52975:
	s_getpc_b64 s[14:15]
.Lpost_getpc12151:
	s_add_u32 s14, s14, (.LBB1_2799-.Lpost_getpc12151)&4294967295
	s_addc_u32 s15, s15, (.LBB1_2799-.Lpost_getpc12151)>>32
	s_setpc_b64 s[14:15]
.LBB1_30071:
	s_getpc_b64 s[14:15]
.Lpost_getpc699:
	s_add_u32 s14, s14, (.LBB1_2800-.Lpost_getpc699)&4294967295
	s_addc_u32 s15, s15, (.LBB1_2800-.Lpost_getpc699)>>32
	s_setpc_b64 s[14:15]
.LBB1_17137:
	s_movk_i32 s4, 0x80
	v_cmp_eq_u16_e32 vcc, s4, v3
	s_mov_b64 s[4:5], -1
                                        ; implicit-def: $sgpr10
	s_and_saveexec_b64 s[8:9], vcc
; %bb.17138:
	s_mov_b32 s10, 0x7f800001
	s_xor_b64 s[4:5], exec, -1
; %bb.17139:
	s_or_b64 exec, exec, s[8:9]
	s_and_b64 s[4:5], s[4:5], exec
                                        ; implicit-def: $vgpr3
	s_or_saveexec_b64 s[6:7], s[6:7]
	v_mov_b32_e32 v2, s10
	s_xor_b64 exec, exec, s[6:7]
	s_cbranch_execnz .LBB1_17140
; %bb.52977:
	s_getpc_b64 s[14:15]
.Lpost_getpc12152:
	s_add_u32 s14, s14, (.LBB1_2802-.Lpost_getpc12152)&4294967295
	s_addc_u32 s15, s15, (.LBB1_2802-.Lpost_getpc12152)>>32
	s_setpc_b64 s[14:15]
.LBB1_17140:
	v_cmp_ne_u16_e32 vcc, 0, v3
	s_andn2_b64 s[4:5], s[4:5], exec
	s_and_b64 s[8:9], vcc, exec
	v_mov_b32_e32 v2, 0
	s_or_b64 s[4:5], s[4:5], s[8:9]
	s_or_b64 exec, exec, s[6:7]
	s_and_saveexec_b64 s[6:7], s[4:5]
	s_cbranch_execz .LBB1_30073
; %bb.52979:
	s_getpc_b64 s[14:15]
.Lpost_getpc12153:
	s_add_u32 s14, s14, (.LBB1_2803-.Lpost_getpc12153)&4294967295
	s_addc_u32 s15, s15, (.LBB1_2803-.Lpost_getpc12153)>>32
	s_setpc_b64 s[14:15]
.LBB1_30073:
	s_getpc_b64 s[14:15]
.Lpost_getpc700:
	s_add_u32 s14, s14, (.LBB1_2804-.Lpost_getpc700)&4294967295
	s_addc_u32 s15, s15, (.LBB1_2804-.Lpost_getpc700)>>32
	s_setpc_b64 s[14:15]
.LBB1_17141:
	s_movk_i32 s4, 0x80
	v_cmp_eq_u16_e32 vcc, s4, v3
	s_mov_b64 s[4:5], -1
                                        ; implicit-def: $sgpr10
	s_and_saveexec_b64 s[8:9], vcc
; %bb.17142:
	s_mov_b32 s10, 0x7f800001
	s_xor_b64 s[4:5], exec, -1
; %bb.17143:
	s_or_b64 exec, exec, s[8:9]
	s_and_b64 s[4:5], s[4:5], exec
                                        ; implicit-def: $vgpr3
	s_or_saveexec_b64 s[6:7], s[6:7]
	v_mov_b32_e32 v4, s10
	s_xor_b64 exec, exec, s[6:7]
	s_cbranch_execnz .LBB1_17144
; %bb.52981:
	s_getpc_b64 s[14:15]
.Lpost_getpc12154:
	s_add_u32 s14, s14, (.LBB1_2806-.Lpost_getpc12154)&4294967295
	s_addc_u32 s15, s15, (.LBB1_2806-.Lpost_getpc12154)>>32
	s_setpc_b64 s[14:15]
.LBB1_17144:
	v_cmp_ne_u16_e32 vcc, 0, v3
	s_andn2_b64 s[4:5], s[4:5], exec
	s_and_b64 s[8:9], vcc, exec
	v_mov_b32_e32 v4, 0
	s_or_b64 s[4:5], s[4:5], s[8:9]
	s_or_b64 exec, exec, s[6:7]
	s_and_saveexec_b64 s[6:7], s[4:5]
	s_cbranch_execz .LBB1_30075
; %bb.52983:
	s_getpc_b64 s[14:15]
.Lpost_getpc12155:
	s_add_u32 s14, s14, (.LBB1_2807-.Lpost_getpc12155)&4294967295
	s_addc_u32 s15, s15, (.LBB1_2807-.Lpost_getpc12155)>>32
	s_setpc_b64 s[14:15]
.LBB1_30075:
	s_getpc_b64 s[14:15]
.Lpost_getpc701:
	s_add_u32 s14, s14, (.LBB1_2808-.Lpost_getpc701)&4294967295
	s_addc_u32 s15, s15, (.LBB1_2808-.Lpost_getpc701)>>32
	s_setpc_b64 s[14:15]
.LBB1_17145:
	s_movk_i32 s4, 0x80
	v_cmp_eq_u16_sdwa s[12:13], v9, s4 src0_sel:BYTE_3 src1_sel:DWORD
	s_mov_b64 s[4:5], -1
                                        ; implicit-def: $sgpr10
	s_and_saveexec_b64 s[8:9], s[12:13]
; %bb.17146:
	s_mov_b32 s10, 0x7f800001
	s_xor_b64 s[4:5], exec, -1
; %bb.17147:
	s_or_b64 exec, exec, s[8:9]
	s_and_b64 s[4:5], s[4:5], exec
	s_or_saveexec_b64 s[6:7], s[6:7]
	v_mov_b32_e32 v2, s10
	s_xor_b64 exec, exec, s[6:7]
	s_cbranch_execnz .LBB1_17148
; %bb.52985:
	s_getpc_b64 s[14:15]
.Lpost_getpc12156:
	s_add_u32 s14, s14, (.LBB1_2810-.Lpost_getpc12156)&4294967295
	s_addc_u32 s15, s15, (.LBB1_2810-.Lpost_getpc12156)>>32
	s_setpc_b64 s[14:15]
.LBB1_17148:
	v_mov_b32_e32 v2, 0
	v_cmp_ne_u16_sdwa s[8:9], v9, v2 src0_sel:BYTE_3 src1_sel:DWORD
	s_andn2_b64 s[4:5], s[4:5], exec
	s_and_b64 s[8:9], s[8:9], exec
	s_or_b64 s[4:5], s[4:5], s[8:9]
	s_or_b64 exec, exec, s[6:7]
	s_and_saveexec_b64 s[6:7], s[4:5]
	s_cbranch_execz .LBB1_30077
; %bb.52987:
	s_getpc_b64 s[14:15]
.Lpost_getpc12157:
	s_add_u32 s14, s14, (.LBB1_2811-.Lpost_getpc12157)&4294967295
	s_addc_u32 s15, s15, (.LBB1_2811-.Lpost_getpc12157)>>32
	s_setpc_b64 s[14:15]
.LBB1_30077:
	s_getpc_b64 s[14:15]
.Lpost_getpc702:
	s_add_u32 s14, s14, (.LBB1_2812-.Lpost_getpc702)&4294967295
	s_addc_u32 s15, s15, (.LBB1_2812-.Lpost_getpc702)>>32
	s_setpc_b64 s[14:15]
.LBB1_17149:
	s_movk_i32 s4, 0x80
	v_cmp_eq_u16_sdwa s[12:13], v5, s4 src0_sel:BYTE_3 src1_sel:DWORD
	s_mov_b64 s[4:5], -1
                                        ; implicit-def: $sgpr10
	s_and_saveexec_b64 s[8:9], s[12:13]
; %bb.17150:
	s_mov_b32 s10, 0x7f800001
	s_xor_b64 s[4:5], exec, -1
; %bb.17151:
	s_or_b64 exec, exec, s[8:9]
	s_and_b64 s[4:5], s[4:5], exec
	s_or_saveexec_b64 s[6:7], s[6:7]
	v_mov_b32_e32 v3, s10
	s_xor_b64 exec, exec, s[6:7]
	s_cbranch_execnz .LBB1_17152
; %bb.52989:
	s_getpc_b64 s[14:15]
.Lpost_getpc12158:
	s_add_u32 s14, s14, (.LBB1_2814-.Lpost_getpc12158)&4294967295
	s_addc_u32 s15, s15, (.LBB1_2814-.Lpost_getpc12158)>>32
	s_setpc_b64 s[14:15]
.LBB1_17152:
	v_mov_b32_e32 v3, 0
	v_cmp_ne_u16_sdwa s[8:9], v5, v3 src0_sel:BYTE_3 src1_sel:DWORD
	s_andn2_b64 s[4:5], s[4:5], exec
	s_and_b64 s[8:9], s[8:9], exec
	s_or_b64 s[4:5], s[4:5], s[8:9]
	s_or_b64 exec, exec, s[6:7]
	s_and_saveexec_b64 s[6:7], s[4:5]
	s_cbranch_execz .LBB1_30079
; %bb.52991:
	s_getpc_b64 s[14:15]
.Lpost_getpc12159:
	s_add_u32 s14, s14, (.LBB1_2815-.Lpost_getpc12159)&4294967295
	s_addc_u32 s15, s15, (.LBB1_2815-.Lpost_getpc12159)>>32
	s_setpc_b64 s[14:15]
.LBB1_30079:
	s_getpc_b64 s[14:15]
.Lpost_getpc703:
	s_add_u32 s14, s14, (.LBB1_2816-.Lpost_getpc703)&4294967295
	s_addc_u32 s15, s15, (.LBB1_2816-.Lpost_getpc703)>>32
	s_setpc_b64 s[14:15]
.LBB1_17153:
	s_movk_i32 s4, 0x80
	v_cmp_eq_u16_sdwa s[12:13], v6, s4 src0_sel:BYTE_0 src1_sel:DWORD
	s_mov_b64 s[4:5], -1
                                        ; implicit-def: $sgpr10
	s_and_saveexec_b64 s[8:9], s[12:13]
; %bb.17154:
	s_mov_b32 s10, 0x7f800001
	s_xor_b64 s[4:5], exec, -1
; %bb.17155:
	s_or_b64 exec, exec, s[8:9]
	s_and_b64 s[4:5], s[4:5], exec
	s_or_saveexec_b64 s[6:7], s[6:7]
	v_mov_b32_e32 v12, s10
	s_xor_b64 exec, exec, s[6:7]
	s_cbranch_execnz .LBB1_17156
; %bb.52993:
	s_getpc_b64 s[14:15]
.Lpost_getpc12160:
	s_add_u32 s14, s14, (.LBB1_2818-.Lpost_getpc12160)&4294967295
	s_addc_u32 s15, s15, (.LBB1_2818-.Lpost_getpc12160)>>32
	s_setpc_b64 s[14:15]
.LBB1_17156:
	v_mov_b32_e32 v12, 0
	v_cmp_ne_u16_sdwa s[8:9], v6, v12 src0_sel:BYTE_0 src1_sel:DWORD
	s_andn2_b64 s[4:5], s[4:5], exec
	s_and_b64 s[8:9], s[8:9], exec
	s_or_b64 s[4:5], s[4:5], s[8:9]
	s_or_b64 exec, exec, s[6:7]
	s_and_saveexec_b64 s[6:7], s[4:5]
	s_cbranch_execz .LBB1_30081
; %bb.52995:
	s_getpc_b64 s[14:15]
.Lpost_getpc12161:
	s_add_u32 s14, s14, (.LBB1_2819-.Lpost_getpc12161)&4294967295
	s_addc_u32 s15, s15, (.LBB1_2819-.Lpost_getpc12161)>>32
	s_setpc_b64 s[14:15]
.LBB1_30081:
	s_getpc_b64 s[14:15]
.Lpost_getpc704:
	s_add_u32 s14, s14, (.LBB1_2820-.Lpost_getpc704)&4294967295
	s_addc_u32 s15, s15, (.LBB1_2820-.Lpost_getpc704)>>32
	s_setpc_b64 s[14:15]
.LBB1_17157:
	s_movk_i32 s4, 0x80
	v_cmp_eq_u16_sdwa s[12:13], v2, s4 src0_sel:BYTE_0 src1_sel:DWORD
	s_mov_b64 s[4:5], -1
                                        ; implicit-def: $sgpr10
	s_and_saveexec_b64 s[8:9], s[12:13]
; %bb.17158:
	s_mov_b32 s10, 0x7f800001
	s_xor_b64 s[4:5], exec, -1
; %bb.17159:
	s_or_b64 exec, exec, s[8:9]
	s_and_b64 s[4:5], s[4:5], exec
	s_or_saveexec_b64 s[6:7], s[6:7]
	v_mov_b32_e32 v13, s10
	s_xor_b64 exec, exec, s[6:7]
	s_cbranch_execnz .LBB1_17160
; %bb.52997:
	s_getpc_b64 s[14:15]
.Lpost_getpc12162:
	s_add_u32 s14, s14, (.LBB1_2822-.Lpost_getpc12162)&4294967295
	s_addc_u32 s15, s15, (.LBB1_2822-.Lpost_getpc12162)>>32
	s_setpc_b64 s[14:15]
.LBB1_17160:
	v_mov_b32_e32 v13, 0
	v_cmp_ne_u16_sdwa s[8:9], v2, v13 src0_sel:BYTE_0 src1_sel:DWORD
	s_andn2_b64 s[4:5], s[4:5], exec
	s_and_b64 s[8:9], s[8:9], exec
	s_or_b64 s[4:5], s[4:5], s[8:9]
	s_or_b64 exec, exec, s[6:7]
	s_and_saveexec_b64 s[6:7], s[4:5]
	s_cbranch_execz .LBB1_30083
; %bb.52999:
	s_getpc_b64 s[14:15]
.Lpost_getpc12163:
	s_add_u32 s14, s14, (.LBB1_2823-.Lpost_getpc12163)&4294967295
	s_addc_u32 s15, s15, (.LBB1_2823-.Lpost_getpc12163)>>32
	s_setpc_b64 s[14:15]
.LBB1_30083:
	s_getpc_b64 s[14:15]
.Lpost_getpc705:
	s_add_u32 s14, s14, (.LBB1_2824-.Lpost_getpc705)&4294967295
	s_addc_u32 s15, s15, (.LBB1_2824-.Lpost_getpc705)>>32
	s_setpc_b64 s[14:15]
.LBB1_17161:
	s_movk_i32 s4, 0x80
	v_cmp_eq_u16_sdwa s[12:13], v13, s4 src0_sel:BYTE_0 src1_sel:DWORD
	s_mov_b64 s[4:5], -1
                                        ; implicit-def: $sgpr10
	s_and_saveexec_b64 s[8:9], s[12:13]
; %bb.17162:
	s_mov_b32 s10, 0x7f800001
	s_xor_b64 s[4:5], exec, -1
; %bb.17163:
	s_or_b64 exec, exec, s[8:9]
	s_and_b64 s[4:5], s[4:5], exec
	s_or_saveexec_b64 s[6:7], s[6:7]
	v_mov_b32_e32 v12, s10
	s_xor_b64 exec, exec, s[6:7]
	s_cbranch_execnz .LBB1_17164
; %bb.53001:
	s_getpc_b64 s[14:15]
.Lpost_getpc12164:
	s_add_u32 s14, s14, (.LBB1_2826-.Lpost_getpc12164)&4294967295
	s_addc_u32 s15, s15, (.LBB1_2826-.Lpost_getpc12164)>>32
	s_setpc_b64 s[14:15]
.LBB1_17164:
	v_mov_b32_e32 v12, 0
	v_cmp_ne_u16_sdwa s[8:9], v13, v12 src0_sel:BYTE_0 src1_sel:DWORD
	s_andn2_b64 s[4:5], s[4:5], exec
	s_and_b64 s[8:9], s[8:9], exec
	s_or_b64 s[4:5], s[4:5], s[8:9]
	s_or_b64 exec, exec, s[6:7]
	s_and_saveexec_b64 s[6:7], s[4:5]
	s_cbranch_execz .LBB1_30085
; %bb.53003:
	s_getpc_b64 s[14:15]
.Lpost_getpc12165:
	s_add_u32 s14, s14, (.LBB1_2827-.Lpost_getpc12165)&4294967295
	s_addc_u32 s15, s15, (.LBB1_2827-.Lpost_getpc12165)>>32
	s_setpc_b64 s[14:15]
.LBB1_30085:
	s_getpc_b64 s[14:15]
.Lpost_getpc706:
	s_add_u32 s14, s14, (.LBB1_2828-.Lpost_getpc706)&4294967295
	s_addc_u32 s15, s15, (.LBB1_2828-.Lpost_getpc706)>>32
	s_setpc_b64 s[14:15]
.LBB1_17165:
	s_movk_i32 s4, 0x80
	v_cmp_eq_u16_sdwa s[12:13], v13, s4 src0_sel:BYTE_0 src1_sel:DWORD
	s_mov_b64 s[4:5], -1
                                        ; implicit-def: $sgpr10
	s_and_saveexec_b64 s[8:9], s[12:13]
; %bb.17166:
	s_mov_b32 s10, 0x7f800001
	s_xor_b64 s[4:5], exec, -1
; %bb.17167:
	s_or_b64 exec, exec, s[8:9]
	s_and_b64 s[4:5], s[4:5], exec
	s_or_saveexec_b64 s[6:7], s[6:7]
	v_mov_b32_e32 v14, s10
	s_xor_b64 exec, exec, s[6:7]
	s_cbranch_execnz .LBB1_17168
; %bb.53005:
	s_getpc_b64 s[14:15]
.Lpost_getpc12166:
	s_add_u32 s14, s14, (.LBB1_2830-.Lpost_getpc12166)&4294967295
	s_addc_u32 s15, s15, (.LBB1_2830-.Lpost_getpc12166)>>32
	s_setpc_b64 s[14:15]
.LBB1_17168:
	v_mov_b32_e32 v14, 0
	v_cmp_ne_u16_sdwa s[8:9], v13, v14 src0_sel:BYTE_0 src1_sel:DWORD
	s_andn2_b64 s[4:5], s[4:5], exec
	s_and_b64 s[8:9], s[8:9], exec
	s_or_b64 s[4:5], s[4:5], s[8:9]
	s_or_b64 exec, exec, s[6:7]
	s_and_saveexec_b64 s[6:7], s[4:5]
	s_cbranch_execz .LBB1_30087
; %bb.53007:
	s_getpc_b64 s[14:15]
.Lpost_getpc12167:
	s_add_u32 s14, s14, (.LBB1_2831-.Lpost_getpc12167)&4294967295
	s_addc_u32 s15, s15, (.LBB1_2831-.Lpost_getpc12167)>>32
	s_setpc_b64 s[14:15]
.LBB1_30087:
	s_getpc_b64 s[14:15]
.Lpost_getpc707:
	s_add_u32 s14, s14, (.LBB1_2832-.Lpost_getpc707)&4294967295
	s_addc_u32 s15, s15, (.LBB1_2832-.Lpost_getpc707)>>32
	s_setpc_b64 s[14:15]
.LBB1_17169:
	s_movk_i32 s4, 0x80
	v_cmp_eq_u16_e32 vcc, s4, v13
	s_mov_b64 s[4:5], -1
                                        ; implicit-def: $sgpr10
	s_and_saveexec_b64 s[8:9], vcc
; %bb.17170:
	s_mov_b32 s10, 0x7f800001
	s_xor_b64 s[4:5], exec, -1
; %bb.17171:
	s_or_b64 exec, exec, s[8:9]
	s_and_b64 s[4:5], s[4:5], exec
                                        ; implicit-def: $vgpr13
	s_or_saveexec_b64 s[6:7], s[6:7]
	v_mov_b32_e32 v12, s10
	s_xor_b64 exec, exec, s[6:7]
	s_cbranch_execnz .LBB1_17172
; %bb.53009:
	s_getpc_b64 s[14:15]
.Lpost_getpc12168:
	s_add_u32 s14, s14, (.LBB1_2834-.Lpost_getpc12168)&4294967295
	s_addc_u32 s15, s15, (.LBB1_2834-.Lpost_getpc12168)>>32
	s_setpc_b64 s[14:15]
.LBB1_17172:
	v_cmp_ne_u16_e32 vcc, 0, v13
	s_andn2_b64 s[4:5], s[4:5], exec
	s_and_b64 s[8:9], vcc, exec
	v_mov_b32_e32 v12, 0
	s_or_b64 s[4:5], s[4:5], s[8:9]
	s_or_b64 exec, exec, s[6:7]
	s_and_saveexec_b64 s[6:7], s[4:5]
	s_cbranch_execz .LBB1_30089
; %bb.53011:
	s_getpc_b64 s[14:15]
.Lpost_getpc12169:
	s_add_u32 s14, s14, (.LBB1_2835-.Lpost_getpc12169)&4294967295
	s_addc_u32 s15, s15, (.LBB1_2835-.Lpost_getpc12169)>>32
	s_setpc_b64 s[14:15]
.LBB1_30089:
	s_getpc_b64 s[14:15]
.Lpost_getpc708:
	s_add_u32 s14, s14, (.LBB1_2836-.Lpost_getpc708)&4294967295
	s_addc_u32 s15, s15, (.LBB1_2836-.Lpost_getpc708)>>32
	s_setpc_b64 s[14:15]
.LBB1_17173:
	s_movk_i32 s4, 0x80
	v_cmp_eq_u16_e32 vcc, s4, v13
	s_mov_b64 s[4:5], -1
                                        ; implicit-def: $sgpr10
	s_and_saveexec_b64 s[8:9], vcc
; %bb.17174:
	s_mov_b32 s10, 0x7f800001
	s_xor_b64 s[4:5], exec, -1
; %bb.17175:
	s_or_b64 exec, exec, s[8:9]
	s_and_b64 s[4:5], s[4:5], exec
                                        ; implicit-def: $vgpr13
	s_or_saveexec_b64 s[6:7], s[6:7]
	v_mov_b32_e32 v14, s10
	s_xor_b64 exec, exec, s[6:7]
	s_cbranch_execnz .LBB1_17176
; %bb.53013:
	s_getpc_b64 s[14:15]
.Lpost_getpc12170:
	s_add_u32 s14, s14, (.LBB1_2838-.Lpost_getpc12170)&4294967295
	s_addc_u32 s15, s15, (.LBB1_2838-.Lpost_getpc12170)>>32
	s_setpc_b64 s[14:15]
.LBB1_17176:
	v_cmp_ne_u16_e32 vcc, 0, v13
	s_andn2_b64 s[4:5], s[4:5], exec
	s_and_b64 s[8:9], vcc, exec
	v_mov_b32_e32 v14, 0
	s_or_b64 s[4:5], s[4:5], s[8:9]
	s_or_b64 exec, exec, s[6:7]
	s_and_saveexec_b64 s[6:7], s[4:5]
	s_cbranch_execz .LBB1_30091
; %bb.53015:
	s_getpc_b64 s[14:15]
.Lpost_getpc12171:
	s_add_u32 s14, s14, (.LBB1_2839-.Lpost_getpc12171)&4294967295
	s_addc_u32 s15, s15, (.LBB1_2839-.Lpost_getpc12171)>>32
	s_setpc_b64 s[14:15]
.LBB1_30091:
	s_getpc_b64 s[14:15]
.Lpost_getpc709:
	s_add_u32 s14, s14, (.LBB1_2840-.Lpost_getpc709)&4294967295
	s_addc_u32 s15, s15, (.LBB1_2840-.Lpost_getpc709)>>32
	s_setpc_b64 s[14:15]
.LBB1_17177:
	s_movk_i32 s4, 0x80
	v_cmp_eq_u16_sdwa s[12:13], v6, s4 src0_sel:BYTE_3 src1_sel:DWORD
	s_mov_b64 s[4:5], -1
                                        ; implicit-def: $sgpr10
	s_and_saveexec_b64 s[8:9], s[12:13]
; %bb.17178:
	s_mov_b32 s10, 0x7f800001
	s_xor_b64 s[4:5], exec, -1
; %bb.17179:
	s_or_b64 exec, exec, s[8:9]
	s_and_b64 s[4:5], s[4:5], exec
	s_or_saveexec_b64 s[6:7], s[6:7]
	v_mov_b32_e32 v12, s10
	s_xor_b64 exec, exec, s[6:7]
	s_cbranch_execnz .LBB1_17180
; %bb.53017:
	s_getpc_b64 s[14:15]
.Lpost_getpc12172:
	s_add_u32 s14, s14, (.LBB1_2842-.Lpost_getpc12172)&4294967295
	s_addc_u32 s15, s15, (.LBB1_2842-.Lpost_getpc12172)>>32
	s_setpc_b64 s[14:15]
.LBB1_17180:
	v_mov_b32_e32 v12, 0
	v_cmp_ne_u16_sdwa s[8:9], v6, v12 src0_sel:BYTE_3 src1_sel:DWORD
	s_andn2_b64 s[4:5], s[4:5], exec
	s_and_b64 s[8:9], s[8:9], exec
	s_or_b64 s[4:5], s[4:5], s[8:9]
	s_or_b64 exec, exec, s[6:7]
	s_and_saveexec_b64 s[6:7], s[4:5]
	s_cbranch_execz .LBB1_30093
; %bb.53019:
	s_getpc_b64 s[14:15]
.Lpost_getpc12173:
	s_add_u32 s14, s14, (.LBB1_2843-.Lpost_getpc12173)&4294967295
	s_addc_u32 s15, s15, (.LBB1_2843-.Lpost_getpc12173)>>32
	s_setpc_b64 s[14:15]
.LBB1_30093:
	s_getpc_b64 s[14:15]
.Lpost_getpc710:
	s_add_u32 s14, s14, (.LBB1_2844-.Lpost_getpc710)&4294967295
	s_addc_u32 s15, s15, (.LBB1_2844-.Lpost_getpc710)>>32
	s_setpc_b64 s[14:15]
.LBB1_17181:
	s_movk_i32 s4, 0x80
	v_cmp_eq_u16_sdwa s[12:13], v2, s4 src0_sel:BYTE_3 src1_sel:DWORD
	s_mov_b64 s[4:5], -1
                                        ; implicit-def: $sgpr10
	s_and_saveexec_b64 s[8:9], s[12:13]
; %bb.17182:
	s_mov_b32 s10, 0x7f800001
	s_xor_b64 s[4:5], exec, -1
; %bb.17183:
	s_or_b64 exec, exec, s[8:9]
	s_and_b64 s[4:5], s[4:5], exec
	s_or_saveexec_b64 s[6:7], s[6:7]
	v_mov_b32_e32 v6, s10
	s_xor_b64 exec, exec, s[6:7]
	s_cbranch_execnz .LBB1_17184
; %bb.53021:
	s_getpc_b64 s[14:15]
.Lpost_getpc12174:
	s_add_u32 s14, s14, (.LBB1_2846-.Lpost_getpc12174)&4294967295
	s_addc_u32 s15, s15, (.LBB1_2846-.Lpost_getpc12174)>>32
	s_setpc_b64 s[14:15]
.LBB1_17184:
	v_mov_b32_e32 v6, 0
	v_cmp_ne_u16_sdwa s[8:9], v2, v6 src0_sel:BYTE_3 src1_sel:DWORD
	s_andn2_b64 s[4:5], s[4:5], exec
	s_and_b64 s[8:9], s[8:9], exec
	s_or_b64 s[4:5], s[4:5], s[8:9]
	s_or_b64 exec, exec, s[6:7]
	s_and_saveexec_b64 s[6:7], s[4:5]
	s_cbranch_execz .LBB1_30095
; %bb.53023:
	s_getpc_b64 s[14:15]
.Lpost_getpc12175:
	s_add_u32 s14, s14, (.LBB1_2847-.Lpost_getpc12175)&4294967295
	s_addc_u32 s15, s15, (.LBB1_2847-.Lpost_getpc12175)>>32
	s_setpc_b64 s[14:15]
.LBB1_30095:
	s_getpc_b64 s[14:15]
.Lpost_getpc711:
	s_add_u32 s14, s14, (.LBB1_2848-.Lpost_getpc711)&4294967295
	s_addc_u32 s15, s15, (.LBB1_2848-.Lpost_getpc711)>>32
	s_setpc_b64 s[14:15]
.LBB1_17185:
	s_movk_i32 s4, 0x80
	v_cmp_eq_u16_sdwa s[12:13], v7, s4 src0_sel:BYTE_0 src1_sel:DWORD
	s_mov_b64 s[4:5], -1
                                        ; implicit-def: $sgpr10
	s_and_saveexec_b64 s[8:9], s[12:13]
; %bb.17186:
	s_mov_b32 s10, 0x7f800001
	s_xor_b64 s[4:5], exec, -1
; %bb.17187:
	s_or_b64 exec, exec, s[8:9]
	s_and_b64 s[4:5], s[4:5], exec
	s_or_saveexec_b64 s[6:7], s[6:7]
	v_mov_b32_e32 v2, s10
	s_xor_b64 exec, exec, s[6:7]
	s_cbranch_execnz .LBB1_17188
; %bb.53025:
	s_getpc_b64 s[14:15]
.Lpost_getpc12176:
	s_add_u32 s14, s14, (.LBB1_2850-.Lpost_getpc12176)&4294967295
	s_addc_u32 s15, s15, (.LBB1_2850-.Lpost_getpc12176)>>32
	s_setpc_b64 s[14:15]
.LBB1_17188:
	v_mov_b32_e32 v2, 0
	v_cmp_ne_u16_sdwa s[8:9], v7, v2 src0_sel:BYTE_0 src1_sel:DWORD
	s_andn2_b64 s[4:5], s[4:5], exec
	s_and_b64 s[8:9], s[8:9], exec
	s_or_b64 s[4:5], s[4:5], s[8:9]
	s_or_b64 exec, exec, s[6:7]
	s_and_saveexec_b64 s[6:7], s[4:5]
	s_cbranch_execz .LBB1_30097
; %bb.53027:
	s_getpc_b64 s[14:15]
.Lpost_getpc12177:
	s_add_u32 s14, s14, (.LBB1_2851-.Lpost_getpc12177)&4294967295
	s_addc_u32 s15, s15, (.LBB1_2851-.Lpost_getpc12177)>>32
	s_setpc_b64 s[14:15]
.LBB1_30097:
	s_getpc_b64 s[14:15]
.Lpost_getpc712:
	s_add_u32 s14, s14, (.LBB1_2852-.Lpost_getpc712)&4294967295
	s_addc_u32 s15, s15, (.LBB1_2852-.Lpost_getpc712)>>32
	s_setpc_b64 s[14:15]
.LBB1_17189:
	s_movk_i32 s4, 0x80
	v_cmp_eq_u16_sdwa s[12:13], v3, s4 src0_sel:BYTE_0 src1_sel:DWORD
	s_mov_b64 s[4:5], -1
                                        ; implicit-def: $sgpr10
	s_and_saveexec_b64 s[8:9], s[12:13]
; %bb.17190:
	s_mov_b32 s10, 0x7f800001
	s_xor_b64 s[4:5], exec, -1
; %bb.17191:
	s_or_b64 exec, exec, s[8:9]
	s_and_b64 s[4:5], s[4:5], exec
	s_or_saveexec_b64 s[6:7], s[6:7]
	v_mov_b32_e32 v6, s10
	s_xor_b64 exec, exec, s[6:7]
	s_cbranch_execnz .LBB1_17192
; %bb.53029:
	s_getpc_b64 s[14:15]
.Lpost_getpc12178:
	s_add_u32 s14, s14, (.LBB1_2854-.Lpost_getpc12178)&4294967295
	s_addc_u32 s15, s15, (.LBB1_2854-.Lpost_getpc12178)>>32
	s_setpc_b64 s[14:15]
.LBB1_17192:
	v_mov_b32_e32 v6, 0
	v_cmp_ne_u16_sdwa s[8:9], v3, v6 src0_sel:BYTE_0 src1_sel:DWORD
	s_andn2_b64 s[4:5], s[4:5], exec
	s_and_b64 s[8:9], s[8:9], exec
	s_or_b64 s[4:5], s[4:5], s[8:9]
	s_or_b64 exec, exec, s[6:7]
	s_and_saveexec_b64 s[6:7], s[4:5]
	s_cbranch_execz .LBB1_30099
; %bb.53031:
	s_getpc_b64 s[14:15]
.Lpost_getpc12179:
	s_add_u32 s14, s14, (.LBB1_2855-.Lpost_getpc12179)&4294967295
	s_addc_u32 s15, s15, (.LBB1_2855-.Lpost_getpc12179)>>32
	s_setpc_b64 s[14:15]
.LBB1_30099:
	s_getpc_b64 s[14:15]
.Lpost_getpc713:
	s_add_u32 s14, s14, (.LBB1_2856-.Lpost_getpc713)&4294967295
	s_addc_u32 s15, s15, (.LBB1_2856-.Lpost_getpc713)>>32
	s_setpc_b64 s[14:15]
.LBB1_17193:
	s_movk_i32 s4, 0x80
	v_cmp_eq_u16_sdwa s[12:13], v6, s4 src0_sel:BYTE_0 src1_sel:DWORD
	s_mov_b64 s[4:5], -1
                                        ; implicit-def: $sgpr10
	s_and_saveexec_b64 s[8:9], s[12:13]
; %bb.17194:
	s_mov_b32 s10, 0x7f800001
	s_xor_b64 s[4:5], exec, -1
; %bb.17195:
	s_or_b64 exec, exec, s[8:9]
	s_and_b64 s[4:5], s[4:5], exec
	s_or_saveexec_b64 s[6:7], s[6:7]
	v_mov_b32_e32 v2, s10
	s_xor_b64 exec, exec, s[6:7]
	s_cbranch_execnz .LBB1_17196
; %bb.53033:
	s_getpc_b64 s[14:15]
.Lpost_getpc12180:
	s_add_u32 s14, s14, (.LBB1_2858-.Lpost_getpc12180)&4294967295
	s_addc_u32 s15, s15, (.LBB1_2858-.Lpost_getpc12180)>>32
	s_setpc_b64 s[14:15]
.LBB1_17196:
	v_mov_b32_e32 v2, 0
	v_cmp_ne_u16_sdwa s[8:9], v6, v2 src0_sel:BYTE_0 src1_sel:DWORD
	s_andn2_b64 s[4:5], s[4:5], exec
	s_and_b64 s[8:9], s[8:9], exec
	s_or_b64 s[4:5], s[4:5], s[8:9]
	s_or_b64 exec, exec, s[6:7]
	s_and_saveexec_b64 s[6:7], s[4:5]
	s_cbranch_execz .LBB1_30101
; %bb.53035:
	s_getpc_b64 s[14:15]
.Lpost_getpc12181:
	s_add_u32 s14, s14, (.LBB1_2859-.Lpost_getpc12181)&4294967295
	s_addc_u32 s15, s15, (.LBB1_2859-.Lpost_getpc12181)>>32
	s_setpc_b64 s[14:15]
.LBB1_30101:
	s_getpc_b64 s[14:15]
.Lpost_getpc714:
	s_add_u32 s14, s14, (.LBB1_2860-.Lpost_getpc714)&4294967295
	s_addc_u32 s15, s15, (.LBB1_2860-.Lpost_getpc714)>>32
	s_setpc_b64 s[14:15]
.LBB1_17197:
	s_movk_i32 s4, 0x80
	v_cmp_eq_u16_sdwa s[12:13], v6, s4 src0_sel:BYTE_0 src1_sel:DWORD
	s_mov_b64 s[4:5], -1
                                        ; implicit-def: $sgpr10
	s_and_saveexec_b64 s[8:9], s[12:13]
; %bb.17198:
	s_mov_b32 s10, 0x7f800001
	s_xor_b64 s[4:5], exec, -1
; %bb.17199:
	s_or_b64 exec, exec, s[8:9]
	s_and_b64 s[4:5], s[4:5], exec
	s_or_saveexec_b64 s[6:7], s[6:7]
	v_mov_b32_e32 v12, s10
	s_xor_b64 exec, exec, s[6:7]
	s_cbranch_execnz .LBB1_17200
; %bb.53037:
	s_getpc_b64 s[14:15]
.Lpost_getpc12182:
	s_add_u32 s14, s14, (.LBB1_2862-.Lpost_getpc12182)&4294967295
	s_addc_u32 s15, s15, (.LBB1_2862-.Lpost_getpc12182)>>32
	s_setpc_b64 s[14:15]
.LBB1_17200:
	v_mov_b32_e32 v12, 0
	v_cmp_ne_u16_sdwa s[8:9], v6, v12 src0_sel:BYTE_0 src1_sel:DWORD
	s_andn2_b64 s[4:5], s[4:5], exec
	s_and_b64 s[8:9], s[8:9], exec
	s_or_b64 s[4:5], s[4:5], s[8:9]
	s_or_b64 exec, exec, s[6:7]
	s_and_saveexec_b64 s[6:7], s[4:5]
	s_cbranch_execz .LBB1_30103
; %bb.53039:
	s_getpc_b64 s[14:15]
.Lpost_getpc12183:
	s_add_u32 s14, s14, (.LBB1_2863-.Lpost_getpc12183)&4294967295
	s_addc_u32 s15, s15, (.LBB1_2863-.Lpost_getpc12183)>>32
	s_setpc_b64 s[14:15]
.LBB1_30103:
	s_getpc_b64 s[14:15]
.Lpost_getpc715:
	s_add_u32 s14, s14, (.LBB1_2864-.Lpost_getpc715)&4294967295
	s_addc_u32 s15, s15, (.LBB1_2864-.Lpost_getpc715)>>32
	s_setpc_b64 s[14:15]
.LBB1_17201:
	s_movk_i32 s4, 0x80
	v_cmp_eq_u16_e32 vcc, s4, v6
	s_mov_b64 s[4:5], -1
                                        ; implicit-def: $sgpr10
	s_and_saveexec_b64 s[8:9], vcc
; %bb.17202:
	s_mov_b32 s10, 0x7f800001
	s_xor_b64 s[4:5], exec, -1
; %bb.17203:
	s_or_b64 exec, exec, s[8:9]
	s_and_b64 s[4:5], s[4:5], exec
                                        ; implicit-def: $vgpr6
	s_or_saveexec_b64 s[6:7], s[6:7]
	v_mov_b32_e32 v2, s10
	s_xor_b64 exec, exec, s[6:7]
	s_cbranch_execnz .LBB1_17204
; %bb.53041:
	s_getpc_b64 s[14:15]
.Lpost_getpc12184:
	s_add_u32 s14, s14, (.LBB1_2866-.Lpost_getpc12184)&4294967295
	s_addc_u32 s15, s15, (.LBB1_2866-.Lpost_getpc12184)>>32
	s_setpc_b64 s[14:15]
.LBB1_17204:
	v_cmp_ne_u16_e32 vcc, 0, v6
	s_andn2_b64 s[4:5], s[4:5], exec
	s_and_b64 s[8:9], vcc, exec
	v_mov_b32_e32 v2, 0
	s_or_b64 s[4:5], s[4:5], s[8:9]
	s_or_b64 exec, exec, s[6:7]
	s_and_saveexec_b64 s[6:7], s[4:5]
	s_cbranch_execz .LBB1_30105
; %bb.53043:
	s_getpc_b64 s[14:15]
.Lpost_getpc12185:
	s_add_u32 s14, s14, (.LBB1_2867-.Lpost_getpc12185)&4294967295
	s_addc_u32 s15, s15, (.LBB1_2867-.Lpost_getpc12185)>>32
	s_setpc_b64 s[14:15]
.LBB1_30105:
	s_getpc_b64 s[14:15]
.Lpost_getpc716:
	s_add_u32 s14, s14, (.LBB1_2868-.Lpost_getpc716)&4294967295
	s_addc_u32 s15, s15, (.LBB1_2868-.Lpost_getpc716)>>32
	s_setpc_b64 s[14:15]
.LBB1_17205:
	s_movk_i32 s4, 0x80
	v_cmp_eq_u16_e32 vcc, s4, v6
	s_mov_b64 s[4:5], -1
                                        ; implicit-def: $sgpr10
	s_and_saveexec_b64 s[8:9], vcc
; %bb.17206:
	s_mov_b32 s10, 0x7f800001
	s_xor_b64 s[4:5], exec, -1
; %bb.17207:
	s_or_b64 exec, exec, s[8:9]
	s_and_b64 s[4:5], s[4:5], exec
                                        ; implicit-def: $vgpr6
	s_or_saveexec_b64 s[6:7], s[6:7]
	v_mov_b32_e32 v12, s10
	s_xor_b64 exec, exec, s[6:7]
	s_cbranch_execnz .LBB1_17208
; %bb.53045:
	s_getpc_b64 s[14:15]
.Lpost_getpc12186:
	s_add_u32 s14, s14, (.LBB1_2870-.Lpost_getpc12186)&4294967295
	s_addc_u32 s15, s15, (.LBB1_2870-.Lpost_getpc12186)>>32
	s_setpc_b64 s[14:15]
.LBB1_17208:
	v_cmp_ne_u16_e32 vcc, 0, v6
	s_andn2_b64 s[4:5], s[4:5], exec
	s_and_b64 s[8:9], vcc, exec
	v_mov_b32_e32 v12, 0
	s_or_b64 s[4:5], s[4:5], s[8:9]
	s_or_b64 exec, exec, s[6:7]
	s_and_saveexec_b64 s[6:7], s[4:5]
	s_cbranch_execz .LBB1_30107
; %bb.53047:
	s_getpc_b64 s[14:15]
.Lpost_getpc12187:
	s_add_u32 s14, s14, (.LBB1_2871-.Lpost_getpc12187)&4294967295
	s_addc_u32 s15, s15, (.LBB1_2871-.Lpost_getpc12187)>>32
	s_setpc_b64 s[14:15]
.LBB1_30107:
	s_getpc_b64 s[14:15]
.Lpost_getpc717:
	s_add_u32 s14, s14, (.LBB1_2872-.Lpost_getpc717)&4294967295
	s_addc_u32 s15, s15, (.LBB1_2872-.Lpost_getpc717)>>32
	s_setpc_b64 s[14:15]
.LBB1_17209:
	s_movk_i32 s4, 0x80
	v_cmp_eq_u16_sdwa s[12:13], v7, s4 src0_sel:BYTE_3 src1_sel:DWORD
	s_mov_b64 s[4:5], -1
                                        ; implicit-def: $sgpr10
	s_and_saveexec_b64 s[8:9], s[12:13]
; %bb.17210:
	s_mov_b32 s10, 0x7f800001
	s_xor_b64 s[4:5], exec, -1
; %bb.17211:
	s_or_b64 exec, exec, s[8:9]
	s_and_b64 s[4:5], s[4:5], exec
	s_or_saveexec_b64 s[6:7], s[6:7]
	v_mov_b32_e32 v2, s10
	s_xor_b64 exec, exec, s[6:7]
	s_cbranch_execnz .LBB1_17212
; %bb.53049:
	s_getpc_b64 s[14:15]
.Lpost_getpc12188:
	s_add_u32 s14, s14, (.LBB1_2874-.Lpost_getpc12188)&4294967295
	s_addc_u32 s15, s15, (.LBB1_2874-.Lpost_getpc12188)>>32
	s_setpc_b64 s[14:15]
.LBB1_17212:
	v_mov_b32_e32 v2, 0
	v_cmp_ne_u16_sdwa s[8:9], v7, v2 src0_sel:BYTE_3 src1_sel:DWORD
	s_andn2_b64 s[4:5], s[4:5], exec
	s_and_b64 s[8:9], s[8:9], exec
	s_or_b64 s[4:5], s[4:5], s[8:9]
	s_or_b64 exec, exec, s[6:7]
	s_and_saveexec_b64 s[6:7], s[4:5]
	s_cbranch_execz .LBB1_30109
; %bb.53051:
	s_getpc_b64 s[14:15]
.Lpost_getpc12189:
	s_add_u32 s14, s14, (.LBB1_2875-.Lpost_getpc12189)&4294967295
	s_addc_u32 s15, s15, (.LBB1_2875-.Lpost_getpc12189)>>32
	s_setpc_b64 s[14:15]
.LBB1_30109:
	s_getpc_b64 s[14:15]
.Lpost_getpc718:
	s_add_u32 s14, s14, (.LBB1_2876-.Lpost_getpc718)&4294967295
	s_addc_u32 s15, s15, (.LBB1_2876-.Lpost_getpc718)>>32
	s_setpc_b64 s[14:15]
.LBB1_17213:
	s_movk_i32 s4, 0x80
	v_cmp_eq_u16_sdwa s[12:13], v3, s4 src0_sel:BYTE_3 src1_sel:DWORD
	s_mov_b64 s[4:5], -1
                                        ; implicit-def: $sgpr10
	s_and_saveexec_b64 s[8:9], s[12:13]
; %bb.17214:
	s_mov_b32 s10, 0x7f800001
	s_xor_b64 s[4:5], exec, -1
; %bb.17215:
	s_or_b64 exec, exec, s[8:9]
	s_and_b64 s[4:5], s[4:5], exec
	s_or_saveexec_b64 s[6:7], s[6:7]
	v_mov_b32_e32 v6, s10
	s_xor_b64 exec, exec, s[6:7]
	s_cbranch_execnz .LBB1_17216
; %bb.53053:
	s_getpc_b64 s[14:15]
.Lpost_getpc12190:
	s_add_u32 s14, s14, (.LBB1_2878-.Lpost_getpc12190)&4294967295
	s_addc_u32 s15, s15, (.LBB1_2878-.Lpost_getpc12190)>>32
	s_setpc_b64 s[14:15]
.LBB1_17216:
	v_mov_b32_e32 v6, 0
	v_cmp_ne_u16_sdwa s[8:9], v3, v6 src0_sel:BYTE_3 src1_sel:DWORD
	s_andn2_b64 s[4:5], s[4:5], exec
	s_and_b64 s[8:9], s[8:9], exec
	s_or_b64 s[4:5], s[4:5], s[8:9]
	s_or_b64 exec, exec, s[6:7]
	s_and_saveexec_b64 s[6:7], s[4:5]
	s_cbranch_execz .LBB1_30111
; %bb.53055:
	s_getpc_b64 s[14:15]
.Lpost_getpc12191:
	s_add_u32 s14, s14, (.LBB1_2879-.Lpost_getpc12191)&4294967295
	s_addc_u32 s15, s15, (.LBB1_2879-.Lpost_getpc12191)>>32
	s_setpc_b64 s[14:15]
.LBB1_30111:
	s_getpc_b64 s[14:15]
.Lpost_getpc719:
	s_add_u32 s14, s14, (.LBB1_2880-.Lpost_getpc719)&4294967295
	s_addc_u32 s15, s15, (.LBB1_2880-.Lpost_getpc719)>>32
	s_setpc_b64 s[14:15]
.LBB1_17217:
	s_movk_i32 s4, 0x80
	v_cmp_eq_u16_sdwa s[12:13], v8, s4 src0_sel:BYTE_0 src1_sel:DWORD
	s_mov_b64 s[4:5], -1
                                        ; implicit-def: $sgpr10
	s_and_saveexec_b64 s[8:9], s[12:13]
; %bb.17218:
	s_mov_b32 s10, 0x7f800001
	s_xor_b64 s[4:5], exec, -1
; %bb.17219:
	s_or_b64 exec, exec, s[8:9]
	s_and_b64 s[4:5], s[4:5], exec
	s_or_saveexec_b64 s[6:7], s[6:7]
	v_mov_b32_e32 v2, s10
	s_xor_b64 exec, exec, s[6:7]
	s_cbranch_execnz .LBB1_17220
; %bb.53057:
	s_getpc_b64 s[14:15]
.Lpost_getpc12192:
	s_add_u32 s14, s14, (.LBB1_2882-.Lpost_getpc12192)&4294967295
	s_addc_u32 s15, s15, (.LBB1_2882-.Lpost_getpc12192)>>32
	s_setpc_b64 s[14:15]
.LBB1_17220:
	v_mov_b32_e32 v2, 0
	v_cmp_ne_u16_sdwa s[8:9], v8, v2 src0_sel:BYTE_0 src1_sel:DWORD
	s_andn2_b64 s[4:5], s[4:5], exec
	s_and_b64 s[8:9], s[8:9], exec
	s_or_b64 s[4:5], s[4:5], s[8:9]
	s_or_b64 exec, exec, s[6:7]
	s_and_saveexec_b64 s[6:7], s[4:5]
	s_cbranch_execz .LBB1_30113
; %bb.53059:
	s_getpc_b64 s[14:15]
.Lpost_getpc12193:
	s_add_u32 s14, s14, (.LBB1_2883-.Lpost_getpc12193)&4294967295
	s_addc_u32 s15, s15, (.LBB1_2883-.Lpost_getpc12193)>>32
	s_setpc_b64 s[14:15]
.LBB1_30113:
	s_getpc_b64 s[14:15]
.Lpost_getpc720:
	s_add_u32 s14, s14, (.LBB1_2884-.Lpost_getpc720)&4294967295
	s_addc_u32 s15, s15, (.LBB1_2884-.Lpost_getpc720)>>32
	s_setpc_b64 s[14:15]
.LBB1_17221:
	s_movk_i32 s4, 0x80
	v_cmp_eq_u16_sdwa s[12:13], v4, s4 src0_sel:BYTE_0 src1_sel:DWORD
	s_mov_b64 s[4:5], -1
                                        ; implicit-def: $sgpr10
	s_and_saveexec_b64 s[8:9], s[12:13]
; %bb.17222:
	s_mov_b32 s10, 0x7f800001
	s_xor_b64 s[4:5], exec, -1
; %bb.17223:
	s_or_b64 exec, exec, s[8:9]
	s_and_b64 s[4:5], s[4:5], exec
	s_or_saveexec_b64 s[6:7], s[6:7]
	v_mov_b32_e32 v3, s10
	s_xor_b64 exec, exec, s[6:7]
	s_cbranch_execnz .LBB1_17224
; %bb.53061:
	s_getpc_b64 s[14:15]
.Lpost_getpc12194:
	s_add_u32 s14, s14, (.LBB1_2886-.Lpost_getpc12194)&4294967295
	s_addc_u32 s15, s15, (.LBB1_2886-.Lpost_getpc12194)>>32
	s_setpc_b64 s[14:15]
.LBB1_17224:
	v_mov_b32_e32 v3, 0
	v_cmp_ne_u16_sdwa s[8:9], v4, v3 src0_sel:BYTE_0 src1_sel:DWORD
	s_andn2_b64 s[4:5], s[4:5], exec
	s_and_b64 s[8:9], s[8:9], exec
	s_or_b64 s[4:5], s[4:5], s[8:9]
	s_or_b64 exec, exec, s[6:7]
	s_and_saveexec_b64 s[6:7], s[4:5]
	s_cbranch_execz .LBB1_30115
; %bb.53063:
	s_getpc_b64 s[14:15]
.Lpost_getpc12195:
	s_add_u32 s14, s14, (.LBB1_2887-.Lpost_getpc12195)&4294967295
	s_addc_u32 s15, s15, (.LBB1_2887-.Lpost_getpc12195)>>32
	s_setpc_b64 s[14:15]
.LBB1_30115:
	s_getpc_b64 s[14:15]
.Lpost_getpc721:
	s_add_u32 s14, s14, (.LBB1_2888-.Lpost_getpc721)&4294967295
	s_addc_u32 s15, s15, (.LBB1_2888-.Lpost_getpc721)>>32
	s_setpc_b64 s[14:15]
.LBB1_17225:
	s_movk_i32 s4, 0x80
	v_cmp_eq_u16_sdwa s[12:13], v3, s4 src0_sel:BYTE_0 src1_sel:DWORD
	s_mov_b64 s[4:5], -1
                                        ; implicit-def: $sgpr10
	s_and_saveexec_b64 s[8:9], s[12:13]
; %bb.17226:
	s_mov_b32 s10, 0x7f800001
	s_xor_b64 s[4:5], exec, -1
; %bb.17227:
	s_or_b64 exec, exec, s[8:9]
	s_and_b64 s[4:5], s[4:5], exec
	s_or_saveexec_b64 s[6:7], s[6:7]
	v_mov_b32_e32 v2, s10
	s_xor_b64 exec, exec, s[6:7]
	s_cbranch_execnz .LBB1_17228
; %bb.53065:
	s_getpc_b64 s[14:15]
.Lpost_getpc12196:
	s_add_u32 s14, s14, (.LBB1_2890-.Lpost_getpc12196)&4294967295
	s_addc_u32 s15, s15, (.LBB1_2890-.Lpost_getpc12196)>>32
	s_setpc_b64 s[14:15]
.LBB1_17228:
	v_mov_b32_e32 v2, 0
	v_cmp_ne_u16_sdwa s[8:9], v3, v2 src0_sel:BYTE_0 src1_sel:DWORD
	s_andn2_b64 s[4:5], s[4:5], exec
	s_and_b64 s[8:9], s[8:9], exec
	s_or_b64 s[4:5], s[4:5], s[8:9]
	s_or_b64 exec, exec, s[6:7]
	s_and_saveexec_b64 s[6:7], s[4:5]
	s_cbranch_execz .LBB1_30117
; %bb.53067:
	s_getpc_b64 s[14:15]
.Lpost_getpc12197:
	s_add_u32 s14, s14, (.LBB1_2891-.Lpost_getpc12197)&4294967295
	s_addc_u32 s15, s15, (.LBB1_2891-.Lpost_getpc12197)>>32
	s_setpc_b64 s[14:15]
.LBB1_30117:
	s_getpc_b64 s[14:15]
.Lpost_getpc722:
	s_add_u32 s14, s14, (.LBB1_2892-.Lpost_getpc722)&4294967295
	s_addc_u32 s15, s15, (.LBB1_2892-.Lpost_getpc722)>>32
	s_setpc_b64 s[14:15]
.LBB1_17229:
	s_movk_i32 s4, 0x80
	v_cmp_eq_u16_sdwa s[12:13], v3, s4 src0_sel:BYTE_0 src1_sel:DWORD
	s_mov_b64 s[4:5], -1
                                        ; implicit-def: $sgpr10
	s_and_saveexec_b64 s[8:9], s[12:13]
; %bb.17230:
	s_mov_b32 s10, 0x7f800001
	s_xor_b64 s[4:5], exec, -1
; %bb.17231:
	s_or_b64 exec, exec, s[8:9]
	s_and_b64 s[4:5], s[4:5], exec
	s_or_saveexec_b64 s[6:7], s[6:7]
	v_mov_b32_e32 v6, s10
	s_xor_b64 exec, exec, s[6:7]
	s_cbranch_execnz .LBB1_17232
; %bb.53069:
	s_getpc_b64 s[14:15]
.Lpost_getpc12198:
	s_add_u32 s14, s14, (.LBB1_2894-.Lpost_getpc12198)&4294967295
	s_addc_u32 s15, s15, (.LBB1_2894-.Lpost_getpc12198)>>32
	s_setpc_b64 s[14:15]
.LBB1_17232:
	v_mov_b32_e32 v6, 0
	v_cmp_ne_u16_sdwa s[8:9], v3, v6 src0_sel:BYTE_0 src1_sel:DWORD
	s_andn2_b64 s[4:5], s[4:5], exec
	s_and_b64 s[8:9], s[8:9], exec
	s_or_b64 s[4:5], s[4:5], s[8:9]
	s_or_b64 exec, exec, s[6:7]
	s_and_saveexec_b64 s[6:7], s[4:5]
	s_cbranch_execz .LBB1_30119
; %bb.53071:
	s_getpc_b64 s[14:15]
.Lpost_getpc12199:
	s_add_u32 s14, s14, (.LBB1_2895-.Lpost_getpc12199)&4294967295
	s_addc_u32 s15, s15, (.LBB1_2895-.Lpost_getpc12199)>>32
	s_setpc_b64 s[14:15]
.LBB1_30119:
	s_getpc_b64 s[14:15]
.Lpost_getpc723:
	s_add_u32 s14, s14, (.LBB1_2896-.Lpost_getpc723)&4294967295
	s_addc_u32 s15, s15, (.LBB1_2896-.Lpost_getpc723)>>32
	s_setpc_b64 s[14:15]
.LBB1_17233:
	s_movk_i32 s4, 0x80
	v_cmp_eq_u16_e32 vcc, s4, v3
	s_mov_b64 s[4:5], -1
                                        ; implicit-def: $sgpr10
	s_and_saveexec_b64 s[8:9], vcc
; %bb.17234:
	s_mov_b32 s10, 0x7f800001
	s_xor_b64 s[4:5], exec, -1
; %bb.17235:
	s_or_b64 exec, exec, s[8:9]
	s_and_b64 s[4:5], s[4:5], exec
                                        ; implicit-def: $vgpr3
	s_or_saveexec_b64 s[6:7], s[6:7]
	v_mov_b32_e32 v2, s10
	s_xor_b64 exec, exec, s[6:7]
	s_cbranch_execnz .LBB1_17236
; %bb.53073:
	s_getpc_b64 s[14:15]
.Lpost_getpc12200:
	s_add_u32 s14, s14, (.LBB1_2898-.Lpost_getpc12200)&4294967295
	s_addc_u32 s15, s15, (.LBB1_2898-.Lpost_getpc12200)>>32
	s_setpc_b64 s[14:15]
.LBB1_17236:
	v_cmp_ne_u16_e32 vcc, 0, v3
	s_andn2_b64 s[4:5], s[4:5], exec
	s_and_b64 s[8:9], vcc, exec
	v_mov_b32_e32 v2, 0
	s_or_b64 s[4:5], s[4:5], s[8:9]
	s_or_b64 exec, exec, s[6:7]
	s_and_saveexec_b64 s[6:7], s[4:5]
	s_cbranch_execz .LBB1_30121
; %bb.53075:
	s_getpc_b64 s[14:15]
.Lpost_getpc12201:
	s_add_u32 s14, s14, (.LBB1_2899-.Lpost_getpc12201)&4294967295
	s_addc_u32 s15, s15, (.LBB1_2899-.Lpost_getpc12201)>>32
	s_setpc_b64 s[14:15]
.LBB1_30121:
	s_getpc_b64 s[14:15]
.Lpost_getpc724:
	s_add_u32 s14, s14, (.LBB1_2900-.Lpost_getpc724)&4294967295
	s_addc_u32 s15, s15, (.LBB1_2900-.Lpost_getpc724)>>32
	s_setpc_b64 s[14:15]
.LBB1_17237:
	s_movk_i32 s4, 0x80
	v_cmp_eq_u16_e32 vcc, s4, v3
	s_mov_b64 s[4:5], -1
                                        ; implicit-def: $sgpr10
	s_and_saveexec_b64 s[8:9], vcc
; %bb.17238:
	s_mov_b32 s10, 0x7f800001
	s_xor_b64 s[4:5], exec, -1
; %bb.17239:
	s_or_b64 exec, exec, s[8:9]
	s_and_b64 s[4:5], s[4:5], exec
                                        ; implicit-def: $vgpr3
	s_or_saveexec_b64 s[6:7], s[6:7]
	v_mov_b32_e32 v6, s10
	s_xor_b64 exec, exec, s[6:7]
	s_cbranch_execnz .LBB1_17240
; %bb.53077:
	s_getpc_b64 s[14:15]
.Lpost_getpc12202:
	s_add_u32 s14, s14, (.LBB1_2902-.Lpost_getpc12202)&4294967295
	s_addc_u32 s15, s15, (.LBB1_2902-.Lpost_getpc12202)>>32
	s_setpc_b64 s[14:15]
.LBB1_17240:
	v_cmp_ne_u16_e32 vcc, 0, v3
	s_andn2_b64 s[4:5], s[4:5], exec
	s_and_b64 s[8:9], vcc, exec
	v_mov_b32_e32 v6, 0
	s_or_b64 s[4:5], s[4:5], s[8:9]
	s_or_b64 exec, exec, s[6:7]
	s_and_saveexec_b64 s[6:7], s[4:5]
	s_cbranch_execz .LBB1_30123
; %bb.53079:
	s_getpc_b64 s[14:15]
.Lpost_getpc12203:
	s_add_u32 s14, s14, (.LBB1_2903-.Lpost_getpc12203)&4294967295
	s_addc_u32 s15, s15, (.LBB1_2903-.Lpost_getpc12203)>>32
	s_setpc_b64 s[14:15]
.LBB1_30123:
	s_getpc_b64 s[14:15]
.Lpost_getpc725:
	s_add_u32 s14, s14, (.LBB1_2904-.Lpost_getpc725)&4294967295
	s_addc_u32 s15, s15, (.LBB1_2904-.Lpost_getpc725)>>32
	s_setpc_b64 s[14:15]
.LBB1_17241:
	s_movk_i32 s4, 0x80
	v_cmp_eq_u16_sdwa s[12:13], v8, s4 src0_sel:BYTE_3 src1_sel:DWORD
	s_mov_b64 s[4:5], -1
                                        ; implicit-def: $sgpr10
	s_and_saveexec_b64 s[8:9], s[12:13]
; %bb.17242:
	s_mov_b32 s10, 0x7f800001
	s_xor_b64 s[4:5], exec, -1
; %bb.17243:
	s_or_b64 exec, exec, s[8:9]
	s_and_b64 s[4:5], s[4:5], exec
	s_or_saveexec_b64 s[6:7], s[6:7]
	v_mov_b32_e32 v2, s10
	s_xor_b64 exec, exec, s[6:7]
	s_cbranch_execnz .LBB1_17244
; %bb.53081:
	s_getpc_b64 s[14:15]
.Lpost_getpc12204:
	s_add_u32 s14, s14, (.LBB1_2906-.Lpost_getpc12204)&4294967295
	s_addc_u32 s15, s15, (.LBB1_2906-.Lpost_getpc12204)>>32
	s_setpc_b64 s[14:15]
.LBB1_17244:
	v_mov_b32_e32 v2, 0
	v_cmp_ne_u16_sdwa s[8:9], v8, v2 src0_sel:BYTE_3 src1_sel:DWORD
	s_andn2_b64 s[4:5], s[4:5], exec
	s_and_b64 s[8:9], s[8:9], exec
	s_or_b64 s[4:5], s[4:5], s[8:9]
	s_or_b64 exec, exec, s[6:7]
	s_and_saveexec_b64 s[6:7], s[4:5]
	s_cbranch_execz .LBB1_30125
; %bb.53083:
	s_getpc_b64 s[14:15]
.Lpost_getpc12205:
	s_add_u32 s14, s14, (.LBB1_2907-.Lpost_getpc12205)&4294967295
	s_addc_u32 s15, s15, (.LBB1_2907-.Lpost_getpc12205)>>32
	s_setpc_b64 s[14:15]
.LBB1_30125:
	s_getpc_b64 s[14:15]
.Lpost_getpc726:
	s_add_u32 s14, s14, (.LBB1_2908-.Lpost_getpc726)&4294967295
	s_addc_u32 s15, s15, (.LBB1_2908-.Lpost_getpc726)>>32
	s_setpc_b64 s[14:15]
.LBB1_17245:
	s_movk_i32 s4, 0x80
	v_cmp_eq_u16_sdwa s[12:13], v4, s4 src0_sel:BYTE_3 src1_sel:DWORD
	s_mov_b64 s[4:5], -1
                                        ; implicit-def: $sgpr10
	s_and_saveexec_b64 s[8:9], s[12:13]
; %bb.17246:
	s_mov_b32 s10, 0x7f800001
	s_xor_b64 s[4:5], exec, -1
; %bb.17247:
	s_or_b64 exec, exec, s[8:9]
	s_and_b64 s[4:5], s[4:5], exec
	s_or_saveexec_b64 s[6:7], s[6:7]
	v_mov_b32_e32 v3, s10
	s_xor_b64 exec, exec, s[6:7]
	s_cbranch_execnz .LBB1_17248
; %bb.53085:
	s_getpc_b64 s[14:15]
.Lpost_getpc12206:
	s_add_u32 s14, s14, (.LBB1_2910-.Lpost_getpc12206)&4294967295
	s_addc_u32 s15, s15, (.LBB1_2910-.Lpost_getpc12206)>>32
	s_setpc_b64 s[14:15]
.LBB1_17248:
	v_mov_b32_e32 v3, 0
	v_cmp_ne_u16_sdwa s[8:9], v4, v3 src0_sel:BYTE_3 src1_sel:DWORD
	s_andn2_b64 s[4:5], s[4:5], exec
	s_and_b64 s[8:9], s[8:9], exec
	s_or_b64 s[4:5], s[4:5], s[8:9]
	s_or_b64 exec, exec, s[6:7]
	s_and_saveexec_b64 s[6:7], s[4:5]
	s_cbranch_execz .LBB1_30127
; %bb.53087:
	s_getpc_b64 s[14:15]
.Lpost_getpc12207:
	s_add_u32 s14, s14, (.LBB1_2911-.Lpost_getpc12207)&4294967295
	s_addc_u32 s15, s15, (.LBB1_2911-.Lpost_getpc12207)>>32
	s_setpc_b64 s[14:15]
.LBB1_30127:
	s_getpc_b64 s[14:15]
.Lpost_getpc727:
	s_add_u32 s14, s14, (.LBB1_2912-.Lpost_getpc727)&4294967295
	s_addc_u32 s15, s15, (.LBB1_2912-.Lpost_getpc727)>>32
	s_setpc_b64 s[14:15]
.LBB1_17249:
	s_movk_i32 s4, 0x80
	v_cmp_eq_u16_sdwa s[12:13], v9, s4 src0_sel:BYTE_0 src1_sel:DWORD
	s_mov_b64 s[4:5], -1
                                        ; implicit-def: $sgpr10
	s_and_saveexec_b64 s[8:9], s[12:13]
; %bb.17250:
	s_mov_b32 s10, 0x7f800001
	s_xor_b64 s[4:5], exec, -1
; %bb.17251:
	s_or_b64 exec, exec, s[8:9]
	s_and_b64 s[4:5], s[4:5], exec
	s_or_saveexec_b64 s[6:7], s[6:7]
	v_mov_b32_e32 v2, s10
	s_xor_b64 exec, exec, s[6:7]
	s_cbranch_execnz .LBB1_17252
; %bb.53089:
	s_getpc_b64 s[14:15]
.Lpost_getpc12208:
	s_add_u32 s14, s14, (.LBB1_2914-.Lpost_getpc12208)&4294967295
	s_addc_u32 s15, s15, (.LBB1_2914-.Lpost_getpc12208)>>32
	s_setpc_b64 s[14:15]
.LBB1_17252:
	v_mov_b32_e32 v2, 0
	v_cmp_ne_u16_sdwa s[8:9], v9, v2 src0_sel:BYTE_0 src1_sel:DWORD
	s_andn2_b64 s[4:5], s[4:5], exec
	s_and_b64 s[8:9], s[8:9], exec
	s_or_b64 s[4:5], s[4:5], s[8:9]
	s_or_b64 exec, exec, s[6:7]
	s_and_saveexec_b64 s[6:7], s[4:5]
	s_cbranch_execz .LBB1_30129
; %bb.53091:
	s_getpc_b64 s[14:15]
.Lpost_getpc12209:
	s_add_u32 s14, s14, (.LBB1_2915-.Lpost_getpc12209)&4294967295
	s_addc_u32 s15, s15, (.LBB1_2915-.Lpost_getpc12209)>>32
	s_setpc_b64 s[14:15]
.LBB1_30129:
	s_getpc_b64 s[14:15]
.Lpost_getpc728:
	s_add_u32 s14, s14, (.LBB1_2916-.Lpost_getpc728)&4294967295
	s_addc_u32 s15, s15, (.LBB1_2916-.Lpost_getpc728)>>32
	s_setpc_b64 s[14:15]
.LBB1_17253:
	s_movk_i32 s4, 0x80
	v_cmp_eq_u16_sdwa s[12:13], v5, s4 src0_sel:BYTE_0 src1_sel:DWORD
	s_mov_b64 s[4:5], -1
                                        ; implicit-def: $sgpr10
	s_and_saveexec_b64 s[8:9], s[12:13]
; %bb.17254:
	s_mov_b32 s10, 0x7f800001
	s_xor_b64 s[4:5], exec, -1
; %bb.17255:
	s_or_b64 exec, exec, s[8:9]
	s_and_b64 s[4:5], s[4:5], exec
	s_or_saveexec_b64 s[6:7], s[6:7]
	v_mov_b32_e32 v3, s10
	s_xor_b64 exec, exec, s[6:7]
	s_cbranch_execnz .LBB1_17256
; %bb.53093:
	s_getpc_b64 s[14:15]
.Lpost_getpc12210:
	s_add_u32 s14, s14, (.LBB1_2918-.Lpost_getpc12210)&4294967295
	s_addc_u32 s15, s15, (.LBB1_2918-.Lpost_getpc12210)>>32
	s_setpc_b64 s[14:15]
.LBB1_17256:
	v_mov_b32_e32 v3, 0
	v_cmp_ne_u16_sdwa s[8:9], v5, v3 src0_sel:BYTE_0 src1_sel:DWORD
	s_andn2_b64 s[4:5], s[4:5], exec
	s_and_b64 s[8:9], s[8:9], exec
	s_or_b64 s[4:5], s[4:5], s[8:9]
	s_or_b64 exec, exec, s[6:7]
	s_and_saveexec_b64 s[6:7], s[4:5]
	s_cbranch_execz .LBB1_30131
; %bb.53095:
	s_getpc_b64 s[14:15]
.Lpost_getpc12211:
	s_add_u32 s14, s14, (.LBB1_2919-.Lpost_getpc12211)&4294967295
	s_addc_u32 s15, s15, (.LBB1_2919-.Lpost_getpc12211)>>32
	s_setpc_b64 s[14:15]
.LBB1_30131:
	s_getpc_b64 s[14:15]
.Lpost_getpc729:
	s_add_u32 s14, s14, (.LBB1_2920-.Lpost_getpc729)&4294967295
	s_addc_u32 s15, s15, (.LBB1_2920-.Lpost_getpc729)>>32
	s_setpc_b64 s[14:15]
.LBB1_17257:
	s_movk_i32 s4, 0x80
	v_cmp_eq_u16_sdwa s[12:13], v3, s4 src0_sel:BYTE_0 src1_sel:DWORD
	s_mov_b64 s[4:5], -1
                                        ; implicit-def: $sgpr10
	s_and_saveexec_b64 s[8:9], s[12:13]
; %bb.17258:
	s_mov_b32 s10, 0x7f800001
	s_xor_b64 s[4:5], exec, -1
; %bb.17259:
	s_or_b64 exec, exec, s[8:9]
	s_and_b64 s[4:5], s[4:5], exec
	s_or_saveexec_b64 s[6:7], s[6:7]
	v_mov_b32_e32 v2, s10
	s_xor_b64 exec, exec, s[6:7]
	s_cbranch_execnz .LBB1_17260
; %bb.53097:
	s_getpc_b64 s[14:15]
.Lpost_getpc12212:
	s_add_u32 s14, s14, (.LBB1_2922-.Lpost_getpc12212)&4294967295
	s_addc_u32 s15, s15, (.LBB1_2922-.Lpost_getpc12212)>>32
	s_setpc_b64 s[14:15]
.LBB1_17260:
	v_mov_b32_e32 v2, 0
	v_cmp_ne_u16_sdwa s[8:9], v3, v2 src0_sel:BYTE_0 src1_sel:DWORD
	s_andn2_b64 s[4:5], s[4:5], exec
	s_and_b64 s[8:9], s[8:9], exec
	s_or_b64 s[4:5], s[4:5], s[8:9]
	s_or_b64 exec, exec, s[6:7]
	s_and_saveexec_b64 s[6:7], s[4:5]
	s_cbranch_execz .LBB1_30133
; %bb.53099:
	s_getpc_b64 s[14:15]
.Lpost_getpc12213:
	s_add_u32 s14, s14, (.LBB1_2923-.Lpost_getpc12213)&4294967295
	s_addc_u32 s15, s15, (.LBB1_2923-.Lpost_getpc12213)>>32
	s_setpc_b64 s[14:15]
.LBB1_30133:
	s_getpc_b64 s[14:15]
.Lpost_getpc730:
	s_add_u32 s14, s14, (.LBB1_2924-.Lpost_getpc730)&4294967295
	s_addc_u32 s15, s15, (.LBB1_2924-.Lpost_getpc730)>>32
	s_setpc_b64 s[14:15]
.LBB1_17261:
	s_movk_i32 s4, 0x80
	v_cmp_eq_u16_sdwa s[12:13], v3, s4 src0_sel:BYTE_0 src1_sel:DWORD
	s_mov_b64 s[4:5], -1
                                        ; implicit-def: $sgpr10
	s_and_saveexec_b64 s[8:9], s[12:13]
; %bb.17262:
	s_mov_b32 s10, 0x7f800001
	s_xor_b64 s[4:5], exec, -1
; %bb.17263:
	s_or_b64 exec, exec, s[8:9]
	s_and_b64 s[4:5], s[4:5], exec
	s_or_saveexec_b64 s[6:7], s[6:7]
	v_mov_b32_e32 v4, s10
	s_xor_b64 exec, exec, s[6:7]
	s_cbranch_execnz .LBB1_17264
; %bb.53101:
	s_getpc_b64 s[14:15]
.Lpost_getpc12214:
	s_add_u32 s14, s14, (.LBB1_2926-.Lpost_getpc12214)&4294967295
	s_addc_u32 s15, s15, (.LBB1_2926-.Lpost_getpc12214)>>32
	s_setpc_b64 s[14:15]
.LBB1_17264:
	v_mov_b32_e32 v4, 0
	v_cmp_ne_u16_sdwa s[8:9], v3, v4 src0_sel:BYTE_0 src1_sel:DWORD
	s_andn2_b64 s[4:5], s[4:5], exec
	s_and_b64 s[8:9], s[8:9], exec
	s_or_b64 s[4:5], s[4:5], s[8:9]
	s_or_b64 exec, exec, s[6:7]
	s_and_saveexec_b64 s[6:7], s[4:5]
	s_cbranch_execz .LBB1_30135
; %bb.53103:
	s_getpc_b64 s[14:15]
.Lpost_getpc12215:
	s_add_u32 s14, s14, (.LBB1_2927-.Lpost_getpc12215)&4294967295
	s_addc_u32 s15, s15, (.LBB1_2927-.Lpost_getpc12215)>>32
	s_setpc_b64 s[14:15]
.LBB1_30135:
	s_getpc_b64 s[14:15]
.Lpost_getpc731:
	s_add_u32 s14, s14, (.LBB1_2928-.Lpost_getpc731)&4294967295
	s_addc_u32 s15, s15, (.LBB1_2928-.Lpost_getpc731)>>32
	s_setpc_b64 s[14:15]
.LBB1_17265:
	s_movk_i32 s4, 0x80
	v_cmp_eq_u16_e32 vcc, s4, v3
	s_mov_b64 s[4:5], -1
                                        ; implicit-def: $sgpr10
	s_and_saveexec_b64 s[8:9], vcc
; %bb.17266:
	s_mov_b32 s10, 0x7f800001
	s_xor_b64 s[4:5], exec, -1
; %bb.17267:
	s_or_b64 exec, exec, s[8:9]
	s_and_b64 s[4:5], s[4:5], exec
                                        ; implicit-def: $vgpr3
	s_or_saveexec_b64 s[6:7], s[6:7]
	v_mov_b32_e32 v2, s10
	s_xor_b64 exec, exec, s[6:7]
	s_cbranch_execnz .LBB1_17268
; %bb.53105:
	s_getpc_b64 s[14:15]
.Lpost_getpc12216:
	s_add_u32 s14, s14, (.LBB1_2930-.Lpost_getpc12216)&4294967295
	s_addc_u32 s15, s15, (.LBB1_2930-.Lpost_getpc12216)>>32
	s_setpc_b64 s[14:15]
.LBB1_17268:
	v_cmp_ne_u16_e32 vcc, 0, v3
	s_andn2_b64 s[4:5], s[4:5], exec
	s_and_b64 s[8:9], vcc, exec
	v_mov_b32_e32 v2, 0
	s_or_b64 s[4:5], s[4:5], s[8:9]
	s_or_b64 exec, exec, s[6:7]
	s_and_saveexec_b64 s[6:7], s[4:5]
	s_cbranch_execz .LBB1_30137
; %bb.53107:
	s_getpc_b64 s[14:15]
.Lpost_getpc12217:
	s_add_u32 s14, s14, (.LBB1_2931-.Lpost_getpc12217)&4294967295
	s_addc_u32 s15, s15, (.LBB1_2931-.Lpost_getpc12217)>>32
	s_setpc_b64 s[14:15]
.LBB1_30137:
	s_getpc_b64 s[14:15]
.Lpost_getpc732:
	s_add_u32 s14, s14, (.LBB1_2932-.Lpost_getpc732)&4294967295
	s_addc_u32 s15, s15, (.LBB1_2932-.Lpost_getpc732)>>32
	s_setpc_b64 s[14:15]
.LBB1_17269:
	s_movk_i32 s4, 0x80
	v_cmp_eq_u16_e32 vcc, s4, v3
	s_mov_b64 s[4:5], -1
                                        ; implicit-def: $sgpr10
	s_and_saveexec_b64 s[8:9], vcc
; %bb.17270:
	s_mov_b32 s10, 0x7f800001
	s_xor_b64 s[4:5], exec, -1
; %bb.17271:
	s_or_b64 exec, exec, s[8:9]
	s_and_b64 s[4:5], s[4:5], exec
                                        ; implicit-def: $vgpr3
	s_or_saveexec_b64 s[6:7], s[6:7]
	v_mov_b32_e32 v4, s10
	s_xor_b64 exec, exec, s[6:7]
	s_cbranch_execnz .LBB1_17272
; %bb.53109:
	s_getpc_b64 s[14:15]
.Lpost_getpc12218:
	s_add_u32 s14, s14, (.LBB1_2934-.Lpost_getpc12218)&4294967295
	s_addc_u32 s15, s15, (.LBB1_2934-.Lpost_getpc12218)>>32
	s_setpc_b64 s[14:15]
.LBB1_17272:
	v_cmp_ne_u16_e32 vcc, 0, v3
	s_andn2_b64 s[4:5], s[4:5], exec
	s_and_b64 s[8:9], vcc, exec
	v_mov_b32_e32 v4, 0
	s_or_b64 s[4:5], s[4:5], s[8:9]
	s_or_b64 exec, exec, s[6:7]
	s_and_saveexec_b64 s[6:7], s[4:5]
	s_cbranch_execz .LBB1_30139
; %bb.53111:
	s_getpc_b64 s[14:15]
.Lpost_getpc12219:
	s_add_u32 s14, s14, (.LBB1_2935-.Lpost_getpc12219)&4294967295
	s_addc_u32 s15, s15, (.LBB1_2935-.Lpost_getpc12219)>>32
	s_setpc_b64 s[14:15]
.LBB1_30139:
	s_getpc_b64 s[14:15]
.Lpost_getpc733:
	s_add_u32 s14, s14, (.LBB1_2936-.Lpost_getpc733)&4294967295
	s_addc_u32 s15, s15, (.LBB1_2936-.Lpost_getpc733)>>32
	s_setpc_b64 s[14:15]
.LBB1_17273:
	s_movk_i32 s4, 0x80
	v_cmp_eq_u16_sdwa s[12:13], v9, s4 src0_sel:BYTE_3 src1_sel:DWORD
	s_mov_b64 s[4:5], -1
                                        ; implicit-def: $sgpr10
	s_and_saveexec_b64 s[8:9], s[12:13]
; %bb.17274:
	s_mov_b32 s10, 0x7f800001
	s_xor_b64 s[4:5], exec, -1
; %bb.17275:
	s_or_b64 exec, exec, s[8:9]
	s_and_b64 s[4:5], s[4:5], exec
	s_or_saveexec_b64 s[6:7], s[6:7]
	v_mov_b32_e32 v2, s10
	s_xor_b64 exec, exec, s[6:7]
	s_cbranch_execnz .LBB1_17276
; %bb.53113:
	s_getpc_b64 s[14:15]
.Lpost_getpc12220:
	s_add_u32 s14, s14, (.LBB1_2938-.Lpost_getpc12220)&4294967295
	s_addc_u32 s15, s15, (.LBB1_2938-.Lpost_getpc12220)>>32
	s_setpc_b64 s[14:15]
.LBB1_17276:
	v_mov_b32_e32 v2, 0
	v_cmp_ne_u16_sdwa s[8:9], v9, v2 src0_sel:BYTE_3 src1_sel:DWORD
	s_andn2_b64 s[4:5], s[4:5], exec
	s_and_b64 s[8:9], s[8:9], exec
	s_or_b64 s[4:5], s[4:5], s[8:9]
	s_or_b64 exec, exec, s[6:7]
	s_and_saveexec_b64 s[6:7], s[4:5]
	s_cbranch_execz .LBB1_30141
; %bb.53115:
	s_getpc_b64 s[14:15]
.Lpost_getpc12221:
	s_add_u32 s14, s14, (.LBB1_2939-.Lpost_getpc12221)&4294967295
	s_addc_u32 s15, s15, (.LBB1_2939-.Lpost_getpc12221)>>32
	s_setpc_b64 s[14:15]
.LBB1_30141:
	s_getpc_b64 s[14:15]
.Lpost_getpc734:
	s_add_u32 s14, s14, (.LBB1_2940-.Lpost_getpc734)&4294967295
	s_addc_u32 s15, s15, (.LBB1_2940-.Lpost_getpc734)>>32
	s_setpc_b64 s[14:15]
.LBB1_17277:
	s_movk_i32 s4, 0x80
	v_cmp_eq_u16_sdwa s[12:13], v5, s4 src0_sel:BYTE_3 src1_sel:DWORD
	s_mov_b64 s[4:5], -1
                                        ; implicit-def: $sgpr10
	s_and_saveexec_b64 s[8:9], s[12:13]
; %bb.17278:
	s_mov_b32 s10, 0x7f800001
	s_xor_b64 s[4:5], exec, -1
; %bb.17279:
	s_or_b64 exec, exec, s[8:9]
	s_and_b64 s[4:5], s[4:5], exec
	s_or_saveexec_b64 s[6:7], s[6:7]
	v_mov_b32_e32 v3, s10
	s_xor_b64 exec, exec, s[6:7]
	s_cbranch_execnz .LBB1_17280
; %bb.53117:
	s_getpc_b64 s[14:15]
.Lpost_getpc12222:
	s_add_u32 s14, s14, (.LBB1_2942-.Lpost_getpc12222)&4294967295
	s_addc_u32 s15, s15, (.LBB1_2942-.Lpost_getpc12222)>>32
	s_setpc_b64 s[14:15]
.LBB1_17280:
	v_mov_b32_e32 v3, 0
	v_cmp_ne_u16_sdwa s[8:9], v5, v3 src0_sel:BYTE_3 src1_sel:DWORD
	s_andn2_b64 s[4:5], s[4:5], exec
	s_and_b64 s[8:9], s[8:9], exec
	s_or_b64 s[4:5], s[4:5], s[8:9]
	s_or_b64 exec, exec, s[6:7]
	s_and_saveexec_b64 s[6:7], s[4:5]
	s_cbranch_execz .LBB1_30143
; %bb.53119:
	s_getpc_b64 s[14:15]
.Lpost_getpc12223:
	s_add_u32 s14, s14, (.LBB1_2943-.Lpost_getpc12223)&4294967295
	s_addc_u32 s15, s15, (.LBB1_2943-.Lpost_getpc12223)>>32
	s_setpc_b64 s[14:15]
.LBB1_30143:
	s_getpc_b64 s[14:15]
.Lpost_getpc735:
	s_add_u32 s14, s14, (.LBB1_2944-.Lpost_getpc735)&4294967295
	s_addc_u32 s15, s15, (.LBB1_2944-.Lpost_getpc735)>>32
	s_setpc_b64 s[14:15]
.LBB1_17281:
	s_movk_i32 s4, 0x80
	v_cmp_eq_u16_sdwa s[12:13], v6, s4 src0_sel:BYTE_0 src1_sel:DWORD
	s_mov_b64 s[4:5], -1
                                        ; implicit-def: $sgpr10
	s_and_saveexec_b64 s[8:9], s[12:13]
; %bb.17282:
	s_mov_b32 s10, 0x7f800001
	s_xor_b64 s[4:5], exec, -1
; %bb.17283:
	s_or_b64 exec, exec, s[8:9]
	s_and_b64 s[4:5], s[4:5], exec
	s_or_saveexec_b64 s[6:7], s[6:7]
	v_mov_b32_e32 v12, s10
	s_xor_b64 exec, exec, s[6:7]
	s_cbranch_execnz .LBB1_17284
; %bb.53121:
	s_getpc_b64 s[14:15]
.Lpost_getpc12224:
	s_add_u32 s14, s14, (.LBB1_2946-.Lpost_getpc12224)&4294967295
	s_addc_u32 s15, s15, (.LBB1_2946-.Lpost_getpc12224)>>32
	s_setpc_b64 s[14:15]
.LBB1_17284:
	v_mov_b32_e32 v12, 0
	v_cmp_ne_u16_sdwa s[8:9], v6, v12 src0_sel:BYTE_0 src1_sel:DWORD
	s_andn2_b64 s[4:5], s[4:5], exec
	s_and_b64 s[8:9], s[8:9], exec
	s_or_b64 s[4:5], s[4:5], s[8:9]
	s_or_b64 exec, exec, s[6:7]
	s_and_saveexec_b64 s[6:7], s[4:5]
	s_cbranch_execz .LBB1_30145
; %bb.53123:
	s_getpc_b64 s[14:15]
.Lpost_getpc12225:
	s_add_u32 s14, s14, (.LBB1_2947-.Lpost_getpc12225)&4294967295
	s_addc_u32 s15, s15, (.LBB1_2947-.Lpost_getpc12225)>>32
	s_setpc_b64 s[14:15]
.LBB1_30145:
	s_getpc_b64 s[14:15]
.Lpost_getpc736:
	s_add_u32 s14, s14, (.LBB1_2948-.Lpost_getpc736)&4294967295
	s_addc_u32 s15, s15, (.LBB1_2948-.Lpost_getpc736)>>32
	s_setpc_b64 s[14:15]
.LBB1_17285:
	s_movk_i32 s4, 0x80
	v_cmp_eq_u16_sdwa s[12:13], v2, s4 src0_sel:BYTE_0 src1_sel:DWORD
	s_mov_b64 s[4:5], -1
                                        ; implicit-def: $sgpr10
	s_and_saveexec_b64 s[8:9], s[12:13]
; %bb.17286:
	s_mov_b32 s10, 0x7f800001
	s_xor_b64 s[4:5], exec, -1
; %bb.17287:
	s_or_b64 exec, exec, s[8:9]
	s_and_b64 s[4:5], s[4:5], exec
	s_or_saveexec_b64 s[6:7], s[6:7]
	v_mov_b32_e32 v13, s10
	s_xor_b64 exec, exec, s[6:7]
	s_cbranch_execnz .LBB1_17288
; %bb.53125:
	s_getpc_b64 s[14:15]
.Lpost_getpc12226:
	s_add_u32 s14, s14, (.LBB1_2950-.Lpost_getpc12226)&4294967295
	s_addc_u32 s15, s15, (.LBB1_2950-.Lpost_getpc12226)>>32
	s_setpc_b64 s[14:15]
.LBB1_17288:
	v_mov_b32_e32 v13, 0
	v_cmp_ne_u16_sdwa s[8:9], v2, v13 src0_sel:BYTE_0 src1_sel:DWORD
	s_andn2_b64 s[4:5], s[4:5], exec
	s_and_b64 s[8:9], s[8:9], exec
	s_or_b64 s[4:5], s[4:5], s[8:9]
	s_or_b64 exec, exec, s[6:7]
	s_and_saveexec_b64 s[6:7], s[4:5]
	s_cbranch_execz .LBB1_30147
; %bb.53127:
	s_getpc_b64 s[14:15]
.Lpost_getpc12227:
	s_add_u32 s14, s14, (.LBB1_2951-.Lpost_getpc12227)&4294967295
	s_addc_u32 s15, s15, (.LBB1_2951-.Lpost_getpc12227)>>32
	s_setpc_b64 s[14:15]
.LBB1_30147:
	s_getpc_b64 s[14:15]
.Lpost_getpc737:
	s_add_u32 s14, s14, (.LBB1_2952-.Lpost_getpc737)&4294967295
	s_addc_u32 s15, s15, (.LBB1_2952-.Lpost_getpc737)>>32
	s_setpc_b64 s[14:15]
.LBB1_17289:
	s_movk_i32 s4, 0x80
	v_cmp_eq_u16_sdwa s[12:13], v13, s4 src0_sel:BYTE_0 src1_sel:DWORD
	s_mov_b64 s[4:5], -1
                                        ; implicit-def: $sgpr10
	s_and_saveexec_b64 s[8:9], s[12:13]
; %bb.17290:
	s_mov_b32 s10, 0x7f800001
	s_xor_b64 s[4:5], exec, -1
; %bb.17291:
	s_or_b64 exec, exec, s[8:9]
	s_and_b64 s[4:5], s[4:5], exec
	s_or_saveexec_b64 s[6:7], s[6:7]
	v_mov_b32_e32 v12, s10
	s_xor_b64 exec, exec, s[6:7]
	s_cbranch_execnz .LBB1_17292
; %bb.53129:
	s_getpc_b64 s[14:15]
.Lpost_getpc12228:
	s_add_u32 s14, s14, (.LBB1_2954-.Lpost_getpc12228)&4294967295
	s_addc_u32 s15, s15, (.LBB1_2954-.Lpost_getpc12228)>>32
	s_setpc_b64 s[14:15]
.LBB1_17292:
	v_mov_b32_e32 v12, 0
	v_cmp_ne_u16_sdwa s[8:9], v13, v12 src0_sel:BYTE_0 src1_sel:DWORD
	s_andn2_b64 s[4:5], s[4:5], exec
	s_and_b64 s[8:9], s[8:9], exec
	s_or_b64 s[4:5], s[4:5], s[8:9]
	s_or_b64 exec, exec, s[6:7]
	s_and_saveexec_b64 s[6:7], s[4:5]
	s_cbranch_execz .LBB1_30149
; %bb.53131:
	s_getpc_b64 s[14:15]
.Lpost_getpc12229:
	s_add_u32 s14, s14, (.LBB1_2955-.Lpost_getpc12229)&4294967295
	s_addc_u32 s15, s15, (.LBB1_2955-.Lpost_getpc12229)>>32
	s_setpc_b64 s[14:15]
.LBB1_30149:
	s_getpc_b64 s[14:15]
.Lpost_getpc738:
	s_add_u32 s14, s14, (.LBB1_2956-.Lpost_getpc738)&4294967295
	s_addc_u32 s15, s15, (.LBB1_2956-.Lpost_getpc738)>>32
	s_setpc_b64 s[14:15]
.LBB1_17293:
	s_movk_i32 s4, 0x80
	v_cmp_eq_u16_sdwa s[12:13], v13, s4 src0_sel:BYTE_0 src1_sel:DWORD
	s_mov_b64 s[4:5], -1
                                        ; implicit-def: $sgpr10
	s_and_saveexec_b64 s[8:9], s[12:13]
; %bb.17294:
	s_mov_b32 s10, 0x7f800001
	s_xor_b64 s[4:5], exec, -1
; %bb.17295:
	s_or_b64 exec, exec, s[8:9]
	s_and_b64 s[4:5], s[4:5], exec
	s_or_saveexec_b64 s[6:7], s[6:7]
	v_mov_b32_e32 v14, s10
	s_xor_b64 exec, exec, s[6:7]
	s_cbranch_execnz .LBB1_17296
; %bb.53133:
	s_getpc_b64 s[14:15]
.Lpost_getpc12230:
	s_add_u32 s14, s14, (.LBB1_2958-.Lpost_getpc12230)&4294967295
	s_addc_u32 s15, s15, (.LBB1_2958-.Lpost_getpc12230)>>32
	s_setpc_b64 s[14:15]
.LBB1_17296:
	v_mov_b32_e32 v14, 0
	v_cmp_ne_u16_sdwa s[8:9], v13, v14 src0_sel:BYTE_0 src1_sel:DWORD
	s_andn2_b64 s[4:5], s[4:5], exec
	s_and_b64 s[8:9], s[8:9], exec
	s_or_b64 s[4:5], s[4:5], s[8:9]
	s_or_b64 exec, exec, s[6:7]
	s_and_saveexec_b64 s[6:7], s[4:5]
	s_cbranch_execz .LBB1_30151
; %bb.53135:
	s_getpc_b64 s[14:15]
.Lpost_getpc12231:
	s_add_u32 s14, s14, (.LBB1_2959-.Lpost_getpc12231)&4294967295
	s_addc_u32 s15, s15, (.LBB1_2959-.Lpost_getpc12231)>>32
	s_setpc_b64 s[14:15]
.LBB1_30151:
	s_getpc_b64 s[14:15]
.Lpost_getpc739:
	s_add_u32 s14, s14, (.LBB1_2960-.Lpost_getpc739)&4294967295
	s_addc_u32 s15, s15, (.LBB1_2960-.Lpost_getpc739)>>32
	s_setpc_b64 s[14:15]
.LBB1_17297:
	s_movk_i32 s4, 0x80
	v_cmp_eq_u16_e32 vcc, s4, v13
	s_mov_b64 s[4:5], -1
                                        ; implicit-def: $sgpr10
	s_and_saveexec_b64 s[8:9], vcc
; %bb.17298:
	s_mov_b32 s10, 0x7f800001
	s_xor_b64 s[4:5], exec, -1
; %bb.17299:
	s_or_b64 exec, exec, s[8:9]
	s_and_b64 s[4:5], s[4:5], exec
                                        ; implicit-def: $vgpr13
	s_or_saveexec_b64 s[6:7], s[6:7]
	v_mov_b32_e32 v12, s10
	s_xor_b64 exec, exec, s[6:7]
	s_cbranch_execnz .LBB1_17300
; %bb.53137:
	s_getpc_b64 s[14:15]
.Lpost_getpc12232:
	s_add_u32 s14, s14, (.LBB1_2962-.Lpost_getpc12232)&4294967295
	s_addc_u32 s15, s15, (.LBB1_2962-.Lpost_getpc12232)>>32
	s_setpc_b64 s[14:15]
.LBB1_17300:
	v_cmp_ne_u16_e32 vcc, 0, v13
	s_andn2_b64 s[4:5], s[4:5], exec
	s_and_b64 s[8:9], vcc, exec
	v_mov_b32_e32 v12, 0
	s_or_b64 s[4:5], s[4:5], s[8:9]
	s_or_b64 exec, exec, s[6:7]
	s_and_saveexec_b64 s[6:7], s[4:5]
	s_cbranch_execz .LBB1_30153
; %bb.53139:
	s_getpc_b64 s[14:15]
.Lpost_getpc12233:
	s_add_u32 s14, s14, (.LBB1_2963-.Lpost_getpc12233)&4294967295
	s_addc_u32 s15, s15, (.LBB1_2963-.Lpost_getpc12233)>>32
	s_setpc_b64 s[14:15]
.LBB1_30153:
	s_getpc_b64 s[14:15]
.Lpost_getpc740:
	s_add_u32 s14, s14, (.LBB1_2964-.Lpost_getpc740)&4294967295
	s_addc_u32 s15, s15, (.LBB1_2964-.Lpost_getpc740)>>32
	s_setpc_b64 s[14:15]
.LBB1_17301:
	s_movk_i32 s4, 0x80
	v_cmp_eq_u16_e32 vcc, s4, v13
	s_mov_b64 s[4:5], -1
                                        ; implicit-def: $sgpr10
	s_and_saveexec_b64 s[8:9], vcc
; %bb.17302:
	s_mov_b32 s10, 0x7f800001
	s_xor_b64 s[4:5], exec, -1
; %bb.17303:
	s_or_b64 exec, exec, s[8:9]
	s_and_b64 s[4:5], s[4:5], exec
                                        ; implicit-def: $vgpr13
	s_or_saveexec_b64 s[6:7], s[6:7]
	v_mov_b32_e32 v14, s10
	s_xor_b64 exec, exec, s[6:7]
	s_cbranch_execnz .LBB1_17304
; %bb.53141:
	s_getpc_b64 s[14:15]
.Lpost_getpc12234:
	s_add_u32 s14, s14, (.LBB1_2966-.Lpost_getpc12234)&4294967295
	s_addc_u32 s15, s15, (.LBB1_2966-.Lpost_getpc12234)>>32
	s_setpc_b64 s[14:15]
.LBB1_17304:
	v_cmp_ne_u16_e32 vcc, 0, v13
	s_andn2_b64 s[4:5], s[4:5], exec
	s_and_b64 s[8:9], vcc, exec
	v_mov_b32_e32 v14, 0
	s_or_b64 s[4:5], s[4:5], s[8:9]
	s_or_b64 exec, exec, s[6:7]
	s_and_saveexec_b64 s[6:7], s[4:5]
	s_cbranch_execz .LBB1_30155
; %bb.53143:
	s_getpc_b64 s[14:15]
.Lpost_getpc12235:
	s_add_u32 s14, s14, (.LBB1_2967-.Lpost_getpc12235)&4294967295
	s_addc_u32 s15, s15, (.LBB1_2967-.Lpost_getpc12235)>>32
	s_setpc_b64 s[14:15]
.LBB1_30155:
	s_getpc_b64 s[14:15]
.Lpost_getpc741:
	s_add_u32 s14, s14, (.LBB1_2968-.Lpost_getpc741)&4294967295
	s_addc_u32 s15, s15, (.LBB1_2968-.Lpost_getpc741)>>32
	s_setpc_b64 s[14:15]
.LBB1_17305:
	s_movk_i32 s4, 0x80
	v_cmp_eq_u16_sdwa s[12:13], v6, s4 src0_sel:BYTE_3 src1_sel:DWORD
	s_mov_b64 s[4:5], -1
                                        ; implicit-def: $sgpr10
	s_and_saveexec_b64 s[8:9], s[12:13]
; %bb.17306:
	s_mov_b32 s10, 0x7f800001
	s_xor_b64 s[4:5], exec, -1
; %bb.17307:
	s_or_b64 exec, exec, s[8:9]
	s_and_b64 s[4:5], s[4:5], exec
	s_or_saveexec_b64 s[6:7], s[6:7]
	v_mov_b32_e32 v12, s10
	s_xor_b64 exec, exec, s[6:7]
	s_cbranch_execnz .LBB1_17308
; %bb.53145:
	s_getpc_b64 s[14:15]
.Lpost_getpc12236:
	s_add_u32 s14, s14, (.LBB1_2970-.Lpost_getpc12236)&4294967295
	s_addc_u32 s15, s15, (.LBB1_2970-.Lpost_getpc12236)>>32
	s_setpc_b64 s[14:15]
.LBB1_17308:
	v_mov_b32_e32 v12, 0
	v_cmp_ne_u16_sdwa s[8:9], v6, v12 src0_sel:BYTE_3 src1_sel:DWORD
	s_andn2_b64 s[4:5], s[4:5], exec
	s_and_b64 s[8:9], s[8:9], exec
	s_or_b64 s[4:5], s[4:5], s[8:9]
	s_or_b64 exec, exec, s[6:7]
	s_and_saveexec_b64 s[6:7], s[4:5]
	s_cbranch_execz .LBB1_30157
; %bb.53147:
	s_getpc_b64 s[14:15]
.Lpost_getpc12237:
	s_add_u32 s14, s14, (.LBB1_2971-.Lpost_getpc12237)&4294967295
	s_addc_u32 s15, s15, (.LBB1_2971-.Lpost_getpc12237)>>32
	s_setpc_b64 s[14:15]
.LBB1_30157:
	s_getpc_b64 s[14:15]
.Lpost_getpc742:
	s_add_u32 s14, s14, (.LBB1_2972-.Lpost_getpc742)&4294967295
	s_addc_u32 s15, s15, (.LBB1_2972-.Lpost_getpc742)>>32
	s_setpc_b64 s[14:15]
.LBB1_17309:
	s_movk_i32 s4, 0x80
	v_cmp_eq_u16_sdwa s[12:13], v2, s4 src0_sel:BYTE_3 src1_sel:DWORD
	s_mov_b64 s[4:5], -1
                                        ; implicit-def: $sgpr10
	s_and_saveexec_b64 s[8:9], s[12:13]
; %bb.17310:
	s_mov_b32 s10, 0x7f800001
	s_xor_b64 s[4:5], exec, -1
; %bb.17311:
	s_or_b64 exec, exec, s[8:9]
	s_and_b64 s[4:5], s[4:5], exec
	s_or_saveexec_b64 s[6:7], s[6:7]
	v_mov_b32_e32 v6, s10
	s_xor_b64 exec, exec, s[6:7]
	s_cbranch_execnz .LBB1_17312
; %bb.53149:
	s_getpc_b64 s[14:15]
.Lpost_getpc12238:
	s_add_u32 s14, s14, (.LBB1_2974-.Lpost_getpc12238)&4294967295
	s_addc_u32 s15, s15, (.LBB1_2974-.Lpost_getpc12238)>>32
	s_setpc_b64 s[14:15]
.LBB1_17312:
	v_mov_b32_e32 v6, 0
	v_cmp_ne_u16_sdwa s[8:9], v2, v6 src0_sel:BYTE_3 src1_sel:DWORD
	s_andn2_b64 s[4:5], s[4:5], exec
	s_and_b64 s[8:9], s[8:9], exec
	s_or_b64 s[4:5], s[4:5], s[8:9]
	s_or_b64 exec, exec, s[6:7]
	s_and_saveexec_b64 s[6:7], s[4:5]
	s_cbranch_execz .LBB1_30159
; %bb.53151:
	s_getpc_b64 s[14:15]
.Lpost_getpc12239:
	s_add_u32 s14, s14, (.LBB1_2975-.Lpost_getpc12239)&4294967295
	s_addc_u32 s15, s15, (.LBB1_2975-.Lpost_getpc12239)>>32
	s_setpc_b64 s[14:15]
.LBB1_30159:
	s_getpc_b64 s[14:15]
.Lpost_getpc743:
	s_add_u32 s14, s14, (.LBB1_2976-.Lpost_getpc743)&4294967295
	s_addc_u32 s15, s15, (.LBB1_2976-.Lpost_getpc743)>>32
	s_setpc_b64 s[14:15]
.LBB1_17313:
	s_movk_i32 s4, 0x80
	v_cmp_eq_u16_sdwa s[12:13], v7, s4 src0_sel:BYTE_0 src1_sel:DWORD
	s_mov_b64 s[4:5], -1
                                        ; implicit-def: $sgpr10
	s_and_saveexec_b64 s[8:9], s[12:13]
; %bb.17314:
	s_mov_b32 s10, 0x7f800001
	s_xor_b64 s[4:5], exec, -1
; %bb.17315:
	s_or_b64 exec, exec, s[8:9]
	s_and_b64 s[4:5], s[4:5], exec
	s_or_saveexec_b64 s[6:7], s[6:7]
	v_mov_b32_e32 v2, s10
	s_xor_b64 exec, exec, s[6:7]
	s_cbranch_execnz .LBB1_17316
; %bb.53153:
	s_getpc_b64 s[14:15]
.Lpost_getpc12240:
	s_add_u32 s14, s14, (.LBB1_2978-.Lpost_getpc12240)&4294967295
	s_addc_u32 s15, s15, (.LBB1_2978-.Lpost_getpc12240)>>32
	s_setpc_b64 s[14:15]
.LBB1_17316:
	v_mov_b32_e32 v2, 0
	v_cmp_ne_u16_sdwa s[8:9], v7, v2 src0_sel:BYTE_0 src1_sel:DWORD
	s_andn2_b64 s[4:5], s[4:5], exec
	s_and_b64 s[8:9], s[8:9], exec
	s_or_b64 s[4:5], s[4:5], s[8:9]
	s_or_b64 exec, exec, s[6:7]
	s_and_saveexec_b64 s[6:7], s[4:5]
	s_cbranch_execz .LBB1_30161
; %bb.53155:
	s_getpc_b64 s[14:15]
.Lpost_getpc12241:
	s_add_u32 s14, s14, (.LBB1_2979-.Lpost_getpc12241)&4294967295
	s_addc_u32 s15, s15, (.LBB1_2979-.Lpost_getpc12241)>>32
	s_setpc_b64 s[14:15]
.LBB1_30161:
	s_getpc_b64 s[14:15]
.Lpost_getpc744:
	s_add_u32 s14, s14, (.LBB1_2980-.Lpost_getpc744)&4294967295
	s_addc_u32 s15, s15, (.LBB1_2980-.Lpost_getpc744)>>32
	s_setpc_b64 s[14:15]
.LBB1_17317:
	s_movk_i32 s4, 0x80
	v_cmp_eq_u16_sdwa s[12:13], v3, s4 src0_sel:BYTE_0 src1_sel:DWORD
	s_mov_b64 s[4:5], -1
                                        ; implicit-def: $sgpr10
	s_and_saveexec_b64 s[8:9], s[12:13]
; %bb.17318:
	s_mov_b32 s10, 0x7f800001
	s_xor_b64 s[4:5], exec, -1
; %bb.17319:
	s_or_b64 exec, exec, s[8:9]
	s_and_b64 s[4:5], s[4:5], exec
	s_or_saveexec_b64 s[6:7], s[6:7]
	v_mov_b32_e32 v6, s10
	s_xor_b64 exec, exec, s[6:7]
	s_cbranch_execnz .LBB1_17320
; %bb.53157:
	s_getpc_b64 s[14:15]
.Lpost_getpc12242:
	s_add_u32 s14, s14, (.LBB1_2982-.Lpost_getpc12242)&4294967295
	s_addc_u32 s15, s15, (.LBB1_2982-.Lpost_getpc12242)>>32
	s_setpc_b64 s[14:15]
.LBB1_17320:
	v_mov_b32_e32 v6, 0
	v_cmp_ne_u16_sdwa s[8:9], v3, v6 src0_sel:BYTE_0 src1_sel:DWORD
	s_andn2_b64 s[4:5], s[4:5], exec
	s_and_b64 s[8:9], s[8:9], exec
	s_or_b64 s[4:5], s[4:5], s[8:9]
	s_or_b64 exec, exec, s[6:7]
	s_and_saveexec_b64 s[6:7], s[4:5]
	s_cbranch_execz .LBB1_30163
; %bb.53159:
	s_getpc_b64 s[14:15]
.Lpost_getpc12243:
	s_add_u32 s14, s14, (.LBB1_2983-.Lpost_getpc12243)&4294967295
	s_addc_u32 s15, s15, (.LBB1_2983-.Lpost_getpc12243)>>32
	s_setpc_b64 s[14:15]
.LBB1_30163:
	s_getpc_b64 s[14:15]
.Lpost_getpc745:
	s_add_u32 s14, s14, (.LBB1_2984-.Lpost_getpc745)&4294967295
	s_addc_u32 s15, s15, (.LBB1_2984-.Lpost_getpc745)>>32
	s_setpc_b64 s[14:15]
.LBB1_17321:
	s_movk_i32 s4, 0x80
	v_cmp_eq_u16_sdwa s[12:13], v6, s4 src0_sel:BYTE_0 src1_sel:DWORD
	s_mov_b64 s[4:5], -1
                                        ; implicit-def: $sgpr10
	s_and_saveexec_b64 s[8:9], s[12:13]
; %bb.17322:
	s_mov_b32 s10, 0x7f800001
	s_xor_b64 s[4:5], exec, -1
; %bb.17323:
	s_or_b64 exec, exec, s[8:9]
	s_and_b64 s[4:5], s[4:5], exec
	s_or_saveexec_b64 s[6:7], s[6:7]
	v_mov_b32_e32 v2, s10
	s_xor_b64 exec, exec, s[6:7]
	s_cbranch_execnz .LBB1_17324
; %bb.53161:
	s_getpc_b64 s[14:15]
.Lpost_getpc12244:
	s_add_u32 s14, s14, (.LBB1_2986-.Lpost_getpc12244)&4294967295
	s_addc_u32 s15, s15, (.LBB1_2986-.Lpost_getpc12244)>>32
	s_setpc_b64 s[14:15]
.LBB1_17324:
	v_mov_b32_e32 v2, 0
	v_cmp_ne_u16_sdwa s[8:9], v6, v2 src0_sel:BYTE_0 src1_sel:DWORD
	s_andn2_b64 s[4:5], s[4:5], exec
	s_and_b64 s[8:9], s[8:9], exec
	s_or_b64 s[4:5], s[4:5], s[8:9]
	s_or_b64 exec, exec, s[6:7]
	s_and_saveexec_b64 s[6:7], s[4:5]
	s_cbranch_execz .LBB1_30165
; %bb.53163:
	s_getpc_b64 s[14:15]
.Lpost_getpc12245:
	s_add_u32 s14, s14, (.LBB1_2987-.Lpost_getpc12245)&4294967295
	s_addc_u32 s15, s15, (.LBB1_2987-.Lpost_getpc12245)>>32
	s_setpc_b64 s[14:15]
.LBB1_30165:
	s_getpc_b64 s[14:15]
.Lpost_getpc746:
	s_add_u32 s14, s14, (.LBB1_2988-.Lpost_getpc746)&4294967295
	s_addc_u32 s15, s15, (.LBB1_2988-.Lpost_getpc746)>>32
	s_setpc_b64 s[14:15]
.LBB1_17325:
	s_movk_i32 s4, 0x80
	v_cmp_eq_u16_sdwa s[12:13], v6, s4 src0_sel:BYTE_0 src1_sel:DWORD
	s_mov_b64 s[4:5], -1
                                        ; implicit-def: $sgpr10
	s_and_saveexec_b64 s[8:9], s[12:13]
; %bb.17326:
	s_mov_b32 s10, 0x7f800001
	s_xor_b64 s[4:5], exec, -1
; %bb.17327:
	s_or_b64 exec, exec, s[8:9]
	s_and_b64 s[4:5], s[4:5], exec
	s_or_saveexec_b64 s[6:7], s[6:7]
	v_mov_b32_e32 v12, s10
	s_xor_b64 exec, exec, s[6:7]
	s_cbranch_execnz .LBB1_17328
; %bb.53165:
	s_getpc_b64 s[14:15]
.Lpost_getpc12246:
	s_add_u32 s14, s14, (.LBB1_2990-.Lpost_getpc12246)&4294967295
	s_addc_u32 s15, s15, (.LBB1_2990-.Lpost_getpc12246)>>32
	s_setpc_b64 s[14:15]
.LBB1_17328:
	v_mov_b32_e32 v12, 0
	v_cmp_ne_u16_sdwa s[8:9], v6, v12 src0_sel:BYTE_0 src1_sel:DWORD
	s_andn2_b64 s[4:5], s[4:5], exec
	s_and_b64 s[8:9], s[8:9], exec
	s_or_b64 s[4:5], s[4:5], s[8:9]
	s_or_b64 exec, exec, s[6:7]
	s_and_saveexec_b64 s[6:7], s[4:5]
	s_cbranch_execz .LBB1_30167
; %bb.53167:
	s_getpc_b64 s[14:15]
.Lpost_getpc12247:
	s_add_u32 s14, s14, (.LBB1_2991-.Lpost_getpc12247)&4294967295
	s_addc_u32 s15, s15, (.LBB1_2991-.Lpost_getpc12247)>>32
	s_setpc_b64 s[14:15]
.LBB1_30167:
	s_getpc_b64 s[14:15]
.Lpost_getpc747:
	s_add_u32 s14, s14, (.LBB1_2992-.Lpost_getpc747)&4294967295
	s_addc_u32 s15, s15, (.LBB1_2992-.Lpost_getpc747)>>32
	s_setpc_b64 s[14:15]
.LBB1_17329:
	s_movk_i32 s4, 0x80
	v_cmp_eq_u16_e32 vcc, s4, v6
	s_mov_b64 s[4:5], -1
                                        ; implicit-def: $sgpr10
	s_and_saveexec_b64 s[8:9], vcc
; %bb.17330:
	s_mov_b32 s10, 0x7f800001
	s_xor_b64 s[4:5], exec, -1
; %bb.17331:
	s_or_b64 exec, exec, s[8:9]
	s_and_b64 s[4:5], s[4:5], exec
                                        ; implicit-def: $vgpr6
	s_or_saveexec_b64 s[6:7], s[6:7]
	v_mov_b32_e32 v2, s10
	s_xor_b64 exec, exec, s[6:7]
	s_cbranch_execnz .LBB1_17332
; %bb.53169:
	s_getpc_b64 s[14:15]
.Lpost_getpc12248:
	s_add_u32 s14, s14, (.LBB1_2994-.Lpost_getpc12248)&4294967295
	s_addc_u32 s15, s15, (.LBB1_2994-.Lpost_getpc12248)>>32
	s_setpc_b64 s[14:15]
.LBB1_17332:
	v_cmp_ne_u16_e32 vcc, 0, v6
	s_andn2_b64 s[4:5], s[4:5], exec
	s_and_b64 s[8:9], vcc, exec
	v_mov_b32_e32 v2, 0
	s_or_b64 s[4:5], s[4:5], s[8:9]
	s_or_b64 exec, exec, s[6:7]
	s_and_saveexec_b64 s[6:7], s[4:5]
	s_cbranch_execz .LBB1_30169
; %bb.53171:
	s_getpc_b64 s[14:15]
.Lpost_getpc12249:
	s_add_u32 s14, s14, (.LBB1_2995-.Lpost_getpc12249)&4294967295
	s_addc_u32 s15, s15, (.LBB1_2995-.Lpost_getpc12249)>>32
	s_setpc_b64 s[14:15]
.LBB1_30169:
	s_getpc_b64 s[14:15]
.Lpost_getpc748:
	s_add_u32 s14, s14, (.LBB1_2996-.Lpost_getpc748)&4294967295
	s_addc_u32 s15, s15, (.LBB1_2996-.Lpost_getpc748)>>32
	s_setpc_b64 s[14:15]
.LBB1_17333:
	s_movk_i32 s4, 0x80
	v_cmp_eq_u16_e32 vcc, s4, v6
	s_mov_b64 s[4:5], -1
                                        ; implicit-def: $sgpr10
	s_and_saveexec_b64 s[8:9], vcc
; %bb.17334:
	s_mov_b32 s10, 0x7f800001
	s_xor_b64 s[4:5], exec, -1
; %bb.17335:
	s_or_b64 exec, exec, s[8:9]
	s_and_b64 s[4:5], s[4:5], exec
                                        ; implicit-def: $vgpr6
	s_or_saveexec_b64 s[6:7], s[6:7]
	v_mov_b32_e32 v12, s10
	s_xor_b64 exec, exec, s[6:7]
	s_cbranch_execnz .LBB1_17336
; %bb.53173:
	s_getpc_b64 s[14:15]
.Lpost_getpc12250:
	s_add_u32 s14, s14, (.LBB1_2998-.Lpost_getpc12250)&4294967295
	s_addc_u32 s15, s15, (.LBB1_2998-.Lpost_getpc12250)>>32
	s_setpc_b64 s[14:15]
.LBB1_17336:
	v_cmp_ne_u16_e32 vcc, 0, v6
	s_andn2_b64 s[4:5], s[4:5], exec
	s_and_b64 s[8:9], vcc, exec
	v_mov_b32_e32 v12, 0
	s_or_b64 s[4:5], s[4:5], s[8:9]
	s_or_b64 exec, exec, s[6:7]
	s_and_saveexec_b64 s[6:7], s[4:5]
	s_cbranch_execz .LBB1_30171
; %bb.53175:
	s_getpc_b64 s[14:15]
.Lpost_getpc12251:
	s_add_u32 s14, s14, (.LBB1_2999-.Lpost_getpc12251)&4294967295
	s_addc_u32 s15, s15, (.LBB1_2999-.Lpost_getpc12251)>>32
	s_setpc_b64 s[14:15]
.LBB1_30171:
	s_getpc_b64 s[14:15]
.Lpost_getpc749:
	s_add_u32 s14, s14, (.LBB1_3000-.Lpost_getpc749)&4294967295
	s_addc_u32 s15, s15, (.LBB1_3000-.Lpost_getpc749)>>32
	s_setpc_b64 s[14:15]
.LBB1_17337:
	s_movk_i32 s4, 0x80
	v_cmp_eq_u16_sdwa s[12:13], v7, s4 src0_sel:BYTE_3 src1_sel:DWORD
	s_mov_b64 s[4:5], -1
                                        ; implicit-def: $sgpr10
	s_and_saveexec_b64 s[8:9], s[12:13]
; %bb.17338:
	s_mov_b32 s10, 0x7f800001
	s_xor_b64 s[4:5], exec, -1
; %bb.17339:
	s_or_b64 exec, exec, s[8:9]
	s_and_b64 s[4:5], s[4:5], exec
	s_or_saveexec_b64 s[6:7], s[6:7]
	v_mov_b32_e32 v2, s10
	s_xor_b64 exec, exec, s[6:7]
	s_cbranch_execnz .LBB1_17340
; %bb.53177:
	s_getpc_b64 s[14:15]
.Lpost_getpc12252:
	s_add_u32 s14, s14, (.LBB1_3002-.Lpost_getpc12252)&4294967295
	s_addc_u32 s15, s15, (.LBB1_3002-.Lpost_getpc12252)>>32
	s_setpc_b64 s[14:15]
.LBB1_17340:
	v_mov_b32_e32 v2, 0
	v_cmp_ne_u16_sdwa s[8:9], v7, v2 src0_sel:BYTE_3 src1_sel:DWORD
	s_andn2_b64 s[4:5], s[4:5], exec
	s_and_b64 s[8:9], s[8:9], exec
	s_or_b64 s[4:5], s[4:5], s[8:9]
	s_or_b64 exec, exec, s[6:7]
	s_and_saveexec_b64 s[6:7], s[4:5]
	s_cbranch_execz .LBB1_30173
; %bb.53179:
	s_getpc_b64 s[14:15]
.Lpost_getpc12253:
	s_add_u32 s14, s14, (.LBB1_3003-.Lpost_getpc12253)&4294967295
	s_addc_u32 s15, s15, (.LBB1_3003-.Lpost_getpc12253)>>32
	s_setpc_b64 s[14:15]
.LBB1_30173:
	s_getpc_b64 s[14:15]
.Lpost_getpc750:
	s_add_u32 s14, s14, (.LBB1_3004-.Lpost_getpc750)&4294967295
	s_addc_u32 s15, s15, (.LBB1_3004-.Lpost_getpc750)>>32
	s_setpc_b64 s[14:15]
.LBB1_17341:
	s_movk_i32 s4, 0x80
	v_cmp_eq_u16_sdwa s[12:13], v3, s4 src0_sel:BYTE_3 src1_sel:DWORD
	s_mov_b64 s[4:5], -1
                                        ; implicit-def: $sgpr10
	s_and_saveexec_b64 s[8:9], s[12:13]
; %bb.17342:
	s_mov_b32 s10, 0x7f800001
	s_xor_b64 s[4:5], exec, -1
; %bb.17343:
	s_or_b64 exec, exec, s[8:9]
	s_and_b64 s[4:5], s[4:5], exec
	s_or_saveexec_b64 s[6:7], s[6:7]
	v_mov_b32_e32 v6, s10
	s_xor_b64 exec, exec, s[6:7]
	s_cbranch_execnz .LBB1_17344
; %bb.53181:
	s_getpc_b64 s[14:15]
.Lpost_getpc12254:
	s_add_u32 s14, s14, (.LBB1_3006-.Lpost_getpc12254)&4294967295
	s_addc_u32 s15, s15, (.LBB1_3006-.Lpost_getpc12254)>>32
	s_setpc_b64 s[14:15]
.LBB1_17344:
	v_mov_b32_e32 v6, 0
	v_cmp_ne_u16_sdwa s[8:9], v3, v6 src0_sel:BYTE_3 src1_sel:DWORD
	s_andn2_b64 s[4:5], s[4:5], exec
	s_and_b64 s[8:9], s[8:9], exec
	s_or_b64 s[4:5], s[4:5], s[8:9]
	s_or_b64 exec, exec, s[6:7]
	s_and_saveexec_b64 s[6:7], s[4:5]
	s_cbranch_execz .LBB1_30175
; %bb.53183:
	s_getpc_b64 s[14:15]
.Lpost_getpc12255:
	s_add_u32 s14, s14, (.LBB1_3007-.Lpost_getpc12255)&4294967295
	s_addc_u32 s15, s15, (.LBB1_3007-.Lpost_getpc12255)>>32
	s_setpc_b64 s[14:15]
.LBB1_30175:
	s_getpc_b64 s[14:15]
.Lpost_getpc751:
	s_add_u32 s14, s14, (.LBB1_3008-.Lpost_getpc751)&4294967295
	s_addc_u32 s15, s15, (.LBB1_3008-.Lpost_getpc751)>>32
	s_setpc_b64 s[14:15]
.LBB1_17345:
	s_movk_i32 s4, 0x80
	v_cmp_eq_u16_sdwa s[12:13], v8, s4 src0_sel:BYTE_0 src1_sel:DWORD
	s_mov_b64 s[4:5], -1
                                        ; implicit-def: $sgpr10
	s_and_saveexec_b64 s[8:9], s[12:13]
; %bb.17346:
	s_mov_b32 s10, 0x7f800001
	s_xor_b64 s[4:5], exec, -1
; %bb.17347:
	s_or_b64 exec, exec, s[8:9]
	s_and_b64 s[4:5], s[4:5], exec
	s_or_saveexec_b64 s[6:7], s[6:7]
	v_mov_b32_e32 v2, s10
	s_xor_b64 exec, exec, s[6:7]
	s_cbranch_execnz .LBB1_17348
; %bb.53185:
	s_getpc_b64 s[14:15]
.Lpost_getpc12256:
	s_add_u32 s14, s14, (.LBB1_3010-.Lpost_getpc12256)&4294967295
	s_addc_u32 s15, s15, (.LBB1_3010-.Lpost_getpc12256)>>32
	s_setpc_b64 s[14:15]
.LBB1_17348:
	v_mov_b32_e32 v2, 0
	v_cmp_ne_u16_sdwa s[8:9], v8, v2 src0_sel:BYTE_0 src1_sel:DWORD
	s_andn2_b64 s[4:5], s[4:5], exec
	s_and_b64 s[8:9], s[8:9], exec
	s_or_b64 s[4:5], s[4:5], s[8:9]
	s_or_b64 exec, exec, s[6:7]
	s_and_saveexec_b64 s[6:7], s[4:5]
	s_cbranch_execz .LBB1_30177
; %bb.53187:
	s_getpc_b64 s[14:15]
.Lpost_getpc12257:
	s_add_u32 s14, s14, (.LBB1_3011-.Lpost_getpc12257)&4294967295
	s_addc_u32 s15, s15, (.LBB1_3011-.Lpost_getpc12257)>>32
	s_setpc_b64 s[14:15]
.LBB1_30177:
	s_getpc_b64 s[14:15]
.Lpost_getpc752:
	s_add_u32 s14, s14, (.LBB1_3012-.Lpost_getpc752)&4294967295
	s_addc_u32 s15, s15, (.LBB1_3012-.Lpost_getpc752)>>32
	s_setpc_b64 s[14:15]
.LBB1_17349:
	s_movk_i32 s4, 0x80
	v_cmp_eq_u16_sdwa s[12:13], v4, s4 src0_sel:BYTE_0 src1_sel:DWORD
	s_mov_b64 s[4:5], -1
                                        ; implicit-def: $sgpr10
	s_and_saveexec_b64 s[8:9], s[12:13]
; %bb.17350:
	s_mov_b32 s10, 0x7f800001
	s_xor_b64 s[4:5], exec, -1
; %bb.17351:
	s_or_b64 exec, exec, s[8:9]
	s_and_b64 s[4:5], s[4:5], exec
	s_or_saveexec_b64 s[6:7], s[6:7]
	v_mov_b32_e32 v3, s10
	s_xor_b64 exec, exec, s[6:7]
	s_cbranch_execnz .LBB1_17352
; %bb.53189:
	s_getpc_b64 s[14:15]
.Lpost_getpc12258:
	s_add_u32 s14, s14, (.LBB1_3014-.Lpost_getpc12258)&4294967295
	s_addc_u32 s15, s15, (.LBB1_3014-.Lpost_getpc12258)>>32
	s_setpc_b64 s[14:15]
.LBB1_17352:
	v_mov_b32_e32 v3, 0
	v_cmp_ne_u16_sdwa s[8:9], v4, v3 src0_sel:BYTE_0 src1_sel:DWORD
	s_andn2_b64 s[4:5], s[4:5], exec
	s_and_b64 s[8:9], s[8:9], exec
	s_or_b64 s[4:5], s[4:5], s[8:9]
	s_or_b64 exec, exec, s[6:7]
	s_and_saveexec_b64 s[6:7], s[4:5]
	s_cbranch_execz .LBB1_30179
; %bb.53191:
	s_getpc_b64 s[14:15]
.Lpost_getpc12259:
	s_add_u32 s14, s14, (.LBB1_3015-.Lpost_getpc12259)&4294967295
	s_addc_u32 s15, s15, (.LBB1_3015-.Lpost_getpc12259)>>32
	s_setpc_b64 s[14:15]
.LBB1_30179:
	s_getpc_b64 s[14:15]
.Lpost_getpc753:
	s_add_u32 s14, s14, (.LBB1_3016-.Lpost_getpc753)&4294967295
	s_addc_u32 s15, s15, (.LBB1_3016-.Lpost_getpc753)>>32
	s_setpc_b64 s[14:15]
.LBB1_17353:
	s_movk_i32 s4, 0x80
	v_cmp_eq_u16_sdwa s[12:13], v3, s4 src0_sel:BYTE_0 src1_sel:DWORD
	s_mov_b64 s[4:5], -1
                                        ; implicit-def: $sgpr10
	s_and_saveexec_b64 s[8:9], s[12:13]
; %bb.17354:
	s_mov_b32 s10, 0x7f800001
	s_xor_b64 s[4:5], exec, -1
; %bb.17355:
	s_or_b64 exec, exec, s[8:9]
	s_and_b64 s[4:5], s[4:5], exec
	s_or_saveexec_b64 s[6:7], s[6:7]
	v_mov_b32_e32 v2, s10
	s_xor_b64 exec, exec, s[6:7]
	s_cbranch_execnz .LBB1_17356
; %bb.53193:
	s_getpc_b64 s[14:15]
.Lpost_getpc12260:
	s_add_u32 s14, s14, (.LBB1_3018-.Lpost_getpc12260)&4294967295
	s_addc_u32 s15, s15, (.LBB1_3018-.Lpost_getpc12260)>>32
	s_setpc_b64 s[14:15]
.LBB1_17356:
	v_mov_b32_e32 v2, 0
	v_cmp_ne_u16_sdwa s[8:9], v3, v2 src0_sel:BYTE_0 src1_sel:DWORD
	s_andn2_b64 s[4:5], s[4:5], exec
	s_and_b64 s[8:9], s[8:9], exec
	s_or_b64 s[4:5], s[4:5], s[8:9]
	s_or_b64 exec, exec, s[6:7]
	s_and_saveexec_b64 s[6:7], s[4:5]
	s_cbranch_execz .LBB1_30181
; %bb.53195:
	s_getpc_b64 s[14:15]
.Lpost_getpc12261:
	s_add_u32 s14, s14, (.LBB1_3019-.Lpost_getpc12261)&4294967295
	s_addc_u32 s15, s15, (.LBB1_3019-.Lpost_getpc12261)>>32
	s_setpc_b64 s[14:15]
.LBB1_30181:
	s_getpc_b64 s[14:15]
.Lpost_getpc754:
	s_add_u32 s14, s14, (.LBB1_3020-.Lpost_getpc754)&4294967295
	s_addc_u32 s15, s15, (.LBB1_3020-.Lpost_getpc754)>>32
	s_setpc_b64 s[14:15]
.LBB1_17357:
	s_movk_i32 s4, 0x80
	v_cmp_eq_u16_sdwa s[12:13], v3, s4 src0_sel:BYTE_0 src1_sel:DWORD
	s_mov_b64 s[4:5], -1
                                        ; implicit-def: $sgpr10
	s_and_saveexec_b64 s[8:9], s[12:13]
; %bb.17358:
	s_mov_b32 s10, 0x7f800001
	s_xor_b64 s[4:5], exec, -1
; %bb.17359:
	s_or_b64 exec, exec, s[8:9]
	s_and_b64 s[4:5], s[4:5], exec
	s_or_saveexec_b64 s[6:7], s[6:7]
	v_mov_b32_e32 v6, s10
	s_xor_b64 exec, exec, s[6:7]
	s_cbranch_execnz .LBB1_17360
; %bb.53197:
	s_getpc_b64 s[14:15]
.Lpost_getpc12262:
	s_add_u32 s14, s14, (.LBB1_3022-.Lpost_getpc12262)&4294967295
	s_addc_u32 s15, s15, (.LBB1_3022-.Lpost_getpc12262)>>32
	s_setpc_b64 s[14:15]
.LBB1_17360:
	v_mov_b32_e32 v6, 0
	v_cmp_ne_u16_sdwa s[8:9], v3, v6 src0_sel:BYTE_0 src1_sel:DWORD
	s_andn2_b64 s[4:5], s[4:5], exec
	s_and_b64 s[8:9], s[8:9], exec
	s_or_b64 s[4:5], s[4:5], s[8:9]
	s_or_b64 exec, exec, s[6:7]
	s_and_saveexec_b64 s[6:7], s[4:5]
	s_cbranch_execz .LBB1_30183
; %bb.53199:
	s_getpc_b64 s[14:15]
.Lpost_getpc12263:
	s_add_u32 s14, s14, (.LBB1_3023-.Lpost_getpc12263)&4294967295
	s_addc_u32 s15, s15, (.LBB1_3023-.Lpost_getpc12263)>>32
	s_setpc_b64 s[14:15]
.LBB1_30183:
	s_getpc_b64 s[14:15]
.Lpost_getpc755:
	s_add_u32 s14, s14, (.LBB1_3024-.Lpost_getpc755)&4294967295
	s_addc_u32 s15, s15, (.LBB1_3024-.Lpost_getpc755)>>32
	s_setpc_b64 s[14:15]
.LBB1_17361:
	s_movk_i32 s4, 0x80
	v_cmp_eq_u16_e32 vcc, s4, v3
	s_mov_b64 s[4:5], -1
                                        ; implicit-def: $sgpr10
	s_and_saveexec_b64 s[8:9], vcc
; %bb.17362:
	s_mov_b32 s10, 0x7f800001
	s_xor_b64 s[4:5], exec, -1
; %bb.17363:
	s_or_b64 exec, exec, s[8:9]
	s_and_b64 s[4:5], s[4:5], exec
                                        ; implicit-def: $vgpr3
	s_or_saveexec_b64 s[6:7], s[6:7]
	v_mov_b32_e32 v2, s10
	s_xor_b64 exec, exec, s[6:7]
	s_cbranch_execnz .LBB1_17364
; %bb.53201:
	s_getpc_b64 s[14:15]
.Lpost_getpc12264:
	s_add_u32 s14, s14, (.LBB1_3026-.Lpost_getpc12264)&4294967295
	s_addc_u32 s15, s15, (.LBB1_3026-.Lpost_getpc12264)>>32
	s_setpc_b64 s[14:15]
.LBB1_17364:
	v_cmp_ne_u16_e32 vcc, 0, v3
	s_andn2_b64 s[4:5], s[4:5], exec
	s_and_b64 s[8:9], vcc, exec
	v_mov_b32_e32 v2, 0
	s_or_b64 s[4:5], s[4:5], s[8:9]
	s_or_b64 exec, exec, s[6:7]
	s_and_saveexec_b64 s[6:7], s[4:5]
	s_cbranch_execz .LBB1_30185
; %bb.53203:
	s_getpc_b64 s[14:15]
.Lpost_getpc12265:
	s_add_u32 s14, s14, (.LBB1_3027-.Lpost_getpc12265)&4294967295
	s_addc_u32 s15, s15, (.LBB1_3027-.Lpost_getpc12265)>>32
	s_setpc_b64 s[14:15]
.LBB1_30185:
	s_getpc_b64 s[14:15]
.Lpost_getpc756:
	s_add_u32 s14, s14, (.LBB1_3028-.Lpost_getpc756)&4294967295
	s_addc_u32 s15, s15, (.LBB1_3028-.Lpost_getpc756)>>32
	s_setpc_b64 s[14:15]
.LBB1_17365:
	s_movk_i32 s4, 0x80
	v_cmp_eq_u16_e32 vcc, s4, v3
	s_mov_b64 s[4:5], -1
                                        ; implicit-def: $sgpr10
	s_and_saveexec_b64 s[8:9], vcc
; %bb.17366:
	s_mov_b32 s10, 0x7f800001
	s_xor_b64 s[4:5], exec, -1
; %bb.17367:
	s_or_b64 exec, exec, s[8:9]
	s_and_b64 s[4:5], s[4:5], exec
                                        ; implicit-def: $vgpr3
	s_or_saveexec_b64 s[6:7], s[6:7]
	v_mov_b32_e32 v6, s10
	s_xor_b64 exec, exec, s[6:7]
	s_cbranch_execnz .LBB1_17368
; %bb.53205:
	s_getpc_b64 s[14:15]
.Lpost_getpc12266:
	s_add_u32 s14, s14, (.LBB1_3030-.Lpost_getpc12266)&4294967295
	s_addc_u32 s15, s15, (.LBB1_3030-.Lpost_getpc12266)>>32
	s_setpc_b64 s[14:15]
.LBB1_17368:
	v_cmp_ne_u16_e32 vcc, 0, v3
	s_andn2_b64 s[4:5], s[4:5], exec
	s_and_b64 s[8:9], vcc, exec
	v_mov_b32_e32 v6, 0
	s_or_b64 s[4:5], s[4:5], s[8:9]
	s_or_b64 exec, exec, s[6:7]
	s_and_saveexec_b64 s[6:7], s[4:5]
	s_cbranch_execz .LBB1_30187
; %bb.53207:
	s_getpc_b64 s[14:15]
.Lpost_getpc12267:
	s_add_u32 s14, s14, (.LBB1_3031-.Lpost_getpc12267)&4294967295
	s_addc_u32 s15, s15, (.LBB1_3031-.Lpost_getpc12267)>>32
	s_setpc_b64 s[14:15]
.LBB1_30187:
	s_getpc_b64 s[14:15]
.Lpost_getpc757:
	s_add_u32 s14, s14, (.LBB1_3032-.Lpost_getpc757)&4294967295
	s_addc_u32 s15, s15, (.LBB1_3032-.Lpost_getpc757)>>32
	s_setpc_b64 s[14:15]
.LBB1_17369:
	s_movk_i32 s4, 0x80
	v_cmp_eq_u16_sdwa s[12:13], v8, s4 src0_sel:BYTE_3 src1_sel:DWORD
	s_mov_b64 s[4:5], -1
                                        ; implicit-def: $sgpr10
	s_and_saveexec_b64 s[8:9], s[12:13]
; %bb.17370:
	s_mov_b32 s10, 0x7f800001
	s_xor_b64 s[4:5], exec, -1
; %bb.17371:
	s_or_b64 exec, exec, s[8:9]
	s_and_b64 s[4:5], s[4:5], exec
	s_or_saveexec_b64 s[6:7], s[6:7]
	v_mov_b32_e32 v2, s10
	s_xor_b64 exec, exec, s[6:7]
	s_cbranch_execnz .LBB1_17372
; %bb.53209:
	s_getpc_b64 s[14:15]
.Lpost_getpc12268:
	s_add_u32 s14, s14, (.LBB1_3034-.Lpost_getpc12268)&4294967295
	s_addc_u32 s15, s15, (.LBB1_3034-.Lpost_getpc12268)>>32
	s_setpc_b64 s[14:15]
.LBB1_17372:
	v_mov_b32_e32 v2, 0
	v_cmp_ne_u16_sdwa s[8:9], v8, v2 src0_sel:BYTE_3 src1_sel:DWORD
	s_andn2_b64 s[4:5], s[4:5], exec
	s_and_b64 s[8:9], s[8:9], exec
	s_or_b64 s[4:5], s[4:5], s[8:9]
	s_or_b64 exec, exec, s[6:7]
	s_and_saveexec_b64 s[6:7], s[4:5]
	s_cbranch_execz .LBB1_30189
; %bb.53211:
	s_getpc_b64 s[14:15]
.Lpost_getpc12269:
	s_add_u32 s14, s14, (.LBB1_3035-.Lpost_getpc12269)&4294967295
	s_addc_u32 s15, s15, (.LBB1_3035-.Lpost_getpc12269)>>32
	s_setpc_b64 s[14:15]
.LBB1_30189:
	s_getpc_b64 s[14:15]
.Lpost_getpc758:
	s_add_u32 s14, s14, (.LBB1_3036-.Lpost_getpc758)&4294967295
	s_addc_u32 s15, s15, (.LBB1_3036-.Lpost_getpc758)>>32
	s_setpc_b64 s[14:15]
.LBB1_17373:
	s_movk_i32 s4, 0x80
	v_cmp_eq_u16_sdwa s[12:13], v4, s4 src0_sel:BYTE_3 src1_sel:DWORD
	s_mov_b64 s[4:5], -1
                                        ; implicit-def: $sgpr10
	s_and_saveexec_b64 s[8:9], s[12:13]
; %bb.17374:
	s_mov_b32 s10, 0x7f800001
	s_xor_b64 s[4:5], exec, -1
; %bb.17375:
	s_or_b64 exec, exec, s[8:9]
	s_and_b64 s[4:5], s[4:5], exec
	s_or_saveexec_b64 s[6:7], s[6:7]
	v_mov_b32_e32 v3, s10
	s_xor_b64 exec, exec, s[6:7]
	s_cbranch_execnz .LBB1_17376
; %bb.53213:
	s_getpc_b64 s[14:15]
.Lpost_getpc12270:
	s_add_u32 s14, s14, (.LBB1_3038-.Lpost_getpc12270)&4294967295
	s_addc_u32 s15, s15, (.LBB1_3038-.Lpost_getpc12270)>>32
	s_setpc_b64 s[14:15]
.LBB1_17376:
	v_mov_b32_e32 v3, 0
	v_cmp_ne_u16_sdwa s[8:9], v4, v3 src0_sel:BYTE_3 src1_sel:DWORD
	s_andn2_b64 s[4:5], s[4:5], exec
	s_and_b64 s[8:9], s[8:9], exec
	s_or_b64 s[4:5], s[4:5], s[8:9]
	s_or_b64 exec, exec, s[6:7]
	s_and_saveexec_b64 s[6:7], s[4:5]
	s_cbranch_execz .LBB1_30191
; %bb.53215:
	s_getpc_b64 s[14:15]
.Lpost_getpc12271:
	s_add_u32 s14, s14, (.LBB1_3039-.Lpost_getpc12271)&4294967295
	s_addc_u32 s15, s15, (.LBB1_3039-.Lpost_getpc12271)>>32
	s_setpc_b64 s[14:15]
.LBB1_30191:
	s_getpc_b64 s[14:15]
.Lpost_getpc759:
	s_add_u32 s14, s14, (.LBB1_3040-.Lpost_getpc759)&4294967295
	s_addc_u32 s15, s15, (.LBB1_3040-.Lpost_getpc759)>>32
	s_setpc_b64 s[14:15]
.LBB1_17377:
	s_movk_i32 s4, 0x80
	v_cmp_eq_u16_sdwa s[12:13], v9, s4 src0_sel:BYTE_0 src1_sel:DWORD
	s_mov_b64 s[4:5], -1
                                        ; implicit-def: $sgpr10
	s_and_saveexec_b64 s[8:9], s[12:13]
; %bb.17378:
	s_mov_b32 s10, 0x7f800001
	s_xor_b64 s[4:5], exec, -1
; %bb.17379:
	s_or_b64 exec, exec, s[8:9]
	s_and_b64 s[4:5], s[4:5], exec
	s_or_saveexec_b64 s[6:7], s[6:7]
	v_mov_b32_e32 v2, s10
	s_xor_b64 exec, exec, s[6:7]
	s_cbranch_execnz .LBB1_17380
; %bb.53217:
	s_getpc_b64 s[14:15]
.Lpost_getpc12272:
	s_add_u32 s14, s14, (.LBB1_3042-.Lpost_getpc12272)&4294967295
	s_addc_u32 s15, s15, (.LBB1_3042-.Lpost_getpc12272)>>32
	s_setpc_b64 s[14:15]
.LBB1_17380:
	v_mov_b32_e32 v2, 0
	v_cmp_ne_u16_sdwa s[8:9], v9, v2 src0_sel:BYTE_0 src1_sel:DWORD
	s_andn2_b64 s[4:5], s[4:5], exec
	s_and_b64 s[8:9], s[8:9], exec
	s_or_b64 s[4:5], s[4:5], s[8:9]
	s_or_b64 exec, exec, s[6:7]
	s_and_saveexec_b64 s[6:7], s[4:5]
	s_cbranch_execz .LBB1_30193
; %bb.53219:
	s_getpc_b64 s[14:15]
.Lpost_getpc12273:
	s_add_u32 s14, s14, (.LBB1_3043-.Lpost_getpc12273)&4294967295
	s_addc_u32 s15, s15, (.LBB1_3043-.Lpost_getpc12273)>>32
	s_setpc_b64 s[14:15]
.LBB1_30193:
	s_getpc_b64 s[14:15]
.Lpost_getpc760:
	s_add_u32 s14, s14, (.LBB1_3044-.Lpost_getpc760)&4294967295
	s_addc_u32 s15, s15, (.LBB1_3044-.Lpost_getpc760)>>32
	s_setpc_b64 s[14:15]
.LBB1_17381:
	s_movk_i32 s4, 0x80
	v_cmp_eq_u16_sdwa s[12:13], v5, s4 src0_sel:BYTE_0 src1_sel:DWORD
	s_mov_b64 s[4:5], -1
                                        ; implicit-def: $sgpr10
	s_and_saveexec_b64 s[8:9], s[12:13]
; %bb.17382:
	s_mov_b32 s10, 0x7f800001
	s_xor_b64 s[4:5], exec, -1
; %bb.17383:
	s_or_b64 exec, exec, s[8:9]
	s_and_b64 s[4:5], s[4:5], exec
	s_or_saveexec_b64 s[6:7], s[6:7]
	v_mov_b32_e32 v3, s10
	s_xor_b64 exec, exec, s[6:7]
	s_cbranch_execnz .LBB1_17384
; %bb.53221:
	s_getpc_b64 s[14:15]
.Lpost_getpc12274:
	s_add_u32 s14, s14, (.LBB1_3046-.Lpost_getpc12274)&4294967295
	s_addc_u32 s15, s15, (.LBB1_3046-.Lpost_getpc12274)>>32
	s_setpc_b64 s[14:15]
.LBB1_17384:
	v_mov_b32_e32 v3, 0
	v_cmp_ne_u16_sdwa s[8:9], v5, v3 src0_sel:BYTE_0 src1_sel:DWORD
	s_andn2_b64 s[4:5], s[4:5], exec
	s_and_b64 s[8:9], s[8:9], exec
	s_or_b64 s[4:5], s[4:5], s[8:9]
	s_or_b64 exec, exec, s[6:7]
	s_and_saveexec_b64 s[6:7], s[4:5]
	s_cbranch_execz .LBB1_30195
; %bb.53223:
	s_getpc_b64 s[14:15]
.Lpost_getpc12275:
	s_add_u32 s14, s14, (.LBB1_3047-.Lpost_getpc12275)&4294967295
	s_addc_u32 s15, s15, (.LBB1_3047-.Lpost_getpc12275)>>32
	s_setpc_b64 s[14:15]
.LBB1_30195:
	s_getpc_b64 s[14:15]
.Lpost_getpc761:
	s_add_u32 s14, s14, (.LBB1_3048-.Lpost_getpc761)&4294967295
	s_addc_u32 s15, s15, (.LBB1_3048-.Lpost_getpc761)>>32
	s_setpc_b64 s[14:15]
.LBB1_17385:
	s_movk_i32 s4, 0x80
	v_cmp_eq_u16_sdwa s[12:13], v3, s4 src0_sel:BYTE_0 src1_sel:DWORD
	s_mov_b64 s[4:5], -1
                                        ; implicit-def: $sgpr10
	s_and_saveexec_b64 s[8:9], s[12:13]
; %bb.17386:
	s_mov_b32 s10, 0x7f800001
	s_xor_b64 s[4:5], exec, -1
; %bb.17387:
	s_or_b64 exec, exec, s[8:9]
	s_and_b64 s[4:5], s[4:5], exec
	s_or_saveexec_b64 s[6:7], s[6:7]
	v_mov_b32_e32 v2, s10
	s_xor_b64 exec, exec, s[6:7]
	s_cbranch_execnz .LBB1_17388
; %bb.53225:
	s_getpc_b64 s[14:15]
.Lpost_getpc12276:
	s_add_u32 s14, s14, (.LBB1_3050-.Lpost_getpc12276)&4294967295
	s_addc_u32 s15, s15, (.LBB1_3050-.Lpost_getpc12276)>>32
	s_setpc_b64 s[14:15]
.LBB1_17388:
	v_mov_b32_e32 v2, 0
	v_cmp_ne_u16_sdwa s[8:9], v3, v2 src0_sel:BYTE_0 src1_sel:DWORD
	s_andn2_b64 s[4:5], s[4:5], exec
	s_and_b64 s[8:9], s[8:9], exec
	s_or_b64 s[4:5], s[4:5], s[8:9]
	s_or_b64 exec, exec, s[6:7]
	s_and_saveexec_b64 s[6:7], s[4:5]
	s_cbranch_execz .LBB1_30197
; %bb.53227:
	s_getpc_b64 s[14:15]
.Lpost_getpc12277:
	s_add_u32 s14, s14, (.LBB1_3051-.Lpost_getpc12277)&4294967295
	s_addc_u32 s15, s15, (.LBB1_3051-.Lpost_getpc12277)>>32
	s_setpc_b64 s[14:15]
.LBB1_30197:
	s_getpc_b64 s[14:15]
.Lpost_getpc762:
	s_add_u32 s14, s14, (.LBB1_3052-.Lpost_getpc762)&4294967295
	s_addc_u32 s15, s15, (.LBB1_3052-.Lpost_getpc762)>>32
	s_setpc_b64 s[14:15]
.LBB1_17389:
	s_movk_i32 s4, 0x80
	v_cmp_eq_u16_sdwa s[12:13], v3, s4 src0_sel:BYTE_0 src1_sel:DWORD
	s_mov_b64 s[4:5], -1
                                        ; implicit-def: $sgpr10
	s_and_saveexec_b64 s[8:9], s[12:13]
; %bb.17390:
	s_mov_b32 s10, 0x7f800001
	s_xor_b64 s[4:5], exec, -1
; %bb.17391:
	s_or_b64 exec, exec, s[8:9]
	s_and_b64 s[4:5], s[4:5], exec
	s_or_saveexec_b64 s[6:7], s[6:7]
	v_mov_b32_e32 v4, s10
	s_xor_b64 exec, exec, s[6:7]
	s_cbranch_execnz .LBB1_17392
; %bb.53229:
	s_getpc_b64 s[14:15]
.Lpost_getpc12278:
	s_add_u32 s14, s14, (.LBB1_3054-.Lpost_getpc12278)&4294967295
	s_addc_u32 s15, s15, (.LBB1_3054-.Lpost_getpc12278)>>32
	s_setpc_b64 s[14:15]
.LBB1_17392:
	v_mov_b32_e32 v4, 0
	v_cmp_ne_u16_sdwa s[8:9], v3, v4 src0_sel:BYTE_0 src1_sel:DWORD
	s_andn2_b64 s[4:5], s[4:5], exec
	s_and_b64 s[8:9], s[8:9], exec
	s_or_b64 s[4:5], s[4:5], s[8:9]
	s_or_b64 exec, exec, s[6:7]
	s_and_saveexec_b64 s[6:7], s[4:5]
	s_cbranch_execz .LBB1_30199
; %bb.53231:
	s_getpc_b64 s[14:15]
.Lpost_getpc12279:
	s_add_u32 s14, s14, (.LBB1_3055-.Lpost_getpc12279)&4294967295
	s_addc_u32 s15, s15, (.LBB1_3055-.Lpost_getpc12279)>>32
	s_setpc_b64 s[14:15]
.LBB1_30199:
	s_getpc_b64 s[14:15]
.Lpost_getpc763:
	s_add_u32 s14, s14, (.LBB1_3056-.Lpost_getpc763)&4294967295
	s_addc_u32 s15, s15, (.LBB1_3056-.Lpost_getpc763)>>32
	s_setpc_b64 s[14:15]
.LBB1_17393:
	s_movk_i32 s4, 0x80
	v_cmp_eq_u16_e32 vcc, s4, v3
	s_mov_b64 s[4:5], -1
                                        ; implicit-def: $sgpr10
	s_and_saveexec_b64 s[8:9], vcc
; %bb.17394:
	s_mov_b32 s10, 0x7f800001
	s_xor_b64 s[4:5], exec, -1
; %bb.17395:
	s_or_b64 exec, exec, s[8:9]
	s_and_b64 s[4:5], s[4:5], exec
                                        ; implicit-def: $vgpr3
	s_or_saveexec_b64 s[6:7], s[6:7]
	v_mov_b32_e32 v2, s10
	s_xor_b64 exec, exec, s[6:7]
	s_cbranch_execnz .LBB1_17396
; %bb.53233:
	s_getpc_b64 s[14:15]
.Lpost_getpc12280:
	s_add_u32 s14, s14, (.LBB1_3058-.Lpost_getpc12280)&4294967295
	s_addc_u32 s15, s15, (.LBB1_3058-.Lpost_getpc12280)>>32
	s_setpc_b64 s[14:15]
.LBB1_17396:
	v_cmp_ne_u16_e32 vcc, 0, v3
	s_andn2_b64 s[4:5], s[4:5], exec
	s_and_b64 s[8:9], vcc, exec
	v_mov_b32_e32 v2, 0
	s_or_b64 s[4:5], s[4:5], s[8:9]
	s_or_b64 exec, exec, s[6:7]
	s_and_saveexec_b64 s[6:7], s[4:5]
	s_cbranch_execz .LBB1_30201
; %bb.53235:
	s_getpc_b64 s[14:15]
.Lpost_getpc12281:
	s_add_u32 s14, s14, (.LBB1_3059-.Lpost_getpc12281)&4294967295
	s_addc_u32 s15, s15, (.LBB1_3059-.Lpost_getpc12281)>>32
	s_setpc_b64 s[14:15]
.LBB1_30201:
	s_getpc_b64 s[14:15]
.Lpost_getpc764:
	s_add_u32 s14, s14, (.LBB1_3060-.Lpost_getpc764)&4294967295
	s_addc_u32 s15, s15, (.LBB1_3060-.Lpost_getpc764)>>32
	s_setpc_b64 s[14:15]
.LBB1_17397:
	s_movk_i32 s4, 0x80
	v_cmp_eq_u16_e32 vcc, s4, v3
	s_mov_b64 s[4:5], -1
                                        ; implicit-def: $sgpr10
	s_and_saveexec_b64 s[8:9], vcc
; %bb.17398:
	s_mov_b32 s10, 0x7f800001
	s_xor_b64 s[4:5], exec, -1
; %bb.17399:
	s_or_b64 exec, exec, s[8:9]
	s_and_b64 s[4:5], s[4:5], exec
                                        ; implicit-def: $vgpr3
	s_or_saveexec_b64 s[6:7], s[6:7]
	v_mov_b32_e32 v4, s10
	s_xor_b64 exec, exec, s[6:7]
	s_cbranch_execnz .LBB1_17400
; %bb.53237:
	s_getpc_b64 s[14:15]
.Lpost_getpc12282:
	s_add_u32 s14, s14, (.LBB1_3062-.Lpost_getpc12282)&4294967295
	s_addc_u32 s15, s15, (.LBB1_3062-.Lpost_getpc12282)>>32
	s_setpc_b64 s[14:15]
.LBB1_17400:
	v_cmp_ne_u16_e32 vcc, 0, v3
	s_andn2_b64 s[4:5], s[4:5], exec
	s_and_b64 s[8:9], vcc, exec
	v_mov_b32_e32 v4, 0
	s_or_b64 s[4:5], s[4:5], s[8:9]
	s_or_b64 exec, exec, s[6:7]
	s_and_saveexec_b64 s[6:7], s[4:5]
	s_cbranch_execz .LBB1_30203
; %bb.53239:
	s_getpc_b64 s[14:15]
.Lpost_getpc12283:
	s_add_u32 s14, s14, (.LBB1_3063-.Lpost_getpc12283)&4294967295
	s_addc_u32 s15, s15, (.LBB1_3063-.Lpost_getpc12283)>>32
	s_setpc_b64 s[14:15]
.LBB1_30203:
	s_getpc_b64 s[14:15]
.Lpost_getpc765:
	s_add_u32 s14, s14, (.LBB1_3064-.Lpost_getpc765)&4294967295
	s_addc_u32 s15, s15, (.LBB1_3064-.Lpost_getpc765)>>32
	s_setpc_b64 s[14:15]
.LBB1_17401:
	s_movk_i32 s4, 0x80
	v_cmp_eq_u16_sdwa s[12:13], v9, s4 src0_sel:BYTE_3 src1_sel:DWORD
	s_mov_b64 s[4:5], -1
                                        ; implicit-def: $sgpr10
	s_and_saveexec_b64 s[8:9], s[12:13]
; %bb.17402:
	s_mov_b32 s10, 0x7f800001
	s_xor_b64 s[4:5], exec, -1
; %bb.17403:
	s_or_b64 exec, exec, s[8:9]
	s_and_b64 s[4:5], s[4:5], exec
	s_or_saveexec_b64 s[6:7], s[6:7]
	v_mov_b32_e32 v2, s10
	s_xor_b64 exec, exec, s[6:7]
	s_cbranch_execnz .LBB1_17404
; %bb.53241:
	s_getpc_b64 s[14:15]
.Lpost_getpc12284:
	s_add_u32 s14, s14, (.LBB1_3066-.Lpost_getpc12284)&4294967295
	s_addc_u32 s15, s15, (.LBB1_3066-.Lpost_getpc12284)>>32
	s_setpc_b64 s[14:15]
.LBB1_17404:
	v_mov_b32_e32 v2, 0
	v_cmp_ne_u16_sdwa s[8:9], v9, v2 src0_sel:BYTE_3 src1_sel:DWORD
	s_andn2_b64 s[4:5], s[4:5], exec
	s_and_b64 s[8:9], s[8:9], exec
	s_or_b64 s[4:5], s[4:5], s[8:9]
	s_or_b64 exec, exec, s[6:7]
	s_and_saveexec_b64 s[6:7], s[4:5]
	s_cbranch_execz .LBB1_30205
; %bb.53243:
	s_getpc_b64 s[14:15]
.Lpost_getpc12285:
	s_add_u32 s14, s14, (.LBB1_3067-.Lpost_getpc12285)&4294967295
	s_addc_u32 s15, s15, (.LBB1_3067-.Lpost_getpc12285)>>32
	s_setpc_b64 s[14:15]
.LBB1_30205:
	s_getpc_b64 s[14:15]
.Lpost_getpc766:
	s_add_u32 s14, s14, (.LBB1_3068-.Lpost_getpc766)&4294967295
	s_addc_u32 s15, s15, (.LBB1_3068-.Lpost_getpc766)>>32
	s_setpc_b64 s[14:15]
.LBB1_17405:
	s_movk_i32 s4, 0x80
	v_cmp_eq_u16_sdwa s[12:13], v5, s4 src0_sel:BYTE_3 src1_sel:DWORD
	s_mov_b64 s[4:5], -1
                                        ; implicit-def: $sgpr10
	s_and_saveexec_b64 s[8:9], s[12:13]
; %bb.17406:
	s_mov_b32 s10, 0x7f800001
	s_xor_b64 s[4:5], exec, -1
; %bb.17407:
	s_or_b64 exec, exec, s[8:9]
	s_and_b64 s[4:5], s[4:5], exec
	s_or_saveexec_b64 s[6:7], s[6:7]
	v_mov_b32_e32 v3, s10
	s_xor_b64 exec, exec, s[6:7]
	s_cbranch_execnz .LBB1_17408
; %bb.53245:
	s_getpc_b64 s[14:15]
.Lpost_getpc12286:
	s_add_u32 s14, s14, (.LBB1_3070-.Lpost_getpc12286)&4294967295
	s_addc_u32 s15, s15, (.LBB1_3070-.Lpost_getpc12286)>>32
	s_setpc_b64 s[14:15]
.LBB1_17408:
	v_mov_b32_e32 v3, 0
	v_cmp_ne_u16_sdwa s[8:9], v5, v3 src0_sel:BYTE_3 src1_sel:DWORD
	s_andn2_b64 s[4:5], s[4:5], exec
	s_and_b64 s[8:9], s[8:9], exec
	s_or_b64 s[4:5], s[4:5], s[8:9]
	s_or_b64 exec, exec, s[6:7]
	s_and_saveexec_b64 s[6:7], s[4:5]
	s_cbranch_execz .LBB1_30207
; %bb.53247:
	s_getpc_b64 s[14:15]
.Lpost_getpc12287:
	s_add_u32 s14, s14, (.LBB1_3071-.Lpost_getpc12287)&4294967295
	s_addc_u32 s15, s15, (.LBB1_3071-.Lpost_getpc12287)>>32
	s_setpc_b64 s[14:15]
.LBB1_30207:
	s_getpc_b64 s[14:15]
.Lpost_getpc767:
	s_add_u32 s14, s14, (.LBB1_3072-.Lpost_getpc767)&4294967295
	s_addc_u32 s15, s15, (.LBB1_3072-.Lpost_getpc767)>>32
	s_setpc_b64 s[14:15]
.LBB1_17409:
	s_movk_i32 s4, 0x80
	v_cmp_eq_u16_sdwa s[12:13], v6, s4 src0_sel:BYTE_0 src1_sel:DWORD
	s_mov_b64 s[4:5], -1
                                        ; implicit-def: $sgpr10
	s_and_saveexec_b64 s[8:9], s[12:13]
; %bb.17410:
	s_mov_b32 s10, 0x7f800001
	s_xor_b64 s[4:5], exec, -1
; %bb.17411:
	s_or_b64 exec, exec, s[8:9]
	s_and_b64 s[4:5], s[4:5], exec
	s_or_saveexec_b64 s[6:7], s[6:7]
	v_mov_b32_e32 v12, s10
	s_xor_b64 exec, exec, s[6:7]
	s_cbranch_execnz .LBB1_17412
; %bb.53249:
	s_getpc_b64 s[14:15]
.Lpost_getpc12288:
	s_add_u32 s14, s14, (.LBB1_3074-.Lpost_getpc12288)&4294967295
	s_addc_u32 s15, s15, (.LBB1_3074-.Lpost_getpc12288)>>32
	s_setpc_b64 s[14:15]
.LBB1_17412:
	v_mov_b32_e32 v12, 0
	v_cmp_ne_u16_sdwa s[8:9], v6, v12 src0_sel:BYTE_0 src1_sel:DWORD
	s_andn2_b64 s[4:5], s[4:5], exec
	s_and_b64 s[8:9], s[8:9], exec
	s_or_b64 s[4:5], s[4:5], s[8:9]
	s_or_b64 exec, exec, s[6:7]
	s_and_saveexec_b64 s[6:7], s[4:5]
	s_cbranch_execz .LBB1_30209
; %bb.53251:
	s_getpc_b64 s[14:15]
.Lpost_getpc12289:
	s_add_u32 s14, s14, (.LBB1_3075-.Lpost_getpc12289)&4294967295
	s_addc_u32 s15, s15, (.LBB1_3075-.Lpost_getpc12289)>>32
	s_setpc_b64 s[14:15]
.LBB1_30209:
	s_getpc_b64 s[14:15]
.Lpost_getpc768:
	s_add_u32 s14, s14, (.LBB1_3076-.Lpost_getpc768)&4294967295
	s_addc_u32 s15, s15, (.LBB1_3076-.Lpost_getpc768)>>32
	s_setpc_b64 s[14:15]
.LBB1_17413:
	s_movk_i32 s4, 0x80
	v_cmp_eq_u16_sdwa s[12:13], v2, s4 src0_sel:BYTE_0 src1_sel:DWORD
	s_mov_b64 s[4:5], -1
                                        ; implicit-def: $sgpr10
	s_and_saveexec_b64 s[8:9], s[12:13]
; %bb.17414:
	s_mov_b32 s10, 0x7f800001
	s_xor_b64 s[4:5], exec, -1
; %bb.17415:
	s_or_b64 exec, exec, s[8:9]
	s_and_b64 s[4:5], s[4:5], exec
	s_or_saveexec_b64 s[6:7], s[6:7]
	v_mov_b32_e32 v13, s10
	s_xor_b64 exec, exec, s[6:7]
	s_cbranch_execnz .LBB1_17416
; %bb.53253:
	s_getpc_b64 s[14:15]
.Lpost_getpc12290:
	s_add_u32 s14, s14, (.LBB1_3078-.Lpost_getpc12290)&4294967295
	s_addc_u32 s15, s15, (.LBB1_3078-.Lpost_getpc12290)>>32
	s_setpc_b64 s[14:15]
.LBB1_17416:
	v_mov_b32_e32 v13, 0
	v_cmp_ne_u16_sdwa s[8:9], v2, v13 src0_sel:BYTE_0 src1_sel:DWORD
	s_andn2_b64 s[4:5], s[4:5], exec
	s_and_b64 s[8:9], s[8:9], exec
	s_or_b64 s[4:5], s[4:5], s[8:9]
	s_or_b64 exec, exec, s[6:7]
	s_and_saveexec_b64 s[6:7], s[4:5]
	s_cbranch_execz .LBB1_30211
; %bb.53255:
	s_getpc_b64 s[14:15]
.Lpost_getpc12291:
	s_add_u32 s14, s14, (.LBB1_3079-.Lpost_getpc12291)&4294967295
	s_addc_u32 s15, s15, (.LBB1_3079-.Lpost_getpc12291)>>32
	s_setpc_b64 s[14:15]
.LBB1_30211:
	s_getpc_b64 s[14:15]
.Lpost_getpc769:
	s_add_u32 s14, s14, (.LBB1_3080-.Lpost_getpc769)&4294967295
	s_addc_u32 s15, s15, (.LBB1_3080-.Lpost_getpc769)>>32
	s_setpc_b64 s[14:15]
.LBB1_17417:
	s_movk_i32 s4, 0x80
	v_cmp_eq_u16_sdwa s[12:13], v13, s4 src0_sel:BYTE_0 src1_sel:DWORD
	s_mov_b64 s[4:5], -1
                                        ; implicit-def: $sgpr10
	s_and_saveexec_b64 s[8:9], s[12:13]
; %bb.17418:
	s_mov_b32 s10, 0x7f800001
	s_xor_b64 s[4:5], exec, -1
; %bb.17419:
	s_or_b64 exec, exec, s[8:9]
	s_and_b64 s[4:5], s[4:5], exec
	s_or_saveexec_b64 s[6:7], s[6:7]
	v_mov_b32_e32 v12, s10
	s_xor_b64 exec, exec, s[6:7]
	s_cbranch_execnz .LBB1_17420
; %bb.53257:
	s_getpc_b64 s[14:15]
.Lpost_getpc12292:
	s_add_u32 s14, s14, (.LBB1_3082-.Lpost_getpc12292)&4294967295
	s_addc_u32 s15, s15, (.LBB1_3082-.Lpost_getpc12292)>>32
	s_setpc_b64 s[14:15]
.LBB1_17420:
	v_mov_b32_e32 v12, 0
	v_cmp_ne_u16_sdwa s[8:9], v13, v12 src0_sel:BYTE_0 src1_sel:DWORD
	s_andn2_b64 s[4:5], s[4:5], exec
	s_and_b64 s[8:9], s[8:9], exec
	s_or_b64 s[4:5], s[4:5], s[8:9]
	s_or_b64 exec, exec, s[6:7]
	s_and_saveexec_b64 s[6:7], s[4:5]
	s_cbranch_execz .LBB1_30213
; %bb.53259:
	s_getpc_b64 s[14:15]
.Lpost_getpc12293:
	s_add_u32 s14, s14, (.LBB1_3083-.Lpost_getpc12293)&4294967295
	s_addc_u32 s15, s15, (.LBB1_3083-.Lpost_getpc12293)>>32
	s_setpc_b64 s[14:15]
.LBB1_30213:
	s_getpc_b64 s[14:15]
.Lpost_getpc770:
	s_add_u32 s14, s14, (.LBB1_3084-.Lpost_getpc770)&4294967295
	s_addc_u32 s15, s15, (.LBB1_3084-.Lpost_getpc770)>>32
	s_setpc_b64 s[14:15]
.LBB1_17421:
	s_movk_i32 s4, 0x80
	v_cmp_eq_u16_sdwa s[12:13], v13, s4 src0_sel:BYTE_0 src1_sel:DWORD
	s_mov_b64 s[4:5], -1
                                        ; implicit-def: $sgpr10
	s_and_saveexec_b64 s[8:9], s[12:13]
; %bb.17422:
	s_mov_b32 s10, 0x7f800001
	s_xor_b64 s[4:5], exec, -1
; %bb.17423:
	s_or_b64 exec, exec, s[8:9]
	s_and_b64 s[4:5], s[4:5], exec
	s_or_saveexec_b64 s[6:7], s[6:7]
	v_mov_b32_e32 v14, s10
	s_xor_b64 exec, exec, s[6:7]
	s_cbranch_execnz .LBB1_17424
; %bb.53261:
	s_getpc_b64 s[14:15]
.Lpost_getpc12294:
	s_add_u32 s14, s14, (.LBB1_3086-.Lpost_getpc12294)&4294967295
	s_addc_u32 s15, s15, (.LBB1_3086-.Lpost_getpc12294)>>32
	s_setpc_b64 s[14:15]
.LBB1_17424:
	v_mov_b32_e32 v14, 0
	v_cmp_ne_u16_sdwa s[8:9], v13, v14 src0_sel:BYTE_0 src1_sel:DWORD
	s_andn2_b64 s[4:5], s[4:5], exec
	s_and_b64 s[8:9], s[8:9], exec
	s_or_b64 s[4:5], s[4:5], s[8:9]
	s_or_b64 exec, exec, s[6:7]
	s_and_saveexec_b64 s[6:7], s[4:5]
	s_cbranch_execz .LBB1_30215
; %bb.53263:
	s_getpc_b64 s[14:15]
.Lpost_getpc12295:
	s_add_u32 s14, s14, (.LBB1_3087-.Lpost_getpc12295)&4294967295
	s_addc_u32 s15, s15, (.LBB1_3087-.Lpost_getpc12295)>>32
	s_setpc_b64 s[14:15]
.LBB1_30215:
	s_getpc_b64 s[14:15]
.Lpost_getpc771:
	s_add_u32 s14, s14, (.LBB1_3088-.Lpost_getpc771)&4294967295
	s_addc_u32 s15, s15, (.LBB1_3088-.Lpost_getpc771)>>32
	s_setpc_b64 s[14:15]
.LBB1_17425:
	s_movk_i32 s4, 0x80
	v_cmp_eq_u16_e32 vcc, s4, v13
	s_mov_b64 s[4:5], -1
                                        ; implicit-def: $sgpr10
	s_and_saveexec_b64 s[8:9], vcc
; %bb.17426:
	s_mov_b32 s10, 0x7f800001
	s_xor_b64 s[4:5], exec, -1
; %bb.17427:
	s_or_b64 exec, exec, s[8:9]
	s_and_b64 s[4:5], s[4:5], exec
                                        ; implicit-def: $vgpr13
	s_or_saveexec_b64 s[6:7], s[6:7]
	v_mov_b32_e32 v12, s10
	s_xor_b64 exec, exec, s[6:7]
	s_cbranch_execnz .LBB1_17428
; %bb.53265:
	s_getpc_b64 s[14:15]
.Lpost_getpc12296:
	s_add_u32 s14, s14, (.LBB1_3090-.Lpost_getpc12296)&4294967295
	s_addc_u32 s15, s15, (.LBB1_3090-.Lpost_getpc12296)>>32
	s_setpc_b64 s[14:15]
.LBB1_17428:
	v_cmp_ne_u16_e32 vcc, 0, v13
	s_andn2_b64 s[4:5], s[4:5], exec
	s_and_b64 s[8:9], vcc, exec
	v_mov_b32_e32 v12, 0
	s_or_b64 s[4:5], s[4:5], s[8:9]
	s_or_b64 exec, exec, s[6:7]
	s_and_saveexec_b64 s[6:7], s[4:5]
	s_cbranch_execz .LBB1_30217
; %bb.53267:
	s_getpc_b64 s[14:15]
.Lpost_getpc12297:
	s_add_u32 s14, s14, (.LBB1_3091-.Lpost_getpc12297)&4294967295
	s_addc_u32 s15, s15, (.LBB1_3091-.Lpost_getpc12297)>>32
	s_setpc_b64 s[14:15]
.LBB1_30217:
	s_getpc_b64 s[14:15]
.Lpost_getpc772:
	s_add_u32 s14, s14, (.LBB1_3092-.Lpost_getpc772)&4294967295
	s_addc_u32 s15, s15, (.LBB1_3092-.Lpost_getpc772)>>32
	s_setpc_b64 s[14:15]
.LBB1_17429:
	s_movk_i32 s4, 0x80
	v_cmp_eq_u16_e32 vcc, s4, v13
	s_mov_b64 s[4:5], -1
                                        ; implicit-def: $sgpr10
	s_and_saveexec_b64 s[8:9], vcc
; %bb.17430:
	s_mov_b32 s10, 0x7f800001
	s_xor_b64 s[4:5], exec, -1
; %bb.17431:
	s_or_b64 exec, exec, s[8:9]
	s_and_b64 s[4:5], s[4:5], exec
                                        ; implicit-def: $vgpr13
	s_or_saveexec_b64 s[6:7], s[6:7]
	v_mov_b32_e32 v14, s10
	s_xor_b64 exec, exec, s[6:7]
	s_cbranch_execnz .LBB1_17432
; %bb.53269:
	s_getpc_b64 s[14:15]
.Lpost_getpc12298:
	s_add_u32 s14, s14, (.LBB1_3094-.Lpost_getpc12298)&4294967295
	s_addc_u32 s15, s15, (.LBB1_3094-.Lpost_getpc12298)>>32
	s_setpc_b64 s[14:15]
.LBB1_17432:
	v_cmp_ne_u16_e32 vcc, 0, v13
	s_andn2_b64 s[4:5], s[4:5], exec
	s_and_b64 s[8:9], vcc, exec
	v_mov_b32_e32 v14, 0
	s_or_b64 s[4:5], s[4:5], s[8:9]
	s_or_b64 exec, exec, s[6:7]
	s_and_saveexec_b64 s[6:7], s[4:5]
	s_cbranch_execz .LBB1_30219
; %bb.53271:
	s_getpc_b64 s[14:15]
.Lpost_getpc12299:
	s_add_u32 s14, s14, (.LBB1_3095-.Lpost_getpc12299)&4294967295
	s_addc_u32 s15, s15, (.LBB1_3095-.Lpost_getpc12299)>>32
	s_setpc_b64 s[14:15]
.LBB1_30219:
	s_getpc_b64 s[14:15]
.Lpost_getpc773:
	s_add_u32 s14, s14, (.LBB1_3096-.Lpost_getpc773)&4294967295
	s_addc_u32 s15, s15, (.LBB1_3096-.Lpost_getpc773)>>32
	s_setpc_b64 s[14:15]
.LBB1_17433:
	s_movk_i32 s4, 0x80
	v_cmp_eq_u16_sdwa s[12:13], v6, s4 src0_sel:BYTE_3 src1_sel:DWORD
	s_mov_b64 s[4:5], -1
                                        ; implicit-def: $sgpr10
	s_and_saveexec_b64 s[8:9], s[12:13]
; %bb.17434:
	s_mov_b32 s10, 0x7f800001
	s_xor_b64 s[4:5], exec, -1
; %bb.17435:
	s_or_b64 exec, exec, s[8:9]
	s_and_b64 s[4:5], s[4:5], exec
	s_or_saveexec_b64 s[6:7], s[6:7]
	v_mov_b32_e32 v12, s10
	s_xor_b64 exec, exec, s[6:7]
	s_cbranch_execnz .LBB1_17436
; %bb.53273:
	s_getpc_b64 s[14:15]
.Lpost_getpc12300:
	s_add_u32 s14, s14, (.LBB1_3098-.Lpost_getpc12300)&4294967295
	s_addc_u32 s15, s15, (.LBB1_3098-.Lpost_getpc12300)>>32
	s_setpc_b64 s[14:15]
.LBB1_17436:
	v_mov_b32_e32 v12, 0
	v_cmp_ne_u16_sdwa s[8:9], v6, v12 src0_sel:BYTE_3 src1_sel:DWORD
	s_andn2_b64 s[4:5], s[4:5], exec
	s_and_b64 s[8:9], s[8:9], exec
	s_or_b64 s[4:5], s[4:5], s[8:9]
	s_or_b64 exec, exec, s[6:7]
	s_and_saveexec_b64 s[6:7], s[4:5]
	s_cbranch_execz .LBB1_30221
; %bb.53275:
	s_getpc_b64 s[14:15]
.Lpost_getpc12301:
	s_add_u32 s14, s14, (.LBB1_3099-.Lpost_getpc12301)&4294967295
	s_addc_u32 s15, s15, (.LBB1_3099-.Lpost_getpc12301)>>32
	s_setpc_b64 s[14:15]
.LBB1_30221:
	s_getpc_b64 s[14:15]
.Lpost_getpc774:
	s_add_u32 s14, s14, (.LBB1_3100-.Lpost_getpc774)&4294967295
	s_addc_u32 s15, s15, (.LBB1_3100-.Lpost_getpc774)>>32
	s_setpc_b64 s[14:15]
.LBB1_17437:
	s_movk_i32 s4, 0x80
	v_cmp_eq_u16_sdwa s[12:13], v2, s4 src0_sel:BYTE_3 src1_sel:DWORD
	s_mov_b64 s[4:5], -1
                                        ; implicit-def: $sgpr10
	s_and_saveexec_b64 s[8:9], s[12:13]
; %bb.17438:
	s_mov_b32 s10, 0x7f800001
	s_xor_b64 s[4:5], exec, -1
; %bb.17439:
	s_or_b64 exec, exec, s[8:9]
	s_and_b64 s[4:5], s[4:5], exec
	s_or_saveexec_b64 s[6:7], s[6:7]
	v_mov_b32_e32 v6, s10
	s_xor_b64 exec, exec, s[6:7]
	s_cbranch_execnz .LBB1_17440
; %bb.53277:
	s_getpc_b64 s[14:15]
.Lpost_getpc12302:
	s_add_u32 s14, s14, (.LBB1_3102-.Lpost_getpc12302)&4294967295
	s_addc_u32 s15, s15, (.LBB1_3102-.Lpost_getpc12302)>>32
	s_setpc_b64 s[14:15]
.LBB1_17440:
	v_mov_b32_e32 v6, 0
	v_cmp_ne_u16_sdwa s[8:9], v2, v6 src0_sel:BYTE_3 src1_sel:DWORD
	s_andn2_b64 s[4:5], s[4:5], exec
	s_and_b64 s[8:9], s[8:9], exec
	s_or_b64 s[4:5], s[4:5], s[8:9]
	s_or_b64 exec, exec, s[6:7]
	s_and_saveexec_b64 s[6:7], s[4:5]
	s_cbranch_execz .LBB1_30223
; %bb.53279:
	s_getpc_b64 s[14:15]
.Lpost_getpc12303:
	s_add_u32 s14, s14, (.LBB1_3103-.Lpost_getpc12303)&4294967295
	s_addc_u32 s15, s15, (.LBB1_3103-.Lpost_getpc12303)>>32
	s_setpc_b64 s[14:15]
.LBB1_30223:
	s_getpc_b64 s[14:15]
.Lpost_getpc775:
	s_add_u32 s14, s14, (.LBB1_3104-.Lpost_getpc775)&4294967295
	s_addc_u32 s15, s15, (.LBB1_3104-.Lpost_getpc775)>>32
	s_setpc_b64 s[14:15]
.LBB1_17441:
	s_movk_i32 s4, 0x80
	v_cmp_eq_u16_sdwa s[12:13], v7, s4 src0_sel:BYTE_0 src1_sel:DWORD
	s_mov_b64 s[4:5], -1
                                        ; implicit-def: $sgpr10
	s_and_saveexec_b64 s[8:9], s[12:13]
; %bb.17442:
	s_mov_b32 s10, 0x7f800001
	s_xor_b64 s[4:5], exec, -1
; %bb.17443:
	s_or_b64 exec, exec, s[8:9]
	s_and_b64 s[4:5], s[4:5], exec
	s_or_saveexec_b64 s[6:7], s[6:7]
	v_mov_b32_e32 v2, s10
	s_xor_b64 exec, exec, s[6:7]
	s_cbranch_execnz .LBB1_17444
; %bb.53281:
	s_getpc_b64 s[14:15]
.Lpost_getpc12304:
	s_add_u32 s14, s14, (.LBB1_3106-.Lpost_getpc12304)&4294967295
	s_addc_u32 s15, s15, (.LBB1_3106-.Lpost_getpc12304)>>32
	s_setpc_b64 s[14:15]
.LBB1_17444:
	v_mov_b32_e32 v2, 0
	v_cmp_ne_u16_sdwa s[8:9], v7, v2 src0_sel:BYTE_0 src1_sel:DWORD
	s_andn2_b64 s[4:5], s[4:5], exec
	s_and_b64 s[8:9], s[8:9], exec
	s_or_b64 s[4:5], s[4:5], s[8:9]
	s_or_b64 exec, exec, s[6:7]
	s_and_saveexec_b64 s[6:7], s[4:5]
	s_cbranch_execz .LBB1_30225
; %bb.53283:
	s_getpc_b64 s[14:15]
.Lpost_getpc12305:
	s_add_u32 s14, s14, (.LBB1_3107-.Lpost_getpc12305)&4294967295
	s_addc_u32 s15, s15, (.LBB1_3107-.Lpost_getpc12305)>>32
	s_setpc_b64 s[14:15]
.LBB1_30225:
	s_getpc_b64 s[14:15]
.Lpost_getpc776:
	s_add_u32 s14, s14, (.LBB1_3108-.Lpost_getpc776)&4294967295
	s_addc_u32 s15, s15, (.LBB1_3108-.Lpost_getpc776)>>32
	s_setpc_b64 s[14:15]
.LBB1_17445:
	s_movk_i32 s4, 0x80
	v_cmp_eq_u16_sdwa s[12:13], v3, s4 src0_sel:BYTE_0 src1_sel:DWORD
	s_mov_b64 s[4:5], -1
                                        ; implicit-def: $sgpr10
	s_and_saveexec_b64 s[8:9], s[12:13]
; %bb.17446:
	s_mov_b32 s10, 0x7f800001
	s_xor_b64 s[4:5], exec, -1
; %bb.17447:
	s_or_b64 exec, exec, s[8:9]
	s_and_b64 s[4:5], s[4:5], exec
	s_or_saveexec_b64 s[6:7], s[6:7]
	v_mov_b32_e32 v6, s10
	s_xor_b64 exec, exec, s[6:7]
	s_cbranch_execnz .LBB1_17448
; %bb.53285:
	s_getpc_b64 s[14:15]
.Lpost_getpc12306:
	s_add_u32 s14, s14, (.LBB1_3110-.Lpost_getpc12306)&4294967295
	s_addc_u32 s15, s15, (.LBB1_3110-.Lpost_getpc12306)>>32
	s_setpc_b64 s[14:15]
.LBB1_17448:
	v_mov_b32_e32 v6, 0
	v_cmp_ne_u16_sdwa s[8:9], v3, v6 src0_sel:BYTE_0 src1_sel:DWORD
	s_andn2_b64 s[4:5], s[4:5], exec
	s_and_b64 s[8:9], s[8:9], exec
	s_or_b64 s[4:5], s[4:5], s[8:9]
	s_or_b64 exec, exec, s[6:7]
	s_and_saveexec_b64 s[6:7], s[4:5]
	s_cbranch_execz .LBB1_30227
; %bb.53287:
	s_getpc_b64 s[14:15]
.Lpost_getpc12307:
	s_add_u32 s14, s14, (.LBB1_3111-.Lpost_getpc12307)&4294967295
	s_addc_u32 s15, s15, (.LBB1_3111-.Lpost_getpc12307)>>32
	s_setpc_b64 s[14:15]
.LBB1_30227:
	s_getpc_b64 s[14:15]
.Lpost_getpc777:
	s_add_u32 s14, s14, (.LBB1_3112-.Lpost_getpc777)&4294967295
	s_addc_u32 s15, s15, (.LBB1_3112-.Lpost_getpc777)>>32
	s_setpc_b64 s[14:15]
.LBB1_17449:
	s_movk_i32 s4, 0x80
	v_cmp_eq_u16_sdwa s[12:13], v6, s4 src0_sel:BYTE_0 src1_sel:DWORD
	s_mov_b64 s[4:5], -1
                                        ; implicit-def: $sgpr10
	s_and_saveexec_b64 s[8:9], s[12:13]
; %bb.17450:
	s_mov_b32 s10, 0x7f800001
	s_xor_b64 s[4:5], exec, -1
; %bb.17451:
	s_or_b64 exec, exec, s[8:9]
	s_and_b64 s[4:5], s[4:5], exec
	s_or_saveexec_b64 s[6:7], s[6:7]
	v_mov_b32_e32 v2, s10
	s_xor_b64 exec, exec, s[6:7]
	s_cbranch_execnz .LBB1_17452
; %bb.53289:
	s_getpc_b64 s[14:15]
.Lpost_getpc12308:
	s_add_u32 s14, s14, (.LBB1_3114-.Lpost_getpc12308)&4294967295
	s_addc_u32 s15, s15, (.LBB1_3114-.Lpost_getpc12308)>>32
	s_setpc_b64 s[14:15]
.LBB1_17452:
	v_mov_b32_e32 v2, 0
	v_cmp_ne_u16_sdwa s[8:9], v6, v2 src0_sel:BYTE_0 src1_sel:DWORD
	s_andn2_b64 s[4:5], s[4:5], exec
	s_and_b64 s[8:9], s[8:9], exec
	s_or_b64 s[4:5], s[4:5], s[8:9]
	s_or_b64 exec, exec, s[6:7]
	s_and_saveexec_b64 s[6:7], s[4:5]
	s_cbranch_execz .LBB1_30229
; %bb.53291:
	s_getpc_b64 s[14:15]
.Lpost_getpc12309:
	s_add_u32 s14, s14, (.LBB1_3115-.Lpost_getpc12309)&4294967295
	s_addc_u32 s15, s15, (.LBB1_3115-.Lpost_getpc12309)>>32
	s_setpc_b64 s[14:15]
.LBB1_30229:
	s_getpc_b64 s[14:15]
.Lpost_getpc778:
	s_add_u32 s14, s14, (.LBB1_3116-.Lpost_getpc778)&4294967295
	s_addc_u32 s15, s15, (.LBB1_3116-.Lpost_getpc778)>>32
	s_setpc_b64 s[14:15]
.LBB1_17453:
	s_movk_i32 s4, 0x80
	v_cmp_eq_u16_sdwa s[12:13], v6, s4 src0_sel:BYTE_0 src1_sel:DWORD
	s_mov_b64 s[4:5], -1
                                        ; implicit-def: $sgpr10
	s_and_saveexec_b64 s[8:9], s[12:13]
; %bb.17454:
	s_mov_b32 s10, 0x7f800001
	s_xor_b64 s[4:5], exec, -1
; %bb.17455:
	s_or_b64 exec, exec, s[8:9]
	s_and_b64 s[4:5], s[4:5], exec
	s_or_saveexec_b64 s[6:7], s[6:7]
	v_mov_b32_e32 v12, s10
	s_xor_b64 exec, exec, s[6:7]
	s_cbranch_execnz .LBB1_17456
; %bb.53293:
	s_getpc_b64 s[14:15]
.Lpost_getpc12310:
	s_add_u32 s14, s14, (.LBB1_3118-.Lpost_getpc12310)&4294967295
	s_addc_u32 s15, s15, (.LBB1_3118-.Lpost_getpc12310)>>32
	s_setpc_b64 s[14:15]
.LBB1_17456:
	v_mov_b32_e32 v12, 0
	v_cmp_ne_u16_sdwa s[8:9], v6, v12 src0_sel:BYTE_0 src1_sel:DWORD
	s_andn2_b64 s[4:5], s[4:5], exec
	s_and_b64 s[8:9], s[8:9], exec
	s_or_b64 s[4:5], s[4:5], s[8:9]
	s_or_b64 exec, exec, s[6:7]
	s_and_saveexec_b64 s[6:7], s[4:5]
	s_cbranch_execz .LBB1_30231
; %bb.53295:
	s_getpc_b64 s[14:15]
.Lpost_getpc12311:
	s_add_u32 s14, s14, (.LBB1_3119-.Lpost_getpc12311)&4294967295
	s_addc_u32 s15, s15, (.LBB1_3119-.Lpost_getpc12311)>>32
	s_setpc_b64 s[14:15]
.LBB1_30231:
	s_getpc_b64 s[14:15]
.Lpost_getpc779:
	s_add_u32 s14, s14, (.LBB1_3120-.Lpost_getpc779)&4294967295
	s_addc_u32 s15, s15, (.LBB1_3120-.Lpost_getpc779)>>32
	s_setpc_b64 s[14:15]
.LBB1_17457:
	s_movk_i32 s4, 0x80
	v_cmp_eq_u16_e32 vcc, s4, v6
	s_mov_b64 s[4:5], -1
                                        ; implicit-def: $sgpr10
	s_and_saveexec_b64 s[8:9], vcc
; %bb.17458:
	s_mov_b32 s10, 0x7f800001
	s_xor_b64 s[4:5], exec, -1
; %bb.17459:
	s_or_b64 exec, exec, s[8:9]
	s_and_b64 s[4:5], s[4:5], exec
                                        ; implicit-def: $vgpr6
	s_or_saveexec_b64 s[6:7], s[6:7]
	v_mov_b32_e32 v2, s10
	s_xor_b64 exec, exec, s[6:7]
	s_cbranch_execnz .LBB1_17460
; %bb.53297:
	s_getpc_b64 s[14:15]
.Lpost_getpc12312:
	s_add_u32 s14, s14, (.LBB1_3122-.Lpost_getpc12312)&4294967295
	s_addc_u32 s15, s15, (.LBB1_3122-.Lpost_getpc12312)>>32
	s_setpc_b64 s[14:15]
.LBB1_17460:
	v_cmp_ne_u16_e32 vcc, 0, v6
	s_andn2_b64 s[4:5], s[4:5], exec
	s_and_b64 s[8:9], vcc, exec
	v_mov_b32_e32 v2, 0
	s_or_b64 s[4:5], s[4:5], s[8:9]
	s_or_b64 exec, exec, s[6:7]
	s_and_saveexec_b64 s[6:7], s[4:5]
	s_cbranch_execz .LBB1_30233
; %bb.53299:
	s_getpc_b64 s[14:15]
.Lpost_getpc12313:
	s_add_u32 s14, s14, (.LBB1_3123-.Lpost_getpc12313)&4294967295
	s_addc_u32 s15, s15, (.LBB1_3123-.Lpost_getpc12313)>>32
	s_setpc_b64 s[14:15]
.LBB1_30233:
	s_getpc_b64 s[14:15]
.Lpost_getpc780:
	s_add_u32 s14, s14, (.LBB1_3124-.Lpost_getpc780)&4294967295
	s_addc_u32 s15, s15, (.LBB1_3124-.Lpost_getpc780)>>32
	s_setpc_b64 s[14:15]
.LBB1_17461:
	s_movk_i32 s4, 0x80
	v_cmp_eq_u16_e32 vcc, s4, v6
	s_mov_b64 s[4:5], -1
                                        ; implicit-def: $sgpr10
	s_and_saveexec_b64 s[8:9], vcc
; %bb.17462:
	s_mov_b32 s10, 0x7f800001
	s_xor_b64 s[4:5], exec, -1
; %bb.17463:
	s_or_b64 exec, exec, s[8:9]
	s_and_b64 s[4:5], s[4:5], exec
                                        ; implicit-def: $vgpr6
	s_or_saveexec_b64 s[6:7], s[6:7]
	v_mov_b32_e32 v12, s10
	s_xor_b64 exec, exec, s[6:7]
	s_cbranch_execnz .LBB1_17464
; %bb.53301:
	s_getpc_b64 s[14:15]
.Lpost_getpc12314:
	s_add_u32 s14, s14, (.LBB1_3126-.Lpost_getpc12314)&4294967295
	s_addc_u32 s15, s15, (.LBB1_3126-.Lpost_getpc12314)>>32
	s_setpc_b64 s[14:15]
.LBB1_17464:
	v_cmp_ne_u16_e32 vcc, 0, v6
	s_andn2_b64 s[4:5], s[4:5], exec
	s_and_b64 s[8:9], vcc, exec
	v_mov_b32_e32 v12, 0
	s_or_b64 s[4:5], s[4:5], s[8:9]
	s_or_b64 exec, exec, s[6:7]
	s_and_saveexec_b64 s[6:7], s[4:5]
	s_cbranch_execz .LBB1_30235
; %bb.53303:
	s_getpc_b64 s[14:15]
.Lpost_getpc12315:
	s_add_u32 s14, s14, (.LBB1_3127-.Lpost_getpc12315)&4294967295
	s_addc_u32 s15, s15, (.LBB1_3127-.Lpost_getpc12315)>>32
	s_setpc_b64 s[14:15]
.LBB1_30235:
	s_getpc_b64 s[14:15]
.Lpost_getpc781:
	s_add_u32 s14, s14, (.LBB1_3128-.Lpost_getpc781)&4294967295
	s_addc_u32 s15, s15, (.LBB1_3128-.Lpost_getpc781)>>32
	s_setpc_b64 s[14:15]
.LBB1_17465:
	s_movk_i32 s4, 0x80
	v_cmp_eq_u16_sdwa s[12:13], v7, s4 src0_sel:BYTE_3 src1_sel:DWORD
	s_mov_b64 s[4:5], -1
                                        ; implicit-def: $sgpr10
	s_and_saveexec_b64 s[8:9], s[12:13]
; %bb.17466:
	s_mov_b32 s10, 0x7f800001
	s_xor_b64 s[4:5], exec, -1
; %bb.17467:
	s_or_b64 exec, exec, s[8:9]
	s_and_b64 s[4:5], s[4:5], exec
	s_or_saveexec_b64 s[6:7], s[6:7]
	v_mov_b32_e32 v2, s10
	s_xor_b64 exec, exec, s[6:7]
	s_cbranch_execnz .LBB1_17468
; %bb.53305:
	s_getpc_b64 s[14:15]
.Lpost_getpc12316:
	s_add_u32 s14, s14, (.LBB1_3130-.Lpost_getpc12316)&4294967295
	s_addc_u32 s15, s15, (.LBB1_3130-.Lpost_getpc12316)>>32
	s_setpc_b64 s[14:15]
.LBB1_17468:
	v_mov_b32_e32 v2, 0
	v_cmp_ne_u16_sdwa s[8:9], v7, v2 src0_sel:BYTE_3 src1_sel:DWORD
	s_andn2_b64 s[4:5], s[4:5], exec
	s_and_b64 s[8:9], s[8:9], exec
	s_or_b64 s[4:5], s[4:5], s[8:9]
	s_or_b64 exec, exec, s[6:7]
	s_and_saveexec_b64 s[6:7], s[4:5]
	s_cbranch_execz .LBB1_30237
; %bb.53307:
	s_getpc_b64 s[14:15]
.Lpost_getpc12317:
	s_add_u32 s14, s14, (.LBB1_3131-.Lpost_getpc12317)&4294967295
	s_addc_u32 s15, s15, (.LBB1_3131-.Lpost_getpc12317)>>32
	s_setpc_b64 s[14:15]
.LBB1_30237:
	s_getpc_b64 s[14:15]
.Lpost_getpc782:
	s_add_u32 s14, s14, (.LBB1_3132-.Lpost_getpc782)&4294967295
	s_addc_u32 s15, s15, (.LBB1_3132-.Lpost_getpc782)>>32
	s_setpc_b64 s[14:15]
.LBB1_17469:
	s_movk_i32 s4, 0x80
	v_cmp_eq_u16_sdwa s[12:13], v3, s4 src0_sel:BYTE_3 src1_sel:DWORD
	s_mov_b64 s[4:5], -1
                                        ; implicit-def: $sgpr10
	s_and_saveexec_b64 s[8:9], s[12:13]
; %bb.17470:
	s_mov_b32 s10, 0x7f800001
	s_xor_b64 s[4:5], exec, -1
; %bb.17471:
	s_or_b64 exec, exec, s[8:9]
	s_and_b64 s[4:5], s[4:5], exec
	s_or_saveexec_b64 s[6:7], s[6:7]
	v_mov_b32_e32 v6, s10
	s_xor_b64 exec, exec, s[6:7]
	s_cbranch_execnz .LBB1_17472
; %bb.53309:
	s_getpc_b64 s[14:15]
.Lpost_getpc12318:
	s_add_u32 s14, s14, (.LBB1_3134-.Lpost_getpc12318)&4294967295
	s_addc_u32 s15, s15, (.LBB1_3134-.Lpost_getpc12318)>>32
	s_setpc_b64 s[14:15]
.LBB1_17472:
	v_mov_b32_e32 v6, 0
	v_cmp_ne_u16_sdwa s[8:9], v3, v6 src0_sel:BYTE_3 src1_sel:DWORD
	s_andn2_b64 s[4:5], s[4:5], exec
	s_and_b64 s[8:9], s[8:9], exec
	s_or_b64 s[4:5], s[4:5], s[8:9]
	s_or_b64 exec, exec, s[6:7]
	s_and_saveexec_b64 s[6:7], s[4:5]
	s_cbranch_execz .LBB1_30239
; %bb.53311:
	s_getpc_b64 s[14:15]
.Lpost_getpc12319:
	s_add_u32 s14, s14, (.LBB1_3135-.Lpost_getpc12319)&4294967295
	s_addc_u32 s15, s15, (.LBB1_3135-.Lpost_getpc12319)>>32
	s_setpc_b64 s[14:15]
.LBB1_30239:
	s_getpc_b64 s[14:15]
.Lpost_getpc783:
	s_add_u32 s14, s14, (.LBB1_3136-.Lpost_getpc783)&4294967295
	s_addc_u32 s15, s15, (.LBB1_3136-.Lpost_getpc783)>>32
	s_setpc_b64 s[14:15]
.LBB1_17473:
	s_movk_i32 s4, 0x80
	v_cmp_eq_u16_sdwa s[12:13], v8, s4 src0_sel:BYTE_0 src1_sel:DWORD
	s_mov_b64 s[4:5], -1
                                        ; implicit-def: $sgpr10
	s_and_saveexec_b64 s[8:9], s[12:13]
; %bb.17474:
	s_mov_b32 s10, 0x7f800001
	s_xor_b64 s[4:5], exec, -1
; %bb.17475:
	s_or_b64 exec, exec, s[8:9]
	s_and_b64 s[4:5], s[4:5], exec
	s_or_saveexec_b64 s[6:7], s[6:7]
	v_mov_b32_e32 v2, s10
	s_xor_b64 exec, exec, s[6:7]
	s_cbranch_execnz .LBB1_17476
; %bb.53313:
	s_getpc_b64 s[14:15]
.Lpost_getpc12320:
	s_add_u32 s14, s14, (.LBB1_3138-.Lpost_getpc12320)&4294967295
	s_addc_u32 s15, s15, (.LBB1_3138-.Lpost_getpc12320)>>32
	s_setpc_b64 s[14:15]
.LBB1_17476:
	v_mov_b32_e32 v2, 0
	v_cmp_ne_u16_sdwa s[8:9], v8, v2 src0_sel:BYTE_0 src1_sel:DWORD
	s_andn2_b64 s[4:5], s[4:5], exec
	s_and_b64 s[8:9], s[8:9], exec
	s_or_b64 s[4:5], s[4:5], s[8:9]
	s_or_b64 exec, exec, s[6:7]
	s_and_saveexec_b64 s[6:7], s[4:5]
	s_cbranch_execz .LBB1_30241
; %bb.53315:
	s_getpc_b64 s[14:15]
.Lpost_getpc12321:
	s_add_u32 s14, s14, (.LBB1_3139-.Lpost_getpc12321)&4294967295
	s_addc_u32 s15, s15, (.LBB1_3139-.Lpost_getpc12321)>>32
	s_setpc_b64 s[14:15]
.LBB1_30241:
	s_getpc_b64 s[14:15]
.Lpost_getpc784:
	s_add_u32 s14, s14, (.LBB1_3140-.Lpost_getpc784)&4294967295
	s_addc_u32 s15, s15, (.LBB1_3140-.Lpost_getpc784)>>32
	s_setpc_b64 s[14:15]
.LBB1_17477:
	s_movk_i32 s4, 0x80
	v_cmp_eq_u16_sdwa s[12:13], v4, s4 src0_sel:BYTE_0 src1_sel:DWORD
	s_mov_b64 s[4:5], -1
                                        ; implicit-def: $sgpr10
	s_and_saveexec_b64 s[8:9], s[12:13]
; %bb.17478:
	s_mov_b32 s10, 0x7f800001
	s_xor_b64 s[4:5], exec, -1
; %bb.17479:
	s_or_b64 exec, exec, s[8:9]
	s_and_b64 s[4:5], s[4:5], exec
	s_or_saveexec_b64 s[6:7], s[6:7]
	v_mov_b32_e32 v3, s10
	s_xor_b64 exec, exec, s[6:7]
	s_cbranch_execnz .LBB1_17480
; %bb.53317:
	s_getpc_b64 s[14:15]
.Lpost_getpc12322:
	s_add_u32 s14, s14, (.LBB1_3142-.Lpost_getpc12322)&4294967295
	s_addc_u32 s15, s15, (.LBB1_3142-.Lpost_getpc12322)>>32
	s_setpc_b64 s[14:15]
.LBB1_17480:
	v_mov_b32_e32 v3, 0
	v_cmp_ne_u16_sdwa s[8:9], v4, v3 src0_sel:BYTE_0 src1_sel:DWORD
	s_andn2_b64 s[4:5], s[4:5], exec
	s_and_b64 s[8:9], s[8:9], exec
	s_or_b64 s[4:5], s[4:5], s[8:9]
	s_or_b64 exec, exec, s[6:7]
	s_and_saveexec_b64 s[6:7], s[4:5]
	s_cbranch_execz .LBB1_30243
; %bb.53319:
	s_getpc_b64 s[14:15]
.Lpost_getpc12323:
	s_add_u32 s14, s14, (.LBB1_3143-.Lpost_getpc12323)&4294967295
	s_addc_u32 s15, s15, (.LBB1_3143-.Lpost_getpc12323)>>32
	s_setpc_b64 s[14:15]
.LBB1_30243:
	s_getpc_b64 s[14:15]
.Lpost_getpc785:
	s_add_u32 s14, s14, (.LBB1_3144-.Lpost_getpc785)&4294967295
	s_addc_u32 s15, s15, (.LBB1_3144-.Lpost_getpc785)>>32
	s_setpc_b64 s[14:15]
.LBB1_17481:
	s_movk_i32 s4, 0x80
	v_cmp_eq_u16_sdwa s[12:13], v3, s4 src0_sel:BYTE_0 src1_sel:DWORD
	s_mov_b64 s[4:5], -1
                                        ; implicit-def: $sgpr10
	s_and_saveexec_b64 s[8:9], s[12:13]
; %bb.17482:
	s_mov_b32 s10, 0x7f800001
	s_xor_b64 s[4:5], exec, -1
; %bb.17483:
	s_or_b64 exec, exec, s[8:9]
	s_and_b64 s[4:5], s[4:5], exec
	s_or_saveexec_b64 s[6:7], s[6:7]
	v_mov_b32_e32 v2, s10
	s_xor_b64 exec, exec, s[6:7]
	s_cbranch_execnz .LBB1_17484
; %bb.53321:
	s_getpc_b64 s[14:15]
.Lpost_getpc12324:
	s_add_u32 s14, s14, (.LBB1_3146-.Lpost_getpc12324)&4294967295
	s_addc_u32 s15, s15, (.LBB1_3146-.Lpost_getpc12324)>>32
	s_setpc_b64 s[14:15]
.LBB1_17484:
	v_mov_b32_e32 v2, 0
	v_cmp_ne_u16_sdwa s[8:9], v3, v2 src0_sel:BYTE_0 src1_sel:DWORD
	s_andn2_b64 s[4:5], s[4:5], exec
	s_and_b64 s[8:9], s[8:9], exec
	s_or_b64 s[4:5], s[4:5], s[8:9]
	s_or_b64 exec, exec, s[6:7]
	s_and_saveexec_b64 s[6:7], s[4:5]
	s_cbranch_execz .LBB1_30245
; %bb.53323:
	s_getpc_b64 s[14:15]
.Lpost_getpc12325:
	s_add_u32 s14, s14, (.LBB1_3147-.Lpost_getpc12325)&4294967295
	s_addc_u32 s15, s15, (.LBB1_3147-.Lpost_getpc12325)>>32
	s_setpc_b64 s[14:15]
.LBB1_30245:
	s_getpc_b64 s[14:15]
.Lpost_getpc786:
	s_add_u32 s14, s14, (.LBB1_3148-.Lpost_getpc786)&4294967295
	s_addc_u32 s15, s15, (.LBB1_3148-.Lpost_getpc786)>>32
	s_setpc_b64 s[14:15]
.LBB1_17485:
	s_movk_i32 s4, 0x80
	v_cmp_eq_u16_sdwa s[12:13], v3, s4 src0_sel:BYTE_0 src1_sel:DWORD
	s_mov_b64 s[4:5], -1
                                        ; implicit-def: $sgpr10
	s_and_saveexec_b64 s[8:9], s[12:13]
; %bb.17486:
	s_mov_b32 s10, 0x7f800001
	s_xor_b64 s[4:5], exec, -1
; %bb.17487:
	s_or_b64 exec, exec, s[8:9]
	s_and_b64 s[4:5], s[4:5], exec
	s_or_saveexec_b64 s[6:7], s[6:7]
	v_mov_b32_e32 v6, s10
	s_xor_b64 exec, exec, s[6:7]
	s_cbranch_execnz .LBB1_17488
; %bb.53325:
	s_getpc_b64 s[14:15]
.Lpost_getpc12326:
	s_add_u32 s14, s14, (.LBB1_3150-.Lpost_getpc12326)&4294967295
	s_addc_u32 s15, s15, (.LBB1_3150-.Lpost_getpc12326)>>32
	s_setpc_b64 s[14:15]
.LBB1_17488:
	v_mov_b32_e32 v6, 0
	v_cmp_ne_u16_sdwa s[8:9], v3, v6 src0_sel:BYTE_0 src1_sel:DWORD
	s_andn2_b64 s[4:5], s[4:5], exec
	s_and_b64 s[8:9], s[8:9], exec
	s_or_b64 s[4:5], s[4:5], s[8:9]
	s_or_b64 exec, exec, s[6:7]
	s_and_saveexec_b64 s[6:7], s[4:5]
	s_cbranch_execz .LBB1_30247
; %bb.53327:
	s_getpc_b64 s[14:15]
.Lpost_getpc12327:
	s_add_u32 s14, s14, (.LBB1_3151-.Lpost_getpc12327)&4294967295
	s_addc_u32 s15, s15, (.LBB1_3151-.Lpost_getpc12327)>>32
	s_setpc_b64 s[14:15]
.LBB1_30247:
	s_getpc_b64 s[14:15]
.Lpost_getpc787:
	s_add_u32 s14, s14, (.LBB1_3152-.Lpost_getpc787)&4294967295
	s_addc_u32 s15, s15, (.LBB1_3152-.Lpost_getpc787)>>32
	s_setpc_b64 s[14:15]
.LBB1_17489:
	s_movk_i32 s4, 0x80
	v_cmp_eq_u16_e32 vcc, s4, v3
	s_mov_b64 s[4:5], -1
                                        ; implicit-def: $sgpr10
	s_and_saveexec_b64 s[8:9], vcc
; %bb.17490:
	s_mov_b32 s10, 0x7f800001
	s_xor_b64 s[4:5], exec, -1
; %bb.17491:
	s_or_b64 exec, exec, s[8:9]
	s_and_b64 s[4:5], s[4:5], exec
                                        ; implicit-def: $vgpr3
	s_or_saveexec_b64 s[6:7], s[6:7]
	v_mov_b32_e32 v2, s10
	s_xor_b64 exec, exec, s[6:7]
	s_cbranch_execnz .LBB1_17492
; %bb.53329:
	s_getpc_b64 s[14:15]
.Lpost_getpc12328:
	s_add_u32 s14, s14, (.LBB1_3154-.Lpost_getpc12328)&4294967295
	s_addc_u32 s15, s15, (.LBB1_3154-.Lpost_getpc12328)>>32
	s_setpc_b64 s[14:15]
.LBB1_17492:
	v_cmp_ne_u16_e32 vcc, 0, v3
	s_andn2_b64 s[4:5], s[4:5], exec
	s_and_b64 s[8:9], vcc, exec
	v_mov_b32_e32 v2, 0
	s_or_b64 s[4:5], s[4:5], s[8:9]
	s_or_b64 exec, exec, s[6:7]
	s_and_saveexec_b64 s[6:7], s[4:5]
	s_cbranch_execz .LBB1_30249
; %bb.53331:
	s_getpc_b64 s[14:15]
.Lpost_getpc12329:
	s_add_u32 s14, s14, (.LBB1_3155-.Lpost_getpc12329)&4294967295
	s_addc_u32 s15, s15, (.LBB1_3155-.Lpost_getpc12329)>>32
	s_setpc_b64 s[14:15]
.LBB1_30249:
	s_getpc_b64 s[14:15]
.Lpost_getpc788:
	s_add_u32 s14, s14, (.LBB1_3156-.Lpost_getpc788)&4294967295
	s_addc_u32 s15, s15, (.LBB1_3156-.Lpost_getpc788)>>32
	s_setpc_b64 s[14:15]
.LBB1_17493:
	s_movk_i32 s4, 0x80
	v_cmp_eq_u16_e32 vcc, s4, v3
	s_mov_b64 s[4:5], -1
                                        ; implicit-def: $sgpr10
	s_and_saveexec_b64 s[8:9], vcc
; %bb.17494:
	s_mov_b32 s10, 0x7f800001
	s_xor_b64 s[4:5], exec, -1
; %bb.17495:
	s_or_b64 exec, exec, s[8:9]
	s_and_b64 s[4:5], s[4:5], exec
                                        ; implicit-def: $vgpr3
	s_or_saveexec_b64 s[6:7], s[6:7]
	v_mov_b32_e32 v6, s10
	s_xor_b64 exec, exec, s[6:7]
	s_cbranch_execnz .LBB1_17496
; %bb.53333:
	s_getpc_b64 s[14:15]
.Lpost_getpc12330:
	s_add_u32 s14, s14, (.LBB1_3158-.Lpost_getpc12330)&4294967295
	s_addc_u32 s15, s15, (.LBB1_3158-.Lpost_getpc12330)>>32
	s_setpc_b64 s[14:15]
.LBB1_17496:
	v_cmp_ne_u16_e32 vcc, 0, v3
	s_andn2_b64 s[4:5], s[4:5], exec
	s_and_b64 s[8:9], vcc, exec
	v_mov_b32_e32 v6, 0
	s_or_b64 s[4:5], s[4:5], s[8:9]
	s_or_b64 exec, exec, s[6:7]
	s_and_saveexec_b64 s[6:7], s[4:5]
	s_cbranch_execz .LBB1_30251
; %bb.53335:
	s_getpc_b64 s[14:15]
.Lpost_getpc12331:
	s_add_u32 s14, s14, (.LBB1_3159-.Lpost_getpc12331)&4294967295
	s_addc_u32 s15, s15, (.LBB1_3159-.Lpost_getpc12331)>>32
	s_setpc_b64 s[14:15]
.LBB1_30251:
	s_getpc_b64 s[14:15]
.Lpost_getpc789:
	s_add_u32 s14, s14, (.LBB1_3160-.Lpost_getpc789)&4294967295
	s_addc_u32 s15, s15, (.LBB1_3160-.Lpost_getpc789)>>32
	s_setpc_b64 s[14:15]
.LBB1_17497:
	s_movk_i32 s4, 0x80
	v_cmp_eq_u16_sdwa s[12:13], v8, s4 src0_sel:BYTE_3 src1_sel:DWORD
	s_mov_b64 s[4:5], -1
                                        ; implicit-def: $sgpr10
	s_and_saveexec_b64 s[8:9], s[12:13]
; %bb.17498:
	s_mov_b32 s10, 0x7f800001
	s_xor_b64 s[4:5], exec, -1
; %bb.17499:
	s_or_b64 exec, exec, s[8:9]
	s_and_b64 s[4:5], s[4:5], exec
	s_or_saveexec_b64 s[6:7], s[6:7]
	v_mov_b32_e32 v2, s10
	s_xor_b64 exec, exec, s[6:7]
	s_cbranch_execnz .LBB1_17500
; %bb.53337:
	s_getpc_b64 s[14:15]
.Lpost_getpc12332:
	s_add_u32 s14, s14, (.LBB1_3162-.Lpost_getpc12332)&4294967295
	s_addc_u32 s15, s15, (.LBB1_3162-.Lpost_getpc12332)>>32
	s_setpc_b64 s[14:15]
.LBB1_17500:
	v_mov_b32_e32 v2, 0
	v_cmp_ne_u16_sdwa s[8:9], v8, v2 src0_sel:BYTE_3 src1_sel:DWORD
	s_andn2_b64 s[4:5], s[4:5], exec
	s_and_b64 s[8:9], s[8:9], exec
	s_or_b64 s[4:5], s[4:5], s[8:9]
	s_or_b64 exec, exec, s[6:7]
	s_and_saveexec_b64 s[6:7], s[4:5]
	s_cbranch_execz .LBB1_30253
; %bb.53339:
	s_getpc_b64 s[14:15]
.Lpost_getpc12333:
	s_add_u32 s14, s14, (.LBB1_3163-.Lpost_getpc12333)&4294967295
	s_addc_u32 s15, s15, (.LBB1_3163-.Lpost_getpc12333)>>32
	s_setpc_b64 s[14:15]
.LBB1_30253:
	s_getpc_b64 s[14:15]
.Lpost_getpc790:
	s_add_u32 s14, s14, (.LBB1_3164-.Lpost_getpc790)&4294967295
	s_addc_u32 s15, s15, (.LBB1_3164-.Lpost_getpc790)>>32
	s_setpc_b64 s[14:15]
.LBB1_17501:
	s_movk_i32 s4, 0x80
	v_cmp_eq_u16_sdwa s[12:13], v4, s4 src0_sel:BYTE_3 src1_sel:DWORD
	s_mov_b64 s[4:5], -1
                                        ; implicit-def: $sgpr10
	s_and_saveexec_b64 s[8:9], s[12:13]
; %bb.17502:
	s_mov_b32 s10, 0x7f800001
	s_xor_b64 s[4:5], exec, -1
; %bb.17503:
	s_or_b64 exec, exec, s[8:9]
	s_and_b64 s[4:5], s[4:5], exec
	s_or_saveexec_b64 s[6:7], s[6:7]
	v_mov_b32_e32 v3, s10
	s_xor_b64 exec, exec, s[6:7]
	s_cbranch_execnz .LBB1_17504
; %bb.53341:
	s_getpc_b64 s[14:15]
.Lpost_getpc12334:
	s_add_u32 s14, s14, (.LBB1_3166-.Lpost_getpc12334)&4294967295
	s_addc_u32 s15, s15, (.LBB1_3166-.Lpost_getpc12334)>>32
	s_setpc_b64 s[14:15]
.LBB1_17504:
	v_mov_b32_e32 v3, 0
	v_cmp_ne_u16_sdwa s[8:9], v4, v3 src0_sel:BYTE_3 src1_sel:DWORD
	s_andn2_b64 s[4:5], s[4:5], exec
	s_and_b64 s[8:9], s[8:9], exec
	s_or_b64 s[4:5], s[4:5], s[8:9]
	s_or_b64 exec, exec, s[6:7]
	s_and_saveexec_b64 s[6:7], s[4:5]
	s_cbranch_execz .LBB1_30255
; %bb.53343:
	s_getpc_b64 s[14:15]
.Lpost_getpc12335:
	s_add_u32 s14, s14, (.LBB1_3167-.Lpost_getpc12335)&4294967295
	s_addc_u32 s15, s15, (.LBB1_3167-.Lpost_getpc12335)>>32
	s_setpc_b64 s[14:15]
.LBB1_30255:
	s_getpc_b64 s[14:15]
.Lpost_getpc791:
	s_add_u32 s14, s14, (.LBB1_3168-.Lpost_getpc791)&4294967295
	s_addc_u32 s15, s15, (.LBB1_3168-.Lpost_getpc791)>>32
	s_setpc_b64 s[14:15]
.LBB1_17505:
	s_movk_i32 s4, 0x80
	v_cmp_eq_u16_sdwa s[12:13], v9, s4 src0_sel:BYTE_0 src1_sel:DWORD
	s_mov_b64 s[4:5], -1
                                        ; implicit-def: $sgpr10
	s_and_saveexec_b64 s[8:9], s[12:13]
; %bb.17506:
	s_mov_b32 s10, 0x7f800001
	s_xor_b64 s[4:5], exec, -1
; %bb.17507:
	s_or_b64 exec, exec, s[8:9]
	s_and_b64 s[4:5], s[4:5], exec
	s_or_saveexec_b64 s[6:7], s[6:7]
	v_mov_b32_e32 v2, s10
	s_xor_b64 exec, exec, s[6:7]
	s_cbranch_execnz .LBB1_17508
; %bb.53345:
	s_getpc_b64 s[14:15]
.Lpost_getpc12336:
	s_add_u32 s14, s14, (.LBB1_3170-.Lpost_getpc12336)&4294967295
	s_addc_u32 s15, s15, (.LBB1_3170-.Lpost_getpc12336)>>32
	s_setpc_b64 s[14:15]
.LBB1_17508:
	v_mov_b32_e32 v2, 0
	v_cmp_ne_u16_sdwa s[8:9], v9, v2 src0_sel:BYTE_0 src1_sel:DWORD
	s_andn2_b64 s[4:5], s[4:5], exec
	s_and_b64 s[8:9], s[8:9], exec
	s_or_b64 s[4:5], s[4:5], s[8:9]
	s_or_b64 exec, exec, s[6:7]
	s_and_saveexec_b64 s[6:7], s[4:5]
	s_cbranch_execz .LBB1_30257
; %bb.53347:
	s_getpc_b64 s[14:15]
.Lpost_getpc12337:
	s_add_u32 s14, s14, (.LBB1_3171-.Lpost_getpc12337)&4294967295
	s_addc_u32 s15, s15, (.LBB1_3171-.Lpost_getpc12337)>>32
	s_setpc_b64 s[14:15]
.LBB1_30257:
	s_getpc_b64 s[14:15]
.Lpost_getpc792:
	s_add_u32 s14, s14, (.LBB1_3172-.Lpost_getpc792)&4294967295
	s_addc_u32 s15, s15, (.LBB1_3172-.Lpost_getpc792)>>32
	s_setpc_b64 s[14:15]
.LBB1_17509:
	s_movk_i32 s4, 0x80
	v_cmp_eq_u16_sdwa s[12:13], v5, s4 src0_sel:BYTE_0 src1_sel:DWORD
	s_mov_b64 s[4:5], -1
                                        ; implicit-def: $sgpr10
	s_and_saveexec_b64 s[8:9], s[12:13]
; %bb.17510:
	s_mov_b32 s10, 0x7f800001
	s_xor_b64 s[4:5], exec, -1
; %bb.17511:
	s_or_b64 exec, exec, s[8:9]
	s_and_b64 s[4:5], s[4:5], exec
	s_or_saveexec_b64 s[6:7], s[6:7]
	v_mov_b32_e32 v3, s10
	s_xor_b64 exec, exec, s[6:7]
	s_cbranch_execnz .LBB1_17512
; %bb.53349:
	s_getpc_b64 s[14:15]
.Lpost_getpc12338:
	s_add_u32 s14, s14, (.LBB1_3174-.Lpost_getpc12338)&4294967295
	s_addc_u32 s15, s15, (.LBB1_3174-.Lpost_getpc12338)>>32
	s_setpc_b64 s[14:15]
.LBB1_17512:
	v_mov_b32_e32 v3, 0
	v_cmp_ne_u16_sdwa s[8:9], v5, v3 src0_sel:BYTE_0 src1_sel:DWORD
	s_andn2_b64 s[4:5], s[4:5], exec
	s_and_b64 s[8:9], s[8:9], exec
	s_or_b64 s[4:5], s[4:5], s[8:9]
	s_or_b64 exec, exec, s[6:7]
	s_and_saveexec_b64 s[6:7], s[4:5]
	s_cbranch_execz .LBB1_30259
; %bb.53351:
	s_getpc_b64 s[14:15]
.Lpost_getpc12339:
	s_add_u32 s14, s14, (.LBB1_3175-.Lpost_getpc12339)&4294967295
	s_addc_u32 s15, s15, (.LBB1_3175-.Lpost_getpc12339)>>32
	s_setpc_b64 s[14:15]
.LBB1_30259:
	s_getpc_b64 s[14:15]
.Lpost_getpc793:
	s_add_u32 s14, s14, (.LBB1_3176-.Lpost_getpc793)&4294967295
	s_addc_u32 s15, s15, (.LBB1_3176-.Lpost_getpc793)>>32
	s_setpc_b64 s[14:15]
.LBB1_17513:
	s_movk_i32 s4, 0x80
	v_cmp_eq_u16_sdwa s[12:13], v3, s4 src0_sel:BYTE_0 src1_sel:DWORD
	s_mov_b64 s[4:5], -1
                                        ; implicit-def: $sgpr10
	s_and_saveexec_b64 s[8:9], s[12:13]
; %bb.17514:
	s_mov_b32 s10, 0x7f800001
	s_xor_b64 s[4:5], exec, -1
; %bb.17515:
	s_or_b64 exec, exec, s[8:9]
	s_and_b64 s[4:5], s[4:5], exec
	s_or_saveexec_b64 s[6:7], s[6:7]
	v_mov_b32_e32 v2, s10
	s_xor_b64 exec, exec, s[6:7]
	s_cbranch_execnz .LBB1_17516
; %bb.53353:
	s_getpc_b64 s[14:15]
.Lpost_getpc12340:
	s_add_u32 s14, s14, (.LBB1_3178-.Lpost_getpc12340)&4294967295
	s_addc_u32 s15, s15, (.LBB1_3178-.Lpost_getpc12340)>>32
	s_setpc_b64 s[14:15]
.LBB1_17516:
	v_mov_b32_e32 v2, 0
	v_cmp_ne_u16_sdwa s[8:9], v3, v2 src0_sel:BYTE_0 src1_sel:DWORD
	s_andn2_b64 s[4:5], s[4:5], exec
	s_and_b64 s[8:9], s[8:9], exec
	s_or_b64 s[4:5], s[4:5], s[8:9]
	s_or_b64 exec, exec, s[6:7]
	s_and_saveexec_b64 s[6:7], s[4:5]
	s_cbranch_execz .LBB1_30261
; %bb.53355:
	s_getpc_b64 s[14:15]
.Lpost_getpc12341:
	s_add_u32 s14, s14, (.LBB1_3179-.Lpost_getpc12341)&4294967295
	s_addc_u32 s15, s15, (.LBB1_3179-.Lpost_getpc12341)>>32
	s_setpc_b64 s[14:15]
.LBB1_30261:
	s_getpc_b64 s[14:15]
.Lpost_getpc794:
	s_add_u32 s14, s14, (.LBB1_3180-.Lpost_getpc794)&4294967295
	s_addc_u32 s15, s15, (.LBB1_3180-.Lpost_getpc794)>>32
	s_setpc_b64 s[14:15]
.LBB1_17517:
	s_movk_i32 s4, 0x80
	v_cmp_eq_u16_sdwa s[12:13], v3, s4 src0_sel:BYTE_0 src1_sel:DWORD
	s_mov_b64 s[4:5], -1
                                        ; implicit-def: $sgpr10
	s_and_saveexec_b64 s[8:9], s[12:13]
; %bb.17518:
	s_mov_b32 s10, 0x7f800001
	s_xor_b64 s[4:5], exec, -1
; %bb.17519:
	s_or_b64 exec, exec, s[8:9]
	s_and_b64 s[4:5], s[4:5], exec
	s_or_saveexec_b64 s[6:7], s[6:7]
	v_mov_b32_e32 v4, s10
	s_xor_b64 exec, exec, s[6:7]
	s_cbranch_execnz .LBB1_17520
; %bb.53357:
	s_getpc_b64 s[14:15]
.Lpost_getpc12342:
	s_add_u32 s14, s14, (.LBB1_3182-.Lpost_getpc12342)&4294967295
	s_addc_u32 s15, s15, (.LBB1_3182-.Lpost_getpc12342)>>32
	s_setpc_b64 s[14:15]
.LBB1_17520:
	v_mov_b32_e32 v4, 0
	v_cmp_ne_u16_sdwa s[8:9], v3, v4 src0_sel:BYTE_0 src1_sel:DWORD
	s_andn2_b64 s[4:5], s[4:5], exec
	s_and_b64 s[8:9], s[8:9], exec
	s_or_b64 s[4:5], s[4:5], s[8:9]
	s_or_b64 exec, exec, s[6:7]
	s_and_saveexec_b64 s[6:7], s[4:5]
	s_cbranch_execz .LBB1_30263
; %bb.53359:
	s_getpc_b64 s[14:15]
.Lpost_getpc12343:
	s_add_u32 s14, s14, (.LBB1_3183-.Lpost_getpc12343)&4294967295
	s_addc_u32 s15, s15, (.LBB1_3183-.Lpost_getpc12343)>>32
	s_setpc_b64 s[14:15]
.LBB1_30263:
	s_getpc_b64 s[14:15]
.Lpost_getpc795:
	s_add_u32 s14, s14, (.LBB1_3184-.Lpost_getpc795)&4294967295
	s_addc_u32 s15, s15, (.LBB1_3184-.Lpost_getpc795)>>32
	s_setpc_b64 s[14:15]
.LBB1_17521:
	s_movk_i32 s4, 0x80
	v_cmp_eq_u16_e32 vcc, s4, v3
	s_mov_b64 s[4:5], -1
                                        ; implicit-def: $sgpr10
	s_and_saveexec_b64 s[8:9], vcc
; %bb.17522:
	s_mov_b32 s10, 0x7f800001
	s_xor_b64 s[4:5], exec, -1
; %bb.17523:
	s_or_b64 exec, exec, s[8:9]
	s_and_b64 s[4:5], s[4:5], exec
                                        ; implicit-def: $vgpr3
	s_or_saveexec_b64 s[6:7], s[6:7]
	v_mov_b32_e32 v2, s10
	s_xor_b64 exec, exec, s[6:7]
	s_cbranch_execnz .LBB1_17524
; %bb.53361:
	s_getpc_b64 s[14:15]
.Lpost_getpc12344:
	s_add_u32 s14, s14, (.LBB1_3186-.Lpost_getpc12344)&4294967295
	s_addc_u32 s15, s15, (.LBB1_3186-.Lpost_getpc12344)>>32
	s_setpc_b64 s[14:15]
.LBB1_17524:
	v_cmp_ne_u16_e32 vcc, 0, v3
	s_andn2_b64 s[4:5], s[4:5], exec
	s_and_b64 s[8:9], vcc, exec
	v_mov_b32_e32 v2, 0
	s_or_b64 s[4:5], s[4:5], s[8:9]
	s_or_b64 exec, exec, s[6:7]
	s_and_saveexec_b64 s[6:7], s[4:5]
	s_cbranch_execz .LBB1_30265
; %bb.53363:
	s_getpc_b64 s[14:15]
.Lpost_getpc12345:
	s_add_u32 s14, s14, (.LBB1_3187-.Lpost_getpc12345)&4294967295
	s_addc_u32 s15, s15, (.LBB1_3187-.Lpost_getpc12345)>>32
	s_setpc_b64 s[14:15]
.LBB1_30265:
	s_getpc_b64 s[14:15]
.Lpost_getpc796:
	s_add_u32 s14, s14, (.LBB1_3188-.Lpost_getpc796)&4294967295
	s_addc_u32 s15, s15, (.LBB1_3188-.Lpost_getpc796)>>32
	s_setpc_b64 s[14:15]
.LBB1_17525:
	s_movk_i32 s4, 0x80
	v_cmp_eq_u16_e32 vcc, s4, v3
	s_mov_b64 s[4:5], -1
                                        ; implicit-def: $sgpr10
	s_and_saveexec_b64 s[8:9], vcc
; %bb.17526:
	s_mov_b32 s10, 0x7f800001
	s_xor_b64 s[4:5], exec, -1
; %bb.17527:
	s_or_b64 exec, exec, s[8:9]
	s_and_b64 s[4:5], s[4:5], exec
                                        ; implicit-def: $vgpr3
	s_or_saveexec_b64 s[6:7], s[6:7]
	v_mov_b32_e32 v4, s10
	s_xor_b64 exec, exec, s[6:7]
	s_cbranch_execnz .LBB1_17528
; %bb.53365:
	s_getpc_b64 s[14:15]
.Lpost_getpc12346:
	s_add_u32 s14, s14, (.LBB1_3190-.Lpost_getpc12346)&4294967295
	s_addc_u32 s15, s15, (.LBB1_3190-.Lpost_getpc12346)>>32
	s_setpc_b64 s[14:15]
.LBB1_17528:
	v_cmp_ne_u16_e32 vcc, 0, v3
	s_andn2_b64 s[4:5], s[4:5], exec
	s_and_b64 s[8:9], vcc, exec
	v_mov_b32_e32 v4, 0
	s_or_b64 s[4:5], s[4:5], s[8:9]
	s_or_b64 exec, exec, s[6:7]
	s_and_saveexec_b64 s[6:7], s[4:5]
	s_cbranch_execz .LBB1_30267
; %bb.53367:
	s_getpc_b64 s[14:15]
.Lpost_getpc12347:
	s_add_u32 s14, s14, (.LBB1_3191-.Lpost_getpc12347)&4294967295
	s_addc_u32 s15, s15, (.LBB1_3191-.Lpost_getpc12347)>>32
	s_setpc_b64 s[14:15]
.LBB1_30267:
	s_getpc_b64 s[14:15]
.Lpost_getpc797:
	s_add_u32 s14, s14, (.LBB1_3192-.Lpost_getpc797)&4294967295
	s_addc_u32 s15, s15, (.LBB1_3192-.Lpost_getpc797)>>32
	s_setpc_b64 s[14:15]
.LBB1_17529:
	s_movk_i32 s4, 0x80
	v_cmp_eq_u16_sdwa s[12:13], v9, s4 src0_sel:BYTE_3 src1_sel:DWORD
	s_mov_b64 s[4:5], -1
                                        ; implicit-def: $sgpr10
	s_and_saveexec_b64 s[8:9], s[12:13]
; %bb.17530:
	s_mov_b32 s10, 0x7f800001
	s_xor_b64 s[4:5], exec, -1
; %bb.17531:
	s_or_b64 exec, exec, s[8:9]
	s_and_b64 s[4:5], s[4:5], exec
	s_or_saveexec_b64 s[6:7], s[6:7]
	v_mov_b32_e32 v2, s10
	s_xor_b64 exec, exec, s[6:7]
	s_cbranch_execnz .LBB1_17532
; %bb.53369:
	s_getpc_b64 s[14:15]
.Lpost_getpc12348:
	s_add_u32 s14, s14, (.LBB1_3194-.Lpost_getpc12348)&4294967295
	s_addc_u32 s15, s15, (.LBB1_3194-.Lpost_getpc12348)>>32
	s_setpc_b64 s[14:15]
.LBB1_17532:
	v_mov_b32_e32 v2, 0
	v_cmp_ne_u16_sdwa s[8:9], v9, v2 src0_sel:BYTE_3 src1_sel:DWORD
	s_andn2_b64 s[4:5], s[4:5], exec
	s_and_b64 s[8:9], s[8:9], exec
	s_or_b64 s[4:5], s[4:5], s[8:9]
	s_or_b64 exec, exec, s[6:7]
	s_and_saveexec_b64 s[6:7], s[4:5]
	s_cbranch_execz .LBB1_30269
; %bb.53371:
	s_getpc_b64 s[14:15]
.Lpost_getpc12349:
	s_add_u32 s14, s14, (.LBB1_3195-.Lpost_getpc12349)&4294967295
	s_addc_u32 s15, s15, (.LBB1_3195-.Lpost_getpc12349)>>32
	s_setpc_b64 s[14:15]
.LBB1_30269:
	s_getpc_b64 s[14:15]
.Lpost_getpc798:
	s_add_u32 s14, s14, (.LBB1_3196-.Lpost_getpc798)&4294967295
	s_addc_u32 s15, s15, (.LBB1_3196-.Lpost_getpc798)>>32
	s_setpc_b64 s[14:15]
.LBB1_17533:
	s_movk_i32 s4, 0x80
	v_cmp_eq_u16_sdwa s[12:13], v5, s4 src0_sel:BYTE_3 src1_sel:DWORD
	s_mov_b64 s[4:5], -1
                                        ; implicit-def: $sgpr10
	s_and_saveexec_b64 s[8:9], s[12:13]
; %bb.17534:
	s_mov_b32 s10, 0x7f800001
	s_xor_b64 s[4:5], exec, -1
; %bb.17535:
	s_or_b64 exec, exec, s[8:9]
	s_and_b64 s[4:5], s[4:5], exec
	s_or_saveexec_b64 s[6:7], s[6:7]
	v_mov_b32_e32 v3, s10
	s_xor_b64 exec, exec, s[6:7]
	s_cbranch_execnz .LBB1_17536
; %bb.53373:
	s_getpc_b64 s[14:15]
.Lpost_getpc12350:
	s_add_u32 s14, s14, (.LBB1_3198-.Lpost_getpc12350)&4294967295
	s_addc_u32 s15, s15, (.LBB1_3198-.Lpost_getpc12350)>>32
	s_setpc_b64 s[14:15]
.LBB1_17536:
	v_mov_b32_e32 v3, 0
	v_cmp_ne_u16_sdwa s[8:9], v5, v3 src0_sel:BYTE_3 src1_sel:DWORD
	s_andn2_b64 s[4:5], s[4:5], exec
	s_and_b64 s[8:9], s[8:9], exec
	s_or_b64 s[4:5], s[4:5], s[8:9]
	s_or_b64 exec, exec, s[6:7]
	s_and_saveexec_b64 s[6:7], s[4:5]
	s_cbranch_execz .LBB1_30271
; %bb.53375:
	s_getpc_b64 s[14:15]
.Lpost_getpc12351:
	s_add_u32 s14, s14, (.LBB1_3199-.Lpost_getpc12351)&4294967295
	s_addc_u32 s15, s15, (.LBB1_3199-.Lpost_getpc12351)>>32
	s_setpc_b64 s[14:15]
.LBB1_30271:
	s_getpc_b64 s[14:15]
.Lpost_getpc799:
	s_add_u32 s14, s14, (.LBB1_3200-.Lpost_getpc799)&4294967295
	s_addc_u32 s15, s15, (.LBB1_3200-.Lpost_getpc799)>>32
	s_setpc_b64 s[14:15]
.LBB1_17537:
	s_movk_i32 s4, 0x80
	v_cmp_eq_u16_sdwa s[12:13], v6, s4 src0_sel:BYTE_0 src1_sel:DWORD
	s_mov_b64 s[4:5], -1
                                        ; implicit-def: $sgpr10
	s_and_saveexec_b64 s[8:9], s[12:13]
; %bb.17538:
	s_mov_b32 s10, 0x7f800001
	s_xor_b64 s[4:5], exec, -1
; %bb.17539:
	s_or_b64 exec, exec, s[8:9]
	s_and_b64 s[4:5], s[4:5], exec
	s_or_saveexec_b64 s[6:7], s[6:7]
	v_mov_b32_e32 v12, s10
	s_xor_b64 exec, exec, s[6:7]
	s_cbranch_execnz .LBB1_17540
; %bb.53377:
	s_getpc_b64 s[14:15]
.Lpost_getpc12352:
	s_add_u32 s14, s14, (.LBB1_3202-.Lpost_getpc12352)&4294967295
	s_addc_u32 s15, s15, (.LBB1_3202-.Lpost_getpc12352)>>32
	s_setpc_b64 s[14:15]
.LBB1_17540:
	v_mov_b32_e32 v12, 0
	v_cmp_ne_u16_sdwa s[8:9], v6, v12 src0_sel:BYTE_0 src1_sel:DWORD
	s_andn2_b64 s[4:5], s[4:5], exec
	s_and_b64 s[8:9], s[8:9], exec
	s_or_b64 s[4:5], s[4:5], s[8:9]
	s_or_b64 exec, exec, s[6:7]
	s_and_saveexec_b64 s[6:7], s[4:5]
	s_cbranch_execz .LBB1_30273
; %bb.53379:
	s_getpc_b64 s[14:15]
.Lpost_getpc12353:
	s_add_u32 s14, s14, (.LBB1_3203-.Lpost_getpc12353)&4294967295
	s_addc_u32 s15, s15, (.LBB1_3203-.Lpost_getpc12353)>>32
	s_setpc_b64 s[14:15]
.LBB1_30273:
	s_getpc_b64 s[14:15]
.Lpost_getpc800:
	s_add_u32 s14, s14, (.LBB1_3204-.Lpost_getpc800)&4294967295
	s_addc_u32 s15, s15, (.LBB1_3204-.Lpost_getpc800)>>32
	s_setpc_b64 s[14:15]
.LBB1_17541:
	s_movk_i32 s4, 0x80
	v_cmp_eq_u16_sdwa s[12:13], v2, s4 src0_sel:BYTE_0 src1_sel:DWORD
	s_mov_b64 s[4:5], -1
                                        ; implicit-def: $sgpr10
	s_and_saveexec_b64 s[8:9], s[12:13]
; %bb.17542:
	s_mov_b32 s10, 0x7f800001
	s_xor_b64 s[4:5], exec, -1
; %bb.17543:
	s_or_b64 exec, exec, s[8:9]
	s_and_b64 s[4:5], s[4:5], exec
	s_or_saveexec_b64 s[6:7], s[6:7]
	v_mov_b32_e32 v13, s10
	s_xor_b64 exec, exec, s[6:7]
	s_cbranch_execnz .LBB1_17544
; %bb.53381:
	s_getpc_b64 s[14:15]
.Lpost_getpc12354:
	s_add_u32 s14, s14, (.LBB1_3206-.Lpost_getpc12354)&4294967295
	s_addc_u32 s15, s15, (.LBB1_3206-.Lpost_getpc12354)>>32
	s_setpc_b64 s[14:15]
.LBB1_17544:
	v_mov_b32_e32 v13, 0
	v_cmp_ne_u16_sdwa s[8:9], v2, v13 src0_sel:BYTE_0 src1_sel:DWORD
	s_andn2_b64 s[4:5], s[4:5], exec
	s_and_b64 s[8:9], s[8:9], exec
	s_or_b64 s[4:5], s[4:5], s[8:9]
	s_or_b64 exec, exec, s[6:7]
	s_and_saveexec_b64 s[6:7], s[4:5]
	s_cbranch_execz .LBB1_30275
; %bb.53383:
	s_getpc_b64 s[14:15]
.Lpost_getpc12355:
	s_add_u32 s14, s14, (.LBB1_3207-.Lpost_getpc12355)&4294967295
	s_addc_u32 s15, s15, (.LBB1_3207-.Lpost_getpc12355)>>32
	s_setpc_b64 s[14:15]
.LBB1_30275:
	s_getpc_b64 s[14:15]
.Lpost_getpc801:
	s_add_u32 s14, s14, (.LBB1_3208-.Lpost_getpc801)&4294967295
	s_addc_u32 s15, s15, (.LBB1_3208-.Lpost_getpc801)>>32
	s_setpc_b64 s[14:15]
.LBB1_17545:
	s_movk_i32 s4, 0x80
	v_cmp_eq_u16_sdwa s[12:13], v13, s4 src0_sel:BYTE_0 src1_sel:DWORD
	s_mov_b64 s[4:5], -1
                                        ; implicit-def: $sgpr10
	s_and_saveexec_b64 s[8:9], s[12:13]
; %bb.17546:
	s_mov_b32 s10, 0x7f800001
	s_xor_b64 s[4:5], exec, -1
; %bb.17547:
	s_or_b64 exec, exec, s[8:9]
	s_and_b64 s[4:5], s[4:5], exec
	s_or_saveexec_b64 s[6:7], s[6:7]
	v_mov_b32_e32 v12, s10
	s_xor_b64 exec, exec, s[6:7]
	s_cbranch_execnz .LBB1_17548
; %bb.53385:
	s_getpc_b64 s[14:15]
.Lpost_getpc12356:
	s_add_u32 s14, s14, (.LBB1_3210-.Lpost_getpc12356)&4294967295
	s_addc_u32 s15, s15, (.LBB1_3210-.Lpost_getpc12356)>>32
	s_setpc_b64 s[14:15]
.LBB1_17548:
	v_mov_b32_e32 v12, 0
	v_cmp_ne_u16_sdwa s[8:9], v13, v12 src0_sel:BYTE_0 src1_sel:DWORD
	s_andn2_b64 s[4:5], s[4:5], exec
	s_and_b64 s[8:9], s[8:9], exec
	s_or_b64 s[4:5], s[4:5], s[8:9]
	s_or_b64 exec, exec, s[6:7]
	s_and_saveexec_b64 s[6:7], s[4:5]
	s_cbranch_execz .LBB1_30277
; %bb.53387:
	s_getpc_b64 s[14:15]
.Lpost_getpc12357:
	s_add_u32 s14, s14, (.LBB1_3211-.Lpost_getpc12357)&4294967295
	s_addc_u32 s15, s15, (.LBB1_3211-.Lpost_getpc12357)>>32
	s_setpc_b64 s[14:15]
.LBB1_30277:
	s_getpc_b64 s[14:15]
.Lpost_getpc802:
	s_add_u32 s14, s14, (.LBB1_3212-.Lpost_getpc802)&4294967295
	s_addc_u32 s15, s15, (.LBB1_3212-.Lpost_getpc802)>>32
	s_setpc_b64 s[14:15]
.LBB1_17549:
	s_movk_i32 s4, 0x80
	v_cmp_eq_u16_sdwa s[12:13], v13, s4 src0_sel:BYTE_0 src1_sel:DWORD
	s_mov_b64 s[4:5], -1
                                        ; implicit-def: $sgpr10
	s_and_saveexec_b64 s[8:9], s[12:13]
; %bb.17550:
	s_mov_b32 s10, 0x7f800001
	s_xor_b64 s[4:5], exec, -1
; %bb.17551:
	s_or_b64 exec, exec, s[8:9]
	s_and_b64 s[4:5], s[4:5], exec
	s_or_saveexec_b64 s[6:7], s[6:7]
	v_mov_b32_e32 v14, s10
	s_xor_b64 exec, exec, s[6:7]
	s_cbranch_execnz .LBB1_17552
; %bb.53389:
	s_getpc_b64 s[14:15]
.Lpost_getpc12358:
	s_add_u32 s14, s14, (.LBB1_3214-.Lpost_getpc12358)&4294967295
	s_addc_u32 s15, s15, (.LBB1_3214-.Lpost_getpc12358)>>32
	s_setpc_b64 s[14:15]
.LBB1_17552:
	v_mov_b32_e32 v14, 0
	v_cmp_ne_u16_sdwa s[8:9], v13, v14 src0_sel:BYTE_0 src1_sel:DWORD
	s_andn2_b64 s[4:5], s[4:5], exec
	s_and_b64 s[8:9], s[8:9], exec
	s_or_b64 s[4:5], s[4:5], s[8:9]
	s_or_b64 exec, exec, s[6:7]
	s_and_saveexec_b64 s[6:7], s[4:5]
	s_cbranch_execz .LBB1_30279
; %bb.53391:
	s_getpc_b64 s[14:15]
.Lpost_getpc12359:
	s_add_u32 s14, s14, (.LBB1_3215-.Lpost_getpc12359)&4294967295
	s_addc_u32 s15, s15, (.LBB1_3215-.Lpost_getpc12359)>>32
	s_setpc_b64 s[14:15]
.LBB1_30279:
	s_getpc_b64 s[14:15]
.Lpost_getpc803:
	s_add_u32 s14, s14, (.LBB1_3216-.Lpost_getpc803)&4294967295
	s_addc_u32 s15, s15, (.LBB1_3216-.Lpost_getpc803)>>32
	s_setpc_b64 s[14:15]
.LBB1_17553:
	s_movk_i32 s4, 0x80
	v_cmp_eq_u16_e32 vcc, s4, v13
	s_mov_b64 s[4:5], -1
                                        ; implicit-def: $sgpr10
	s_and_saveexec_b64 s[8:9], vcc
; %bb.17554:
	s_mov_b32 s10, 0x7f800001
	s_xor_b64 s[4:5], exec, -1
; %bb.17555:
	s_or_b64 exec, exec, s[8:9]
	s_and_b64 s[4:5], s[4:5], exec
                                        ; implicit-def: $vgpr13
	s_or_saveexec_b64 s[6:7], s[6:7]
	v_mov_b32_e32 v12, s10
	s_xor_b64 exec, exec, s[6:7]
	s_cbranch_execnz .LBB1_17556
; %bb.53393:
	s_getpc_b64 s[14:15]
.Lpost_getpc12360:
	s_add_u32 s14, s14, (.LBB1_3218-.Lpost_getpc12360)&4294967295
	s_addc_u32 s15, s15, (.LBB1_3218-.Lpost_getpc12360)>>32
	s_setpc_b64 s[14:15]
.LBB1_17556:
	v_cmp_ne_u16_e32 vcc, 0, v13
	s_andn2_b64 s[4:5], s[4:5], exec
	s_and_b64 s[8:9], vcc, exec
	v_mov_b32_e32 v12, 0
	s_or_b64 s[4:5], s[4:5], s[8:9]
	s_or_b64 exec, exec, s[6:7]
	s_and_saveexec_b64 s[6:7], s[4:5]
	s_cbranch_execz .LBB1_30281
; %bb.53395:
	s_getpc_b64 s[14:15]
.Lpost_getpc12361:
	s_add_u32 s14, s14, (.LBB1_3219-.Lpost_getpc12361)&4294967295
	s_addc_u32 s15, s15, (.LBB1_3219-.Lpost_getpc12361)>>32
	s_setpc_b64 s[14:15]
.LBB1_30281:
	s_getpc_b64 s[14:15]
.Lpost_getpc804:
	s_add_u32 s14, s14, (.LBB1_3220-.Lpost_getpc804)&4294967295
	s_addc_u32 s15, s15, (.LBB1_3220-.Lpost_getpc804)>>32
	s_setpc_b64 s[14:15]
.LBB1_17557:
	s_movk_i32 s4, 0x80
	v_cmp_eq_u16_e32 vcc, s4, v13
	s_mov_b64 s[4:5], -1
                                        ; implicit-def: $sgpr10
	s_and_saveexec_b64 s[8:9], vcc
; %bb.17558:
	s_mov_b32 s10, 0x7f800001
	s_xor_b64 s[4:5], exec, -1
; %bb.17559:
	s_or_b64 exec, exec, s[8:9]
	s_and_b64 s[4:5], s[4:5], exec
                                        ; implicit-def: $vgpr13
	s_or_saveexec_b64 s[6:7], s[6:7]
	v_mov_b32_e32 v14, s10
	s_xor_b64 exec, exec, s[6:7]
	s_cbranch_execnz .LBB1_17560
; %bb.53397:
	s_getpc_b64 s[14:15]
.Lpost_getpc12362:
	s_add_u32 s14, s14, (.LBB1_3222-.Lpost_getpc12362)&4294967295
	s_addc_u32 s15, s15, (.LBB1_3222-.Lpost_getpc12362)>>32
	s_setpc_b64 s[14:15]
.LBB1_17560:
	v_cmp_ne_u16_e32 vcc, 0, v13
	s_andn2_b64 s[4:5], s[4:5], exec
	s_and_b64 s[8:9], vcc, exec
	v_mov_b32_e32 v14, 0
	s_or_b64 s[4:5], s[4:5], s[8:9]
	s_or_b64 exec, exec, s[6:7]
	s_and_saveexec_b64 s[6:7], s[4:5]
	s_cbranch_execz .LBB1_30283
; %bb.53399:
	s_getpc_b64 s[14:15]
.Lpost_getpc12363:
	s_add_u32 s14, s14, (.LBB1_3223-.Lpost_getpc12363)&4294967295
	s_addc_u32 s15, s15, (.LBB1_3223-.Lpost_getpc12363)>>32
	s_setpc_b64 s[14:15]
.LBB1_30283:
	s_getpc_b64 s[14:15]
.Lpost_getpc805:
	s_add_u32 s14, s14, (.LBB1_3224-.Lpost_getpc805)&4294967295
	s_addc_u32 s15, s15, (.LBB1_3224-.Lpost_getpc805)>>32
	s_setpc_b64 s[14:15]
.LBB1_17561:
	s_movk_i32 s4, 0x80
	v_cmp_eq_u16_sdwa s[12:13], v6, s4 src0_sel:BYTE_3 src1_sel:DWORD
	s_mov_b64 s[4:5], -1
                                        ; implicit-def: $sgpr10
	s_and_saveexec_b64 s[8:9], s[12:13]
; %bb.17562:
	s_mov_b32 s10, 0x7f800001
	s_xor_b64 s[4:5], exec, -1
; %bb.17563:
	s_or_b64 exec, exec, s[8:9]
	s_and_b64 s[4:5], s[4:5], exec
	s_or_saveexec_b64 s[6:7], s[6:7]
	v_mov_b32_e32 v12, s10
	s_xor_b64 exec, exec, s[6:7]
	s_cbranch_execnz .LBB1_17564
; %bb.53401:
	s_getpc_b64 s[14:15]
.Lpost_getpc12364:
	s_add_u32 s14, s14, (.LBB1_3226-.Lpost_getpc12364)&4294967295
	s_addc_u32 s15, s15, (.LBB1_3226-.Lpost_getpc12364)>>32
	s_setpc_b64 s[14:15]
.LBB1_17564:
	v_mov_b32_e32 v12, 0
	v_cmp_ne_u16_sdwa s[8:9], v6, v12 src0_sel:BYTE_3 src1_sel:DWORD
	s_andn2_b64 s[4:5], s[4:5], exec
	s_and_b64 s[8:9], s[8:9], exec
	s_or_b64 s[4:5], s[4:5], s[8:9]
	s_or_b64 exec, exec, s[6:7]
	s_and_saveexec_b64 s[6:7], s[4:5]
	s_cbranch_execz .LBB1_30285
; %bb.53403:
	s_getpc_b64 s[14:15]
.Lpost_getpc12365:
	s_add_u32 s14, s14, (.LBB1_3227-.Lpost_getpc12365)&4294967295
	s_addc_u32 s15, s15, (.LBB1_3227-.Lpost_getpc12365)>>32
	s_setpc_b64 s[14:15]
.LBB1_30285:
	s_getpc_b64 s[14:15]
.Lpost_getpc806:
	s_add_u32 s14, s14, (.LBB1_3228-.Lpost_getpc806)&4294967295
	s_addc_u32 s15, s15, (.LBB1_3228-.Lpost_getpc806)>>32
	s_setpc_b64 s[14:15]
.LBB1_17565:
	s_movk_i32 s4, 0x80
	v_cmp_eq_u16_sdwa s[12:13], v2, s4 src0_sel:BYTE_3 src1_sel:DWORD
	s_mov_b64 s[4:5], -1
                                        ; implicit-def: $sgpr10
	s_and_saveexec_b64 s[8:9], s[12:13]
; %bb.17566:
	s_mov_b32 s10, 0x7f800001
	s_xor_b64 s[4:5], exec, -1
; %bb.17567:
	s_or_b64 exec, exec, s[8:9]
	s_and_b64 s[4:5], s[4:5], exec
	s_or_saveexec_b64 s[6:7], s[6:7]
	v_mov_b32_e32 v6, s10
	s_xor_b64 exec, exec, s[6:7]
	s_cbranch_execnz .LBB1_17568
; %bb.53405:
	s_getpc_b64 s[14:15]
.Lpost_getpc12366:
	s_add_u32 s14, s14, (.LBB1_3230-.Lpost_getpc12366)&4294967295
	s_addc_u32 s15, s15, (.LBB1_3230-.Lpost_getpc12366)>>32
	s_setpc_b64 s[14:15]
.LBB1_17568:
	v_mov_b32_e32 v6, 0
	v_cmp_ne_u16_sdwa s[8:9], v2, v6 src0_sel:BYTE_3 src1_sel:DWORD
	s_andn2_b64 s[4:5], s[4:5], exec
	s_and_b64 s[8:9], s[8:9], exec
	s_or_b64 s[4:5], s[4:5], s[8:9]
	s_or_b64 exec, exec, s[6:7]
	s_and_saveexec_b64 s[6:7], s[4:5]
	s_cbranch_execz .LBB1_30287
; %bb.53407:
	s_getpc_b64 s[14:15]
.Lpost_getpc12367:
	s_add_u32 s14, s14, (.LBB1_3231-.Lpost_getpc12367)&4294967295
	s_addc_u32 s15, s15, (.LBB1_3231-.Lpost_getpc12367)>>32
	s_setpc_b64 s[14:15]
.LBB1_30287:
	s_getpc_b64 s[14:15]
.Lpost_getpc807:
	s_add_u32 s14, s14, (.LBB1_3232-.Lpost_getpc807)&4294967295
	s_addc_u32 s15, s15, (.LBB1_3232-.Lpost_getpc807)>>32
	s_setpc_b64 s[14:15]
.LBB1_17569:
	s_movk_i32 s4, 0x80
	v_cmp_eq_u16_sdwa s[12:13], v7, s4 src0_sel:BYTE_0 src1_sel:DWORD
	s_mov_b64 s[4:5], -1
                                        ; implicit-def: $sgpr10
	s_and_saveexec_b64 s[8:9], s[12:13]
; %bb.17570:
	s_mov_b32 s10, 0x7f800001
	s_xor_b64 s[4:5], exec, -1
; %bb.17571:
	s_or_b64 exec, exec, s[8:9]
	s_and_b64 s[4:5], s[4:5], exec
	s_or_saveexec_b64 s[6:7], s[6:7]
	v_mov_b32_e32 v2, s10
	s_xor_b64 exec, exec, s[6:7]
	s_cbranch_execnz .LBB1_17572
; %bb.53409:
	s_getpc_b64 s[14:15]
.Lpost_getpc12368:
	s_add_u32 s14, s14, (.LBB1_3234-.Lpost_getpc12368)&4294967295
	s_addc_u32 s15, s15, (.LBB1_3234-.Lpost_getpc12368)>>32
	s_setpc_b64 s[14:15]
.LBB1_17572:
	v_mov_b32_e32 v2, 0
	v_cmp_ne_u16_sdwa s[8:9], v7, v2 src0_sel:BYTE_0 src1_sel:DWORD
	s_andn2_b64 s[4:5], s[4:5], exec
	s_and_b64 s[8:9], s[8:9], exec
	s_or_b64 s[4:5], s[4:5], s[8:9]
	s_or_b64 exec, exec, s[6:7]
	s_and_saveexec_b64 s[6:7], s[4:5]
	s_cbranch_execz .LBB1_30289
; %bb.53411:
	s_getpc_b64 s[14:15]
.Lpost_getpc12369:
	s_add_u32 s14, s14, (.LBB1_3235-.Lpost_getpc12369)&4294967295
	s_addc_u32 s15, s15, (.LBB1_3235-.Lpost_getpc12369)>>32
	s_setpc_b64 s[14:15]
.LBB1_30289:
	s_getpc_b64 s[14:15]
.Lpost_getpc808:
	s_add_u32 s14, s14, (.LBB1_3236-.Lpost_getpc808)&4294967295
	s_addc_u32 s15, s15, (.LBB1_3236-.Lpost_getpc808)>>32
	s_setpc_b64 s[14:15]
.LBB1_17573:
	s_movk_i32 s4, 0x80
	v_cmp_eq_u16_sdwa s[12:13], v3, s4 src0_sel:BYTE_0 src1_sel:DWORD
	s_mov_b64 s[4:5], -1
                                        ; implicit-def: $sgpr10
	s_and_saveexec_b64 s[8:9], s[12:13]
; %bb.17574:
	s_mov_b32 s10, 0x7f800001
	s_xor_b64 s[4:5], exec, -1
; %bb.17575:
	s_or_b64 exec, exec, s[8:9]
	s_and_b64 s[4:5], s[4:5], exec
	s_or_saveexec_b64 s[6:7], s[6:7]
	v_mov_b32_e32 v6, s10
	s_xor_b64 exec, exec, s[6:7]
	s_cbranch_execnz .LBB1_17576
; %bb.53413:
	s_getpc_b64 s[14:15]
.Lpost_getpc12370:
	s_add_u32 s14, s14, (.LBB1_3238-.Lpost_getpc12370)&4294967295
	s_addc_u32 s15, s15, (.LBB1_3238-.Lpost_getpc12370)>>32
	s_setpc_b64 s[14:15]
.LBB1_17576:
	v_mov_b32_e32 v6, 0
	v_cmp_ne_u16_sdwa s[8:9], v3, v6 src0_sel:BYTE_0 src1_sel:DWORD
	s_andn2_b64 s[4:5], s[4:5], exec
	s_and_b64 s[8:9], s[8:9], exec
	s_or_b64 s[4:5], s[4:5], s[8:9]
	s_or_b64 exec, exec, s[6:7]
	s_and_saveexec_b64 s[6:7], s[4:5]
	s_cbranch_execz .LBB1_30291
; %bb.53415:
	s_getpc_b64 s[14:15]
.Lpost_getpc12371:
	s_add_u32 s14, s14, (.LBB1_3239-.Lpost_getpc12371)&4294967295
	s_addc_u32 s15, s15, (.LBB1_3239-.Lpost_getpc12371)>>32
	s_setpc_b64 s[14:15]
.LBB1_30291:
	s_getpc_b64 s[14:15]
.Lpost_getpc809:
	s_add_u32 s14, s14, (.LBB1_3240-.Lpost_getpc809)&4294967295
	s_addc_u32 s15, s15, (.LBB1_3240-.Lpost_getpc809)>>32
	s_setpc_b64 s[14:15]
.LBB1_17577:
	s_movk_i32 s4, 0x80
	v_cmp_eq_u16_sdwa s[12:13], v6, s4 src0_sel:BYTE_0 src1_sel:DWORD
	s_mov_b64 s[4:5], -1
                                        ; implicit-def: $sgpr10
	s_and_saveexec_b64 s[8:9], s[12:13]
; %bb.17578:
	s_mov_b32 s10, 0x7f800001
	s_xor_b64 s[4:5], exec, -1
; %bb.17579:
	s_or_b64 exec, exec, s[8:9]
	s_and_b64 s[4:5], s[4:5], exec
	s_or_saveexec_b64 s[6:7], s[6:7]
	v_mov_b32_e32 v2, s10
	s_xor_b64 exec, exec, s[6:7]
	s_cbranch_execnz .LBB1_17580
; %bb.53417:
	s_getpc_b64 s[14:15]
.Lpost_getpc12372:
	s_add_u32 s14, s14, (.LBB1_3242-.Lpost_getpc12372)&4294967295
	s_addc_u32 s15, s15, (.LBB1_3242-.Lpost_getpc12372)>>32
	s_setpc_b64 s[14:15]
.LBB1_17580:
	v_mov_b32_e32 v2, 0
	v_cmp_ne_u16_sdwa s[8:9], v6, v2 src0_sel:BYTE_0 src1_sel:DWORD
	s_andn2_b64 s[4:5], s[4:5], exec
	s_and_b64 s[8:9], s[8:9], exec
	s_or_b64 s[4:5], s[4:5], s[8:9]
	s_or_b64 exec, exec, s[6:7]
	s_and_saveexec_b64 s[6:7], s[4:5]
	s_cbranch_execz .LBB1_30293
; %bb.53419:
	s_getpc_b64 s[14:15]
.Lpost_getpc12373:
	s_add_u32 s14, s14, (.LBB1_3243-.Lpost_getpc12373)&4294967295
	s_addc_u32 s15, s15, (.LBB1_3243-.Lpost_getpc12373)>>32
	s_setpc_b64 s[14:15]
.LBB1_30293:
	s_getpc_b64 s[14:15]
.Lpost_getpc810:
	s_add_u32 s14, s14, (.LBB1_3244-.Lpost_getpc810)&4294967295
	s_addc_u32 s15, s15, (.LBB1_3244-.Lpost_getpc810)>>32
	s_setpc_b64 s[14:15]
.LBB1_17581:
	s_movk_i32 s4, 0x80
	v_cmp_eq_u16_sdwa s[12:13], v6, s4 src0_sel:BYTE_0 src1_sel:DWORD
	s_mov_b64 s[4:5], -1
                                        ; implicit-def: $sgpr10
	s_and_saveexec_b64 s[8:9], s[12:13]
; %bb.17582:
	s_mov_b32 s10, 0x7f800001
	s_xor_b64 s[4:5], exec, -1
; %bb.17583:
	s_or_b64 exec, exec, s[8:9]
	s_and_b64 s[4:5], s[4:5], exec
	s_or_saveexec_b64 s[6:7], s[6:7]
	v_mov_b32_e32 v12, s10
	s_xor_b64 exec, exec, s[6:7]
	s_cbranch_execnz .LBB1_17584
; %bb.53421:
	s_getpc_b64 s[14:15]
.Lpost_getpc12374:
	s_add_u32 s14, s14, (.LBB1_3246-.Lpost_getpc12374)&4294967295
	s_addc_u32 s15, s15, (.LBB1_3246-.Lpost_getpc12374)>>32
	s_setpc_b64 s[14:15]
.LBB1_17584:
	v_mov_b32_e32 v12, 0
	v_cmp_ne_u16_sdwa s[8:9], v6, v12 src0_sel:BYTE_0 src1_sel:DWORD
	s_andn2_b64 s[4:5], s[4:5], exec
	s_and_b64 s[8:9], s[8:9], exec
	s_or_b64 s[4:5], s[4:5], s[8:9]
	s_or_b64 exec, exec, s[6:7]
	s_and_saveexec_b64 s[6:7], s[4:5]
	s_cbranch_execz .LBB1_30295
; %bb.53423:
	s_getpc_b64 s[14:15]
.Lpost_getpc12375:
	s_add_u32 s14, s14, (.LBB1_3247-.Lpost_getpc12375)&4294967295
	s_addc_u32 s15, s15, (.LBB1_3247-.Lpost_getpc12375)>>32
	s_setpc_b64 s[14:15]
.LBB1_30295:
	s_getpc_b64 s[14:15]
.Lpost_getpc811:
	s_add_u32 s14, s14, (.LBB1_3248-.Lpost_getpc811)&4294967295
	s_addc_u32 s15, s15, (.LBB1_3248-.Lpost_getpc811)>>32
	s_setpc_b64 s[14:15]
.LBB1_17585:
	s_movk_i32 s4, 0x80
	v_cmp_eq_u16_e32 vcc, s4, v6
	s_mov_b64 s[4:5], -1
                                        ; implicit-def: $sgpr10
	s_and_saveexec_b64 s[8:9], vcc
; %bb.17586:
	s_mov_b32 s10, 0x7f800001
	s_xor_b64 s[4:5], exec, -1
; %bb.17587:
	s_or_b64 exec, exec, s[8:9]
	s_and_b64 s[4:5], s[4:5], exec
                                        ; implicit-def: $vgpr6
	s_or_saveexec_b64 s[6:7], s[6:7]
	v_mov_b32_e32 v2, s10
	s_xor_b64 exec, exec, s[6:7]
	s_cbranch_execnz .LBB1_17588
; %bb.53425:
	s_getpc_b64 s[14:15]
.Lpost_getpc12376:
	s_add_u32 s14, s14, (.LBB1_3250-.Lpost_getpc12376)&4294967295
	s_addc_u32 s15, s15, (.LBB1_3250-.Lpost_getpc12376)>>32
	s_setpc_b64 s[14:15]
.LBB1_17588:
	v_cmp_ne_u16_e32 vcc, 0, v6
	s_andn2_b64 s[4:5], s[4:5], exec
	s_and_b64 s[8:9], vcc, exec
	v_mov_b32_e32 v2, 0
	s_or_b64 s[4:5], s[4:5], s[8:9]
	s_or_b64 exec, exec, s[6:7]
	s_and_saveexec_b64 s[6:7], s[4:5]
	s_cbranch_execz .LBB1_30297
; %bb.53427:
	s_getpc_b64 s[14:15]
.Lpost_getpc12377:
	s_add_u32 s14, s14, (.LBB1_3251-.Lpost_getpc12377)&4294967295
	s_addc_u32 s15, s15, (.LBB1_3251-.Lpost_getpc12377)>>32
	s_setpc_b64 s[14:15]
.LBB1_30297:
	s_getpc_b64 s[14:15]
.Lpost_getpc812:
	s_add_u32 s14, s14, (.LBB1_3252-.Lpost_getpc812)&4294967295
	s_addc_u32 s15, s15, (.LBB1_3252-.Lpost_getpc812)>>32
	s_setpc_b64 s[14:15]
.LBB1_17589:
	s_movk_i32 s4, 0x80
	v_cmp_eq_u16_e32 vcc, s4, v6
	s_mov_b64 s[4:5], -1
                                        ; implicit-def: $sgpr10
	s_and_saveexec_b64 s[8:9], vcc
; %bb.17590:
	s_mov_b32 s10, 0x7f800001
	s_xor_b64 s[4:5], exec, -1
; %bb.17591:
	s_or_b64 exec, exec, s[8:9]
	s_and_b64 s[4:5], s[4:5], exec
                                        ; implicit-def: $vgpr6
	s_or_saveexec_b64 s[6:7], s[6:7]
	v_mov_b32_e32 v12, s10
	s_xor_b64 exec, exec, s[6:7]
	s_cbranch_execnz .LBB1_17592
; %bb.53429:
	s_getpc_b64 s[14:15]
.Lpost_getpc12378:
	s_add_u32 s14, s14, (.LBB1_3254-.Lpost_getpc12378)&4294967295
	s_addc_u32 s15, s15, (.LBB1_3254-.Lpost_getpc12378)>>32
	s_setpc_b64 s[14:15]
.LBB1_17592:
	v_cmp_ne_u16_e32 vcc, 0, v6
	s_andn2_b64 s[4:5], s[4:5], exec
	s_and_b64 s[8:9], vcc, exec
	v_mov_b32_e32 v12, 0
	s_or_b64 s[4:5], s[4:5], s[8:9]
	s_or_b64 exec, exec, s[6:7]
	s_and_saveexec_b64 s[6:7], s[4:5]
	s_cbranch_execz .LBB1_30299
; %bb.53431:
	s_getpc_b64 s[14:15]
.Lpost_getpc12379:
	s_add_u32 s14, s14, (.LBB1_3255-.Lpost_getpc12379)&4294967295
	s_addc_u32 s15, s15, (.LBB1_3255-.Lpost_getpc12379)>>32
	s_setpc_b64 s[14:15]
.LBB1_30299:
	s_getpc_b64 s[14:15]
.Lpost_getpc813:
	s_add_u32 s14, s14, (.LBB1_3256-.Lpost_getpc813)&4294967295
	s_addc_u32 s15, s15, (.LBB1_3256-.Lpost_getpc813)>>32
	s_setpc_b64 s[14:15]
.LBB1_17593:
	s_movk_i32 s4, 0x80
	v_cmp_eq_u16_sdwa s[12:13], v7, s4 src0_sel:BYTE_3 src1_sel:DWORD
	s_mov_b64 s[4:5], -1
                                        ; implicit-def: $sgpr10
	s_and_saveexec_b64 s[8:9], s[12:13]
; %bb.17594:
	s_mov_b32 s10, 0x7f800001
	s_xor_b64 s[4:5], exec, -1
; %bb.17595:
	s_or_b64 exec, exec, s[8:9]
	s_and_b64 s[4:5], s[4:5], exec
	s_or_saveexec_b64 s[6:7], s[6:7]
	v_mov_b32_e32 v2, s10
	s_xor_b64 exec, exec, s[6:7]
	s_cbranch_execnz .LBB1_17596
; %bb.53433:
	s_getpc_b64 s[14:15]
.Lpost_getpc12380:
	s_add_u32 s14, s14, (.LBB1_3258-.Lpost_getpc12380)&4294967295
	s_addc_u32 s15, s15, (.LBB1_3258-.Lpost_getpc12380)>>32
	s_setpc_b64 s[14:15]
.LBB1_17596:
	v_mov_b32_e32 v2, 0
	v_cmp_ne_u16_sdwa s[8:9], v7, v2 src0_sel:BYTE_3 src1_sel:DWORD
	s_andn2_b64 s[4:5], s[4:5], exec
	s_and_b64 s[8:9], s[8:9], exec
	s_or_b64 s[4:5], s[4:5], s[8:9]
	s_or_b64 exec, exec, s[6:7]
	s_and_saveexec_b64 s[6:7], s[4:5]
	s_cbranch_execz .LBB1_30301
; %bb.53435:
	s_getpc_b64 s[14:15]
.Lpost_getpc12381:
	s_add_u32 s14, s14, (.LBB1_3259-.Lpost_getpc12381)&4294967295
	s_addc_u32 s15, s15, (.LBB1_3259-.Lpost_getpc12381)>>32
	s_setpc_b64 s[14:15]
.LBB1_30301:
	s_getpc_b64 s[14:15]
.Lpost_getpc814:
	s_add_u32 s14, s14, (.LBB1_3260-.Lpost_getpc814)&4294967295
	s_addc_u32 s15, s15, (.LBB1_3260-.Lpost_getpc814)>>32
	s_setpc_b64 s[14:15]
.LBB1_17597:
	s_movk_i32 s4, 0x80
	v_cmp_eq_u16_sdwa s[12:13], v3, s4 src0_sel:BYTE_3 src1_sel:DWORD
	s_mov_b64 s[4:5], -1
                                        ; implicit-def: $sgpr10
	s_and_saveexec_b64 s[8:9], s[12:13]
; %bb.17598:
	s_mov_b32 s10, 0x7f800001
	s_xor_b64 s[4:5], exec, -1
; %bb.17599:
	s_or_b64 exec, exec, s[8:9]
	s_and_b64 s[4:5], s[4:5], exec
	s_or_saveexec_b64 s[6:7], s[6:7]
	v_mov_b32_e32 v6, s10
	s_xor_b64 exec, exec, s[6:7]
	s_cbranch_execnz .LBB1_17600
; %bb.53437:
	s_getpc_b64 s[14:15]
.Lpost_getpc12382:
	s_add_u32 s14, s14, (.LBB1_3262-.Lpost_getpc12382)&4294967295
	s_addc_u32 s15, s15, (.LBB1_3262-.Lpost_getpc12382)>>32
	s_setpc_b64 s[14:15]
.LBB1_17600:
	v_mov_b32_e32 v6, 0
	v_cmp_ne_u16_sdwa s[8:9], v3, v6 src0_sel:BYTE_3 src1_sel:DWORD
	s_andn2_b64 s[4:5], s[4:5], exec
	s_and_b64 s[8:9], s[8:9], exec
	s_or_b64 s[4:5], s[4:5], s[8:9]
	s_or_b64 exec, exec, s[6:7]
	s_and_saveexec_b64 s[6:7], s[4:5]
	s_cbranch_execz .LBB1_30303
; %bb.53439:
	s_getpc_b64 s[14:15]
.Lpost_getpc12383:
	s_add_u32 s14, s14, (.LBB1_3263-.Lpost_getpc12383)&4294967295
	s_addc_u32 s15, s15, (.LBB1_3263-.Lpost_getpc12383)>>32
	s_setpc_b64 s[14:15]
.LBB1_30303:
	s_getpc_b64 s[14:15]
.Lpost_getpc815:
	s_add_u32 s14, s14, (.LBB1_3264-.Lpost_getpc815)&4294967295
	s_addc_u32 s15, s15, (.LBB1_3264-.Lpost_getpc815)>>32
	s_setpc_b64 s[14:15]
.LBB1_17601:
	s_movk_i32 s4, 0x80
	v_cmp_eq_u16_sdwa s[12:13], v8, s4 src0_sel:BYTE_0 src1_sel:DWORD
	s_mov_b64 s[4:5], -1
                                        ; implicit-def: $sgpr10
	s_and_saveexec_b64 s[8:9], s[12:13]
; %bb.17602:
	s_mov_b32 s10, 0x7f800001
	s_xor_b64 s[4:5], exec, -1
; %bb.17603:
	s_or_b64 exec, exec, s[8:9]
	s_and_b64 s[4:5], s[4:5], exec
	s_or_saveexec_b64 s[6:7], s[6:7]
	v_mov_b32_e32 v2, s10
	s_xor_b64 exec, exec, s[6:7]
	s_cbranch_execnz .LBB1_17604
; %bb.53441:
	s_getpc_b64 s[14:15]
.Lpost_getpc12384:
	s_add_u32 s14, s14, (.LBB1_3266-.Lpost_getpc12384)&4294967295
	s_addc_u32 s15, s15, (.LBB1_3266-.Lpost_getpc12384)>>32
	s_setpc_b64 s[14:15]
.LBB1_17604:
	v_mov_b32_e32 v2, 0
	v_cmp_ne_u16_sdwa s[8:9], v8, v2 src0_sel:BYTE_0 src1_sel:DWORD
	s_andn2_b64 s[4:5], s[4:5], exec
	s_and_b64 s[8:9], s[8:9], exec
	s_or_b64 s[4:5], s[4:5], s[8:9]
	s_or_b64 exec, exec, s[6:7]
	s_and_saveexec_b64 s[6:7], s[4:5]
	s_cbranch_execz .LBB1_30305
; %bb.53443:
	s_getpc_b64 s[14:15]
.Lpost_getpc12385:
	s_add_u32 s14, s14, (.LBB1_3267-.Lpost_getpc12385)&4294967295
	s_addc_u32 s15, s15, (.LBB1_3267-.Lpost_getpc12385)>>32
	s_setpc_b64 s[14:15]
.LBB1_30305:
	s_getpc_b64 s[14:15]
.Lpost_getpc816:
	s_add_u32 s14, s14, (.LBB1_3268-.Lpost_getpc816)&4294967295
	s_addc_u32 s15, s15, (.LBB1_3268-.Lpost_getpc816)>>32
	s_setpc_b64 s[14:15]
.LBB1_17605:
	s_movk_i32 s4, 0x80
	v_cmp_eq_u16_sdwa s[12:13], v4, s4 src0_sel:BYTE_0 src1_sel:DWORD
	s_mov_b64 s[4:5], -1
                                        ; implicit-def: $sgpr10
	s_and_saveexec_b64 s[8:9], s[12:13]
; %bb.17606:
	s_mov_b32 s10, 0x7f800001
	s_xor_b64 s[4:5], exec, -1
; %bb.17607:
	s_or_b64 exec, exec, s[8:9]
	s_and_b64 s[4:5], s[4:5], exec
	s_or_saveexec_b64 s[6:7], s[6:7]
	v_mov_b32_e32 v3, s10
	s_xor_b64 exec, exec, s[6:7]
	s_cbranch_execnz .LBB1_17608
; %bb.53445:
	s_getpc_b64 s[14:15]
.Lpost_getpc12386:
	s_add_u32 s14, s14, (.LBB1_3270-.Lpost_getpc12386)&4294967295
	s_addc_u32 s15, s15, (.LBB1_3270-.Lpost_getpc12386)>>32
	s_setpc_b64 s[14:15]
.LBB1_17608:
	v_mov_b32_e32 v3, 0
	v_cmp_ne_u16_sdwa s[8:9], v4, v3 src0_sel:BYTE_0 src1_sel:DWORD
	s_andn2_b64 s[4:5], s[4:5], exec
	s_and_b64 s[8:9], s[8:9], exec
	s_or_b64 s[4:5], s[4:5], s[8:9]
	s_or_b64 exec, exec, s[6:7]
	s_and_saveexec_b64 s[6:7], s[4:5]
	s_cbranch_execz .LBB1_30307
; %bb.53447:
	s_getpc_b64 s[14:15]
.Lpost_getpc12387:
	s_add_u32 s14, s14, (.LBB1_3271-.Lpost_getpc12387)&4294967295
	s_addc_u32 s15, s15, (.LBB1_3271-.Lpost_getpc12387)>>32
	s_setpc_b64 s[14:15]
.LBB1_30307:
	s_getpc_b64 s[14:15]
.Lpost_getpc817:
	s_add_u32 s14, s14, (.LBB1_3272-.Lpost_getpc817)&4294967295
	s_addc_u32 s15, s15, (.LBB1_3272-.Lpost_getpc817)>>32
	s_setpc_b64 s[14:15]
.LBB1_17609:
	s_movk_i32 s4, 0x80
	v_cmp_eq_u16_sdwa s[12:13], v3, s4 src0_sel:BYTE_0 src1_sel:DWORD
	s_mov_b64 s[4:5], -1
                                        ; implicit-def: $sgpr10
	s_and_saveexec_b64 s[8:9], s[12:13]
; %bb.17610:
	s_mov_b32 s10, 0x7f800001
	s_xor_b64 s[4:5], exec, -1
; %bb.17611:
	s_or_b64 exec, exec, s[8:9]
	s_and_b64 s[4:5], s[4:5], exec
	s_or_saveexec_b64 s[6:7], s[6:7]
	v_mov_b32_e32 v2, s10
	s_xor_b64 exec, exec, s[6:7]
	s_cbranch_execnz .LBB1_17612
; %bb.53449:
	s_getpc_b64 s[14:15]
.Lpost_getpc12388:
	s_add_u32 s14, s14, (.LBB1_3274-.Lpost_getpc12388)&4294967295
	s_addc_u32 s15, s15, (.LBB1_3274-.Lpost_getpc12388)>>32
	s_setpc_b64 s[14:15]
.LBB1_17612:
	v_mov_b32_e32 v2, 0
	v_cmp_ne_u16_sdwa s[8:9], v3, v2 src0_sel:BYTE_0 src1_sel:DWORD
	s_andn2_b64 s[4:5], s[4:5], exec
	s_and_b64 s[8:9], s[8:9], exec
	s_or_b64 s[4:5], s[4:5], s[8:9]
	s_or_b64 exec, exec, s[6:7]
	s_and_saveexec_b64 s[6:7], s[4:5]
	s_cbranch_execz .LBB1_30309
; %bb.53451:
	s_getpc_b64 s[14:15]
.Lpost_getpc12389:
	s_add_u32 s14, s14, (.LBB1_3275-.Lpost_getpc12389)&4294967295
	s_addc_u32 s15, s15, (.LBB1_3275-.Lpost_getpc12389)>>32
	s_setpc_b64 s[14:15]
.LBB1_30309:
	s_getpc_b64 s[14:15]
.Lpost_getpc818:
	s_add_u32 s14, s14, (.LBB1_3276-.Lpost_getpc818)&4294967295
	s_addc_u32 s15, s15, (.LBB1_3276-.Lpost_getpc818)>>32
	s_setpc_b64 s[14:15]
.LBB1_17613:
	s_movk_i32 s4, 0x80
	v_cmp_eq_u16_sdwa s[12:13], v3, s4 src0_sel:BYTE_0 src1_sel:DWORD
	s_mov_b64 s[4:5], -1
                                        ; implicit-def: $sgpr10
	s_and_saveexec_b64 s[8:9], s[12:13]
; %bb.17614:
	s_mov_b32 s10, 0x7f800001
	s_xor_b64 s[4:5], exec, -1
; %bb.17615:
	s_or_b64 exec, exec, s[8:9]
	s_and_b64 s[4:5], s[4:5], exec
	s_or_saveexec_b64 s[6:7], s[6:7]
	v_mov_b32_e32 v6, s10
	s_xor_b64 exec, exec, s[6:7]
	s_cbranch_execnz .LBB1_17616
; %bb.53453:
	s_getpc_b64 s[14:15]
.Lpost_getpc12390:
	s_add_u32 s14, s14, (.LBB1_3278-.Lpost_getpc12390)&4294967295
	s_addc_u32 s15, s15, (.LBB1_3278-.Lpost_getpc12390)>>32
	s_setpc_b64 s[14:15]
.LBB1_17616:
	v_mov_b32_e32 v6, 0
	v_cmp_ne_u16_sdwa s[8:9], v3, v6 src0_sel:BYTE_0 src1_sel:DWORD
	s_andn2_b64 s[4:5], s[4:5], exec
	s_and_b64 s[8:9], s[8:9], exec
	s_or_b64 s[4:5], s[4:5], s[8:9]
	s_or_b64 exec, exec, s[6:7]
	s_and_saveexec_b64 s[6:7], s[4:5]
	s_cbranch_execz .LBB1_30311
; %bb.53455:
	s_getpc_b64 s[14:15]
.Lpost_getpc12391:
	s_add_u32 s14, s14, (.LBB1_3279-.Lpost_getpc12391)&4294967295
	s_addc_u32 s15, s15, (.LBB1_3279-.Lpost_getpc12391)>>32
	s_setpc_b64 s[14:15]
.LBB1_30311:
	s_getpc_b64 s[14:15]
.Lpost_getpc819:
	s_add_u32 s14, s14, (.LBB1_3280-.Lpost_getpc819)&4294967295
	s_addc_u32 s15, s15, (.LBB1_3280-.Lpost_getpc819)>>32
	s_setpc_b64 s[14:15]
.LBB1_17617:
	s_movk_i32 s4, 0x80
	v_cmp_eq_u16_e32 vcc, s4, v3
	s_mov_b64 s[4:5], -1
                                        ; implicit-def: $sgpr10
	s_and_saveexec_b64 s[8:9], vcc
; %bb.17618:
	s_mov_b32 s10, 0x7f800001
	s_xor_b64 s[4:5], exec, -1
; %bb.17619:
	s_or_b64 exec, exec, s[8:9]
	s_and_b64 s[4:5], s[4:5], exec
                                        ; implicit-def: $vgpr3
	s_or_saveexec_b64 s[6:7], s[6:7]
	v_mov_b32_e32 v2, s10
	s_xor_b64 exec, exec, s[6:7]
	s_cbranch_execnz .LBB1_17620
; %bb.53457:
	s_getpc_b64 s[14:15]
.Lpost_getpc12392:
	s_add_u32 s14, s14, (.LBB1_3282-.Lpost_getpc12392)&4294967295
	s_addc_u32 s15, s15, (.LBB1_3282-.Lpost_getpc12392)>>32
	s_setpc_b64 s[14:15]
.LBB1_17620:
	v_cmp_ne_u16_e32 vcc, 0, v3
	s_andn2_b64 s[4:5], s[4:5], exec
	s_and_b64 s[8:9], vcc, exec
	v_mov_b32_e32 v2, 0
	s_or_b64 s[4:5], s[4:5], s[8:9]
	s_or_b64 exec, exec, s[6:7]
	s_and_saveexec_b64 s[6:7], s[4:5]
	s_cbranch_execz .LBB1_30313
; %bb.53459:
	s_getpc_b64 s[14:15]
.Lpost_getpc12393:
	s_add_u32 s14, s14, (.LBB1_3283-.Lpost_getpc12393)&4294967295
	s_addc_u32 s15, s15, (.LBB1_3283-.Lpost_getpc12393)>>32
	s_setpc_b64 s[14:15]
.LBB1_30313:
	s_getpc_b64 s[14:15]
.Lpost_getpc820:
	s_add_u32 s14, s14, (.LBB1_3284-.Lpost_getpc820)&4294967295
	s_addc_u32 s15, s15, (.LBB1_3284-.Lpost_getpc820)>>32
	s_setpc_b64 s[14:15]
.LBB1_17621:
	s_movk_i32 s4, 0x80
	v_cmp_eq_u16_e32 vcc, s4, v3
	s_mov_b64 s[4:5], -1
                                        ; implicit-def: $sgpr10
	s_and_saveexec_b64 s[8:9], vcc
; %bb.17622:
	s_mov_b32 s10, 0x7f800001
	s_xor_b64 s[4:5], exec, -1
; %bb.17623:
	s_or_b64 exec, exec, s[8:9]
	s_and_b64 s[4:5], s[4:5], exec
                                        ; implicit-def: $vgpr3
	s_or_saveexec_b64 s[6:7], s[6:7]
	v_mov_b32_e32 v6, s10
	s_xor_b64 exec, exec, s[6:7]
	s_cbranch_execnz .LBB1_17624
; %bb.53461:
	s_getpc_b64 s[14:15]
.Lpost_getpc12394:
	s_add_u32 s14, s14, (.LBB1_3286-.Lpost_getpc12394)&4294967295
	s_addc_u32 s15, s15, (.LBB1_3286-.Lpost_getpc12394)>>32
	s_setpc_b64 s[14:15]
.LBB1_17624:
	v_cmp_ne_u16_e32 vcc, 0, v3
	s_andn2_b64 s[4:5], s[4:5], exec
	s_and_b64 s[8:9], vcc, exec
	v_mov_b32_e32 v6, 0
	s_or_b64 s[4:5], s[4:5], s[8:9]
	s_or_b64 exec, exec, s[6:7]
	s_and_saveexec_b64 s[6:7], s[4:5]
	s_cbranch_execz .LBB1_30315
; %bb.53463:
	s_getpc_b64 s[14:15]
.Lpost_getpc12395:
	s_add_u32 s14, s14, (.LBB1_3287-.Lpost_getpc12395)&4294967295
	s_addc_u32 s15, s15, (.LBB1_3287-.Lpost_getpc12395)>>32
	s_setpc_b64 s[14:15]
.LBB1_30315:
	s_getpc_b64 s[14:15]
.Lpost_getpc821:
	s_add_u32 s14, s14, (.LBB1_3288-.Lpost_getpc821)&4294967295
	s_addc_u32 s15, s15, (.LBB1_3288-.Lpost_getpc821)>>32
	s_setpc_b64 s[14:15]
.LBB1_17625:
	s_movk_i32 s4, 0x80
	v_cmp_eq_u16_sdwa s[12:13], v8, s4 src0_sel:BYTE_3 src1_sel:DWORD
	s_mov_b64 s[4:5], -1
                                        ; implicit-def: $sgpr10
	s_and_saveexec_b64 s[8:9], s[12:13]
; %bb.17626:
	s_mov_b32 s10, 0x7f800001
	s_xor_b64 s[4:5], exec, -1
; %bb.17627:
	s_or_b64 exec, exec, s[8:9]
	s_and_b64 s[4:5], s[4:5], exec
	s_or_saveexec_b64 s[6:7], s[6:7]
	v_mov_b32_e32 v2, s10
	s_xor_b64 exec, exec, s[6:7]
	s_cbranch_execnz .LBB1_17628
; %bb.53465:
	s_getpc_b64 s[14:15]
.Lpost_getpc12396:
	s_add_u32 s14, s14, (.LBB1_3290-.Lpost_getpc12396)&4294967295
	s_addc_u32 s15, s15, (.LBB1_3290-.Lpost_getpc12396)>>32
	s_setpc_b64 s[14:15]
.LBB1_17628:
	v_mov_b32_e32 v2, 0
	v_cmp_ne_u16_sdwa s[8:9], v8, v2 src0_sel:BYTE_3 src1_sel:DWORD
	s_andn2_b64 s[4:5], s[4:5], exec
	s_and_b64 s[8:9], s[8:9], exec
	s_or_b64 s[4:5], s[4:5], s[8:9]
	s_or_b64 exec, exec, s[6:7]
	s_and_saveexec_b64 s[6:7], s[4:5]
	s_cbranch_execz .LBB1_30317
; %bb.53467:
	s_getpc_b64 s[14:15]
.Lpost_getpc12397:
	s_add_u32 s14, s14, (.LBB1_3291-.Lpost_getpc12397)&4294967295
	s_addc_u32 s15, s15, (.LBB1_3291-.Lpost_getpc12397)>>32
	s_setpc_b64 s[14:15]
.LBB1_30317:
	s_getpc_b64 s[14:15]
.Lpost_getpc822:
	s_add_u32 s14, s14, (.LBB1_3292-.Lpost_getpc822)&4294967295
	s_addc_u32 s15, s15, (.LBB1_3292-.Lpost_getpc822)>>32
	s_setpc_b64 s[14:15]
.LBB1_17629:
	s_movk_i32 s4, 0x80
	v_cmp_eq_u16_sdwa s[12:13], v4, s4 src0_sel:BYTE_3 src1_sel:DWORD
	s_mov_b64 s[4:5], -1
                                        ; implicit-def: $sgpr10
	s_and_saveexec_b64 s[8:9], s[12:13]
; %bb.17630:
	s_mov_b32 s10, 0x7f800001
	s_xor_b64 s[4:5], exec, -1
; %bb.17631:
	s_or_b64 exec, exec, s[8:9]
	s_and_b64 s[4:5], s[4:5], exec
	s_or_saveexec_b64 s[6:7], s[6:7]
	v_mov_b32_e32 v3, s10
	s_xor_b64 exec, exec, s[6:7]
	s_cbranch_execnz .LBB1_17632
; %bb.53469:
	s_getpc_b64 s[14:15]
.Lpost_getpc12398:
	s_add_u32 s14, s14, (.LBB1_3294-.Lpost_getpc12398)&4294967295
	s_addc_u32 s15, s15, (.LBB1_3294-.Lpost_getpc12398)>>32
	s_setpc_b64 s[14:15]
.LBB1_17632:
	v_mov_b32_e32 v3, 0
	v_cmp_ne_u16_sdwa s[8:9], v4, v3 src0_sel:BYTE_3 src1_sel:DWORD
	s_andn2_b64 s[4:5], s[4:5], exec
	s_and_b64 s[8:9], s[8:9], exec
	s_or_b64 s[4:5], s[4:5], s[8:9]
	s_or_b64 exec, exec, s[6:7]
	s_and_saveexec_b64 s[6:7], s[4:5]
	s_cbranch_execz .LBB1_30319
; %bb.53471:
	s_getpc_b64 s[14:15]
.Lpost_getpc12399:
	s_add_u32 s14, s14, (.LBB1_3295-.Lpost_getpc12399)&4294967295
	s_addc_u32 s15, s15, (.LBB1_3295-.Lpost_getpc12399)>>32
	s_setpc_b64 s[14:15]
.LBB1_30319:
	s_getpc_b64 s[14:15]
.Lpost_getpc823:
	s_add_u32 s14, s14, (.LBB1_3296-.Lpost_getpc823)&4294967295
	s_addc_u32 s15, s15, (.LBB1_3296-.Lpost_getpc823)>>32
	s_setpc_b64 s[14:15]
.LBB1_17633:
	s_movk_i32 s4, 0x80
	v_cmp_eq_u16_sdwa s[12:13], v9, s4 src0_sel:BYTE_0 src1_sel:DWORD
	s_mov_b64 s[4:5], -1
                                        ; implicit-def: $sgpr10
	s_and_saveexec_b64 s[8:9], s[12:13]
; %bb.17634:
	s_mov_b32 s10, 0x7f800001
	s_xor_b64 s[4:5], exec, -1
; %bb.17635:
	s_or_b64 exec, exec, s[8:9]
	s_and_b64 s[4:5], s[4:5], exec
	s_or_saveexec_b64 s[6:7], s[6:7]
	v_mov_b32_e32 v2, s10
	s_xor_b64 exec, exec, s[6:7]
	s_cbranch_execnz .LBB1_17636
; %bb.53473:
	s_getpc_b64 s[14:15]
.Lpost_getpc12400:
	s_add_u32 s14, s14, (.LBB1_3298-.Lpost_getpc12400)&4294967295
	s_addc_u32 s15, s15, (.LBB1_3298-.Lpost_getpc12400)>>32
	s_setpc_b64 s[14:15]
.LBB1_17636:
	v_mov_b32_e32 v2, 0
	v_cmp_ne_u16_sdwa s[8:9], v9, v2 src0_sel:BYTE_0 src1_sel:DWORD
	s_andn2_b64 s[4:5], s[4:5], exec
	s_and_b64 s[8:9], s[8:9], exec
	s_or_b64 s[4:5], s[4:5], s[8:9]
	s_or_b64 exec, exec, s[6:7]
	s_and_saveexec_b64 s[6:7], s[4:5]
	s_cbranch_execz .LBB1_30321
; %bb.53475:
	s_getpc_b64 s[14:15]
.Lpost_getpc12401:
	s_add_u32 s14, s14, (.LBB1_3299-.Lpost_getpc12401)&4294967295
	s_addc_u32 s15, s15, (.LBB1_3299-.Lpost_getpc12401)>>32
	s_setpc_b64 s[14:15]
.LBB1_30321:
	s_getpc_b64 s[14:15]
.Lpost_getpc824:
	s_add_u32 s14, s14, (.LBB1_3300-.Lpost_getpc824)&4294967295
	s_addc_u32 s15, s15, (.LBB1_3300-.Lpost_getpc824)>>32
	s_setpc_b64 s[14:15]
.LBB1_17637:
	s_movk_i32 s4, 0x80
	v_cmp_eq_u16_sdwa s[12:13], v5, s4 src0_sel:BYTE_0 src1_sel:DWORD
	s_mov_b64 s[4:5], -1
                                        ; implicit-def: $sgpr10
	s_and_saveexec_b64 s[8:9], s[12:13]
; %bb.17638:
	s_mov_b32 s10, 0x7f800001
	s_xor_b64 s[4:5], exec, -1
; %bb.17639:
	s_or_b64 exec, exec, s[8:9]
	s_and_b64 s[4:5], s[4:5], exec
	s_or_saveexec_b64 s[6:7], s[6:7]
	v_mov_b32_e32 v3, s10
	s_xor_b64 exec, exec, s[6:7]
	s_cbranch_execnz .LBB1_17640
; %bb.53477:
	s_getpc_b64 s[14:15]
.Lpost_getpc12402:
	s_add_u32 s14, s14, (.LBB1_3302-.Lpost_getpc12402)&4294967295
	s_addc_u32 s15, s15, (.LBB1_3302-.Lpost_getpc12402)>>32
	s_setpc_b64 s[14:15]
.LBB1_17640:
	v_mov_b32_e32 v3, 0
	v_cmp_ne_u16_sdwa s[8:9], v5, v3 src0_sel:BYTE_0 src1_sel:DWORD
	s_andn2_b64 s[4:5], s[4:5], exec
	s_and_b64 s[8:9], s[8:9], exec
	s_or_b64 s[4:5], s[4:5], s[8:9]
	s_or_b64 exec, exec, s[6:7]
	s_and_saveexec_b64 s[6:7], s[4:5]
	s_cbranch_execz .LBB1_30323
; %bb.53479:
	s_getpc_b64 s[14:15]
.Lpost_getpc12403:
	s_add_u32 s14, s14, (.LBB1_3303-.Lpost_getpc12403)&4294967295
	s_addc_u32 s15, s15, (.LBB1_3303-.Lpost_getpc12403)>>32
	s_setpc_b64 s[14:15]
.LBB1_30323:
	s_getpc_b64 s[14:15]
.Lpost_getpc825:
	s_add_u32 s14, s14, (.LBB1_3304-.Lpost_getpc825)&4294967295
	s_addc_u32 s15, s15, (.LBB1_3304-.Lpost_getpc825)>>32
	s_setpc_b64 s[14:15]
.LBB1_17641:
	s_movk_i32 s4, 0x80
	v_cmp_eq_u16_sdwa s[12:13], v3, s4 src0_sel:BYTE_0 src1_sel:DWORD
	s_mov_b64 s[4:5], -1
                                        ; implicit-def: $sgpr10
	s_and_saveexec_b64 s[8:9], s[12:13]
; %bb.17642:
	s_mov_b32 s10, 0x7f800001
	s_xor_b64 s[4:5], exec, -1
; %bb.17643:
	s_or_b64 exec, exec, s[8:9]
	s_and_b64 s[4:5], s[4:5], exec
	s_or_saveexec_b64 s[6:7], s[6:7]
	v_mov_b32_e32 v2, s10
	s_xor_b64 exec, exec, s[6:7]
	s_cbranch_execnz .LBB1_17644
; %bb.53481:
	s_getpc_b64 s[14:15]
.Lpost_getpc12404:
	s_add_u32 s14, s14, (.LBB1_3306-.Lpost_getpc12404)&4294967295
	s_addc_u32 s15, s15, (.LBB1_3306-.Lpost_getpc12404)>>32
	s_setpc_b64 s[14:15]
.LBB1_17644:
	v_mov_b32_e32 v2, 0
	v_cmp_ne_u16_sdwa s[8:9], v3, v2 src0_sel:BYTE_0 src1_sel:DWORD
	s_andn2_b64 s[4:5], s[4:5], exec
	s_and_b64 s[8:9], s[8:9], exec
	s_or_b64 s[4:5], s[4:5], s[8:9]
	s_or_b64 exec, exec, s[6:7]
	s_and_saveexec_b64 s[6:7], s[4:5]
	s_cbranch_execz .LBB1_30325
; %bb.53483:
	s_getpc_b64 s[14:15]
.Lpost_getpc12405:
	s_add_u32 s14, s14, (.LBB1_3307-.Lpost_getpc12405)&4294967295
	s_addc_u32 s15, s15, (.LBB1_3307-.Lpost_getpc12405)>>32
	s_setpc_b64 s[14:15]
.LBB1_30325:
	s_getpc_b64 s[14:15]
.Lpost_getpc826:
	s_add_u32 s14, s14, (.LBB1_3308-.Lpost_getpc826)&4294967295
	s_addc_u32 s15, s15, (.LBB1_3308-.Lpost_getpc826)>>32
	s_setpc_b64 s[14:15]
.LBB1_17645:
	s_movk_i32 s4, 0x80
	v_cmp_eq_u16_sdwa s[12:13], v3, s4 src0_sel:BYTE_0 src1_sel:DWORD
	s_mov_b64 s[4:5], -1
                                        ; implicit-def: $sgpr10
	s_and_saveexec_b64 s[8:9], s[12:13]
; %bb.17646:
	s_mov_b32 s10, 0x7f800001
	s_xor_b64 s[4:5], exec, -1
; %bb.17647:
	s_or_b64 exec, exec, s[8:9]
	s_and_b64 s[4:5], s[4:5], exec
	s_or_saveexec_b64 s[6:7], s[6:7]
	v_mov_b32_e32 v4, s10
	s_xor_b64 exec, exec, s[6:7]
	s_cbranch_execnz .LBB1_17648
; %bb.53485:
	s_getpc_b64 s[14:15]
.Lpost_getpc12406:
	s_add_u32 s14, s14, (.LBB1_3310-.Lpost_getpc12406)&4294967295
	s_addc_u32 s15, s15, (.LBB1_3310-.Lpost_getpc12406)>>32
	s_setpc_b64 s[14:15]
.LBB1_17648:
	v_mov_b32_e32 v4, 0
	v_cmp_ne_u16_sdwa s[8:9], v3, v4 src0_sel:BYTE_0 src1_sel:DWORD
	s_andn2_b64 s[4:5], s[4:5], exec
	s_and_b64 s[8:9], s[8:9], exec
	s_or_b64 s[4:5], s[4:5], s[8:9]
	s_or_b64 exec, exec, s[6:7]
	s_and_saveexec_b64 s[6:7], s[4:5]
	s_cbranch_execz .LBB1_30327
; %bb.53487:
	s_getpc_b64 s[14:15]
.Lpost_getpc12407:
	s_add_u32 s14, s14, (.LBB1_3311-.Lpost_getpc12407)&4294967295
	s_addc_u32 s15, s15, (.LBB1_3311-.Lpost_getpc12407)>>32
	s_setpc_b64 s[14:15]
.LBB1_30327:
	s_getpc_b64 s[14:15]
.Lpost_getpc827:
	s_add_u32 s14, s14, (.LBB1_3312-.Lpost_getpc827)&4294967295
	s_addc_u32 s15, s15, (.LBB1_3312-.Lpost_getpc827)>>32
	s_setpc_b64 s[14:15]
.LBB1_17649:
	s_movk_i32 s4, 0x80
	v_cmp_eq_u16_e32 vcc, s4, v3
	s_mov_b64 s[4:5], -1
                                        ; implicit-def: $sgpr10
	s_and_saveexec_b64 s[8:9], vcc
; %bb.17650:
	s_mov_b32 s10, 0x7f800001
	s_xor_b64 s[4:5], exec, -1
; %bb.17651:
	s_or_b64 exec, exec, s[8:9]
	s_and_b64 s[4:5], s[4:5], exec
                                        ; implicit-def: $vgpr3
	s_or_saveexec_b64 s[6:7], s[6:7]
	v_mov_b32_e32 v2, s10
	s_xor_b64 exec, exec, s[6:7]
	s_cbranch_execnz .LBB1_17652
; %bb.53489:
	s_getpc_b64 s[14:15]
.Lpost_getpc12408:
	s_add_u32 s14, s14, (.LBB1_3314-.Lpost_getpc12408)&4294967295
	s_addc_u32 s15, s15, (.LBB1_3314-.Lpost_getpc12408)>>32
	s_setpc_b64 s[14:15]
.LBB1_17652:
	v_cmp_ne_u16_e32 vcc, 0, v3
	s_andn2_b64 s[4:5], s[4:5], exec
	s_and_b64 s[8:9], vcc, exec
	v_mov_b32_e32 v2, 0
	s_or_b64 s[4:5], s[4:5], s[8:9]
	s_or_b64 exec, exec, s[6:7]
	s_and_saveexec_b64 s[6:7], s[4:5]
	s_cbranch_execz .LBB1_30329
; %bb.53491:
	s_getpc_b64 s[14:15]
.Lpost_getpc12409:
	s_add_u32 s14, s14, (.LBB1_3315-.Lpost_getpc12409)&4294967295
	s_addc_u32 s15, s15, (.LBB1_3315-.Lpost_getpc12409)>>32
	s_setpc_b64 s[14:15]
.LBB1_30329:
	s_getpc_b64 s[14:15]
.Lpost_getpc828:
	s_add_u32 s14, s14, (.LBB1_3316-.Lpost_getpc828)&4294967295
	s_addc_u32 s15, s15, (.LBB1_3316-.Lpost_getpc828)>>32
	s_setpc_b64 s[14:15]
.LBB1_17653:
	s_movk_i32 s4, 0x80
	v_cmp_eq_u16_e32 vcc, s4, v3
	s_mov_b64 s[4:5], -1
                                        ; implicit-def: $sgpr10
	s_and_saveexec_b64 s[8:9], vcc
; %bb.17654:
	s_mov_b32 s10, 0x7f800001
	s_xor_b64 s[4:5], exec, -1
; %bb.17655:
	s_or_b64 exec, exec, s[8:9]
	s_and_b64 s[4:5], s[4:5], exec
                                        ; implicit-def: $vgpr3
	s_or_saveexec_b64 s[6:7], s[6:7]
	v_mov_b32_e32 v4, s10
	s_xor_b64 exec, exec, s[6:7]
	s_cbranch_execnz .LBB1_17656
; %bb.53493:
	s_getpc_b64 s[14:15]
.Lpost_getpc12410:
	s_add_u32 s14, s14, (.LBB1_3318-.Lpost_getpc12410)&4294967295
	s_addc_u32 s15, s15, (.LBB1_3318-.Lpost_getpc12410)>>32
	s_setpc_b64 s[14:15]
.LBB1_17656:
	v_cmp_ne_u16_e32 vcc, 0, v3
	s_andn2_b64 s[4:5], s[4:5], exec
	s_and_b64 s[8:9], vcc, exec
	v_mov_b32_e32 v4, 0
	s_or_b64 s[4:5], s[4:5], s[8:9]
	s_or_b64 exec, exec, s[6:7]
	s_and_saveexec_b64 s[6:7], s[4:5]
	s_cbranch_execz .LBB1_30331
; %bb.53495:
	s_getpc_b64 s[14:15]
.Lpost_getpc12411:
	s_add_u32 s14, s14, (.LBB1_3319-.Lpost_getpc12411)&4294967295
	s_addc_u32 s15, s15, (.LBB1_3319-.Lpost_getpc12411)>>32
	s_setpc_b64 s[14:15]
.LBB1_30331:
	s_getpc_b64 s[14:15]
.Lpost_getpc829:
	s_add_u32 s14, s14, (.LBB1_3320-.Lpost_getpc829)&4294967295
	s_addc_u32 s15, s15, (.LBB1_3320-.Lpost_getpc829)>>32
	s_setpc_b64 s[14:15]
.LBB1_17657:
	s_movk_i32 s4, 0x80
	v_cmp_eq_u16_sdwa s[12:13], v9, s4 src0_sel:BYTE_3 src1_sel:DWORD
	s_mov_b64 s[4:5], -1
                                        ; implicit-def: $sgpr10
	s_and_saveexec_b64 s[8:9], s[12:13]
; %bb.17658:
	s_mov_b32 s10, 0x7f800001
	s_xor_b64 s[4:5], exec, -1
; %bb.17659:
	s_or_b64 exec, exec, s[8:9]
	s_and_b64 s[4:5], s[4:5], exec
	s_or_saveexec_b64 s[6:7], s[6:7]
	v_mov_b32_e32 v2, s10
	s_xor_b64 exec, exec, s[6:7]
	s_cbranch_execnz .LBB1_17660
; %bb.53497:
	s_getpc_b64 s[14:15]
.Lpost_getpc12412:
	s_add_u32 s14, s14, (.LBB1_3322-.Lpost_getpc12412)&4294967295
	s_addc_u32 s15, s15, (.LBB1_3322-.Lpost_getpc12412)>>32
	s_setpc_b64 s[14:15]
.LBB1_17660:
	v_mov_b32_e32 v2, 0
	v_cmp_ne_u16_sdwa s[8:9], v9, v2 src0_sel:BYTE_3 src1_sel:DWORD
	s_andn2_b64 s[4:5], s[4:5], exec
	s_and_b64 s[8:9], s[8:9], exec
	s_or_b64 s[4:5], s[4:5], s[8:9]
	s_or_b64 exec, exec, s[6:7]
	s_and_saveexec_b64 s[6:7], s[4:5]
	s_cbranch_execz .LBB1_30333
; %bb.53499:
	s_getpc_b64 s[14:15]
.Lpost_getpc12413:
	s_add_u32 s14, s14, (.LBB1_3323-.Lpost_getpc12413)&4294967295
	s_addc_u32 s15, s15, (.LBB1_3323-.Lpost_getpc12413)>>32
	s_setpc_b64 s[14:15]
.LBB1_30333:
	s_getpc_b64 s[14:15]
.Lpost_getpc830:
	s_add_u32 s14, s14, (.LBB1_3324-.Lpost_getpc830)&4294967295
	s_addc_u32 s15, s15, (.LBB1_3324-.Lpost_getpc830)>>32
	s_setpc_b64 s[14:15]
.LBB1_17661:
	s_movk_i32 s4, 0x80
	v_cmp_eq_u16_sdwa s[12:13], v5, s4 src0_sel:BYTE_3 src1_sel:DWORD
	s_mov_b64 s[4:5], -1
                                        ; implicit-def: $sgpr10
	s_and_saveexec_b64 s[8:9], s[12:13]
; %bb.17662:
	s_mov_b32 s10, 0x7f800001
	s_xor_b64 s[4:5], exec, -1
; %bb.17663:
	s_or_b64 exec, exec, s[8:9]
	s_and_b64 s[4:5], s[4:5], exec
	s_or_saveexec_b64 s[6:7], s[6:7]
	v_mov_b32_e32 v3, s10
	s_xor_b64 exec, exec, s[6:7]
	s_cbranch_execnz .LBB1_17664
; %bb.53501:
	s_getpc_b64 s[14:15]
.Lpost_getpc12414:
	s_add_u32 s14, s14, (.LBB1_3326-.Lpost_getpc12414)&4294967295
	s_addc_u32 s15, s15, (.LBB1_3326-.Lpost_getpc12414)>>32
	s_setpc_b64 s[14:15]
.LBB1_17664:
	v_mov_b32_e32 v3, 0
	v_cmp_ne_u16_sdwa s[8:9], v5, v3 src0_sel:BYTE_3 src1_sel:DWORD
	s_andn2_b64 s[4:5], s[4:5], exec
	s_and_b64 s[8:9], s[8:9], exec
	s_or_b64 s[4:5], s[4:5], s[8:9]
	s_or_b64 exec, exec, s[6:7]
	s_and_saveexec_b64 s[6:7], s[4:5]
	s_cbranch_execz .LBB1_30335
; %bb.53503:
	s_getpc_b64 s[14:15]
.Lpost_getpc12415:
	s_add_u32 s14, s14, (.LBB1_3327-.Lpost_getpc12415)&4294967295
	s_addc_u32 s15, s15, (.LBB1_3327-.Lpost_getpc12415)>>32
	s_setpc_b64 s[14:15]
.LBB1_30335:
	s_getpc_b64 s[14:15]
.Lpost_getpc831:
	s_add_u32 s14, s14, (.LBB1_3328-.Lpost_getpc831)&4294967295
	s_addc_u32 s15, s15, (.LBB1_3328-.Lpost_getpc831)>>32
	s_setpc_b64 s[14:15]
.LBB1_17665:
	s_movk_i32 s4, 0x80
	v_cmp_eq_u16_sdwa s[12:13], v6, s4 src0_sel:BYTE_0 src1_sel:DWORD
	s_mov_b64 s[4:5], -1
                                        ; implicit-def: $sgpr10
	s_and_saveexec_b64 s[8:9], s[12:13]
; %bb.17666:
	s_mov_b32 s10, 0x7f800001
	s_xor_b64 s[4:5], exec, -1
; %bb.17667:
	s_or_b64 exec, exec, s[8:9]
	s_and_b64 s[4:5], s[4:5], exec
	s_or_saveexec_b64 s[6:7], s[6:7]
	v_mov_b32_e32 v12, s10
	s_xor_b64 exec, exec, s[6:7]
	s_cbranch_execnz .LBB1_17668
; %bb.53505:
	s_getpc_b64 s[14:15]
.Lpost_getpc12416:
	s_add_u32 s14, s14, (.LBB1_3330-.Lpost_getpc12416)&4294967295
	s_addc_u32 s15, s15, (.LBB1_3330-.Lpost_getpc12416)>>32
	s_setpc_b64 s[14:15]
.LBB1_17668:
	v_mov_b32_e32 v12, 0
	v_cmp_ne_u16_sdwa s[8:9], v6, v12 src0_sel:BYTE_0 src1_sel:DWORD
	s_andn2_b64 s[4:5], s[4:5], exec
	s_and_b64 s[8:9], s[8:9], exec
	s_or_b64 s[4:5], s[4:5], s[8:9]
	s_or_b64 exec, exec, s[6:7]
	s_and_saveexec_b64 s[6:7], s[4:5]
	s_cbranch_execz .LBB1_30337
; %bb.53507:
	s_getpc_b64 s[14:15]
.Lpost_getpc12417:
	s_add_u32 s14, s14, (.LBB1_3331-.Lpost_getpc12417)&4294967295
	s_addc_u32 s15, s15, (.LBB1_3331-.Lpost_getpc12417)>>32
	s_setpc_b64 s[14:15]
.LBB1_30337:
	s_getpc_b64 s[14:15]
.Lpost_getpc832:
	s_add_u32 s14, s14, (.LBB1_3332-.Lpost_getpc832)&4294967295
	s_addc_u32 s15, s15, (.LBB1_3332-.Lpost_getpc832)>>32
	s_setpc_b64 s[14:15]
.LBB1_17669:
	s_movk_i32 s4, 0x80
	v_cmp_eq_u16_sdwa s[12:13], v2, s4 src0_sel:BYTE_0 src1_sel:DWORD
	s_mov_b64 s[4:5], -1
                                        ; implicit-def: $sgpr10
	s_and_saveexec_b64 s[8:9], s[12:13]
; %bb.17670:
	s_mov_b32 s10, 0x7f800001
	s_xor_b64 s[4:5], exec, -1
; %bb.17671:
	s_or_b64 exec, exec, s[8:9]
	s_and_b64 s[4:5], s[4:5], exec
	s_or_saveexec_b64 s[6:7], s[6:7]
	v_mov_b32_e32 v13, s10
	s_xor_b64 exec, exec, s[6:7]
	s_cbranch_execnz .LBB1_17672
; %bb.53509:
	s_getpc_b64 s[14:15]
.Lpost_getpc12418:
	s_add_u32 s14, s14, (.LBB1_3334-.Lpost_getpc12418)&4294967295
	s_addc_u32 s15, s15, (.LBB1_3334-.Lpost_getpc12418)>>32
	s_setpc_b64 s[14:15]
.LBB1_17672:
	v_mov_b32_e32 v13, 0
	v_cmp_ne_u16_sdwa s[8:9], v2, v13 src0_sel:BYTE_0 src1_sel:DWORD
	s_andn2_b64 s[4:5], s[4:5], exec
	s_and_b64 s[8:9], s[8:9], exec
	s_or_b64 s[4:5], s[4:5], s[8:9]
	s_or_b64 exec, exec, s[6:7]
	s_and_saveexec_b64 s[6:7], s[4:5]
	s_cbranch_execz .LBB1_30339
; %bb.53511:
	s_getpc_b64 s[14:15]
.Lpost_getpc12419:
	s_add_u32 s14, s14, (.LBB1_3335-.Lpost_getpc12419)&4294967295
	s_addc_u32 s15, s15, (.LBB1_3335-.Lpost_getpc12419)>>32
	s_setpc_b64 s[14:15]
.LBB1_30339:
	s_getpc_b64 s[14:15]
.Lpost_getpc833:
	s_add_u32 s14, s14, (.LBB1_3336-.Lpost_getpc833)&4294967295
	s_addc_u32 s15, s15, (.LBB1_3336-.Lpost_getpc833)>>32
	s_setpc_b64 s[14:15]
.LBB1_17673:
	s_movk_i32 s4, 0x80
	v_cmp_eq_u16_sdwa s[12:13], v13, s4 src0_sel:BYTE_0 src1_sel:DWORD
	s_mov_b64 s[4:5], -1
                                        ; implicit-def: $sgpr10
	s_and_saveexec_b64 s[8:9], s[12:13]
; %bb.17674:
	s_mov_b32 s10, 0x7f800001
	s_xor_b64 s[4:5], exec, -1
; %bb.17675:
	s_or_b64 exec, exec, s[8:9]
	s_and_b64 s[4:5], s[4:5], exec
	s_or_saveexec_b64 s[6:7], s[6:7]
	v_mov_b32_e32 v12, s10
	s_xor_b64 exec, exec, s[6:7]
	s_cbranch_execnz .LBB1_17676
; %bb.53513:
	s_getpc_b64 s[14:15]
.Lpost_getpc12420:
	s_add_u32 s14, s14, (.LBB1_3338-.Lpost_getpc12420)&4294967295
	s_addc_u32 s15, s15, (.LBB1_3338-.Lpost_getpc12420)>>32
	s_setpc_b64 s[14:15]
.LBB1_17676:
	v_mov_b32_e32 v12, 0
	v_cmp_ne_u16_sdwa s[8:9], v13, v12 src0_sel:BYTE_0 src1_sel:DWORD
	s_andn2_b64 s[4:5], s[4:5], exec
	s_and_b64 s[8:9], s[8:9], exec
	s_or_b64 s[4:5], s[4:5], s[8:9]
	s_or_b64 exec, exec, s[6:7]
	s_and_saveexec_b64 s[6:7], s[4:5]
	s_cbranch_execz .LBB1_30341
; %bb.53515:
	s_getpc_b64 s[14:15]
.Lpost_getpc12421:
	s_add_u32 s14, s14, (.LBB1_3339-.Lpost_getpc12421)&4294967295
	s_addc_u32 s15, s15, (.LBB1_3339-.Lpost_getpc12421)>>32
	s_setpc_b64 s[14:15]
.LBB1_30341:
	s_getpc_b64 s[14:15]
.Lpost_getpc834:
	s_add_u32 s14, s14, (.LBB1_3340-.Lpost_getpc834)&4294967295
	s_addc_u32 s15, s15, (.LBB1_3340-.Lpost_getpc834)>>32
	s_setpc_b64 s[14:15]
.LBB1_17677:
	s_movk_i32 s4, 0x80
	v_cmp_eq_u16_sdwa s[12:13], v13, s4 src0_sel:BYTE_0 src1_sel:DWORD
	s_mov_b64 s[4:5], -1
                                        ; implicit-def: $sgpr10
	s_and_saveexec_b64 s[8:9], s[12:13]
; %bb.17678:
	s_mov_b32 s10, 0x7f800001
	s_xor_b64 s[4:5], exec, -1
; %bb.17679:
	s_or_b64 exec, exec, s[8:9]
	s_and_b64 s[4:5], s[4:5], exec
	s_or_saveexec_b64 s[6:7], s[6:7]
	v_mov_b32_e32 v14, s10
	s_xor_b64 exec, exec, s[6:7]
	s_cbranch_execnz .LBB1_17680
; %bb.53517:
	s_getpc_b64 s[14:15]
.Lpost_getpc12422:
	s_add_u32 s14, s14, (.LBB1_3342-.Lpost_getpc12422)&4294967295
	s_addc_u32 s15, s15, (.LBB1_3342-.Lpost_getpc12422)>>32
	s_setpc_b64 s[14:15]
.LBB1_17680:
	v_mov_b32_e32 v14, 0
	v_cmp_ne_u16_sdwa s[8:9], v13, v14 src0_sel:BYTE_0 src1_sel:DWORD
	s_andn2_b64 s[4:5], s[4:5], exec
	s_and_b64 s[8:9], s[8:9], exec
	s_or_b64 s[4:5], s[4:5], s[8:9]
	s_or_b64 exec, exec, s[6:7]
	s_and_saveexec_b64 s[6:7], s[4:5]
	s_cbranch_execz .LBB1_30343
; %bb.53519:
	s_getpc_b64 s[14:15]
.Lpost_getpc12423:
	s_add_u32 s14, s14, (.LBB1_3343-.Lpost_getpc12423)&4294967295
	s_addc_u32 s15, s15, (.LBB1_3343-.Lpost_getpc12423)>>32
	s_setpc_b64 s[14:15]
.LBB1_30343:
	s_getpc_b64 s[14:15]
.Lpost_getpc835:
	s_add_u32 s14, s14, (.LBB1_3344-.Lpost_getpc835)&4294967295
	s_addc_u32 s15, s15, (.LBB1_3344-.Lpost_getpc835)>>32
	s_setpc_b64 s[14:15]
.LBB1_17681:
	s_movk_i32 s4, 0x80
	v_cmp_eq_u16_e32 vcc, s4, v13
	s_mov_b64 s[4:5], -1
                                        ; implicit-def: $sgpr10
	s_and_saveexec_b64 s[8:9], vcc
; %bb.17682:
	s_mov_b32 s10, 0x7f800001
	s_xor_b64 s[4:5], exec, -1
; %bb.17683:
	s_or_b64 exec, exec, s[8:9]
	s_and_b64 s[4:5], s[4:5], exec
                                        ; implicit-def: $vgpr13
	s_or_saveexec_b64 s[6:7], s[6:7]
	v_mov_b32_e32 v12, s10
	s_xor_b64 exec, exec, s[6:7]
	s_cbranch_execnz .LBB1_17684
; %bb.53521:
	s_getpc_b64 s[14:15]
.Lpost_getpc12424:
	s_add_u32 s14, s14, (.LBB1_3346-.Lpost_getpc12424)&4294967295
	s_addc_u32 s15, s15, (.LBB1_3346-.Lpost_getpc12424)>>32
	s_setpc_b64 s[14:15]
.LBB1_17684:
	v_cmp_ne_u16_e32 vcc, 0, v13
	s_andn2_b64 s[4:5], s[4:5], exec
	s_and_b64 s[8:9], vcc, exec
	v_mov_b32_e32 v12, 0
	s_or_b64 s[4:5], s[4:5], s[8:9]
	s_or_b64 exec, exec, s[6:7]
	s_and_saveexec_b64 s[6:7], s[4:5]
	s_cbranch_execz .LBB1_30345
; %bb.53523:
	s_getpc_b64 s[14:15]
.Lpost_getpc12425:
	s_add_u32 s14, s14, (.LBB1_3347-.Lpost_getpc12425)&4294967295
	s_addc_u32 s15, s15, (.LBB1_3347-.Lpost_getpc12425)>>32
	s_setpc_b64 s[14:15]
.LBB1_30345:
	s_getpc_b64 s[14:15]
.Lpost_getpc836:
	s_add_u32 s14, s14, (.LBB1_3348-.Lpost_getpc836)&4294967295
	s_addc_u32 s15, s15, (.LBB1_3348-.Lpost_getpc836)>>32
	s_setpc_b64 s[14:15]
.LBB1_17685:
	s_movk_i32 s4, 0x80
	v_cmp_eq_u16_e32 vcc, s4, v13
	s_mov_b64 s[4:5], -1
                                        ; implicit-def: $sgpr10
	s_and_saveexec_b64 s[8:9], vcc
; %bb.17686:
	s_mov_b32 s10, 0x7f800001
	s_xor_b64 s[4:5], exec, -1
; %bb.17687:
	s_or_b64 exec, exec, s[8:9]
	s_and_b64 s[4:5], s[4:5], exec
                                        ; implicit-def: $vgpr13
	s_or_saveexec_b64 s[6:7], s[6:7]
	v_mov_b32_e32 v14, s10
	s_xor_b64 exec, exec, s[6:7]
	s_cbranch_execnz .LBB1_17688
; %bb.53525:
	s_getpc_b64 s[14:15]
.Lpost_getpc12426:
	s_add_u32 s14, s14, (.LBB1_3350-.Lpost_getpc12426)&4294967295
	s_addc_u32 s15, s15, (.LBB1_3350-.Lpost_getpc12426)>>32
	s_setpc_b64 s[14:15]
.LBB1_17688:
	v_cmp_ne_u16_e32 vcc, 0, v13
	s_andn2_b64 s[4:5], s[4:5], exec
	s_and_b64 s[8:9], vcc, exec
	v_mov_b32_e32 v14, 0
	s_or_b64 s[4:5], s[4:5], s[8:9]
	s_or_b64 exec, exec, s[6:7]
	s_and_saveexec_b64 s[6:7], s[4:5]
	s_cbranch_execz .LBB1_30347
; %bb.53527:
	s_getpc_b64 s[14:15]
.Lpost_getpc12427:
	s_add_u32 s14, s14, (.LBB1_3351-.Lpost_getpc12427)&4294967295
	s_addc_u32 s15, s15, (.LBB1_3351-.Lpost_getpc12427)>>32
	s_setpc_b64 s[14:15]
.LBB1_30347:
	s_getpc_b64 s[14:15]
.Lpost_getpc837:
	s_add_u32 s14, s14, (.LBB1_3352-.Lpost_getpc837)&4294967295
	s_addc_u32 s15, s15, (.LBB1_3352-.Lpost_getpc837)>>32
	s_setpc_b64 s[14:15]
.LBB1_17689:
	s_movk_i32 s4, 0x80
	v_cmp_eq_u16_sdwa s[12:13], v6, s4 src0_sel:BYTE_3 src1_sel:DWORD
	s_mov_b64 s[4:5], -1
                                        ; implicit-def: $sgpr10
	s_and_saveexec_b64 s[8:9], s[12:13]
; %bb.17690:
	s_mov_b32 s10, 0x7f800001
	s_xor_b64 s[4:5], exec, -1
; %bb.17691:
	s_or_b64 exec, exec, s[8:9]
	s_and_b64 s[4:5], s[4:5], exec
	s_or_saveexec_b64 s[6:7], s[6:7]
	v_mov_b32_e32 v12, s10
	s_xor_b64 exec, exec, s[6:7]
	s_cbranch_execnz .LBB1_17692
; %bb.53529:
	s_getpc_b64 s[14:15]
.Lpost_getpc12428:
	s_add_u32 s14, s14, (.LBB1_3354-.Lpost_getpc12428)&4294967295
	s_addc_u32 s15, s15, (.LBB1_3354-.Lpost_getpc12428)>>32
	s_setpc_b64 s[14:15]
.LBB1_17692:
	v_mov_b32_e32 v12, 0
	v_cmp_ne_u16_sdwa s[8:9], v6, v12 src0_sel:BYTE_3 src1_sel:DWORD
	s_andn2_b64 s[4:5], s[4:5], exec
	s_and_b64 s[8:9], s[8:9], exec
	s_or_b64 s[4:5], s[4:5], s[8:9]
	s_or_b64 exec, exec, s[6:7]
	s_and_saveexec_b64 s[6:7], s[4:5]
	s_cbranch_execz .LBB1_30349
; %bb.53531:
	s_getpc_b64 s[14:15]
.Lpost_getpc12429:
	s_add_u32 s14, s14, (.LBB1_3355-.Lpost_getpc12429)&4294967295
	s_addc_u32 s15, s15, (.LBB1_3355-.Lpost_getpc12429)>>32
	s_setpc_b64 s[14:15]
.LBB1_30349:
	s_getpc_b64 s[14:15]
.Lpost_getpc838:
	s_add_u32 s14, s14, (.LBB1_3356-.Lpost_getpc838)&4294967295
	s_addc_u32 s15, s15, (.LBB1_3356-.Lpost_getpc838)>>32
	s_setpc_b64 s[14:15]
.LBB1_17693:
	s_movk_i32 s4, 0x80
	v_cmp_eq_u16_sdwa s[12:13], v2, s4 src0_sel:BYTE_3 src1_sel:DWORD
	s_mov_b64 s[4:5], -1
                                        ; implicit-def: $sgpr10
	s_and_saveexec_b64 s[8:9], s[12:13]
; %bb.17694:
	s_mov_b32 s10, 0x7f800001
	s_xor_b64 s[4:5], exec, -1
; %bb.17695:
	s_or_b64 exec, exec, s[8:9]
	s_and_b64 s[4:5], s[4:5], exec
	s_or_saveexec_b64 s[6:7], s[6:7]
	v_mov_b32_e32 v6, s10
	s_xor_b64 exec, exec, s[6:7]
	s_cbranch_execnz .LBB1_17696
; %bb.53533:
	s_getpc_b64 s[14:15]
.Lpost_getpc12430:
	s_add_u32 s14, s14, (.LBB1_3358-.Lpost_getpc12430)&4294967295
	s_addc_u32 s15, s15, (.LBB1_3358-.Lpost_getpc12430)>>32
	s_setpc_b64 s[14:15]
.LBB1_17696:
	v_mov_b32_e32 v6, 0
	v_cmp_ne_u16_sdwa s[8:9], v2, v6 src0_sel:BYTE_3 src1_sel:DWORD
	s_andn2_b64 s[4:5], s[4:5], exec
	s_and_b64 s[8:9], s[8:9], exec
	s_or_b64 s[4:5], s[4:5], s[8:9]
	s_or_b64 exec, exec, s[6:7]
	s_and_saveexec_b64 s[6:7], s[4:5]
	s_cbranch_execz .LBB1_30351
; %bb.53535:
	s_getpc_b64 s[14:15]
.Lpost_getpc12431:
	s_add_u32 s14, s14, (.LBB1_3359-.Lpost_getpc12431)&4294967295
	s_addc_u32 s15, s15, (.LBB1_3359-.Lpost_getpc12431)>>32
	s_setpc_b64 s[14:15]
.LBB1_30351:
	s_getpc_b64 s[14:15]
.Lpost_getpc839:
	s_add_u32 s14, s14, (.LBB1_3360-.Lpost_getpc839)&4294967295
	s_addc_u32 s15, s15, (.LBB1_3360-.Lpost_getpc839)>>32
	s_setpc_b64 s[14:15]
.LBB1_17697:
	s_movk_i32 s4, 0x80
	v_cmp_eq_u16_sdwa s[12:13], v7, s4 src0_sel:BYTE_0 src1_sel:DWORD
	s_mov_b64 s[4:5], -1
                                        ; implicit-def: $sgpr10
	s_and_saveexec_b64 s[8:9], s[12:13]
; %bb.17698:
	s_mov_b32 s10, 0x7f800001
	s_xor_b64 s[4:5], exec, -1
; %bb.17699:
	s_or_b64 exec, exec, s[8:9]
	s_and_b64 s[4:5], s[4:5], exec
	s_or_saveexec_b64 s[6:7], s[6:7]
	v_mov_b32_e32 v2, s10
	s_xor_b64 exec, exec, s[6:7]
	s_cbranch_execnz .LBB1_17700
; %bb.53537:
	s_getpc_b64 s[14:15]
.Lpost_getpc12432:
	s_add_u32 s14, s14, (.LBB1_3362-.Lpost_getpc12432)&4294967295
	s_addc_u32 s15, s15, (.LBB1_3362-.Lpost_getpc12432)>>32
	s_setpc_b64 s[14:15]
.LBB1_17700:
	v_mov_b32_e32 v2, 0
	v_cmp_ne_u16_sdwa s[8:9], v7, v2 src0_sel:BYTE_0 src1_sel:DWORD
	s_andn2_b64 s[4:5], s[4:5], exec
	s_and_b64 s[8:9], s[8:9], exec
	s_or_b64 s[4:5], s[4:5], s[8:9]
	s_or_b64 exec, exec, s[6:7]
	s_and_saveexec_b64 s[6:7], s[4:5]
	s_cbranch_execz .LBB1_30353
; %bb.53539:
	s_getpc_b64 s[14:15]
.Lpost_getpc12433:
	s_add_u32 s14, s14, (.LBB1_3363-.Lpost_getpc12433)&4294967295
	s_addc_u32 s15, s15, (.LBB1_3363-.Lpost_getpc12433)>>32
	s_setpc_b64 s[14:15]
.LBB1_30353:
	s_getpc_b64 s[14:15]
.Lpost_getpc840:
	s_add_u32 s14, s14, (.LBB1_3364-.Lpost_getpc840)&4294967295
	s_addc_u32 s15, s15, (.LBB1_3364-.Lpost_getpc840)>>32
	s_setpc_b64 s[14:15]
.LBB1_17701:
	s_movk_i32 s4, 0x80
	v_cmp_eq_u16_sdwa s[12:13], v3, s4 src0_sel:BYTE_0 src1_sel:DWORD
	s_mov_b64 s[4:5], -1
                                        ; implicit-def: $sgpr10
	s_and_saveexec_b64 s[8:9], s[12:13]
; %bb.17702:
	s_mov_b32 s10, 0x7f800001
	s_xor_b64 s[4:5], exec, -1
; %bb.17703:
	s_or_b64 exec, exec, s[8:9]
	s_and_b64 s[4:5], s[4:5], exec
	s_or_saveexec_b64 s[6:7], s[6:7]
	v_mov_b32_e32 v6, s10
	s_xor_b64 exec, exec, s[6:7]
	s_cbranch_execnz .LBB1_17704
; %bb.53541:
	s_getpc_b64 s[14:15]
.Lpost_getpc12434:
	s_add_u32 s14, s14, (.LBB1_3366-.Lpost_getpc12434)&4294967295
	s_addc_u32 s15, s15, (.LBB1_3366-.Lpost_getpc12434)>>32
	s_setpc_b64 s[14:15]
.LBB1_17704:
	v_mov_b32_e32 v6, 0
	v_cmp_ne_u16_sdwa s[8:9], v3, v6 src0_sel:BYTE_0 src1_sel:DWORD
	s_andn2_b64 s[4:5], s[4:5], exec
	s_and_b64 s[8:9], s[8:9], exec
	s_or_b64 s[4:5], s[4:5], s[8:9]
	s_or_b64 exec, exec, s[6:7]
	s_and_saveexec_b64 s[6:7], s[4:5]
	s_cbranch_execz .LBB1_30355
; %bb.53543:
	s_getpc_b64 s[14:15]
.Lpost_getpc12435:
	s_add_u32 s14, s14, (.LBB1_3367-.Lpost_getpc12435)&4294967295
	s_addc_u32 s15, s15, (.LBB1_3367-.Lpost_getpc12435)>>32
	s_setpc_b64 s[14:15]
.LBB1_30355:
	s_getpc_b64 s[14:15]
.Lpost_getpc841:
	s_add_u32 s14, s14, (.LBB1_3368-.Lpost_getpc841)&4294967295
	s_addc_u32 s15, s15, (.LBB1_3368-.Lpost_getpc841)>>32
	s_setpc_b64 s[14:15]
.LBB1_17705:
	s_movk_i32 s4, 0x80
	v_cmp_eq_u16_sdwa s[12:13], v6, s4 src0_sel:BYTE_0 src1_sel:DWORD
	s_mov_b64 s[4:5], -1
                                        ; implicit-def: $sgpr10
	s_and_saveexec_b64 s[8:9], s[12:13]
; %bb.17706:
	s_mov_b32 s10, 0x7f800001
	s_xor_b64 s[4:5], exec, -1
; %bb.17707:
	s_or_b64 exec, exec, s[8:9]
	s_and_b64 s[4:5], s[4:5], exec
	s_or_saveexec_b64 s[6:7], s[6:7]
	v_mov_b32_e32 v2, s10
	s_xor_b64 exec, exec, s[6:7]
	s_cbranch_execnz .LBB1_17708
; %bb.53545:
	s_getpc_b64 s[14:15]
.Lpost_getpc12436:
	s_add_u32 s14, s14, (.LBB1_3370-.Lpost_getpc12436)&4294967295
	s_addc_u32 s15, s15, (.LBB1_3370-.Lpost_getpc12436)>>32
	s_setpc_b64 s[14:15]
.LBB1_17708:
	v_mov_b32_e32 v2, 0
	v_cmp_ne_u16_sdwa s[8:9], v6, v2 src0_sel:BYTE_0 src1_sel:DWORD
	s_andn2_b64 s[4:5], s[4:5], exec
	s_and_b64 s[8:9], s[8:9], exec
	s_or_b64 s[4:5], s[4:5], s[8:9]
	s_or_b64 exec, exec, s[6:7]
	s_and_saveexec_b64 s[6:7], s[4:5]
	s_cbranch_execz .LBB1_30357
; %bb.53547:
	s_getpc_b64 s[14:15]
.Lpost_getpc12437:
	s_add_u32 s14, s14, (.LBB1_3371-.Lpost_getpc12437)&4294967295
	s_addc_u32 s15, s15, (.LBB1_3371-.Lpost_getpc12437)>>32
	s_setpc_b64 s[14:15]
.LBB1_30357:
	s_getpc_b64 s[14:15]
.Lpost_getpc842:
	s_add_u32 s14, s14, (.LBB1_3372-.Lpost_getpc842)&4294967295
	s_addc_u32 s15, s15, (.LBB1_3372-.Lpost_getpc842)>>32
	s_setpc_b64 s[14:15]
.LBB1_17709:
	s_movk_i32 s4, 0x80
	v_cmp_eq_u16_sdwa s[12:13], v6, s4 src0_sel:BYTE_0 src1_sel:DWORD
	s_mov_b64 s[4:5], -1
                                        ; implicit-def: $sgpr10
	s_and_saveexec_b64 s[8:9], s[12:13]
; %bb.17710:
	s_mov_b32 s10, 0x7f800001
	s_xor_b64 s[4:5], exec, -1
; %bb.17711:
	s_or_b64 exec, exec, s[8:9]
	s_and_b64 s[4:5], s[4:5], exec
	s_or_saveexec_b64 s[6:7], s[6:7]
	v_mov_b32_e32 v12, s10
	s_xor_b64 exec, exec, s[6:7]
	s_cbranch_execnz .LBB1_17712
; %bb.53549:
	s_getpc_b64 s[14:15]
.Lpost_getpc12438:
	s_add_u32 s14, s14, (.LBB1_3374-.Lpost_getpc12438)&4294967295
	s_addc_u32 s15, s15, (.LBB1_3374-.Lpost_getpc12438)>>32
	s_setpc_b64 s[14:15]
.LBB1_17712:
	v_mov_b32_e32 v12, 0
	v_cmp_ne_u16_sdwa s[8:9], v6, v12 src0_sel:BYTE_0 src1_sel:DWORD
	s_andn2_b64 s[4:5], s[4:5], exec
	s_and_b64 s[8:9], s[8:9], exec
	s_or_b64 s[4:5], s[4:5], s[8:9]
	s_or_b64 exec, exec, s[6:7]
	s_and_saveexec_b64 s[6:7], s[4:5]
	s_cbranch_execz .LBB1_30359
; %bb.53551:
	s_getpc_b64 s[14:15]
.Lpost_getpc12439:
	s_add_u32 s14, s14, (.LBB1_3375-.Lpost_getpc12439)&4294967295
	s_addc_u32 s15, s15, (.LBB1_3375-.Lpost_getpc12439)>>32
	s_setpc_b64 s[14:15]
.LBB1_30359:
	s_getpc_b64 s[14:15]
.Lpost_getpc843:
	s_add_u32 s14, s14, (.LBB1_3376-.Lpost_getpc843)&4294967295
	s_addc_u32 s15, s15, (.LBB1_3376-.Lpost_getpc843)>>32
	s_setpc_b64 s[14:15]
.LBB1_17713:
	s_movk_i32 s4, 0x80
	v_cmp_eq_u16_e32 vcc, s4, v6
	s_mov_b64 s[4:5], -1
                                        ; implicit-def: $sgpr10
	s_and_saveexec_b64 s[8:9], vcc
; %bb.17714:
	s_mov_b32 s10, 0x7f800001
	s_xor_b64 s[4:5], exec, -1
; %bb.17715:
	s_or_b64 exec, exec, s[8:9]
	s_and_b64 s[4:5], s[4:5], exec
                                        ; implicit-def: $vgpr6
	s_or_saveexec_b64 s[6:7], s[6:7]
	v_mov_b32_e32 v2, s10
	s_xor_b64 exec, exec, s[6:7]
	s_cbranch_execnz .LBB1_17716
; %bb.53553:
	s_getpc_b64 s[14:15]
.Lpost_getpc12440:
	s_add_u32 s14, s14, (.LBB1_3378-.Lpost_getpc12440)&4294967295
	s_addc_u32 s15, s15, (.LBB1_3378-.Lpost_getpc12440)>>32
	s_setpc_b64 s[14:15]
.LBB1_17716:
	v_cmp_ne_u16_e32 vcc, 0, v6
	s_andn2_b64 s[4:5], s[4:5], exec
	s_and_b64 s[8:9], vcc, exec
	v_mov_b32_e32 v2, 0
	s_or_b64 s[4:5], s[4:5], s[8:9]
	s_or_b64 exec, exec, s[6:7]
	s_and_saveexec_b64 s[6:7], s[4:5]
	s_cbranch_execz .LBB1_30361
; %bb.53555:
	s_getpc_b64 s[14:15]
.Lpost_getpc12441:
	s_add_u32 s14, s14, (.LBB1_3379-.Lpost_getpc12441)&4294967295
	s_addc_u32 s15, s15, (.LBB1_3379-.Lpost_getpc12441)>>32
	s_setpc_b64 s[14:15]
.LBB1_30361:
	s_getpc_b64 s[14:15]
.Lpost_getpc844:
	s_add_u32 s14, s14, (.LBB1_3380-.Lpost_getpc844)&4294967295
	s_addc_u32 s15, s15, (.LBB1_3380-.Lpost_getpc844)>>32
	s_setpc_b64 s[14:15]
.LBB1_17717:
	s_movk_i32 s4, 0x80
	v_cmp_eq_u16_e32 vcc, s4, v6
	s_mov_b64 s[4:5], -1
                                        ; implicit-def: $sgpr10
	s_and_saveexec_b64 s[8:9], vcc
; %bb.17718:
	s_mov_b32 s10, 0x7f800001
	s_xor_b64 s[4:5], exec, -1
; %bb.17719:
	s_or_b64 exec, exec, s[8:9]
	s_and_b64 s[4:5], s[4:5], exec
                                        ; implicit-def: $vgpr6
	s_or_saveexec_b64 s[6:7], s[6:7]
	v_mov_b32_e32 v12, s10
	s_xor_b64 exec, exec, s[6:7]
	s_cbranch_execnz .LBB1_17720
; %bb.53557:
	s_getpc_b64 s[14:15]
.Lpost_getpc12442:
	s_add_u32 s14, s14, (.LBB1_3382-.Lpost_getpc12442)&4294967295
	s_addc_u32 s15, s15, (.LBB1_3382-.Lpost_getpc12442)>>32
	s_setpc_b64 s[14:15]
.LBB1_17720:
	v_cmp_ne_u16_e32 vcc, 0, v6
	s_andn2_b64 s[4:5], s[4:5], exec
	s_and_b64 s[8:9], vcc, exec
	v_mov_b32_e32 v12, 0
	s_or_b64 s[4:5], s[4:5], s[8:9]
	s_or_b64 exec, exec, s[6:7]
	s_and_saveexec_b64 s[6:7], s[4:5]
	s_cbranch_execz .LBB1_30363
; %bb.53559:
	s_getpc_b64 s[14:15]
.Lpost_getpc12443:
	s_add_u32 s14, s14, (.LBB1_3383-.Lpost_getpc12443)&4294967295
	s_addc_u32 s15, s15, (.LBB1_3383-.Lpost_getpc12443)>>32
	s_setpc_b64 s[14:15]
.LBB1_30363:
	s_getpc_b64 s[14:15]
.Lpost_getpc845:
	s_add_u32 s14, s14, (.LBB1_3384-.Lpost_getpc845)&4294967295
	s_addc_u32 s15, s15, (.LBB1_3384-.Lpost_getpc845)>>32
	s_setpc_b64 s[14:15]
.LBB1_17721:
	s_movk_i32 s4, 0x80
	v_cmp_eq_u16_sdwa s[12:13], v7, s4 src0_sel:BYTE_3 src1_sel:DWORD
	s_mov_b64 s[4:5], -1
                                        ; implicit-def: $sgpr10
	s_and_saveexec_b64 s[8:9], s[12:13]
; %bb.17722:
	s_mov_b32 s10, 0x7f800001
	s_xor_b64 s[4:5], exec, -1
; %bb.17723:
	s_or_b64 exec, exec, s[8:9]
	s_and_b64 s[4:5], s[4:5], exec
	s_or_saveexec_b64 s[6:7], s[6:7]
	v_mov_b32_e32 v2, s10
	s_xor_b64 exec, exec, s[6:7]
	s_cbranch_execnz .LBB1_17724
; %bb.53561:
	s_getpc_b64 s[14:15]
.Lpost_getpc12444:
	s_add_u32 s14, s14, (.LBB1_3386-.Lpost_getpc12444)&4294967295
	s_addc_u32 s15, s15, (.LBB1_3386-.Lpost_getpc12444)>>32
	s_setpc_b64 s[14:15]
.LBB1_17724:
	v_mov_b32_e32 v2, 0
	v_cmp_ne_u16_sdwa s[8:9], v7, v2 src0_sel:BYTE_3 src1_sel:DWORD
	s_andn2_b64 s[4:5], s[4:5], exec
	s_and_b64 s[8:9], s[8:9], exec
	s_or_b64 s[4:5], s[4:5], s[8:9]
	s_or_b64 exec, exec, s[6:7]
	s_and_saveexec_b64 s[6:7], s[4:5]
	s_cbranch_execz .LBB1_30365
; %bb.53563:
	s_getpc_b64 s[14:15]
.Lpost_getpc12445:
	s_add_u32 s14, s14, (.LBB1_3387-.Lpost_getpc12445)&4294967295
	s_addc_u32 s15, s15, (.LBB1_3387-.Lpost_getpc12445)>>32
	s_setpc_b64 s[14:15]
.LBB1_30365:
	s_getpc_b64 s[14:15]
.Lpost_getpc846:
	s_add_u32 s14, s14, (.LBB1_3388-.Lpost_getpc846)&4294967295
	s_addc_u32 s15, s15, (.LBB1_3388-.Lpost_getpc846)>>32
	s_setpc_b64 s[14:15]
.LBB1_17725:
	s_movk_i32 s4, 0x80
	v_cmp_eq_u16_sdwa s[12:13], v3, s4 src0_sel:BYTE_3 src1_sel:DWORD
	s_mov_b64 s[4:5], -1
                                        ; implicit-def: $sgpr10
	s_and_saveexec_b64 s[8:9], s[12:13]
; %bb.17726:
	s_mov_b32 s10, 0x7f800001
	s_xor_b64 s[4:5], exec, -1
; %bb.17727:
	s_or_b64 exec, exec, s[8:9]
	s_and_b64 s[4:5], s[4:5], exec
	s_or_saveexec_b64 s[6:7], s[6:7]
	v_mov_b32_e32 v6, s10
	s_xor_b64 exec, exec, s[6:7]
	s_cbranch_execnz .LBB1_17728
; %bb.53565:
	s_getpc_b64 s[14:15]
.Lpost_getpc12446:
	s_add_u32 s14, s14, (.LBB1_3390-.Lpost_getpc12446)&4294967295
	s_addc_u32 s15, s15, (.LBB1_3390-.Lpost_getpc12446)>>32
	s_setpc_b64 s[14:15]
.LBB1_17728:
	v_mov_b32_e32 v6, 0
	v_cmp_ne_u16_sdwa s[8:9], v3, v6 src0_sel:BYTE_3 src1_sel:DWORD
	s_andn2_b64 s[4:5], s[4:5], exec
	s_and_b64 s[8:9], s[8:9], exec
	s_or_b64 s[4:5], s[4:5], s[8:9]
	s_or_b64 exec, exec, s[6:7]
	s_and_saveexec_b64 s[6:7], s[4:5]
	s_cbranch_execz .LBB1_30367
; %bb.53567:
	s_getpc_b64 s[14:15]
.Lpost_getpc12447:
	s_add_u32 s14, s14, (.LBB1_3391-.Lpost_getpc12447)&4294967295
	s_addc_u32 s15, s15, (.LBB1_3391-.Lpost_getpc12447)>>32
	s_setpc_b64 s[14:15]
.LBB1_30367:
	s_getpc_b64 s[14:15]
.Lpost_getpc847:
	s_add_u32 s14, s14, (.LBB1_3392-.Lpost_getpc847)&4294967295
	s_addc_u32 s15, s15, (.LBB1_3392-.Lpost_getpc847)>>32
	s_setpc_b64 s[14:15]
.LBB1_17729:
	s_movk_i32 s4, 0x80
	v_cmp_eq_u16_sdwa s[12:13], v8, s4 src0_sel:BYTE_0 src1_sel:DWORD
	s_mov_b64 s[4:5], -1
                                        ; implicit-def: $sgpr10
	s_and_saveexec_b64 s[8:9], s[12:13]
; %bb.17730:
	s_mov_b32 s10, 0x7f800001
	s_xor_b64 s[4:5], exec, -1
; %bb.17731:
	s_or_b64 exec, exec, s[8:9]
	s_and_b64 s[4:5], s[4:5], exec
	s_or_saveexec_b64 s[6:7], s[6:7]
	v_mov_b32_e32 v2, s10
	s_xor_b64 exec, exec, s[6:7]
	s_cbranch_execnz .LBB1_17732
; %bb.53569:
	s_getpc_b64 s[14:15]
.Lpost_getpc12448:
	s_add_u32 s14, s14, (.LBB1_3394-.Lpost_getpc12448)&4294967295
	s_addc_u32 s15, s15, (.LBB1_3394-.Lpost_getpc12448)>>32
	s_setpc_b64 s[14:15]
.LBB1_17732:
	v_mov_b32_e32 v2, 0
	v_cmp_ne_u16_sdwa s[8:9], v8, v2 src0_sel:BYTE_0 src1_sel:DWORD
	s_andn2_b64 s[4:5], s[4:5], exec
	s_and_b64 s[8:9], s[8:9], exec
	s_or_b64 s[4:5], s[4:5], s[8:9]
	s_or_b64 exec, exec, s[6:7]
	s_and_saveexec_b64 s[6:7], s[4:5]
	s_cbranch_execz .LBB1_30369
; %bb.53571:
	s_getpc_b64 s[14:15]
.Lpost_getpc12449:
	s_add_u32 s14, s14, (.LBB1_3395-.Lpost_getpc12449)&4294967295
	s_addc_u32 s15, s15, (.LBB1_3395-.Lpost_getpc12449)>>32
	s_setpc_b64 s[14:15]
.LBB1_30369:
	s_getpc_b64 s[14:15]
.Lpost_getpc848:
	s_add_u32 s14, s14, (.LBB1_3396-.Lpost_getpc848)&4294967295
	s_addc_u32 s15, s15, (.LBB1_3396-.Lpost_getpc848)>>32
	s_setpc_b64 s[14:15]
.LBB1_17733:
	s_movk_i32 s4, 0x80
	v_cmp_eq_u16_sdwa s[12:13], v4, s4 src0_sel:BYTE_0 src1_sel:DWORD
	s_mov_b64 s[4:5], -1
                                        ; implicit-def: $sgpr10
	s_and_saveexec_b64 s[8:9], s[12:13]
; %bb.17734:
	s_mov_b32 s10, 0x7f800001
	s_xor_b64 s[4:5], exec, -1
; %bb.17735:
	s_or_b64 exec, exec, s[8:9]
	s_and_b64 s[4:5], s[4:5], exec
	s_or_saveexec_b64 s[6:7], s[6:7]
	v_mov_b32_e32 v3, s10
	s_xor_b64 exec, exec, s[6:7]
	s_cbranch_execnz .LBB1_17736
; %bb.53573:
	s_getpc_b64 s[14:15]
.Lpost_getpc12450:
	s_add_u32 s14, s14, (.LBB1_3398-.Lpost_getpc12450)&4294967295
	s_addc_u32 s15, s15, (.LBB1_3398-.Lpost_getpc12450)>>32
	s_setpc_b64 s[14:15]
.LBB1_17736:
	v_mov_b32_e32 v3, 0
	v_cmp_ne_u16_sdwa s[8:9], v4, v3 src0_sel:BYTE_0 src1_sel:DWORD
	s_andn2_b64 s[4:5], s[4:5], exec
	s_and_b64 s[8:9], s[8:9], exec
	s_or_b64 s[4:5], s[4:5], s[8:9]
	s_or_b64 exec, exec, s[6:7]
	s_and_saveexec_b64 s[6:7], s[4:5]
	s_cbranch_execz .LBB1_30371
; %bb.53575:
	s_getpc_b64 s[14:15]
.Lpost_getpc12451:
	s_add_u32 s14, s14, (.LBB1_3399-.Lpost_getpc12451)&4294967295
	s_addc_u32 s15, s15, (.LBB1_3399-.Lpost_getpc12451)>>32
	s_setpc_b64 s[14:15]
.LBB1_30371:
	s_getpc_b64 s[14:15]
.Lpost_getpc849:
	s_add_u32 s14, s14, (.LBB1_3400-.Lpost_getpc849)&4294967295
	s_addc_u32 s15, s15, (.LBB1_3400-.Lpost_getpc849)>>32
	s_setpc_b64 s[14:15]
.LBB1_17737:
	s_movk_i32 s4, 0x80
	v_cmp_eq_u16_sdwa s[12:13], v3, s4 src0_sel:BYTE_0 src1_sel:DWORD
	s_mov_b64 s[4:5], -1
                                        ; implicit-def: $sgpr10
	s_and_saveexec_b64 s[8:9], s[12:13]
; %bb.17738:
	s_mov_b32 s10, 0x7f800001
	s_xor_b64 s[4:5], exec, -1
; %bb.17739:
	s_or_b64 exec, exec, s[8:9]
	s_and_b64 s[4:5], s[4:5], exec
	s_or_saveexec_b64 s[6:7], s[6:7]
	v_mov_b32_e32 v2, s10
	s_xor_b64 exec, exec, s[6:7]
	s_cbranch_execnz .LBB1_17740
; %bb.53577:
	s_getpc_b64 s[14:15]
.Lpost_getpc12452:
	s_add_u32 s14, s14, (.LBB1_3402-.Lpost_getpc12452)&4294967295
	s_addc_u32 s15, s15, (.LBB1_3402-.Lpost_getpc12452)>>32
	s_setpc_b64 s[14:15]
.LBB1_17740:
	v_mov_b32_e32 v2, 0
	v_cmp_ne_u16_sdwa s[8:9], v3, v2 src0_sel:BYTE_0 src1_sel:DWORD
	s_andn2_b64 s[4:5], s[4:5], exec
	s_and_b64 s[8:9], s[8:9], exec
	s_or_b64 s[4:5], s[4:5], s[8:9]
	s_or_b64 exec, exec, s[6:7]
	s_and_saveexec_b64 s[6:7], s[4:5]
	s_cbranch_execz .LBB1_30373
; %bb.53579:
	s_getpc_b64 s[14:15]
.Lpost_getpc12453:
	s_add_u32 s14, s14, (.LBB1_3403-.Lpost_getpc12453)&4294967295
	s_addc_u32 s15, s15, (.LBB1_3403-.Lpost_getpc12453)>>32
	s_setpc_b64 s[14:15]
.LBB1_30373:
	s_getpc_b64 s[14:15]
.Lpost_getpc850:
	s_add_u32 s14, s14, (.LBB1_3404-.Lpost_getpc850)&4294967295
	s_addc_u32 s15, s15, (.LBB1_3404-.Lpost_getpc850)>>32
	s_setpc_b64 s[14:15]
.LBB1_17741:
	s_movk_i32 s4, 0x80
	v_cmp_eq_u16_sdwa s[12:13], v3, s4 src0_sel:BYTE_0 src1_sel:DWORD
	s_mov_b64 s[4:5], -1
                                        ; implicit-def: $sgpr10
	s_and_saveexec_b64 s[8:9], s[12:13]
; %bb.17742:
	s_mov_b32 s10, 0x7f800001
	s_xor_b64 s[4:5], exec, -1
; %bb.17743:
	s_or_b64 exec, exec, s[8:9]
	s_and_b64 s[4:5], s[4:5], exec
	s_or_saveexec_b64 s[6:7], s[6:7]
	v_mov_b32_e32 v6, s10
	s_xor_b64 exec, exec, s[6:7]
	s_cbranch_execnz .LBB1_17744
; %bb.53581:
	s_getpc_b64 s[14:15]
.Lpost_getpc12454:
	s_add_u32 s14, s14, (.LBB1_3406-.Lpost_getpc12454)&4294967295
	s_addc_u32 s15, s15, (.LBB1_3406-.Lpost_getpc12454)>>32
	s_setpc_b64 s[14:15]
.LBB1_17744:
	v_mov_b32_e32 v6, 0
	v_cmp_ne_u16_sdwa s[8:9], v3, v6 src0_sel:BYTE_0 src1_sel:DWORD
	s_andn2_b64 s[4:5], s[4:5], exec
	s_and_b64 s[8:9], s[8:9], exec
	s_or_b64 s[4:5], s[4:5], s[8:9]
	s_or_b64 exec, exec, s[6:7]
	s_and_saveexec_b64 s[6:7], s[4:5]
	s_cbranch_execz .LBB1_30375
; %bb.53583:
	s_getpc_b64 s[14:15]
.Lpost_getpc12455:
	s_add_u32 s14, s14, (.LBB1_3407-.Lpost_getpc12455)&4294967295
	s_addc_u32 s15, s15, (.LBB1_3407-.Lpost_getpc12455)>>32
	s_setpc_b64 s[14:15]
.LBB1_30375:
	s_getpc_b64 s[14:15]
.Lpost_getpc851:
	s_add_u32 s14, s14, (.LBB1_3408-.Lpost_getpc851)&4294967295
	s_addc_u32 s15, s15, (.LBB1_3408-.Lpost_getpc851)>>32
	s_setpc_b64 s[14:15]
.LBB1_17745:
	s_movk_i32 s4, 0x80
	v_cmp_eq_u16_e32 vcc, s4, v3
	s_mov_b64 s[4:5], -1
                                        ; implicit-def: $sgpr10
	s_and_saveexec_b64 s[8:9], vcc
; %bb.17746:
	s_mov_b32 s10, 0x7f800001
	s_xor_b64 s[4:5], exec, -1
; %bb.17747:
	s_or_b64 exec, exec, s[8:9]
	s_and_b64 s[4:5], s[4:5], exec
                                        ; implicit-def: $vgpr3
	s_or_saveexec_b64 s[6:7], s[6:7]
	v_mov_b32_e32 v2, s10
	s_xor_b64 exec, exec, s[6:7]
	s_cbranch_execnz .LBB1_17748
; %bb.53585:
	s_getpc_b64 s[14:15]
.Lpost_getpc12456:
	s_add_u32 s14, s14, (.LBB1_3410-.Lpost_getpc12456)&4294967295
	s_addc_u32 s15, s15, (.LBB1_3410-.Lpost_getpc12456)>>32
	s_setpc_b64 s[14:15]
.LBB1_17748:
	v_cmp_ne_u16_e32 vcc, 0, v3
	s_andn2_b64 s[4:5], s[4:5], exec
	s_and_b64 s[8:9], vcc, exec
	v_mov_b32_e32 v2, 0
	s_or_b64 s[4:5], s[4:5], s[8:9]
	s_or_b64 exec, exec, s[6:7]
	s_and_saveexec_b64 s[6:7], s[4:5]
	s_cbranch_execz .LBB1_30377
; %bb.53587:
	s_getpc_b64 s[14:15]
.Lpost_getpc12457:
	s_add_u32 s14, s14, (.LBB1_3411-.Lpost_getpc12457)&4294967295
	s_addc_u32 s15, s15, (.LBB1_3411-.Lpost_getpc12457)>>32
	s_setpc_b64 s[14:15]
.LBB1_30377:
	s_getpc_b64 s[14:15]
.Lpost_getpc852:
	s_add_u32 s14, s14, (.LBB1_3412-.Lpost_getpc852)&4294967295
	s_addc_u32 s15, s15, (.LBB1_3412-.Lpost_getpc852)>>32
	s_setpc_b64 s[14:15]
.LBB1_17749:
	s_movk_i32 s4, 0x80
	v_cmp_eq_u16_e32 vcc, s4, v3
	s_mov_b64 s[4:5], -1
                                        ; implicit-def: $sgpr10
	s_and_saveexec_b64 s[8:9], vcc
; %bb.17750:
	s_mov_b32 s10, 0x7f800001
	s_xor_b64 s[4:5], exec, -1
; %bb.17751:
	s_or_b64 exec, exec, s[8:9]
	s_and_b64 s[4:5], s[4:5], exec
                                        ; implicit-def: $vgpr3
	s_or_saveexec_b64 s[6:7], s[6:7]
	v_mov_b32_e32 v6, s10
	s_xor_b64 exec, exec, s[6:7]
	s_cbranch_execnz .LBB1_17752
; %bb.53589:
	s_getpc_b64 s[14:15]
.Lpost_getpc12458:
	s_add_u32 s14, s14, (.LBB1_3414-.Lpost_getpc12458)&4294967295
	s_addc_u32 s15, s15, (.LBB1_3414-.Lpost_getpc12458)>>32
	s_setpc_b64 s[14:15]
.LBB1_17752:
	v_cmp_ne_u16_e32 vcc, 0, v3
	s_andn2_b64 s[4:5], s[4:5], exec
	s_and_b64 s[8:9], vcc, exec
	v_mov_b32_e32 v6, 0
	s_or_b64 s[4:5], s[4:5], s[8:9]
	s_or_b64 exec, exec, s[6:7]
	s_and_saveexec_b64 s[6:7], s[4:5]
	s_cbranch_execz .LBB1_30379
; %bb.53591:
	s_getpc_b64 s[14:15]
.Lpost_getpc12459:
	s_add_u32 s14, s14, (.LBB1_3415-.Lpost_getpc12459)&4294967295
	s_addc_u32 s15, s15, (.LBB1_3415-.Lpost_getpc12459)>>32
	s_setpc_b64 s[14:15]
.LBB1_30379:
	s_getpc_b64 s[14:15]
.Lpost_getpc853:
	s_add_u32 s14, s14, (.LBB1_3416-.Lpost_getpc853)&4294967295
	s_addc_u32 s15, s15, (.LBB1_3416-.Lpost_getpc853)>>32
	s_setpc_b64 s[14:15]
.LBB1_17753:
	s_movk_i32 s4, 0x80
	v_cmp_eq_u16_sdwa s[12:13], v8, s4 src0_sel:BYTE_3 src1_sel:DWORD
	s_mov_b64 s[4:5], -1
                                        ; implicit-def: $sgpr10
	s_and_saveexec_b64 s[8:9], s[12:13]
; %bb.17754:
	s_mov_b32 s10, 0x7f800001
	s_xor_b64 s[4:5], exec, -1
; %bb.17755:
	s_or_b64 exec, exec, s[8:9]
	s_and_b64 s[4:5], s[4:5], exec
	s_or_saveexec_b64 s[6:7], s[6:7]
	v_mov_b32_e32 v2, s10
	s_xor_b64 exec, exec, s[6:7]
	s_cbranch_execnz .LBB1_17756
; %bb.53593:
	s_getpc_b64 s[14:15]
.Lpost_getpc12460:
	s_add_u32 s14, s14, (.LBB1_3418-.Lpost_getpc12460)&4294967295
	s_addc_u32 s15, s15, (.LBB1_3418-.Lpost_getpc12460)>>32
	s_setpc_b64 s[14:15]
.LBB1_17756:
	v_mov_b32_e32 v2, 0
	v_cmp_ne_u16_sdwa s[8:9], v8, v2 src0_sel:BYTE_3 src1_sel:DWORD
	s_andn2_b64 s[4:5], s[4:5], exec
	s_and_b64 s[8:9], s[8:9], exec
	s_or_b64 s[4:5], s[4:5], s[8:9]
	s_or_b64 exec, exec, s[6:7]
	s_and_saveexec_b64 s[6:7], s[4:5]
	s_cbranch_execz .LBB1_30381
; %bb.53595:
	s_getpc_b64 s[14:15]
.Lpost_getpc12461:
	s_add_u32 s14, s14, (.LBB1_3419-.Lpost_getpc12461)&4294967295
	s_addc_u32 s15, s15, (.LBB1_3419-.Lpost_getpc12461)>>32
	s_setpc_b64 s[14:15]
.LBB1_30381:
	s_getpc_b64 s[14:15]
.Lpost_getpc854:
	s_add_u32 s14, s14, (.LBB1_3420-.Lpost_getpc854)&4294967295
	s_addc_u32 s15, s15, (.LBB1_3420-.Lpost_getpc854)>>32
	s_setpc_b64 s[14:15]
.LBB1_17757:
	s_movk_i32 s4, 0x80
	v_cmp_eq_u16_sdwa s[12:13], v4, s4 src0_sel:BYTE_3 src1_sel:DWORD
	s_mov_b64 s[4:5], -1
                                        ; implicit-def: $sgpr10
	s_and_saveexec_b64 s[8:9], s[12:13]
; %bb.17758:
	s_mov_b32 s10, 0x7f800001
	s_xor_b64 s[4:5], exec, -1
; %bb.17759:
	s_or_b64 exec, exec, s[8:9]
	s_and_b64 s[4:5], s[4:5], exec
	s_or_saveexec_b64 s[6:7], s[6:7]
	v_mov_b32_e32 v3, s10
	s_xor_b64 exec, exec, s[6:7]
	s_cbranch_execnz .LBB1_17760
; %bb.53597:
	s_getpc_b64 s[14:15]
.Lpost_getpc12462:
	s_add_u32 s14, s14, (.LBB1_3422-.Lpost_getpc12462)&4294967295
	s_addc_u32 s15, s15, (.LBB1_3422-.Lpost_getpc12462)>>32
	s_setpc_b64 s[14:15]
.LBB1_17760:
	v_mov_b32_e32 v3, 0
	v_cmp_ne_u16_sdwa s[8:9], v4, v3 src0_sel:BYTE_3 src1_sel:DWORD
	s_andn2_b64 s[4:5], s[4:5], exec
	s_and_b64 s[8:9], s[8:9], exec
	s_or_b64 s[4:5], s[4:5], s[8:9]
	s_or_b64 exec, exec, s[6:7]
	s_and_saveexec_b64 s[6:7], s[4:5]
	s_cbranch_execz .LBB1_30383
; %bb.53599:
	s_getpc_b64 s[14:15]
.Lpost_getpc12463:
	s_add_u32 s14, s14, (.LBB1_3423-.Lpost_getpc12463)&4294967295
	s_addc_u32 s15, s15, (.LBB1_3423-.Lpost_getpc12463)>>32
	s_setpc_b64 s[14:15]
.LBB1_30383:
	s_getpc_b64 s[14:15]
.Lpost_getpc855:
	s_add_u32 s14, s14, (.LBB1_3424-.Lpost_getpc855)&4294967295
	s_addc_u32 s15, s15, (.LBB1_3424-.Lpost_getpc855)>>32
	s_setpc_b64 s[14:15]
.LBB1_17761:
	s_movk_i32 s4, 0x80
	v_cmp_eq_u16_sdwa s[12:13], v9, s4 src0_sel:BYTE_0 src1_sel:DWORD
	s_mov_b64 s[4:5], -1
                                        ; implicit-def: $sgpr10
	s_and_saveexec_b64 s[8:9], s[12:13]
; %bb.17762:
	s_mov_b32 s10, 0x7f800001
	s_xor_b64 s[4:5], exec, -1
; %bb.17763:
	s_or_b64 exec, exec, s[8:9]
	s_and_b64 s[4:5], s[4:5], exec
	s_or_saveexec_b64 s[6:7], s[6:7]
	v_mov_b32_e32 v2, s10
	s_xor_b64 exec, exec, s[6:7]
	s_cbranch_execnz .LBB1_17764
; %bb.53601:
	s_getpc_b64 s[14:15]
.Lpost_getpc12464:
	s_add_u32 s14, s14, (.LBB1_3426-.Lpost_getpc12464)&4294967295
	s_addc_u32 s15, s15, (.LBB1_3426-.Lpost_getpc12464)>>32
	s_setpc_b64 s[14:15]
.LBB1_17764:
	v_mov_b32_e32 v2, 0
	v_cmp_ne_u16_sdwa s[8:9], v9, v2 src0_sel:BYTE_0 src1_sel:DWORD
	s_andn2_b64 s[4:5], s[4:5], exec
	s_and_b64 s[8:9], s[8:9], exec
	s_or_b64 s[4:5], s[4:5], s[8:9]
	s_or_b64 exec, exec, s[6:7]
	s_and_saveexec_b64 s[6:7], s[4:5]
	s_cbranch_execz .LBB1_30385
; %bb.53603:
	s_getpc_b64 s[14:15]
.Lpost_getpc12465:
	s_add_u32 s14, s14, (.LBB1_3427-.Lpost_getpc12465)&4294967295
	s_addc_u32 s15, s15, (.LBB1_3427-.Lpost_getpc12465)>>32
	s_setpc_b64 s[14:15]
.LBB1_30385:
	s_getpc_b64 s[14:15]
.Lpost_getpc856:
	s_add_u32 s14, s14, (.LBB1_3428-.Lpost_getpc856)&4294967295
	s_addc_u32 s15, s15, (.LBB1_3428-.Lpost_getpc856)>>32
	s_setpc_b64 s[14:15]
.LBB1_17765:
	s_movk_i32 s4, 0x80
	v_cmp_eq_u16_sdwa s[12:13], v5, s4 src0_sel:BYTE_0 src1_sel:DWORD
	s_mov_b64 s[4:5], -1
                                        ; implicit-def: $sgpr10
	s_and_saveexec_b64 s[8:9], s[12:13]
; %bb.17766:
	s_mov_b32 s10, 0x7f800001
	s_xor_b64 s[4:5], exec, -1
; %bb.17767:
	s_or_b64 exec, exec, s[8:9]
	s_and_b64 s[4:5], s[4:5], exec
	s_or_saveexec_b64 s[6:7], s[6:7]
	v_mov_b32_e32 v3, s10
	s_xor_b64 exec, exec, s[6:7]
	s_cbranch_execnz .LBB1_17768
; %bb.53605:
	s_getpc_b64 s[14:15]
.Lpost_getpc12466:
	s_add_u32 s14, s14, (.LBB1_3430-.Lpost_getpc12466)&4294967295
	s_addc_u32 s15, s15, (.LBB1_3430-.Lpost_getpc12466)>>32
	s_setpc_b64 s[14:15]
.LBB1_17768:
	v_mov_b32_e32 v3, 0
	v_cmp_ne_u16_sdwa s[8:9], v5, v3 src0_sel:BYTE_0 src1_sel:DWORD
	s_andn2_b64 s[4:5], s[4:5], exec
	s_and_b64 s[8:9], s[8:9], exec
	s_or_b64 s[4:5], s[4:5], s[8:9]
	s_or_b64 exec, exec, s[6:7]
	s_and_saveexec_b64 s[6:7], s[4:5]
	s_cbranch_execz .LBB1_30387
; %bb.53607:
	s_getpc_b64 s[14:15]
.Lpost_getpc12467:
	s_add_u32 s14, s14, (.LBB1_3431-.Lpost_getpc12467)&4294967295
	s_addc_u32 s15, s15, (.LBB1_3431-.Lpost_getpc12467)>>32
	s_setpc_b64 s[14:15]
.LBB1_30387:
	s_getpc_b64 s[14:15]
.Lpost_getpc857:
	s_add_u32 s14, s14, (.LBB1_3432-.Lpost_getpc857)&4294967295
	s_addc_u32 s15, s15, (.LBB1_3432-.Lpost_getpc857)>>32
	s_setpc_b64 s[14:15]
.LBB1_17769:
	s_movk_i32 s4, 0x80
	v_cmp_eq_u16_sdwa s[12:13], v3, s4 src0_sel:BYTE_0 src1_sel:DWORD
	s_mov_b64 s[4:5], -1
                                        ; implicit-def: $sgpr10
	s_and_saveexec_b64 s[8:9], s[12:13]
; %bb.17770:
	s_mov_b32 s10, 0x7f800001
	s_xor_b64 s[4:5], exec, -1
; %bb.17771:
	s_or_b64 exec, exec, s[8:9]
	s_and_b64 s[4:5], s[4:5], exec
	s_or_saveexec_b64 s[6:7], s[6:7]
	v_mov_b32_e32 v2, s10
	s_xor_b64 exec, exec, s[6:7]
	s_cbranch_execnz .LBB1_17772
; %bb.53609:
	s_getpc_b64 s[14:15]
.Lpost_getpc12468:
	s_add_u32 s14, s14, (.LBB1_3434-.Lpost_getpc12468)&4294967295
	s_addc_u32 s15, s15, (.LBB1_3434-.Lpost_getpc12468)>>32
	s_setpc_b64 s[14:15]
.LBB1_17772:
	v_mov_b32_e32 v2, 0
	v_cmp_ne_u16_sdwa s[8:9], v3, v2 src0_sel:BYTE_0 src1_sel:DWORD
	s_andn2_b64 s[4:5], s[4:5], exec
	s_and_b64 s[8:9], s[8:9], exec
	s_or_b64 s[4:5], s[4:5], s[8:9]
	s_or_b64 exec, exec, s[6:7]
	s_and_saveexec_b64 s[6:7], s[4:5]
	s_cbranch_execz .LBB1_30389
; %bb.53611:
	s_getpc_b64 s[14:15]
.Lpost_getpc12469:
	s_add_u32 s14, s14, (.LBB1_3435-.Lpost_getpc12469)&4294967295
	s_addc_u32 s15, s15, (.LBB1_3435-.Lpost_getpc12469)>>32
	s_setpc_b64 s[14:15]
.LBB1_30389:
	s_getpc_b64 s[14:15]
.Lpost_getpc858:
	s_add_u32 s14, s14, (.LBB1_3436-.Lpost_getpc858)&4294967295
	s_addc_u32 s15, s15, (.LBB1_3436-.Lpost_getpc858)>>32
	s_setpc_b64 s[14:15]
.LBB1_17773:
	s_movk_i32 s4, 0x80
	v_cmp_eq_u16_sdwa s[12:13], v3, s4 src0_sel:BYTE_0 src1_sel:DWORD
	s_mov_b64 s[4:5], -1
                                        ; implicit-def: $sgpr10
	s_and_saveexec_b64 s[8:9], s[12:13]
; %bb.17774:
	s_mov_b32 s10, 0x7f800001
	s_xor_b64 s[4:5], exec, -1
; %bb.17775:
	s_or_b64 exec, exec, s[8:9]
	s_and_b64 s[4:5], s[4:5], exec
	s_or_saveexec_b64 s[6:7], s[6:7]
	v_mov_b32_e32 v4, s10
	s_xor_b64 exec, exec, s[6:7]
	s_cbranch_execnz .LBB1_17776
; %bb.53613:
	s_getpc_b64 s[14:15]
.Lpost_getpc12470:
	s_add_u32 s14, s14, (.LBB1_3438-.Lpost_getpc12470)&4294967295
	s_addc_u32 s15, s15, (.LBB1_3438-.Lpost_getpc12470)>>32
	s_setpc_b64 s[14:15]
.LBB1_17776:
	v_mov_b32_e32 v4, 0
	v_cmp_ne_u16_sdwa s[8:9], v3, v4 src0_sel:BYTE_0 src1_sel:DWORD
	s_andn2_b64 s[4:5], s[4:5], exec
	s_and_b64 s[8:9], s[8:9], exec
	s_or_b64 s[4:5], s[4:5], s[8:9]
	s_or_b64 exec, exec, s[6:7]
	s_and_saveexec_b64 s[6:7], s[4:5]
	s_cbranch_execz .LBB1_30391
; %bb.53615:
	s_getpc_b64 s[14:15]
.Lpost_getpc12471:
	s_add_u32 s14, s14, (.LBB1_3439-.Lpost_getpc12471)&4294967295
	s_addc_u32 s15, s15, (.LBB1_3439-.Lpost_getpc12471)>>32
	s_setpc_b64 s[14:15]
.LBB1_30391:
	s_getpc_b64 s[14:15]
.Lpost_getpc859:
	s_add_u32 s14, s14, (.LBB1_3440-.Lpost_getpc859)&4294967295
	s_addc_u32 s15, s15, (.LBB1_3440-.Lpost_getpc859)>>32
	s_setpc_b64 s[14:15]
.LBB1_17777:
	s_movk_i32 s4, 0x80
	v_cmp_eq_u16_e32 vcc, s4, v3
	s_mov_b64 s[4:5], -1
                                        ; implicit-def: $sgpr10
	s_and_saveexec_b64 s[8:9], vcc
; %bb.17778:
	s_mov_b32 s10, 0x7f800001
	s_xor_b64 s[4:5], exec, -1
; %bb.17779:
	s_or_b64 exec, exec, s[8:9]
	s_and_b64 s[4:5], s[4:5], exec
                                        ; implicit-def: $vgpr3
	s_or_saveexec_b64 s[6:7], s[6:7]
	v_mov_b32_e32 v2, s10
	s_xor_b64 exec, exec, s[6:7]
	s_cbranch_execnz .LBB1_17780
; %bb.53617:
	s_getpc_b64 s[14:15]
.Lpost_getpc12472:
	s_add_u32 s14, s14, (.LBB1_3442-.Lpost_getpc12472)&4294967295
	s_addc_u32 s15, s15, (.LBB1_3442-.Lpost_getpc12472)>>32
	s_setpc_b64 s[14:15]
.LBB1_17780:
	v_cmp_ne_u16_e32 vcc, 0, v3
	s_andn2_b64 s[4:5], s[4:5], exec
	s_and_b64 s[8:9], vcc, exec
	v_mov_b32_e32 v2, 0
	s_or_b64 s[4:5], s[4:5], s[8:9]
	s_or_b64 exec, exec, s[6:7]
	s_and_saveexec_b64 s[6:7], s[4:5]
	s_cbranch_execz .LBB1_30393
; %bb.53619:
	s_getpc_b64 s[14:15]
.Lpost_getpc12473:
	s_add_u32 s14, s14, (.LBB1_3443-.Lpost_getpc12473)&4294967295
	s_addc_u32 s15, s15, (.LBB1_3443-.Lpost_getpc12473)>>32
	s_setpc_b64 s[14:15]
.LBB1_30393:
	s_getpc_b64 s[14:15]
.Lpost_getpc860:
	s_add_u32 s14, s14, (.LBB1_3444-.Lpost_getpc860)&4294967295
	s_addc_u32 s15, s15, (.LBB1_3444-.Lpost_getpc860)>>32
	s_setpc_b64 s[14:15]
.LBB1_17781:
	s_movk_i32 s4, 0x80
	v_cmp_eq_u16_e32 vcc, s4, v3
	s_mov_b64 s[4:5], -1
                                        ; implicit-def: $sgpr10
	s_and_saveexec_b64 s[8:9], vcc
; %bb.17782:
	s_mov_b32 s10, 0x7f800001
	s_xor_b64 s[4:5], exec, -1
; %bb.17783:
	s_or_b64 exec, exec, s[8:9]
	s_and_b64 s[4:5], s[4:5], exec
                                        ; implicit-def: $vgpr3
	s_or_saveexec_b64 s[6:7], s[6:7]
	v_mov_b32_e32 v4, s10
	s_xor_b64 exec, exec, s[6:7]
	s_cbranch_execnz .LBB1_17784
; %bb.53621:
	s_getpc_b64 s[14:15]
.Lpost_getpc12474:
	s_add_u32 s14, s14, (.LBB1_3446-.Lpost_getpc12474)&4294967295
	s_addc_u32 s15, s15, (.LBB1_3446-.Lpost_getpc12474)>>32
	s_setpc_b64 s[14:15]
.LBB1_17784:
	v_cmp_ne_u16_e32 vcc, 0, v3
	s_andn2_b64 s[4:5], s[4:5], exec
	s_and_b64 s[8:9], vcc, exec
	v_mov_b32_e32 v4, 0
	s_or_b64 s[4:5], s[4:5], s[8:9]
	s_or_b64 exec, exec, s[6:7]
	s_and_saveexec_b64 s[6:7], s[4:5]
	s_cbranch_execz .LBB1_30395
; %bb.53623:
	s_getpc_b64 s[14:15]
.Lpost_getpc12475:
	s_add_u32 s14, s14, (.LBB1_3447-.Lpost_getpc12475)&4294967295
	s_addc_u32 s15, s15, (.LBB1_3447-.Lpost_getpc12475)>>32
	s_setpc_b64 s[14:15]
.LBB1_30395:
	s_getpc_b64 s[14:15]
.Lpost_getpc861:
	s_add_u32 s14, s14, (.LBB1_3448-.Lpost_getpc861)&4294967295
	s_addc_u32 s15, s15, (.LBB1_3448-.Lpost_getpc861)>>32
	s_setpc_b64 s[14:15]
.LBB1_17785:
	s_movk_i32 s4, 0x80
	v_cmp_eq_u16_sdwa s[12:13], v9, s4 src0_sel:BYTE_3 src1_sel:DWORD
	s_mov_b64 s[4:5], -1
                                        ; implicit-def: $sgpr10
	s_and_saveexec_b64 s[8:9], s[12:13]
; %bb.17786:
	s_mov_b32 s10, 0x7f800001
	s_xor_b64 s[4:5], exec, -1
; %bb.17787:
	s_or_b64 exec, exec, s[8:9]
	s_and_b64 s[4:5], s[4:5], exec
	s_or_saveexec_b64 s[6:7], s[6:7]
	v_mov_b32_e32 v2, s10
	s_xor_b64 exec, exec, s[6:7]
	s_cbranch_execnz .LBB1_17788
; %bb.53625:
	s_getpc_b64 s[14:15]
.Lpost_getpc12476:
	s_add_u32 s14, s14, (.LBB1_3450-.Lpost_getpc12476)&4294967295
	s_addc_u32 s15, s15, (.LBB1_3450-.Lpost_getpc12476)>>32
	s_setpc_b64 s[14:15]
.LBB1_17788:
	v_mov_b32_e32 v2, 0
	v_cmp_ne_u16_sdwa s[8:9], v9, v2 src0_sel:BYTE_3 src1_sel:DWORD
	s_andn2_b64 s[4:5], s[4:5], exec
	s_and_b64 s[8:9], s[8:9], exec
	s_or_b64 s[4:5], s[4:5], s[8:9]
	s_or_b64 exec, exec, s[6:7]
	s_and_saveexec_b64 s[6:7], s[4:5]
	s_cbranch_execz .LBB1_30397
; %bb.53627:
	s_getpc_b64 s[14:15]
.Lpost_getpc12477:
	s_add_u32 s14, s14, (.LBB1_3451-.Lpost_getpc12477)&4294967295
	s_addc_u32 s15, s15, (.LBB1_3451-.Lpost_getpc12477)>>32
	s_setpc_b64 s[14:15]
.LBB1_30397:
	s_getpc_b64 s[14:15]
.Lpost_getpc862:
	s_add_u32 s14, s14, (.LBB1_3452-.Lpost_getpc862)&4294967295
	s_addc_u32 s15, s15, (.LBB1_3452-.Lpost_getpc862)>>32
	s_setpc_b64 s[14:15]
.LBB1_17789:
	s_movk_i32 s4, 0x80
	v_cmp_eq_u16_sdwa s[12:13], v5, s4 src0_sel:BYTE_3 src1_sel:DWORD
	s_mov_b64 s[4:5], -1
                                        ; implicit-def: $sgpr10
	s_and_saveexec_b64 s[8:9], s[12:13]
; %bb.17790:
	s_mov_b32 s10, 0x7f800001
	s_xor_b64 s[4:5], exec, -1
; %bb.17791:
	s_or_b64 exec, exec, s[8:9]
	s_and_b64 s[4:5], s[4:5], exec
	s_or_saveexec_b64 s[6:7], s[6:7]
	v_mov_b32_e32 v3, s10
	s_xor_b64 exec, exec, s[6:7]
	s_cbranch_execnz .LBB1_17792
; %bb.53629:
	s_getpc_b64 s[14:15]
.Lpost_getpc12478:
	s_add_u32 s14, s14, (.LBB1_3454-.Lpost_getpc12478)&4294967295
	s_addc_u32 s15, s15, (.LBB1_3454-.Lpost_getpc12478)>>32
	s_setpc_b64 s[14:15]
.LBB1_17792:
	v_mov_b32_e32 v3, 0
	v_cmp_ne_u16_sdwa s[8:9], v5, v3 src0_sel:BYTE_3 src1_sel:DWORD
	s_andn2_b64 s[4:5], s[4:5], exec
	s_and_b64 s[8:9], s[8:9], exec
	s_or_b64 s[4:5], s[4:5], s[8:9]
	s_or_b64 exec, exec, s[6:7]
	s_and_saveexec_b64 s[6:7], s[4:5]
	s_cbranch_execz .LBB1_30399
; %bb.53631:
	s_getpc_b64 s[14:15]
.Lpost_getpc12479:
	s_add_u32 s14, s14, (.LBB1_3455-.Lpost_getpc12479)&4294967295
	s_addc_u32 s15, s15, (.LBB1_3455-.Lpost_getpc12479)>>32
	s_setpc_b64 s[14:15]
.LBB1_30399:
	s_getpc_b64 s[14:15]
.Lpost_getpc863:
	s_add_u32 s14, s14, (.LBB1_3456-.Lpost_getpc863)&4294967295
	s_addc_u32 s15, s15, (.LBB1_3456-.Lpost_getpc863)>>32
	s_setpc_b64 s[14:15]
.LBB1_17793:
	s_movk_i32 s4, 0x80
	v_cmp_eq_u16_sdwa s[12:13], v6, s4 src0_sel:BYTE_0 src1_sel:DWORD
	s_mov_b64 s[4:5], -1
                                        ; implicit-def: $sgpr10
	s_and_saveexec_b64 s[8:9], s[12:13]
; %bb.17794:
	s_mov_b32 s10, 0x7f800001
	s_xor_b64 s[4:5], exec, -1
; %bb.17795:
	s_or_b64 exec, exec, s[8:9]
	s_and_b64 s[4:5], s[4:5], exec
	s_or_saveexec_b64 s[6:7], s[6:7]
	v_mov_b32_e32 v12, s10
	s_xor_b64 exec, exec, s[6:7]
	s_cbranch_execnz .LBB1_17796
; %bb.53633:
	s_getpc_b64 s[14:15]
.Lpost_getpc12480:
	s_add_u32 s14, s14, (.LBB1_3458-.Lpost_getpc12480)&4294967295
	s_addc_u32 s15, s15, (.LBB1_3458-.Lpost_getpc12480)>>32
	s_setpc_b64 s[14:15]
.LBB1_17796:
	v_mov_b32_e32 v12, 0
	v_cmp_ne_u16_sdwa s[8:9], v6, v12 src0_sel:BYTE_0 src1_sel:DWORD
	s_andn2_b64 s[4:5], s[4:5], exec
	s_and_b64 s[8:9], s[8:9], exec
	s_or_b64 s[4:5], s[4:5], s[8:9]
	s_or_b64 exec, exec, s[6:7]
	s_and_saveexec_b64 s[6:7], s[4:5]
	s_cbranch_execz .LBB1_30401
; %bb.53635:
	s_getpc_b64 s[14:15]
.Lpost_getpc12481:
	s_add_u32 s14, s14, (.LBB1_3459-.Lpost_getpc12481)&4294967295
	s_addc_u32 s15, s15, (.LBB1_3459-.Lpost_getpc12481)>>32
	s_setpc_b64 s[14:15]
.LBB1_30401:
	s_getpc_b64 s[14:15]
.Lpost_getpc864:
	s_add_u32 s14, s14, (.LBB1_3460-.Lpost_getpc864)&4294967295
	s_addc_u32 s15, s15, (.LBB1_3460-.Lpost_getpc864)>>32
	s_setpc_b64 s[14:15]
.LBB1_17797:
	s_movk_i32 s4, 0x80
	v_cmp_eq_u16_sdwa s[12:13], v2, s4 src0_sel:BYTE_0 src1_sel:DWORD
	s_mov_b64 s[4:5], -1
                                        ; implicit-def: $sgpr10
	s_and_saveexec_b64 s[8:9], s[12:13]
; %bb.17798:
	s_mov_b32 s10, 0x7f800001
	s_xor_b64 s[4:5], exec, -1
; %bb.17799:
	s_or_b64 exec, exec, s[8:9]
	s_and_b64 s[4:5], s[4:5], exec
	s_or_saveexec_b64 s[6:7], s[6:7]
	v_mov_b32_e32 v13, s10
	s_xor_b64 exec, exec, s[6:7]
	s_cbranch_execnz .LBB1_17800
; %bb.53637:
	s_getpc_b64 s[14:15]
.Lpost_getpc12482:
	s_add_u32 s14, s14, (.LBB1_3462-.Lpost_getpc12482)&4294967295
	s_addc_u32 s15, s15, (.LBB1_3462-.Lpost_getpc12482)>>32
	s_setpc_b64 s[14:15]
.LBB1_17800:
	v_mov_b32_e32 v13, 0
	v_cmp_ne_u16_sdwa s[8:9], v2, v13 src0_sel:BYTE_0 src1_sel:DWORD
	s_andn2_b64 s[4:5], s[4:5], exec
	s_and_b64 s[8:9], s[8:9], exec
	s_or_b64 s[4:5], s[4:5], s[8:9]
	s_or_b64 exec, exec, s[6:7]
	s_and_saveexec_b64 s[6:7], s[4:5]
	s_cbranch_execz .LBB1_30403
; %bb.53639:
	s_getpc_b64 s[14:15]
.Lpost_getpc12483:
	s_add_u32 s14, s14, (.LBB1_3463-.Lpost_getpc12483)&4294967295
	s_addc_u32 s15, s15, (.LBB1_3463-.Lpost_getpc12483)>>32
	s_setpc_b64 s[14:15]
.LBB1_30403:
	s_getpc_b64 s[14:15]
.Lpost_getpc865:
	s_add_u32 s14, s14, (.LBB1_3464-.Lpost_getpc865)&4294967295
	s_addc_u32 s15, s15, (.LBB1_3464-.Lpost_getpc865)>>32
	s_setpc_b64 s[14:15]
.LBB1_17801:
	s_movk_i32 s4, 0x80
	v_cmp_eq_u16_sdwa s[12:13], v13, s4 src0_sel:BYTE_0 src1_sel:DWORD
	s_mov_b64 s[4:5], -1
                                        ; implicit-def: $sgpr10
	s_and_saveexec_b64 s[8:9], s[12:13]
; %bb.17802:
	s_mov_b32 s10, 0x7f800001
	s_xor_b64 s[4:5], exec, -1
; %bb.17803:
	s_or_b64 exec, exec, s[8:9]
	s_and_b64 s[4:5], s[4:5], exec
	s_or_saveexec_b64 s[6:7], s[6:7]
	v_mov_b32_e32 v12, s10
	s_xor_b64 exec, exec, s[6:7]
	s_cbranch_execnz .LBB1_17804
; %bb.53641:
	s_getpc_b64 s[14:15]
.Lpost_getpc12484:
	s_add_u32 s14, s14, (.LBB1_3466-.Lpost_getpc12484)&4294967295
	s_addc_u32 s15, s15, (.LBB1_3466-.Lpost_getpc12484)>>32
	s_setpc_b64 s[14:15]
.LBB1_17804:
	v_mov_b32_e32 v12, 0
	v_cmp_ne_u16_sdwa s[8:9], v13, v12 src0_sel:BYTE_0 src1_sel:DWORD
	s_andn2_b64 s[4:5], s[4:5], exec
	s_and_b64 s[8:9], s[8:9], exec
	s_or_b64 s[4:5], s[4:5], s[8:9]
	s_or_b64 exec, exec, s[6:7]
	s_and_saveexec_b64 s[6:7], s[4:5]
	s_cbranch_execz .LBB1_30405
; %bb.53643:
	s_getpc_b64 s[14:15]
.Lpost_getpc12485:
	s_add_u32 s14, s14, (.LBB1_3467-.Lpost_getpc12485)&4294967295
	s_addc_u32 s15, s15, (.LBB1_3467-.Lpost_getpc12485)>>32
	s_setpc_b64 s[14:15]
.LBB1_30405:
	s_getpc_b64 s[14:15]
.Lpost_getpc866:
	s_add_u32 s14, s14, (.LBB1_3468-.Lpost_getpc866)&4294967295
	s_addc_u32 s15, s15, (.LBB1_3468-.Lpost_getpc866)>>32
	s_setpc_b64 s[14:15]
.LBB1_17805:
	s_movk_i32 s4, 0x80
	v_cmp_eq_u16_sdwa s[12:13], v13, s4 src0_sel:BYTE_0 src1_sel:DWORD
	s_mov_b64 s[4:5], -1
                                        ; implicit-def: $sgpr10
	s_and_saveexec_b64 s[8:9], s[12:13]
; %bb.17806:
	s_mov_b32 s10, 0x7f800001
	s_xor_b64 s[4:5], exec, -1
; %bb.17807:
	s_or_b64 exec, exec, s[8:9]
	s_and_b64 s[4:5], s[4:5], exec
	s_or_saveexec_b64 s[6:7], s[6:7]
	v_mov_b32_e32 v14, s10
	s_xor_b64 exec, exec, s[6:7]
	s_cbranch_execnz .LBB1_17808
; %bb.53645:
	s_getpc_b64 s[14:15]
.Lpost_getpc12486:
	s_add_u32 s14, s14, (.LBB1_3470-.Lpost_getpc12486)&4294967295
	s_addc_u32 s15, s15, (.LBB1_3470-.Lpost_getpc12486)>>32
	s_setpc_b64 s[14:15]
.LBB1_17808:
	v_mov_b32_e32 v14, 0
	v_cmp_ne_u16_sdwa s[8:9], v13, v14 src0_sel:BYTE_0 src1_sel:DWORD
	s_andn2_b64 s[4:5], s[4:5], exec
	s_and_b64 s[8:9], s[8:9], exec
	s_or_b64 s[4:5], s[4:5], s[8:9]
	s_or_b64 exec, exec, s[6:7]
	s_and_saveexec_b64 s[6:7], s[4:5]
	s_cbranch_execz .LBB1_30407
; %bb.53647:
	s_getpc_b64 s[14:15]
.Lpost_getpc12487:
	s_add_u32 s14, s14, (.LBB1_3471-.Lpost_getpc12487)&4294967295
	s_addc_u32 s15, s15, (.LBB1_3471-.Lpost_getpc12487)>>32
	s_setpc_b64 s[14:15]
.LBB1_30407:
	s_getpc_b64 s[14:15]
.Lpost_getpc867:
	s_add_u32 s14, s14, (.LBB1_3472-.Lpost_getpc867)&4294967295
	s_addc_u32 s15, s15, (.LBB1_3472-.Lpost_getpc867)>>32
	s_setpc_b64 s[14:15]
.LBB1_17809:
	s_movk_i32 s4, 0x80
	v_cmp_eq_u16_e32 vcc, s4, v13
	s_mov_b64 s[4:5], -1
                                        ; implicit-def: $sgpr10
	s_and_saveexec_b64 s[8:9], vcc
; %bb.17810:
	s_mov_b32 s10, 0x7f800001
	s_xor_b64 s[4:5], exec, -1
; %bb.17811:
	s_or_b64 exec, exec, s[8:9]
	s_and_b64 s[4:5], s[4:5], exec
                                        ; implicit-def: $vgpr13
	s_or_saveexec_b64 s[6:7], s[6:7]
	v_mov_b32_e32 v12, s10
	s_xor_b64 exec, exec, s[6:7]
	s_cbranch_execnz .LBB1_17812
; %bb.53649:
	s_getpc_b64 s[14:15]
.Lpost_getpc12488:
	s_add_u32 s14, s14, (.LBB1_3474-.Lpost_getpc12488)&4294967295
	s_addc_u32 s15, s15, (.LBB1_3474-.Lpost_getpc12488)>>32
	s_setpc_b64 s[14:15]
.LBB1_17812:
	v_cmp_ne_u16_e32 vcc, 0, v13
	s_andn2_b64 s[4:5], s[4:5], exec
	s_and_b64 s[8:9], vcc, exec
	v_mov_b32_e32 v12, 0
	s_or_b64 s[4:5], s[4:5], s[8:9]
	s_or_b64 exec, exec, s[6:7]
	s_and_saveexec_b64 s[6:7], s[4:5]
	s_cbranch_execz .LBB1_30409
; %bb.53651:
	s_getpc_b64 s[14:15]
.Lpost_getpc12489:
	s_add_u32 s14, s14, (.LBB1_3475-.Lpost_getpc12489)&4294967295
	s_addc_u32 s15, s15, (.LBB1_3475-.Lpost_getpc12489)>>32
	s_setpc_b64 s[14:15]
.LBB1_30409:
	s_getpc_b64 s[14:15]
.Lpost_getpc868:
	s_add_u32 s14, s14, (.LBB1_3476-.Lpost_getpc868)&4294967295
	s_addc_u32 s15, s15, (.LBB1_3476-.Lpost_getpc868)>>32
	s_setpc_b64 s[14:15]
.LBB1_17813:
	s_movk_i32 s4, 0x80
	v_cmp_eq_u16_e32 vcc, s4, v13
	s_mov_b64 s[4:5], -1
                                        ; implicit-def: $sgpr10
	s_and_saveexec_b64 s[8:9], vcc
; %bb.17814:
	s_mov_b32 s10, 0x7f800001
	s_xor_b64 s[4:5], exec, -1
; %bb.17815:
	s_or_b64 exec, exec, s[8:9]
	s_and_b64 s[4:5], s[4:5], exec
                                        ; implicit-def: $vgpr13
	s_or_saveexec_b64 s[6:7], s[6:7]
	v_mov_b32_e32 v14, s10
	s_xor_b64 exec, exec, s[6:7]
	s_cbranch_execnz .LBB1_17816
; %bb.53653:
	s_getpc_b64 s[14:15]
.Lpost_getpc12490:
	s_add_u32 s14, s14, (.LBB1_3478-.Lpost_getpc12490)&4294967295
	s_addc_u32 s15, s15, (.LBB1_3478-.Lpost_getpc12490)>>32
	s_setpc_b64 s[14:15]
.LBB1_17816:
	v_cmp_ne_u16_e32 vcc, 0, v13
	s_andn2_b64 s[4:5], s[4:5], exec
	s_and_b64 s[8:9], vcc, exec
	v_mov_b32_e32 v14, 0
	s_or_b64 s[4:5], s[4:5], s[8:9]
	s_or_b64 exec, exec, s[6:7]
	s_and_saveexec_b64 s[6:7], s[4:5]
	s_cbranch_execz .LBB1_30411
; %bb.53655:
	s_getpc_b64 s[14:15]
.Lpost_getpc12491:
	s_add_u32 s14, s14, (.LBB1_3479-.Lpost_getpc12491)&4294967295
	s_addc_u32 s15, s15, (.LBB1_3479-.Lpost_getpc12491)>>32
	s_setpc_b64 s[14:15]
.LBB1_30411:
	s_getpc_b64 s[14:15]
.Lpost_getpc869:
	s_add_u32 s14, s14, (.LBB1_3480-.Lpost_getpc869)&4294967295
	s_addc_u32 s15, s15, (.LBB1_3480-.Lpost_getpc869)>>32
	s_setpc_b64 s[14:15]
.LBB1_17817:
	s_movk_i32 s4, 0x80
	v_cmp_eq_u16_sdwa s[12:13], v6, s4 src0_sel:BYTE_3 src1_sel:DWORD
	s_mov_b64 s[4:5], -1
                                        ; implicit-def: $sgpr10
	s_and_saveexec_b64 s[8:9], s[12:13]
; %bb.17818:
	s_mov_b32 s10, 0x7f800001
	s_xor_b64 s[4:5], exec, -1
; %bb.17819:
	s_or_b64 exec, exec, s[8:9]
	s_and_b64 s[4:5], s[4:5], exec
	s_or_saveexec_b64 s[6:7], s[6:7]
	v_mov_b32_e32 v12, s10
	s_xor_b64 exec, exec, s[6:7]
	s_cbranch_execnz .LBB1_17820
; %bb.53657:
	s_getpc_b64 s[14:15]
.Lpost_getpc12492:
	s_add_u32 s14, s14, (.LBB1_3482-.Lpost_getpc12492)&4294967295
	s_addc_u32 s15, s15, (.LBB1_3482-.Lpost_getpc12492)>>32
	s_setpc_b64 s[14:15]
.LBB1_17820:
	v_mov_b32_e32 v12, 0
	v_cmp_ne_u16_sdwa s[8:9], v6, v12 src0_sel:BYTE_3 src1_sel:DWORD
	s_andn2_b64 s[4:5], s[4:5], exec
	s_and_b64 s[8:9], s[8:9], exec
	s_or_b64 s[4:5], s[4:5], s[8:9]
	s_or_b64 exec, exec, s[6:7]
	s_and_saveexec_b64 s[6:7], s[4:5]
	s_cbranch_execz .LBB1_30413
; %bb.53659:
	s_getpc_b64 s[14:15]
.Lpost_getpc12493:
	s_add_u32 s14, s14, (.LBB1_3483-.Lpost_getpc12493)&4294967295
	s_addc_u32 s15, s15, (.LBB1_3483-.Lpost_getpc12493)>>32
	s_setpc_b64 s[14:15]
.LBB1_30413:
	s_getpc_b64 s[14:15]
.Lpost_getpc870:
	s_add_u32 s14, s14, (.LBB1_3484-.Lpost_getpc870)&4294967295
	s_addc_u32 s15, s15, (.LBB1_3484-.Lpost_getpc870)>>32
	s_setpc_b64 s[14:15]
.LBB1_17821:
	s_movk_i32 s4, 0x80
	v_cmp_eq_u16_sdwa s[12:13], v2, s4 src0_sel:BYTE_3 src1_sel:DWORD
	s_mov_b64 s[4:5], -1
                                        ; implicit-def: $sgpr10
	s_and_saveexec_b64 s[8:9], s[12:13]
; %bb.17822:
	s_mov_b32 s10, 0x7f800001
	s_xor_b64 s[4:5], exec, -1
; %bb.17823:
	s_or_b64 exec, exec, s[8:9]
	s_and_b64 s[4:5], s[4:5], exec
	s_or_saveexec_b64 s[6:7], s[6:7]
	v_mov_b32_e32 v6, s10
	s_xor_b64 exec, exec, s[6:7]
	s_cbranch_execnz .LBB1_17824
; %bb.53661:
	s_getpc_b64 s[14:15]
.Lpost_getpc12494:
	s_add_u32 s14, s14, (.LBB1_3486-.Lpost_getpc12494)&4294967295
	s_addc_u32 s15, s15, (.LBB1_3486-.Lpost_getpc12494)>>32
	s_setpc_b64 s[14:15]
.LBB1_17824:
	v_mov_b32_e32 v6, 0
	v_cmp_ne_u16_sdwa s[8:9], v2, v6 src0_sel:BYTE_3 src1_sel:DWORD
	s_andn2_b64 s[4:5], s[4:5], exec
	s_and_b64 s[8:9], s[8:9], exec
	s_or_b64 s[4:5], s[4:5], s[8:9]
	s_or_b64 exec, exec, s[6:7]
	s_and_saveexec_b64 s[6:7], s[4:5]
	s_cbranch_execz .LBB1_30415
; %bb.53663:
	s_getpc_b64 s[14:15]
.Lpost_getpc12495:
	s_add_u32 s14, s14, (.LBB1_3487-.Lpost_getpc12495)&4294967295
	s_addc_u32 s15, s15, (.LBB1_3487-.Lpost_getpc12495)>>32
	s_setpc_b64 s[14:15]
.LBB1_30415:
	s_getpc_b64 s[14:15]
.Lpost_getpc871:
	s_add_u32 s14, s14, (.LBB1_3488-.Lpost_getpc871)&4294967295
	s_addc_u32 s15, s15, (.LBB1_3488-.Lpost_getpc871)>>32
	s_setpc_b64 s[14:15]
.LBB1_17825:
	s_movk_i32 s4, 0x80
	v_cmp_eq_u16_sdwa s[12:13], v7, s4 src0_sel:BYTE_0 src1_sel:DWORD
	s_mov_b64 s[4:5], -1
                                        ; implicit-def: $sgpr10
	s_and_saveexec_b64 s[8:9], s[12:13]
; %bb.17826:
	s_mov_b32 s10, 0x7f800001
	s_xor_b64 s[4:5], exec, -1
; %bb.17827:
	s_or_b64 exec, exec, s[8:9]
	s_and_b64 s[4:5], s[4:5], exec
	s_or_saveexec_b64 s[6:7], s[6:7]
	v_mov_b32_e32 v2, s10
	s_xor_b64 exec, exec, s[6:7]
	s_cbranch_execnz .LBB1_17828
; %bb.53665:
	s_getpc_b64 s[14:15]
.Lpost_getpc12496:
	s_add_u32 s14, s14, (.LBB1_3490-.Lpost_getpc12496)&4294967295
	s_addc_u32 s15, s15, (.LBB1_3490-.Lpost_getpc12496)>>32
	s_setpc_b64 s[14:15]
.LBB1_17828:
	v_mov_b32_e32 v2, 0
	v_cmp_ne_u16_sdwa s[8:9], v7, v2 src0_sel:BYTE_0 src1_sel:DWORD
	s_andn2_b64 s[4:5], s[4:5], exec
	s_and_b64 s[8:9], s[8:9], exec
	s_or_b64 s[4:5], s[4:5], s[8:9]
	s_or_b64 exec, exec, s[6:7]
	s_and_saveexec_b64 s[6:7], s[4:5]
	s_cbranch_execz .LBB1_30417
; %bb.53667:
	s_getpc_b64 s[14:15]
.Lpost_getpc12497:
	s_add_u32 s14, s14, (.LBB1_3491-.Lpost_getpc12497)&4294967295
	s_addc_u32 s15, s15, (.LBB1_3491-.Lpost_getpc12497)>>32
	s_setpc_b64 s[14:15]
.LBB1_30417:
	s_getpc_b64 s[14:15]
.Lpost_getpc872:
	s_add_u32 s14, s14, (.LBB1_3492-.Lpost_getpc872)&4294967295
	s_addc_u32 s15, s15, (.LBB1_3492-.Lpost_getpc872)>>32
	s_setpc_b64 s[14:15]
.LBB1_17829:
	s_movk_i32 s4, 0x80
	v_cmp_eq_u16_sdwa s[12:13], v3, s4 src0_sel:BYTE_0 src1_sel:DWORD
	s_mov_b64 s[4:5], -1
                                        ; implicit-def: $sgpr10
	s_and_saveexec_b64 s[8:9], s[12:13]
; %bb.17830:
	s_mov_b32 s10, 0x7f800001
	s_xor_b64 s[4:5], exec, -1
; %bb.17831:
	s_or_b64 exec, exec, s[8:9]
	s_and_b64 s[4:5], s[4:5], exec
	s_or_saveexec_b64 s[6:7], s[6:7]
	v_mov_b32_e32 v6, s10
	s_xor_b64 exec, exec, s[6:7]
	s_cbranch_execnz .LBB1_17832
; %bb.53669:
	s_getpc_b64 s[14:15]
.Lpost_getpc12498:
	s_add_u32 s14, s14, (.LBB1_3494-.Lpost_getpc12498)&4294967295
	s_addc_u32 s15, s15, (.LBB1_3494-.Lpost_getpc12498)>>32
	s_setpc_b64 s[14:15]
.LBB1_17832:
	v_mov_b32_e32 v6, 0
	v_cmp_ne_u16_sdwa s[8:9], v3, v6 src0_sel:BYTE_0 src1_sel:DWORD
	s_andn2_b64 s[4:5], s[4:5], exec
	s_and_b64 s[8:9], s[8:9], exec
	s_or_b64 s[4:5], s[4:5], s[8:9]
	s_or_b64 exec, exec, s[6:7]
	s_and_saveexec_b64 s[6:7], s[4:5]
	s_cbranch_execz .LBB1_30419
; %bb.53671:
	s_getpc_b64 s[14:15]
.Lpost_getpc12499:
	s_add_u32 s14, s14, (.LBB1_3495-.Lpost_getpc12499)&4294967295
	s_addc_u32 s15, s15, (.LBB1_3495-.Lpost_getpc12499)>>32
	s_setpc_b64 s[14:15]
.LBB1_30419:
	s_getpc_b64 s[14:15]
.Lpost_getpc873:
	s_add_u32 s14, s14, (.LBB1_3496-.Lpost_getpc873)&4294967295
	s_addc_u32 s15, s15, (.LBB1_3496-.Lpost_getpc873)>>32
	s_setpc_b64 s[14:15]
.LBB1_17833:
	s_movk_i32 s4, 0x80
	v_cmp_eq_u16_sdwa s[12:13], v6, s4 src0_sel:BYTE_0 src1_sel:DWORD
	s_mov_b64 s[4:5], -1
                                        ; implicit-def: $sgpr10
	s_and_saveexec_b64 s[8:9], s[12:13]
; %bb.17834:
	s_mov_b32 s10, 0x7f800001
	s_xor_b64 s[4:5], exec, -1
; %bb.17835:
	s_or_b64 exec, exec, s[8:9]
	s_and_b64 s[4:5], s[4:5], exec
	s_or_saveexec_b64 s[6:7], s[6:7]
	v_mov_b32_e32 v2, s10
	s_xor_b64 exec, exec, s[6:7]
	s_cbranch_execnz .LBB1_17836
; %bb.53673:
	s_getpc_b64 s[14:15]
.Lpost_getpc12500:
	s_add_u32 s14, s14, (.LBB1_3498-.Lpost_getpc12500)&4294967295
	s_addc_u32 s15, s15, (.LBB1_3498-.Lpost_getpc12500)>>32
	s_setpc_b64 s[14:15]
.LBB1_17836:
	v_mov_b32_e32 v2, 0
	v_cmp_ne_u16_sdwa s[8:9], v6, v2 src0_sel:BYTE_0 src1_sel:DWORD
	s_andn2_b64 s[4:5], s[4:5], exec
	s_and_b64 s[8:9], s[8:9], exec
	s_or_b64 s[4:5], s[4:5], s[8:9]
	s_or_b64 exec, exec, s[6:7]
	s_and_saveexec_b64 s[6:7], s[4:5]
	s_cbranch_execz .LBB1_30421
; %bb.53675:
	s_getpc_b64 s[14:15]
.Lpost_getpc12501:
	s_add_u32 s14, s14, (.LBB1_3499-.Lpost_getpc12501)&4294967295
	s_addc_u32 s15, s15, (.LBB1_3499-.Lpost_getpc12501)>>32
	s_setpc_b64 s[14:15]
.LBB1_30421:
	s_getpc_b64 s[14:15]
.Lpost_getpc874:
	s_add_u32 s14, s14, (.LBB1_3500-.Lpost_getpc874)&4294967295
	s_addc_u32 s15, s15, (.LBB1_3500-.Lpost_getpc874)>>32
	s_setpc_b64 s[14:15]
.LBB1_17837:
	s_movk_i32 s4, 0x80
	v_cmp_eq_u16_sdwa s[12:13], v6, s4 src0_sel:BYTE_0 src1_sel:DWORD
	s_mov_b64 s[4:5], -1
                                        ; implicit-def: $sgpr10
	s_and_saveexec_b64 s[8:9], s[12:13]
; %bb.17838:
	s_mov_b32 s10, 0x7f800001
	s_xor_b64 s[4:5], exec, -1
; %bb.17839:
	s_or_b64 exec, exec, s[8:9]
	s_and_b64 s[4:5], s[4:5], exec
	s_or_saveexec_b64 s[6:7], s[6:7]
	v_mov_b32_e32 v12, s10
	s_xor_b64 exec, exec, s[6:7]
	s_cbranch_execnz .LBB1_17840
; %bb.53677:
	s_getpc_b64 s[14:15]
.Lpost_getpc12502:
	s_add_u32 s14, s14, (.LBB1_3502-.Lpost_getpc12502)&4294967295
	s_addc_u32 s15, s15, (.LBB1_3502-.Lpost_getpc12502)>>32
	s_setpc_b64 s[14:15]
.LBB1_17840:
	v_mov_b32_e32 v12, 0
	v_cmp_ne_u16_sdwa s[8:9], v6, v12 src0_sel:BYTE_0 src1_sel:DWORD
	s_andn2_b64 s[4:5], s[4:5], exec
	s_and_b64 s[8:9], s[8:9], exec
	s_or_b64 s[4:5], s[4:5], s[8:9]
	s_or_b64 exec, exec, s[6:7]
	s_and_saveexec_b64 s[6:7], s[4:5]
	s_cbranch_execz .LBB1_30423
; %bb.53679:
	s_getpc_b64 s[14:15]
.Lpost_getpc12503:
	s_add_u32 s14, s14, (.LBB1_3503-.Lpost_getpc12503)&4294967295
	s_addc_u32 s15, s15, (.LBB1_3503-.Lpost_getpc12503)>>32
	s_setpc_b64 s[14:15]
.LBB1_30423:
	s_getpc_b64 s[14:15]
.Lpost_getpc875:
	s_add_u32 s14, s14, (.LBB1_3504-.Lpost_getpc875)&4294967295
	s_addc_u32 s15, s15, (.LBB1_3504-.Lpost_getpc875)>>32
	s_setpc_b64 s[14:15]
.LBB1_17841:
	s_movk_i32 s4, 0x80
	v_cmp_eq_u16_e32 vcc, s4, v6
	s_mov_b64 s[4:5], -1
                                        ; implicit-def: $sgpr10
	s_and_saveexec_b64 s[8:9], vcc
; %bb.17842:
	s_mov_b32 s10, 0x7f800001
	s_xor_b64 s[4:5], exec, -1
; %bb.17843:
	s_or_b64 exec, exec, s[8:9]
	s_and_b64 s[4:5], s[4:5], exec
                                        ; implicit-def: $vgpr6
	s_or_saveexec_b64 s[6:7], s[6:7]
	v_mov_b32_e32 v2, s10
	s_xor_b64 exec, exec, s[6:7]
	s_cbranch_execnz .LBB1_17844
; %bb.53681:
	s_getpc_b64 s[14:15]
.Lpost_getpc12504:
	s_add_u32 s14, s14, (.LBB1_3506-.Lpost_getpc12504)&4294967295
	s_addc_u32 s15, s15, (.LBB1_3506-.Lpost_getpc12504)>>32
	s_setpc_b64 s[14:15]
.LBB1_17844:
	v_cmp_ne_u16_e32 vcc, 0, v6
	s_andn2_b64 s[4:5], s[4:5], exec
	s_and_b64 s[8:9], vcc, exec
	v_mov_b32_e32 v2, 0
	s_or_b64 s[4:5], s[4:5], s[8:9]
	s_or_b64 exec, exec, s[6:7]
	s_and_saveexec_b64 s[6:7], s[4:5]
	s_cbranch_execz .LBB1_30425
; %bb.53683:
	s_getpc_b64 s[14:15]
.Lpost_getpc12505:
	s_add_u32 s14, s14, (.LBB1_3507-.Lpost_getpc12505)&4294967295
	s_addc_u32 s15, s15, (.LBB1_3507-.Lpost_getpc12505)>>32
	s_setpc_b64 s[14:15]
.LBB1_30425:
	s_getpc_b64 s[14:15]
.Lpost_getpc876:
	s_add_u32 s14, s14, (.LBB1_3508-.Lpost_getpc876)&4294967295
	s_addc_u32 s15, s15, (.LBB1_3508-.Lpost_getpc876)>>32
	s_setpc_b64 s[14:15]
.LBB1_17845:
	s_movk_i32 s4, 0x80
	v_cmp_eq_u16_e32 vcc, s4, v6
	s_mov_b64 s[4:5], -1
                                        ; implicit-def: $sgpr10
	s_and_saveexec_b64 s[8:9], vcc
; %bb.17846:
	s_mov_b32 s10, 0x7f800001
	s_xor_b64 s[4:5], exec, -1
; %bb.17847:
	s_or_b64 exec, exec, s[8:9]
	s_and_b64 s[4:5], s[4:5], exec
                                        ; implicit-def: $vgpr6
	s_or_saveexec_b64 s[6:7], s[6:7]
	v_mov_b32_e32 v12, s10
	s_xor_b64 exec, exec, s[6:7]
	s_cbranch_execnz .LBB1_17848
; %bb.53685:
	s_getpc_b64 s[14:15]
.Lpost_getpc12506:
	s_add_u32 s14, s14, (.LBB1_3510-.Lpost_getpc12506)&4294967295
	s_addc_u32 s15, s15, (.LBB1_3510-.Lpost_getpc12506)>>32
	s_setpc_b64 s[14:15]
.LBB1_17848:
	v_cmp_ne_u16_e32 vcc, 0, v6
	s_andn2_b64 s[4:5], s[4:5], exec
	s_and_b64 s[8:9], vcc, exec
	v_mov_b32_e32 v12, 0
	s_or_b64 s[4:5], s[4:5], s[8:9]
	s_or_b64 exec, exec, s[6:7]
	s_and_saveexec_b64 s[6:7], s[4:5]
	s_cbranch_execz .LBB1_30427
; %bb.53687:
	s_getpc_b64 s[14:15]
.Lpost_getpc12507:
	s_add_u32 s14, s14, (.LBB1_3511-.Lpost_getpc12507)&4294967295
	s_addc_u32 s15, s15, (.LBB1_3511-.Lpost_getpc12507)>>32
	s_setpc_b64 s[14:15]
.LBB1_30427:
	s_getpc_b64 s[14:15]
.Lpost_getpc877:
	s_add_u32 s14, s14, (.LBB1_3512-.Lpost_getpc877)&4294967295
	s_addc_u32 s15, s15, (.LBB1_3512-.Lpost_getpc877)>>32
	s_setpc_b64 s[14:15]
.LBB1_17849:
	s_movk_i32 s4, 0x80
	v_cmp_eq_u16_sdwa s[12:13], v7, s4 src0_sel:BYTE_3 src1_sel:DWORD
	s_mov_b64 s[4:5], -1
                                        ; implicit-def: $sgpr10
	s_and_saveexec_b64 s[8:9], s[12:13]
; %bb.17850:
	s_mov_b32 s10, 0x7f800001
	s_xor_b64 s[4:5], exec, -1
; %bb.17851:
	s_or_b64 exec, exec, s[8:9]
	s_and_b64 s[4:5], s[4:5], exec
	s_or_saveexec_b64 s[6:7], s[6:7]
	v_mov_b32_e32 v2, s10
	s_xor_b64 exec, exec, s[6:7]
	s_cbranch_execnz .LBB1_17852
; %bb.53689:
	s_getpc_b64 s[14:15]
.Lpost_getpc12508:
	s_add_u32 s14, s14, (.LBB1_3514-.Lpost_getpc12508)&4294967295
	s_addc_u32 s15, s15, (.LBB1_3514-.Lpost_getpc12508)>>32
	s_setpc_b64 s[14:15]
.LBB1_17852:
	v_mov_b32_e32 v2, 0
	v_cmp_ne_u16_sdwa s[8:9], v7, v2 src0_sel:BYTE_3 src1_sel:DWORD
	s_andn2_b64 s[4:5], s[4:5], exec
	s_and_b64 s[8:9], s[8:9], exec
	s_or_b64 s[4:5], s[4:5], s[8:9]
	s_or_b64 exec, exec, s[6:7]
	s_and_saveexec_b64 s[6:7], s[4:5]
	s_cbranch_execz .LBB1_30429
; %bb.53691:
	s_getpc_b64 s[14:15]
.Lpost_getpc12509:
	s_add_u32 s14, s14, (.LBB1_3515-.Lpost_getpc12509)&4294967295
	s_addc_u32 s15, s15, (.LBB1_3515-.Lpost_getpc12509)>>32
	s_setpc_b64 s[14:15]
.LBB1_30429:
	s_getpc_b64 s[14:15]
.Lpost_getpc878:
	s_add_u32 s14, s14, (.LBB1_3516-.Lpost_getpc878)&4294967295
	s_addc_u32 s15, s15, (.LBB1_3516-.Lpost_getpc878)>>32
	s_setpc_b64 s[14:15]
.LBB1_17853:
	s_movk_i32 s4, 0x80
	v_cmp_eq_u16_sdwa s[12:13], v3, s4 src0_sel:BYTE_3 src1_sel:DWORD
	s_mov_b64 s[4:5], -1
                                        ; implicit-def: $sgpr10
	s_and_saveexec_b64 s[8:9], s[12:13]
; %bb.17854:
	s_mov_b32 s10, 0x7f800001
	s_xor_b64 s[4:5], exec, -1
; %bb.17855:
	s_or_b64 exec, exec, s[8:9]
	s_and_b64 s[4:5], s[4:5], exec
	s_or_saveexec_b64 s[6:7], s[6:7]
	v_mov_b32_e32 v6, s10
	s_xor_b64 exec, exec, s[6:7]
	s_cbranch_execnz .LBB1_17856
; %bb.53693:
	s_getpc_b64 s[14:15]
.Lpost_getpc12510:
	s_add_u32 s14, s14, (.LBB1_3518-.Lpost_getpc12510)&4294967295
	s_addc_u32 s15, s15, (.LBB1_3518-.Lpost_getpc12510)>>32
	s_setpc_b64 s[14:15]
.LBB1_17856:
	v_mov_b32_e32 v6, 0
	v_cmp_ne_u16_sdwa s[8:9], v3, v6 src0_sel:BYTE_3 src1_sel:DWORD
	s_andn2_b64 s[4:5], s[4:5], exec
	s_and_b64 s[8:9], s[8:9], exec
	s_or_b64 s[4:5], s[4:5], s[8:9]
	s_or_b64 exec, exec, s[6:7]
	s_and_saveexec_b64 s[6:7], s[4:5]
	s_cbranch_execz .LBB1_30431
; %bb.53695:
	s_getpc_b64 s[14:15]
.Lpost_getpc12511:
	s_add_u32 s14, s14, (.LBB1_3519-.Lpost_getpc12511)&4294967295
	s_addc_u32 s15, s15, (.LBB1_3519-.Lpost_getpc12511)>>32
	s_setpc_b64 s[14:15]
.LBB1_30431:
	s_getpc_b64 s[14:15]
.Lpost_getpc879:
	s_add_u32 s14, s14, (.LBB1_3520-.Lpost_getpc879)&4294967295
	s_addc_u32 s15, s15, (.LBB1_3520-.Lpost_getpc879)>>32
	s_setpc_b64 s[14:15]
.LBB1_17857:
	s_movk_i32 s4, 0x80
	v_cmp_eq_u16_sdwa s[12:13], v8, s4 src0_sel:BYTE_0 src1_sel:DWORD
	s_mov_b64 s[4:5], -1
                                        ; implicit-def: $sgpr10
	s_and_saveexec_b64 s[8:9], s[12:13]
; %bb.17858:
	s_mov_b32 s10, 0x7f800001
	s_xor_b64 s[4:5], exec, -1
; %bb.17859:
	s_or_b64 exec, exec, s[8:9]
	s_and_b64 s[4:5], s[4:5], exec
	s_or_saveexec_b64 s[6:7], s[6:7]
	v_mov_b32_e32 v2, s10
	s_xor_b64 exec, exec, s[6:7]
	s_cbranch_execnz .LBB1_17860
; %bb.53697:
	s_getpc_b64 s[14:15]
.Lpost_getpc12512:
	s_add_u32 s14, s14, (.LBB1_3522-.Lpost_getpc12512)&4294967295
	s_addc_u32 s15, s15, (.LBB1_3522-.Lpost_getpc12512)>>32
	s_setpc_b64 s[14:15]
.LBB1_17860:
	v_mov_b32_e32 v2, 0
	v_cmp_ne_u16_sdwa s[8:9], v8, v2 src0_sel:BYTE_0 src1_sel:DWORD
	s_andn2_b64 s[4:5], s[4:5], exec
	s_and_b64 s[8:9], s[8:9], exec
	s_or_b64 s[4:5], s[4:5], s[8:9]
	s_or_b64 exec, exec, s[6:7]
	s_and_saveexec_b64 s[6:7], s[4:5]
	s_cbranch_execz .LBB1_30433
; %bb.53699:
	s_getpc_b64 s[14:15]
.Lpost_getpc12513:
	s_add_u32 s14, s14, (.LBB1_3523-.Lpost_getpc12513)&4294967295
	s_addc_u32 s15, s15, (.LBB1_3523-.Lpost_getpc12513)>>32
	s_setpc_b64 s[14:15]
.LBB1_30433:
	s_getpc_b64 s[14:15]
.Lpost_getpc880:
	s_add_u32 s14, s14, (.LBB1_3524-.Lpost_getpc880)&4294967295
	s_addc_u32 s15, s15, (.LBB1_3524-.Lpost_getpc880)>>32
	s_setpc_b64 s[14:15]
.LBB1_17861:
	s_movk_i32 s4, 0x80
	v_cmp_eq_u16_sdwa s[12:13], v4, s4 src0_sel:BYTE_0 src1_sel:DWORD
	s_mov_b64 s[4:5], -1
                                        ; implicit-def: $sgpr10
	s_and_saveexec_b64 s[8:9], s[12:13]
; %bb.17862:
	s_mov_b32 s10, 0x7f800001
	s_xor_b64 s[4:5], exec, -1
; %bb.17863:
	s_or_b64 exec, exec, s[8:9]
	s_and_b64 s[4:5], s[4:5], exec
	s_or_saveexec_b64 s[6:7], s[6:7]
	v_mov_b32_e32 v3, s10
	s_xor_b64 exec, exec, s[6:7]
	s_cbranch_execnz .LBB1_17864
; %bb.53701:
	s_getpc_b64 s[14:15]
.Lpost_getpc12514:
	s_add_u32 s14, s14, (.LBB1_3526-.Lpost_getpc12514)&4294967295
	s_addc_u32 s15, s15, (.LBB1_3526-.Lpost_getpc12514)>>32
	s_setpc_b64 s[14:15]
.LBB1_17864:
	v_mov_b32_e32 v3, 0
	v_cmp_ne_u16_sdwa s[8:9], v4, v3 src0_sel:BYTE_0 src1_sel:DWORD
	s_andn2_b64 s[4:5], s[4:5], exec
	s_and_b64 s[8:9], s[8:9], exec
	s_or_b64 s[4:5], s[4:5], s[8:9]
	s_or_b64 exec, exec, s[6:7]
	s_and_saveexec_b64 s[6:7], s[4:5]
	s_cbranch_execz .LBB1_30435
; %bb.53703:
	s_getpc_b64 s[14:15]
.Lpost_getpc12515:
	s_add_u32 s14, s14, (.LBB1_3527-.Lpost_getpc12515)&4294967295
	s_addc_u32 s15, s15, (.LBB1_3527-.Lpost_getpc12515)>>32
	s_setpc_b64 s[14:15]
.LBB1_30435:
	s_getpc_b64 s[14:15]
.Lpost_getpc881:
	s_add_u32 s14, s14, (.LBB1_3528-.Lpost_getpc881)&4294967295
	s_addc_u32 s15, s15, (.LBB1_3528-.Lpost_getpc881)>>32
	s_setpc_b64 s[14:15]
.LBB1_17865:
	s_movk_i32 s4, 0x80
	v_cmp_eq_u16_sdwa s[12:13], v3, s4 src0_sel:BYTE_0 src1_sel:DWORD
	s_mov_b64 s[4:5], -1
                                        ; implicit-def: $sgpr10
	s_and_saveexec_b64 s[8:9], s[12:13]
; %bb.17866:
	s_mov_b32 s10, 0x7f800001
	s_xor_b64 s[4:5], exec, -1
; %bb.17867:
	s_or_b64 exec, exec, s[8:9]
	s_and_b64 s[4:5], s[4:5], exec
	s_or_saveexec_b64 s[6:7], s[6:7]
	v_mov_b32_e32 v2, s10
	s_xor_b64 exec, exec, s[6:7]
	s_cbranch_execnz .LBB1_17868
; %bb.53705:
	s_getpc_b64 s[14:15]
.Lpost_getpc12516:
	s_add_u32 s14, s14, (.LBB1_3530-.Lpost_getpc12516)&4294967295
	s_addc_u32 s15, s15, (.LBB1_3530-.Lpost_getpc12516)>>32
	s_setpc_b64 s[14:15]
.LBB1_17868:
	v_mov_b32_e32 v2, 0
	v_cmp_ne_u16_sdwa s[8:9], v3, v2 src0_sel:BYTE_0 src1_sel:DWORD
	s_andn2_b64 s[4:5], s[4:5], exec
	s_and_b64 s[8:9], s[8:9], exec
	s_or_b64 s[4:5], s[4:5], s[8:9]
	s_or_b64 exec, exec, s[6:7]
	s_and_saveexec_b64 s[6:7], s[4:5]
	s_cbranch_execz .LBB1_30437
; %bb.53707:
	s_getpc_b64 s[14:15]
.Lpost_getpc12517:
	s_add_u32 s14, s14, (.LBB1_3531-.Lpost_getpc12517)&4294967295
	s_addc_u32 s15, s15, (.LBB1_3531-.Lpost_getpc12517)>>32
	s_setpc_b64 s[14:15]
.LBB1_30437:
	s_getpc_b64 s[14:15]
.Lpost_getpc882:
	s_add_u32 s14, s14, (.LBB1_3532-.Lpost_getpc882)&4294967295
	s_addc_u32 s15, s15, (.LBB1_3532-.Lpost_getpc882)>>32
	s_setpc_b64 s[14:15]
.LBB1_17869:
	s_movk_i32 s4, 0x80
	v_cmp_eq_u16_sdwa s[12:13], v3, s4 src0_sel:BYTE_0 src1_sel:DWORD
	s_mov_b64 s[4:5], -1
                                        ; implicit-def: $sgpr10
	s_and_saveexec_b64 s[8:9], s[12:13]
; %bb.17870:
	s_mov_b32 s10, 0x7f800001
	s_xor_b64 s[4:5], exec, -1
; %bb.17871:
	s_or_b64 exec, exec, s[8:9]
	s_and_b64 s[4:5], s[4:5], exec
	s_or_saveexec_b64 s[6:7], s[6:7]
	v_mov_b32_e32 v6, s10
	s_xor_b64 exec, exec, s[6:7]
	s_cbranch_execnz .LBB1_17872
; %bb.53709:
	s_getpc_b64 s[14:15]
.Lpost_getpc12518:
	s_add_u32 s14, s14, (.LBB1_3534-.Lpost_getpc12518)&4294967295
	s_addc_u32 s15, s15, (.LBB1_3534-.Lpost_getpc12518)>>32
	s_setpc_b64 s[14:15]
.LBB1_17872:
	v_mov_b32_e32 v6, 0
	v_cmp_ne_u16_sdwa s[8:9], v3, v6 src0_sel:BYTE_0 src1_sel:DWORD
	s_andn2_b64 s[4:5], s[4:5], exec
	s_and_b64 s[8:9], s[8:9], exec
	s_or_b64 s[4:5], s[4:5], s[8:9]
	s_or_b64 exec, exec, s[6:7]
	s_and_saveexec_b64 s[6:7], s[4:5]
	s_cbranch_execz .LBB1_30439
; %bb.53711:
	s_getpc_b64 s[14:15]
.Lpost_getpc12519:
	s_add_u32 s14, s14, (.LBB1_3535-.Lpost_getpc12519)&4294967295
	s_addc_u32 s15, s15, (.LBB1_3535-.Lpost_getpc12519)>>32
	s_setpc_b64 s[14:15]
.LBB1_30439:
	s_getpc_b64 s[14:15]
.Lpost_getpc883:
	s_add_u32 s14, s14, (.LBB1_3536-.Lpost_getpc883)&4294967295
	s_addc_u32 s15, s15, (.LBB1_3536-.Lpost_getpc883)>>32
	s_setpc_b64 s[14:15]
.LBB1_17873:
	s_movk_i32 s4, 0x80
	v_cmp_eq_u16_e32 vcc, s4, v3
	s_mov_b64 s[4:5], -1
                                        ; implicit-def: $sgpr10
	s_and_saveexec_b64 s[8:9], vcc
; %bb.17874:
	s_mov_b32 s10, 0x7f800001
	s_xor_b64 s[4:5], exec, -1
; %bb.17875:
	s_or_b64 exec, exec, s[8:9]
	s_and_b64 s[4:5], s[4:5], exec
                                        ; implicit-def: $vgpr3
	s_or_saveexec_b64 s[6:7], s[6:7]
	v_mov_b32_e32 v2, s10
	s_xor_b64 exec, exec, s[6:7]
	s_cbranch_execnz .LBB1_17876
; %bb.53713:
	s_getpc_b64 s[14:15]
.Lpost_getpc12520:
	s_add_u32 s14, s14, (.LBB1_3538-.Lpost_getpc12520)&4294967295
	s_addc_u32 s15, s15, (.LBB1_3538-.Lpost_getpc12520)>>32
	s_setpc_b64 s[14:15]
.LBB1_17876:
	v_cmp_ne_u16_e32 vcc, 0, v3
	s_andn2_b64 s[4:5], s[4:5], exec
	s_and_b64 s[8:9], vcc, exec
	v_mov_b32_e32 v2, 0
	s_or_b64 s[4:5], s[4:5], s[8:9]
	s_or_b64 exec, exec, s[6:7]
	s_and_saveexec_b64 s[6:7], s[4:5]
	s_cbranch_execz .LBB1_30441
; %bb.53715:
	s_getpc_b64 s[14:15]
.Lpost_getpc12521:
	s_add_u32 s14, s14, (.LBB1_3539-.Lpost_getpc12521)&4294967295
	s_addc_u32 s15, s15, (.LBB1_3539-.Lpost_getpc12521)>>32
	s_setpc_b64 s[14:15]
.LBB1_30441:
	s_getpc_b64 s[14:15]
.Lpost_getpc884:
	s_add_u32 s14, s14, (.LBB1_3540-.Lpost_getpc884)&4294967295
	s_addc_u32 s15, s15, (.LBB1_3540-.Lpost_getpc884)>>32
	s_setpc_b64 s[14:15]
.LBB1_17877:
	s_movk_i32 s4, 0x80
	v_cmp_eq_u16_e32 vcc, s4, v3
	s_mov_b64 s[4:5], -1
                                        ; implicit-def: $sgpr10
	s_and_saveexec_b64 s[8:9], vcc
; %bb.17878:
	s_mov_b32 s10, 0x7f800001
	s_xor_b64 s[4:5], exec, -1
; %bb.17879:
	s_or_b64 exec, exec, s[8:9]
	s_and_b64 s[4:5], s[4:5], exec
                                        ; implicit-def: $vgpr3
	s_or_saveexec_b64 s[6:7], s[6:7]
	v_mov_b32_e32 v6, s10
	s_xor_b64 exec, exec, s[6:7]
	s_cbranch_execnz .LBB1_17880
; %bb.53717:
	s_getpc_b64 s[14:15]
.Lpost_getpc12522:
	s_add_u32 s14, s14, (.LBB1_3542-.Lpost_getpc12522)&4294967295
	s_addc_u32 s15, s15, (.LBB1_3542-.Lpost_getpc12522)>>32
	s_setpc_b64 s[14:15]
.LBB1_17880:
	v_cmp_ne_u16_e32 vcc, 0, v3
	s_andn2_b64 s[4:5], s[4:5], exec
	s_and_b64 s[8:9], vcc, exec
	v_mov_b32_e32 v6, 0
	s_or_b64 s[4:5], s[4:5], s[8:9]
	s_or_b64 exec, exec, s[6:7]
	s_and_saveexec_b64 s[6:7], s[4:5]
	s_cbranch_execz .LBB1_30443
; %bb.53719:
	s_getpc_b64 s[14:15]
.Lpost_getpc12523:
	s_add_u32 s14, s14, (.LBB1_3543-.Lpost_getpc12523)&4294967295
	s_addc_u32 s15, s15, (.LBB1_3543-.Lpost_getpc12523)>>32
	s_setpc_b64 s[14:15]
.LBB1_30443:
	s_getpc_b64 s[14:15]
.Lpost_getpc885:
	s_add_u32 s14, s14, (.LBB1_3544-.Lpost_getpc885)&4294967295
	s_addc_u32 s15, s15, (.LBB1_3544-.Lpost_getpc885)>>32
	s_setpc_b64 s[14:15]
.LBB1_17881:
	s_movk_i32 s4, 0x80
	v_cmp_eq_u16_sdwa s[12:13], v8, s4 src0_sel:BYTE_3 src1_sel:DWORD
	s_mov_b64 s[4:5], -1
                                        ; implicit-def: $sgpr10
	s_and_saveexec_b64 s[8:9], s[12:13]
; %bb.17882:
	s_mov_b32 s10, 0x7f800001
	s_xor_b64 s[4:5], exec, -1
; %bb.17883:
	s_or_b64 exec, exec, s[8:9]
	s_and_b64 s[4:5], s[4:5], exec
	s_or_saveexec_b64 s[6:7], s[6:7]
	v_mov_b32_e32 v2, s10
	s_xor_b64 exec, exec, s[6:7]
	s_cbranch_execnz .LBB1_17884
; %bb.53721:
	s_getpc_b64 s[14:15]
.Lpost_getpc12524:
	s_add_u32 s14, s14, (.LBB1_3546-.Lpost_getpc12524)&4294967295
	s_addc_u32 s15, s15, (.LBB1_3546-.Lpost_getpc12524)>>32
	s_setpc_b64 s[14:15]
.LBB1_17884:
	v_mov_b32_e32 v2, 0
	v_cmp_ne_u16_sdwa s[8:9], v8, v2 src0_sel:BYTE_3 src1_sel:DWORD
	s_andn2_b64 s[4:5], s[4:5], exec
	s_and_b64 s[8:9], s[8:9], exec
	s_or_b64 s[4:5], s[4:5], s[8:9]
	s_or_b64 exec, exec, s[6:7]
	s_and_saveexec_b64 s[6:7], s[4:5]
	s_cbranch_execz .LBB1_30445
; %bb.53723:
	s_getpc_b64 s[14:15]
.Lpost_getpc12525:
	s_add_u32 s14, s14, (.LBB1_3547-.Lpost_getpc12525)&4294967295
	s_addc_u32 s15, s15, (.LBB1_3547-.Lpost_getpc12525)>>32
	s_setpc_b64 s[14:15]
.LBB1_30445:
	s_getpc_b64 s[14:15]
.Lpost_getpc886:
	s_add_u32 s14, s14, (.LBB1_3548-.Lpost_getpc886)&4294967295
	s_addc_u32 s15, s15, (.LBB1_3548-.Lpost_getpc886)>>32
	s_setpc_b64 s[14:15]
.LBB1_17885:
	s_movk_i32 s4, 0x80
	v_cmp_eq_u16_sdwa s[12:13], v4, s4 src0_sel:BYTE_3 src1_sel:DWORD
	s_mov_b64 s[4:5], -1
                                        ; implicit-def: $sgpr10
	s_and_saveexec_b64 s[8:9], s[12:13]
; %bb.17886:
	s_mov_b32 s10, 0x7f800001
	s_xor_b64 s[4:5], exec, -1
; %bb.17887:
	s_or_b64 exec, exec, s[8:9]
	s_and_b64 s[4:5], s[4:5], exec
	s_or_saveexec_b64 s[6:7], s[6:7]
	v_mov_b32_e32 v3, s10
	s_xor_b64 exec, exec, s[6:7]
	s_cbranch_execnz .LBB1_17888
; %bb.53725:
	s_getpc_b64 s[14:15]
.Lpost_getpc12526:
	s_add_u32 s14, s14, (.LBB1_3550-.Lpost_getpc12526)&4294967295
	s_addc_u32 s15, s15, (.LBB1_3550-.Lpost_getpc12526)>>32
	s_setpc_b64 s[14:15]
.LBB1_17888:
	v_mov_b32_e32 v3, 0
	v_cmp_ne_u16_sdwa s[8:9], v4, v3 src0_sel:BYTE_3 src1_sel:DWORD
	s_andn2_b64 s[4:5], s[4:5], exec
	s_and_b64 s[8:9], s[8:9], exec
	s_or_b64 s[4:5], s[4:5], s[8:9]
	s_or_b64 exec, exec, s[6:7]
	s_and_saveexec_b64 s[6:7], s[4:5]
	s_cbranch_execz .LBB1_30447
; %bb.53727:
	s_getpc_b64 s[14:15]
.Lpost_getpc12527:
	s_add_u32 s14, s14, (.LBB1_3551-.Lpost_getpc12527)&4294967295
	s_addc_u32 s15, s15, (.LBB1_3551-.Lpost_getpc12527)>>32
	s_setpc_b64 s[14:15]
.LBB1_30447:
	s_getpc_b64 s[14:15]
.Lpost_getpc887:
	s_add_u32 s14, s14, (.LBB1_3552-.Lpost_getpc887)&4294967295
	s_addc_u32 s15, s15, (.LBB1_3552-.Lpost_getpc887)>>32
	s_setpc_b64 s[14:15]
.LBB1_17889:
	s_movk_i32 s4, 0x80
	v_cmp_eq_u16_sdwa s[12:13], v9, s4 src0_sel:BYTE_0 src1_sel:DWORD
	s_mov_b64 s[4:5], -1
                                        ; implicit-def: $sgpr10
	s_and_saveexec_b64 s[8:9], s[12:13]
; %bb.17890:
	s_mov_b32 s10, 0x7f800001
	s_xor_b64 s[4:5], exec, -1
; %bb.17891:
	s_or_b64 exec, exec, s[8:9]
	s_and_b64 s[4:5], s[4:5], exec
	s_or_saveexec_b64 s[6:7], s[6:7]
	v_mov_b32_e32 v2, s10
	s_xor_b64 exec, exec, s[6:7]
	s_cbranch_execnz .LBB1_17892
; %bb.53729:
	s_getpc_b64 s[14:15]
.Lpost_getpc12528:
	s_add_u32 s14, s14, (.LBB1_3554-.Lpost_getpc12528)&4294967295
	s_addc_u32 s15, s15, (.LBB1_3554-.Lpost_getpc12528)>>32
	s_setpc_b64 s[14:15]
.LBB1_17892:
	v_mov_b32_e32 v2, 0
	v_cmp_ne_u16_sdwa s[8:9], v9, v2 src0_sel:BYTE_0 src1_sel:DWORD
	s_andn2_b64 s[4:5], s[4:5], exec
	s_and_b64 s[8:9], s[8:9], exec
	s_or_b64 s[4:5], s[4:5], s[8:9]
	s_or_b64 exec, exec, s[6:7]
	s_and_saveexec_b64 s[6:7], s[4:5]
	s_cbranch_execz .LBB1_30449
; %bb.53731:
	s_getpc_b64 s[14:15]
.Lpost_getpc12529:
	s_add_u32 s14, s14, (.LBB1_3555-.Lpost_getpc12529)&4294967295
	s_addc_u32 s15, s15, (.LBB1_3555-.Lpost_getpc12529)>>32
	s_setpc_b64 s[14:15]
.LBB1_30449:
	s_getpc_b64 s[14:15]
.Lpost_getpc888:
	s_add_u32 s14, s14, (.LBB1_3556-.Lpost_getpc888)&4294967295
	s_addc_u32 s15, s15, (.LBB1_3556-.Lpost_getpc888)>>32
	s_setpc_b64 s[14:15]
.LBB1_17893:
	s_movk_i32 s4, 0x80
	v_cmp_eq_u16_sdwa s[12:13], v5, s4 src0_sel:BYTE_0 src1_sel:DWORD
	s_mov_b64 s[4:5], -1
                                        ; implicit-def: $sgpr10
	s_and_saveexec_b64 s[8:9], s[12:13]
; %bb.17894:
	s_mov_b32 s10, 0x7f800001
	s_xor_b64 s[4:5], exec, -1
; %bb.17895:
	s_or_b64 exec, exec, s[8:9]
	s_and_b64 s[4:5], s[4:5], exec
	s_or_saveexec_b64 s[6:7], s[6:7]
	v_mov_b32_e32 v3, s10
	s_xor_b64 exec, exec, s[6:7]
	s_cbranch_execnz .LBB1_17896
; %bb.53733:
	s_getpc_b64 s[14:15]
.Lpost_getpc12530:
	s_add_u32 s14, s14, (.LBB1_3558-.Lpost_getpc12530)&4294967295
	s_addc_u32 s15, s15, (.LBB1_3558-.Lpost_getpc12530)>>32
	s_setpc_b64 s[14:15]
.LBB1_17896:
	v_mov_b32_e32 v3, 0
	v_cmp_ne_u16_sdwa s[8:9], v5, v3 src0_sel:BYTE_0 src1_sel:DWORD
	s_andn2_b64 s[4:5], s[4:5], exec
	s_and_b64 s[8:9], s[8:9], exec
	s_or_b64 s[4:5], s[4:5], s[8:9]
	s_or_b64 exec, exec, s[6:7]
	s_and_saveexec_b64 s[6:7], s[4:5]
	s_cbranch_execz .LBB1_30451
; %bb.53735:
	s_getpc_b64 s[14:15]
.Lpost_getpc12531:
	s_add_u32 s14, s14, (.LBB1_3559-.Lpost_getpc12531)&4294967295
	s_addc_u32 s15, s15, (.LBB1_3559-.Lpost_getpc12531)>>32
	s_setpc_b64 s[14:15]
.LBB1_30451:
	s_getpc_b64 s[14:15]
.Lpost_getpc889:
	s_add_u32 s14, s14, (.LBB1_3560-.Lpost_getpc889)&4294967295
	s_addc_u32 s15, s15, (.LBB1_3560-.Lpost_getpc889)>>32
	s_setpc_b64 s[14:15]
.LBB1_17897:
	s_movk_i32 s4, 0x80
	v_cmp_eq_u16_sdwa s[12:13], v3, s4 src0_sel:BYTE_0 src1_sel:DWORD
	s_mov_b64 s[4:5], -1
                                        ; implicit-def: $sgpr10
	s_and_saveexec_b64 s[8:9], s[12:13]
; %bb.17898:
	s_mov_b32 s10, 0x7f800001
	s_xor_b64 s[4:5], exec, -1
; %bb.17899:
	s_or_b64 exec, exec, s[8:9]
	s_and_b64 s[4:5], s[4:5], exec
	s_or_saveexec_b64 s[6:7], s[6:7]
	v_mov_b32_e32 v2, s10
	s_xor_b64 exec, exec, s[6:7]
	s_cbranch_execnz .LBB1_17900
; %bb.53737:
	s_getpc_b64 s[14:15]
.Lpost_getpc12532:
	s_add_u32 s14, s14, (.LBB1_3562-.Lpost_getpc12532)&4294967295
	s_addc_u32 s15, s15, (.LBB1_3562-.Lpost_getpc12532)>>32
	s_setpc_b64 s[14:15]
.LBB1_17900:
	v_mov_b32_e32 v2, 0
	v_cmp_ne_u16_sdwa s[8:9], v3, v2 src0_sel:BYTE_0 src1_sel:DWORD
	s_andn2_b64 s[4:5], s[4:5], exec
	s_and_b64 s[8:9], s[8:9], exec
	s_or_b64 s[4:5], s[4:5], s[8:9]
	s_or_b64 exec, exec, s[6:7]
	s_and_saveexec_b64 s[6:7], s[4:5]
	s_cbranch_execz .LBB1_30453
; %bb.53739:
	s_getpc_b64 s[14:15]
.Lpost_getpc12533:
	s_add_u32 s14, s14, (.LBB1_3563-.Lpost_getpc12533)&4294967295
	s_addc_u32 s15, s15, (.LBB1_3563-.Lpost_getpc12533)>>32
	s_setpc_b64 s[14:15]
.LBB1_30453:
	s_getpc_b64 s[14:15]
.Lpost_getpc890:
	s_add_u32 s14, s14, (.LBB1_3564-.Lpost_getpc890)&4294967295
	s_addc_u32 s15, s15, (.LBB1_3564-.Lpost_getpc890)>>32
	s_setpc_b64 s[14:15]
.LBB1_17901:
	s_movk_i32 s4, 0x80
	v_cmp_eq_u16_sdwa s[12:13], v3, s4 src0_sel:BYTE_0 src1_sel:DWORD
	s_mov_b64 s[4:5], -1
                                        ; implicit-def: $sgpr10
	s_and_saveexec_b64 s[8:9], s[12:13]
; %bb.17902:
	s_mov_b32 s10, 0x7f800001
	s_xor_b64 s[4:5], exec, -1
; %bb.17903:
	s_or_b64 exec, exec, s[8:9]
	s_and_b64 s[4:5], s[4:5], exec
	s_or_saveexec_b64 s[6:7], s[6:7]
	v_mov_b32_e32 v4, s10
	s_xor_b64 exec, exec, s[6:7]
	s_cbranch_execnz .LBB1_17904
; %bb.53741:
	s_getpc_b64 s[14:15]
.Lpost_getpc12534:
	s_add_u32 s14, s14, (.LBB1_3566-.Lpost_getpc12534)&4294967295
	s_addc_u32 s15, s15, (.LBB1_3566-.Lpost_getpc12534)>>32
	s_setpc_b64 s[14:15]
.LBB1_17904:
	v_mov_b32_e32 v4, 0
	v_cmp_ne_u16_sdwa s[8:9], v3, v4 src0_sel:BYTE_0 src1_sel:DWORD
	s_andn2_b64 s[4:5], s[4:5], exec
	s_and_b64 s[8:9], s[8:9], exec
	s_or_b64 s[4:5], s[4:5], s[8:9]
	s_or_b64 exec, exec, s[6:7]
	s_and_saveexec_b64 s[6:7], s[4:5]
	s_cbranch_execz .LBB1_30455
; %bb.53743:
	s_getpc_b64 s[14:15]
.Lpost_getpc12535:
	s_add_u32 s14, s14, (.LBB1_3567-.Lpost_getpc12535)&4294967295
	s_addc_u32 s15, s15, (.LBB1_3567-.Lpost_getpc12535)>>32
	s_setpc_b64 s[14:15]
.LBB1_30455:
	s_getpc_b64 s[14:15]
.Lpost_getpc891:
	s_add_u32 s14, s14, (.LBB1_3568-.Lpost_getpc891)&4294967295
	s_addc_u32 s15, s15, (.LBB1_3568-.Lpost_getpc891)>>32
	s_setpc_b64 s[14:15]
.LBB1_17905:
	s_movk_i32 s4, 0x80
	v_cmp_eq_u16_e32 vcc, s4, v3
	s_mov_b64 s[4:5], -1
                                        ; implicit-def: $sgpr10
	s_and_saveexec_b64 s[8:9], vcc
; %bb.17906:
	s_mov_b32 s10, 0x7f800001
	s_xor_b64 s[4:5], exec, -1
; %bb.17907:
	s_or_b64 exec, exec, s[8:9]
	s_and_b64 s[4:5], s[4:5], exec
                                        ; implicit-def: $vgpr3
	s_or_saveexec_b64 s[6:7], s[6:7]
	v_mov_b32_e32 v2, s10
	s_xor_b64 exec, exec, s[6:7]
	s_cbranch_execnz .LBB1_17908
; %bb.53745:
	s_getpc_b64 s[14:15]
.Lpost_getpc12536:
	s_add_u32 s14, s14, (.LBB1_3570-.Lpost_getpc12536)&4294967295
	s_addc_u32 s15, s15, (.LBB1_3570-.Lpost_getpc12536)>>32
	s_setpc_b64 s[14:15]
.LBB1_17908:
	v_cmp_ne_u16_e32 vcc, 0, v3
	s_andn2_b64 s[4:5], s[4:5], exec
	s_and_b64 s[8:9], vcc, exec
	v_mov_b32_e32 v2, 0
	s_or_b64 s[4:5], s[4:5], s[8:9]
	s_or_b64 exec, exec, s[6:7]
	s_and_saveexec_b64 s[6:7], s[4:5]
	s_cbranch_execz .LBB1_30457
; %bb.53747:
	s_getpc_b64 s[14:15]
.Lpost_getpc12537:
	s_add_u32 s14, s14, (.LBB1_3571-.Lpost_getpc12537)&4294967295
	s_addc_u32 s15, s15, (.LBB1_3571-.Lpost_getpc12537)>>32
	s_setpc_b64 s[14:15]
.LBB1_30457:
	s_getpc_b64 s[14:15]
.Lpost_getpc892:
	s_add_u32 s14, s14, (.LBB1_3572-.Lpost_getpc892)&4294967295
	s_addc_u32 s15, s15, (.LBB1_3572-.Lpost_getpc892)>>32
	s_setpc_b64 s[14:15]
.LBB1_17909:
	s_movk_i32 s4, 0x80
	v_cmp_eq_u16_e32 vcc, s4, v3
	s_mov_b64 s[4:5], -1
                                        ; implicit-def: $sgpr10
	s_and_saveexec_b64 s[8:9], vcc
; %bb.17910:
	s_mov_b32 s10, 0x7f800001
	s_xor_b64 s[4:5], exec, -1
; %bb.17911:
	s_or_b64 exec, exec, s[8:9]
	s_and_b64 s[4:5], s[4:5], exec
                                        ; implicit-def: $vgpr3
	s_or_saveexec_b64 s[6:7], s[6:7]
	v_mov_b32_e32 v4, s10
	s_xor_b64 exec, exec, s[6:7]
	s_cbranch_execnz .LBB1_17912
; %bb.53749:
	s_getpc_b64 s[14:15]
.Lpost_getpc12538:
	s_add_u32 s14, s14, (.LBB1_3574-.Lpost_getpc12538)&4294967295
	s_addc_u32 s15, s15, (.LBB1_3574-.Lpost_getpc12538)>>32
	s_setpc_b64 s[14:15]
.LBB1_17912:
	v_cmp_ne_u16_e32 vcc, 0, v3
	s_andn2_b64 s[4:5], s[4:5], exec
	s_and_b64 s[8:9], vcc, exec
	v_mov_b32_e32 v4, 0
	s_or_b64 s[4:5], s[4:5], s[8:9]
	s_or_b64 exec, exec, s[6:7]
	s_and_saveexec_b64 s[6:7], s[4:5]
	s_cbranch_execz .LBB1_30459
; %bb.53751:
	s_getpc_b64 s[14:15]
.Lpost_getpc12539:
	s_add_u32 s14, s14, (.LBB1_3575-.Lpost_getpc12539)&4294967295
	s_addc_u32 s15, s15, (.LBB1_3575-.Lpost_getpc12539)>>32
	s_setpc_b64 s[14:15]
.LBB1_30459:
	s_getpc_b64 s[14:15]
.Lpost_getpc893:
	s_add_u32 s14, s14, (.LBB1_3576-.Lpost_getpc893)&4294967295
	s_addc_u32 s15, s15, (.LBB1_3576-.Lpost_getpc893)>>32
	s_setpc_b64 s[14:15]
.LBB1_17913:
	s_movk_i32 s4, 0x80
	v_cmp_eq_u16_sdwa s[12:13], v9, s4 src0_sel:BYTE_3 src1_sel:DWORD
	s_mov_b64 s[4:5], -1
                                        ; implicit-def: $sgpr10
	s_and_saveexec_b64 s[8:9], s[12:13]
; %bb.17914:
	s_mov_b32 s10, 0x7f800001
	s_xor_b64 s[4:5], exec, -1
; %bb.17915:
	s_or_b64 exec, exec, s[8:9]
	s_and_b64 s[4:5], s[4:5], exec
	s_or_saveexec_b64 s[6:7], s[6:7]
	v_mov_b32_e32 v2, s10
	s_xor_b64 exec, exec, s[6:7]
	s_cbranch_execnz .LBB1_17916
; %bb.53753:
	s_getpc_b64 s[14:15]
.Lpost_getpc12540:
	s_add_u32 s14, s14, (.LBB1_3578-.Lpost_getpc12540)&4294967295
	s_addc_u32 s15, s15, (.LBB1_3578-.Lpost_getpc12540)>>32
	s_setpc_b64 s[14:15]
.LBB1_17916:
	v_mov_b32_e32 v2, 0
	v_cmp_ne_u16_sdwa s[8:9], v9, v2 src0_sel:BYTE_3 src1_sel:DWORD
	s_andn2_b64 s[4:5], s[4:5], exec
	s_and_b64 s[8:9], s[8:9], exec
	s_or_b64 s[4:5], s[4:5], s[8:9]
	s_or_b64 exec, exec, s[6:7]
	s_and_saveexec_b64 s[6:7], s[4:5]
	s_cbranch_execz .LBB1_30461
; %bb.53755:
	s_getpc_b64 s[14:15]
.Lpost_getpc12541:
	s_add_u32 s14, s14, (.LBB1_3579-.Lpost_getpc12541)&4294967295
	s_addc_u32 s15, s15, (.LBB1_3579-.Lpost_getpc12541)>>32
	s_setpc_b64 s[14:15]
.LBB1_30461:
	s_getpc_b64 s[14:15]
.Lpost_getpc894:
	s_add_u32 s14, s14, (.LBB1_3580-.Lpost_getpc894)&4294967295
	s_addc_u32 s15, s15, (.LBB1_3580-.Lpost_getpc894)>>32
	s_setpc_b64 s[14:15]
.LBB1_17917:
	s_movk_i32 s4, 0x80
	v_cmp_eq_u16_sdwa s[12:13], v5, s4 src0_sel:BYTE_3 src1_sel:DWORD
	s_mov_b64 s[4:5], -1
                                        ; implicit-def: $sgpr10
	s_and_saveexec_b64 s[8:9], s[12:13]
; %bb.17918:
	s_mov_b32 s10, 0x7f800001
	s_xor_b64 s[4:5], exec, -1
; %bb.17919:
	s_or_b64 exec, exec, s[8:9]
	s_and_b64 s[4:5], s[4:5], exec
	s_or_saveexec_b64 s[6:7], s[6:7]
	v_mov_b32_e32 v3, s10
	s_xor_b64 exec, exec, s[6:7]
	s_cbranch_execnz .LBB1_17920
; %bb.53757:
	s_getpc_b64 s[14:15]
.Lpost_getpc12542:
	s_add_u32 s14, s14, (.LBB1_3582-.Lpost_getpc12542)&4294967295
	s_addc_u32 s15, s15, (.LBB1_3582-.Lpost_getpc12542)>>32
	s_setpc_b64 s[14:15]
.LBB1_17920:
	v_mov_b32_e32 v3, 0
	v_cmp_ne_u16_sdwa s[8:9], v5, v3 src0_sel:BYTE_3 src1_sel:DWORD
	s_andn2_b64 s[4:5], s[4:5], exec
	s_and_b64 s[8:9], s[8:9], exec
	s_or_b64 s[4:5], s[4:5], s[8:9]
	s_or_b64 exec, exec, s[6:7]
	s_and_saveexec_b64 s[6:7], s[4:5]
	s_cbranch_execz .LBB1_30463
; %bb.53759:
	s_getpc_b64 s[14:15]
.Lpost_getpc12543:
	s_add_u32 s14, s14, (.LBB1_3583-.Lpost_getpc12543)&4294967295
	s_addc_u32 s15, s15, (.LBB1_3583-.Lpost_getpc12543)>>32
	s_setpc_b64 s[14:15]
.LBB1_30463:
	s_getpc_b64 s[14:15]
.Lpost_getpc895:
	s_add_u32 s14, s14, (.LBB1_3584-.Lpost_getpc895)&4294967295
	s_addc_u32 s15, s15, (.LBB1_3584-.Lpost_getpc895)>>32
	s_setpc_b64 s[14:15]
.LBB1_17921:
	s_movk_i32 s4, 0x80
	v_cmp_eq_u16_sdwa s[12:13], v6, s4 src0_sel:BYTE_0 src1_sel:DWORD
	s_mov_b64 s[4:5], -1
                                        ; implicit-def: $sgpr10
	s_and_saveexec_b64 s[8:9], s[12:13]
; %bb.17922:
	s_mov_b32 s10, 0x7f800001
	s_xor_b64 s[4:5], exec, -1
; %bb.17923:
	s_or_b64 exec, exec, s[8:9]
	s_and_b64 s[4:5], s[4:5], exec
	s_or_saveexec_b64 s[6:7], s[6:7]
	v_mov_b32_e32 v12, s10
	s_xor_b64 exec, exec, s[6:7]
	s_cbranch_execnz .LBB1_17924
; %bb.53761:
	s_getpc_b64 s[14:15]
.Lpost_getpc12544:
	s_add_u32 s14, s14, (.LBB1_3586-.Lpost_getpc12544)&4294967295
	s_addc_u32 s15, s15, (.LBB1_3586-.Lpost_getpc12544)>>32
	s_setpc_b64 s[14:15]
.LBB1_17924:
	v_mov_b32_e32 v12, 0
	v_cmp_ne_u16_sdwa s[8:9], v6, v12 src0_sel:BYTE_0 src1_sel:DWORD
	s_andn2_b64 s[4:5], s[4:5], exec
	s_and_b64 s[8:9], s[8:9], exec
	s_or_b64 s[4:5], s[4:5], s[8:9]
	s_or_b64 exec, exec, s[6:7]
	s_and_saveexec_b64 s[6:7], s[4:5]
	s_cbranch_execz .LBB1_30465
; %bb.53763:
	s_getpc_b64 s[14:15]
.Lpost_getpc12545:
	s_add_u32 s14, s14, (.LBB1_3587-.Lpost_getpc12545)&4294967295
	s_addc_u32 s15, s15, (.LBB1_3587-.Lpost_getpc12545)>>32
	s_setpc_b64 s[14:15]
.LBB1_30465:
	s_getpc_b64 s[14:15]
.Lpost_getpc896:
	s_add_u32 s14, s14, (.LBB1_3588-.Lpost_getpc896)&4294967295
	s_addc_u32 s15, s15, (.LBB1_3588-.Lpost_getpc896)>>32
	s_setpc_b64 s[14:15]
.LBB1_17925:
	s_movk_i32 s4, 0x80
	v_cmp_eq_u16_sdwa s[12:13], v2, s4 src0_sel:BYTE_0 src1_sel:DWORD
	s_mov_b64 s[4:5], -1
                                        ; implicit-def: $sgpr10
	s_and_saveexec_b64 s[8:9], s[12:13]
; %bb.17926:
	s_mov_b32 s10, 0x7f800001
	s_xor_b64 s[4:5], exec, -1
; %bb.17927:
	s_or_b64 exec, exec, s[8:9]
	s_and_b64 s[4:5], s[4:5], exec
	s_or_saveexec_b64 s[6:7], s[6:7]
	v_mov_b32_e32 v13, s10
	s_xor_b64 exec, exec, s[6:7]
	s_cbranch_execnz .LBB1_17928
; %bb.53765:
	s_getpc_b64 s[14:15]
.Lpost_getpc12546:
	s_add_u32 s14, s14, (.LBB1_3590-.Lpost_getpc12546)&4294967295
	s_addc_u32 s15, s15, (.LBB1_3590-.Lpost_getpc12546)>>32
	s_setpc_b64 s[14:15]
.LBB1_17928:
	v_mov_b32_e32 v13, 0
	v_cmp_ne_u16_sdwa s[8:9], v2, v13 src0_sel:BYTE_0 src1_sel:DWORD
	s_andn2_b64 s[4:5], s[4:5], exec
	s_and_b64 s[8:9], s[8:9], exec
	s_or_b64 s[4:5], s[4:5], s[8:9]
	s_or_b64 exec, exec, s[6:7]
	s_and_saveexec_b64 s[6:7], s[4:5]
	s_cbranch_execz .LBB1_30467
; %bb.53767:
	s_getpc_b64 s[14:15]
.Lpost_getpc12547:
	s_add_u32 s14, s14, (.LBB1_3591-.Lpost_getpc12547)&4294967295
	s_addc_u32 s15, s15, (.LBB1_3591-.Lpost_getpc12547)>>32
	s_setpc_b64 s[14:15]
.LBB1_30467:
	s_getpc_b64 s[14:15]
.Lpost_getpc897:
	s_add_u32 s14, s14, (.LBB1_3592-.Lpost_getpc897)&4294967295
	s_addc_u32 s15, s15, (.LBB1_3592-.Lpost_getpc897)>>32
	s_setpc_b64 s[14:15]
.LBB1_17929:
	s_movk_i32 s4, 0x80
	v_cmp_eq_u16_sdwa s[12:13], v13, s4 src0_sel:BYTE_0 src1_sel:DWORD
	s_mov_b64 s[4:5], -1
                                        ; implicit-def: $sgpr10
	s_and_saveexec_b64 s[8:9], s[12:13]
; %bb.17930:
	s_mov_b32 s10, 0x7f800001
	s_xor_b64 s[4:5], exec, -1
; %bb.17931:
	s_or_b64 exec, exec, s[8:9]
	s_and_b64 s[4:5], s[4:5], exec
	s_or_saveexec_b64 s[6:7], s[6:7]
	v_mov_b32_e32 v12, s10
	s_xor_b64 exec, exec, s[6:7]
	s_cbranch_execnz .LBB1_17932
; %bb.53769:
	s_getpc_b64 s[14:15]
.Lpost_getpc12548:
	s_add_u32 s14, s14, (.LBB1_3594-.Lpost_getpc12548)&4294967295
	s_addc_u32 s15, s15, (.LBB1_3594-.Lpost_getpc12548)>>32
	s_setpc_b64 s[14:15]
.LBB1_17932:
	v_mov_b32_e32 v12, 0
	v_cmp_ne_u16_sdwa s[8:9], v13, v12 src0_sel:BYTE_0 src1_sel:DWORD
	s_andn2_b64 s[4:5], s[4:5], exec
	s_and_b64 s[8:9], s[8:9], exec
	s_or_b64 s[4:5], s[4:5], s[8:9]
	s_or_b64 exec, exec, s[6:7]
	s_and_saveexec_b64 s[6:7], s[4:5]
	s_cbranch_execz .LBB1_30469
; %bb.53771:
	s_getpc_b64 s[14:15]
.Lpost_getpc12549:
	s_add_u32 s14, s14, (.LBB1_3595-.Lpost_getpc12549)&4294967295
	s_addc_u32 s15, s15, (.LBB1_3595-.Lpost_getpc12549)>>32
	s_setpc_b64 s[14:15]
.LBB1_30469:
	s_getpc_b64 s[14:15]
.Lpost_getpc898:
	s_add_u32 s14, s14, (.LBB1_3596-.Lpost_getpc898)&4294967295
	s_addc_u32 s15, s15, (.LBB1_3596-.Lpost_getpc898)>>32
	s_setpc_b64 s[14:15]
.LBB1_17933:
	s_movk_i32 s4, 0x80
	v_cmp_eq_u16_sdwa s[12:13], v13, s4 src0_sel:BYTE_0 src1_sel:DWORD
	s_mov_b64 s[4:5], -1
                                        ; implicit-def: $sgpr10
	s_and_saveexec_b64 s[8:9], s[12:13]
; %bb.17934:
	s_mov_b32 s10, 0x7f800001
	s_xor_b64 s[4:5], exec, -1
; %bb.17935:
	s_or_b64 exec, exec, s[8:9]
	s_and_b64 s[4:5], s[4:5], exec
	s_or_saveexec_b64 s[6:7], s[6:7]
	v_mov_b32_e32 v14, s10
	s_xor_b64 exec, exec, s[6:7]
	s_cbranch_execnz .LBB1_17936
; %bb.53773:
	s_getpc_b64 s[14:15]
.Lpost_getpc12550:
	s_add_u32 s14, s14, (.LBB1_3598-.Lpost_getpc12550)&4294967295
	s_addc_u32 s15, s15, (.LBB1_3598-.Lpost_getpc12550)>>32
	s_setpc_b64 s[14:15]
.LBB1_17936:
	v_mov_b32_e32 v14, 0
	v_cmp_ne_u16_sdwa s[8:9], v13, v14 src0_sel:BYTE_0 src1_sel:DWORD
	s_andn2_b64 s[4:5], s[4:5], exec
	s_and_b64 s[8:9], s[8:9], exec
	s_or_b64 s[4:5], s[4:5], s[8:9]
	s_or_b64 exec, exec, s[6:7]
	s_and_saveexec_b64 s[6:7], s[4:5]
	s_cbranch_execz .LBB1_30471
; %bb.53775:
	s_getpc_b64 s[14:15]
.Lpost_getpc12551:
	s_add_u32 s14, s14, (.LBB1_3599-.Lpost_getpc12551)&4294967295
	s_addc_u32 s15, s15, (.LBB1_3599-.Lpost_getpc12551)>>32
	s_setpc_b64 s[14:15]
.LBB1_30471:
	s_getpc_b64 s[14:15]
.Lpost_getpc899:
	s_add_u32 s14, s14, (.LBB1_3600-.Lpost_getpc899)&4294967295
	s_addc_u32 s15, s15, (.LBB1_3600-.Lpost_getpc899)>>32
	s_setpc_b64 s[14:15]
.LBB1_17937:
	s_movk_i32 s4, 0x80
	v_cmp_eq_u16_e32 vcc, s4, v13
	s_mov_b64 s[4:5], -1
                                        ; implicit-def: $sgpr10
	s_and_saveexec_b64 s[8:9], vcc
; %bb.17938:
	s_mov_b32 s10, 0x7f800001
	s_xor_b64 s[4:5], exec, -1
; %bb.17939:
	s_or_b64 exec, exec, s[8:9]
	s_and_b64 s[4:5], s[4:5], exec
                                        ; implicit-def: $vgpr13
	s_or_saveexec_b64 s[6:7], s[6:7]
	v_mov_b32_e32 v12, s10
	s_xor_b64 exec, exec, s[6:7]
	s_cbranch_execnz .LBB1_17940
; %bb.53777:
	s_getpc_b64 s[14:15]
.Lpost_getpc12552:
	s_add_u32 s14, s14, (.LBB1_3602-.Lpost_getpc12552)&4294967295
	s_addc_u32 s15, s15, (.LBB1_3602-.Lpost_getpc12552)>>32
	s_setpc_b64 s[14:15]
.LBB1_17940:
	v_cmp_ne_u16_e32 vcc, 0, v13
	s_andn2_b64 s[4:5], s[4:5], exec
	s_and_b64 s[8:9], vcc, exec
	v_mov_b32_e32 v12, 0
	s_or_b64 s[4:5], s[4:5], s[8:9]
	s_or_b64 exec, exec, s[6:7]
	s_and_saveexec_b64 s[6:7], s[4:5]
	s_cbranch_execz .LBB1_30473
; %bb.53779:
	s_getpc_b64 s[14:15]
.Lpost_getpc12553:
	s_add_u32 s14, s14, (.LBB1_3603-.Lpost_getpc12553)&4294967295
	s_addc_u32 s15, s15, (.LBB1_3603-.Lpost_getpc12553)>>32
	s_setpc_b64 s[14:15]
.LBB1_30473:
	s_getpc_b64 s[14:15]
.Lpost_getpc900:
	s_add_u32 s14, s14, (.LBB1_3604-.Lpost_getpc900)&4294967295
	s_addc_u32 s15, s15, (.LBB1_3604-.Lpost_getpc900)>>32
	s_setpc_b64 s[14:15]
.LBB1_17941:
	s_movk_i32 s4, 0x80
	v_cmp_eq_u16_e32 vcc, s4, v13
	s_mov_b64 s[4:5], -1
                                        ; implicit-def: $sgpr10
	s_and_saveexec_b64 s[8:9], vcc
; %bb.17942:
	s_mov_b32 s10, 0x7f800001
	s_xor_b64 s[4:5], exec, -1
; %bb.17943:
	s_or_b64 exec, exec, s[8:9]
	s_and_b64 s[4:5], s[4:5], exec
                                        ; implicit-def: $vgpr13
	s_or_saveexec_b64 s[6:7], s[6:7]
	v_mov_b32_e32 v14, s10
	s_xor_b64 exec, exec, s[6:7]
	s_cbranch_execnz .LBB1_17944
; %bb.53781:
	s_getpc_b64 s[14:15]
.Lpost_getpc12554:
	s_add_u32 s14, s14, (.LBB1_3606-.Lpost_getpc12554)&4294967295
	s_addc_u32 s15, s15, (.LBB1_3606-.Lpost_getpc12554)>>32
	s_setpc_b64 s[14:15]
.LBB1_17944:
	v_cmp_ne_u16_e32 vcc, 0, v13
	s_andn2_b64 s[4:5], s[4:5], exec
	s_and_b64 s[8:9], vcc, exec
	v_mov_b32_e32 v14, 0
	s_or_b64 s[4:5], s[4:5], s[8:9]
	s_or_b64 exec, exec, s[6:7]
	s_and_saveexec_b64 s[6:7], s[4:5]
	s_cbranch_execz .LBB1_30475
; %bb.53783:
	s_getpc_b64 s[14:15]
.Lpost_getpc12555:
	s_add_u32 s14, s14, (.LBB1_3607-.Lpost_getpc12555)&4294967295
	s_addc_u32 s15, s15, (.LBB1_3607-.Lpost_getpc12555)>>32
	s_setpc_b64 s[14:15]
.LBB1_30475:
	s_getpc_b64 s[14:15]
.Lpost_getpc901:
	s_add_u32 s14, s14, (.LBB1_3608-.Lpost_getpc901)&4294967295
	s_addc_u32 s15, s15, (.LBB1_3608-.Lpost_getpc901)>>32
	s_setpc_b64 s[14:15]
.LBB1_17945:
	s_movk_i32 s4, 0x80
	v_cmp_eq_u16_sdwa s[12:13], v6, s4 src0_sel:BYTE_3 src1_sel:DWORD
	s_mov_b64 s[4:5], -1
                                        ; implicit-def: $sgpr10
	s_and_saveexec_b64 s[8:9], s[12:13]
; %bb.17946:
	s_mov_b32 s10, 0x7f800001
	s_xor_b64 s[4:5], exec, -1
; %bb.17947:
	s_or_b64 exec, exec, s[8:9]
	s_and_b64 s[4:5], s[4:5], exec
	s_or_saveexec_b64 s[6:7], s[6:7]
	v_mov_b32_e32 v12, s10
	s_xor_b64 exec, exec, s[6:7]
	s_cbranch_execnz .LBB1_17948
; %bb.53785:
	s_getpc_b64 s[14:15]
.Lpost_getpc12556:
	s_add_u32 s14, s14, (.LBB1_3610-.Lpost_getpc12556)&4294967295
	s_addc_u32 s15, s15, (.LBB1_3610-.Lpost_getpc12556)>>32
	s_setpc_b64 s[14:15]
.LBB1_17948:
	v_mov_b32_e32 v12, 0
	v_cmp_ne_u16_sdwa s[8:9], v6, v12 src0_sel:BYTE_3 src1_sel:DWORD
	s_andn2_b64 s[4:5], s[4:5], exec
	s_and_b64 s[8:9], s[8:9], exec
	s_or_b64 s[4:5], s[4:5], s[8:9]
	s_or_b64 exec, exec, s[6:7]
	s_and_saveexec_b64 s[6:7], s[4:5]
	s_cbranch_execz .LBB1_30477
; %bb.53787:
	s_getpc_b64 s[14:15]
.Lpost_getpc12557:
	s_add_u32 s14, s14, (.LBB1_3611-.Lpost_getpc12557)&4294967295
	s_addc_u32 s15, s15, (.LBB1_3611-.Lpost_getpc12557)>>32
	s_setpc_b64 s[14:15]
.LBB1_30477:
	s_getpc_b64 s[14:15]
.Lpost_getpc902:
	s_add_u32 s14, s14, (.LBB1_3612-.Lpost_getpc902)&4294967295
	s_addc_u32 s15, s15, (.LBB1_3612-.Lpost_getpc902)>>32
	s_setpc_b64 s[14:15]
.LBB1_17949:
	s_movk_i32 s4, 0x80
	v_cmp_eq_u16_sdwa s[12:13], v2, s4 src0_sel:BYTE_3 src1_sel:DWORD
	s_mov_b64 s[4:5], -1
                                        ; implicit-def: $sgpr10
	s_and_saveexec_b64 s[8:9], s[12:13]
; %bb.17950:
	s_mov_b32 s10, 0x7f800001
	s_xor_b64 s[4:5], exec, -1
; %bb.17951:
	s_or_b64 exec, exec, s[8:9]
	s_and_b64 s[4:5], s[4:5], exec
	s_or_saveexec_b64 s[6:7], s[6:7]
	v_mov_b32_e32 v6, s10
	s_xor_b64 exec, exec, s[6:7]
	s_cbranch_execnz .LBB1_17952
; %bb.53789:
	s_getpc_b64 s[14:15]
.Lpost_getpc12558:
	s_add_u32 s14, s14, (.LBB1_3614-.Lpost_getpc12558)&4294967295
	s_addc_u32 s15, s15, (.LBB1_3614-.Lpost_getpc12558)>>32
	s_setpc_b64 s[14:15]
.LBB1_17952:
	v_mov_b32_e32 v6, 0
	v_cmp_ne_u16_sdwa s[8:9], v2, v6 src0_sel:BYTE_3 src1_sel:DWORD
	s_andn2_b64 s[4:5], s[4:5], exec
	s_and_b64 s[8:9], s[8:9], exec
	s_or_b64 s[4:5], s[4:5], s[8:9]
	s_or_b64 exec, exec, s[6:7]
	s_and_saveexec_b64 s[6:7], s[4:5]
	s_cbranch_execz .LBB1_30479
; %bb.53791:
	s_getpc_b64 s[14:15]
.Lpost_getpc12559:
	s_add_u32 s14, s14, (.LBB1_3615-.Lpost_getpc12559)&4294967295
	s_addc_u32 s15, s15, (.LBB1_3615-.Lpost_getpc12559)>>32
	s_setpc_b64 s[14:15]
.LBB1_30479:
	s_getpc_b64 s[14:15]
.Lpost_getpc903:
	s_add_u32 s14, s14, (.LBB1_3616-.Lpost_getpc903)&4294967295
	s_addc_u32 s15, s15, (.LBB1_3616-.Lpost_getpc903)>>32
	s_setpc_b64 s[14:15]
.LBB1_17953:
	s_movk_i32 s4, 0x80
	v_cmp_eq_u16_sdwa s[12:13], v7, s4 src0_sel:BYTE_0 src1_sel:DWORD
	s_mov_b64 s[4:5], -1
                                        ; implicit-def: $sgpr10
	s_and_saveexec_b64 s[8:9], s[12:13]
; %bb.17954:
	s_mov_b32 s10, 0x7f800001
	s_xor_b64 s[4:5], exec, -1
; %bb.17955:
	s_or_b64 exec, exec, s[8:9]
	s_and_b64 s[4:5], s[4:5], exec
	s_or_saveexec_b64 s[6:7], s[6:7]
	v_mov_b32_e32 v2, s10
	s_xor_b64 exec, exec, s[6:7]
	s_cbranch_execnz .LBB1_17956
; %bb.53793:
	s_getpc_b64 s[14:15]
.Lpost_getpc12560:
	s_add_u32 s14, s14, (.LBB1_3618-.Lpost_getpc12560)&4294967295
	s_addc_u32 s15, s15, (.LBB1_3618-.Lpost_getpc12560)>>32
	s_setpc_b64 s[14:15]
.LBB1_17956:
	v_mov_b32_e32 v2, 0
	v_cmp_ne_u16_sdwa s[8:9], v7, v2 src0_sel:BYTE_0 src1_sel:DWORD
	s_andn2_b64 s[4:5], s[4:5], exec
	s_and_b64 s[8:9], s[8:9], exec
	s_or_b64 s[4:5], s[4:5], s[8:9]
	s_or_b64 exec, exec, s[6:7]
	s_and_saveexec_b64 s[6:7], s[4:5]
	s_cbranch_execz .LBB1_30481
; %bb.53795:
	s_getpc_b64 s[14:15]
.Lpost_getpc12561:
	s_add_u32 s14, s14, (.LBB1_3619-.Lpost_getpc12561)&4294967295
	s_addc_u32 s15, s15, (.LBB1_3619-.Lpost_getpc12561)>>32
	s_setpc_b64 s[14:15]
.LBB1_30481:
	s_getpc_b64 s[14:15]
.Lpost_getpc904:
	s_add_u32 s14, s14, (.LBB1_3620-.Lpost_getpc904)&4294967295
	s_addc_u32 s15, s15, (.LBB1_3620-.Lpost_getpc904)>>32
	s_setpc_b64 s[14:15]
.LBB1_17957:
	s_movk_i32 s4, 0x80
	v_cmp_eq_u16_sdwa s[12:13], v3, s4 src0_sel:BYTE_0 src1_sel:DWORD
	s_mov_b64 s[4:5], -1
                                        ; implicit-def: $sgpr10
	s_and_saveexec_b64 s[8:9], s[12:13]
; %bb.17958:
	s_mov_b32 s10, 0x7f800001
	s_xor_b64 s[4:5], exec, -1
; %bb.17959:
	s_or_b64 exec, exec, s[8:9]
	s_and_b64 s[4:5], s[4:5], exec
	s_or_saveexec_b64 s[6:7], s[6:7]
	v_mov_b32_e32 v6, s10
	s_xor_b64 exec, exec, s[6:7]
	s_cbranch_execnz .LBB1_17960
; %bb.53797:
	s_getpc_b64 s[14:15]
.Lpost_getpc12562:
	s_add_u32 s14, s14, (.LBB1_3622-.Lpost_getpc12562)&4294967295
	s_addc_u32 s15, s15, (.LBB1_3622-.Lpost_getpc12562)>>32
	s_setpc_b64 s[14:15]
.LBB1_17960:
	v_mov_b32_e32 v6, 0
	v_cmp_ne_u16_sdwa s[8:9], v3, v6 src0_sel:BYTE_0 src1_sel:DWORD
	s_andn2_b64 s[4:5], s[4:5], exec
	s_and_b64 s[8:9], s[8:9], exec
	s_or_b64 s[4:5], s[4:5], s[8:9]
	s_or_b64 exec, exec, s[6:7]
	s_and_saveexec_b64 s[6:7], s[4:5]
	s_cbranch_execz .LBB1_30483
; %bb.53799:
	s_getpc_b64 s[14:15]
.Lpost_getpc12563:
	s_add_u32 s14, s14, (.LBB1_3623-.Lpost_getpc12563)&4294967295
	s_addc_u32 s15, s15, (.LBB1_3623-.Lpost_getpc12563)>>32
	s_setpc_b64 s[14:15]
.LBB1_30483:
	s_getpc_b64 s[14:15]
.Lpost_getpc905:
	s_add_u32 s14, s14, (.LBB1_3624-.Lpost_getpc905)&4294967295
	s_addc_u32 s15, s15, (.LBB1_3624-.Lpost_getpc905)>>32
	s_setpc_b64 s[14:15]
.LBB1_17961:
	s_movk_i32 s4, 0x80
	v_cmp_eq_u16_sdwa s[12:13], v6, s4 src0_sel:BYTE_0 src1_sel:DWORD
	s_mov_b64 s[4:5], -1
                                        ; implicit-def: $sgpr10
	s_and_saveexec_b64 s[8:9], s[12:13]
; %bb.17962:
	s_mov_b32 s10, 0x7f800001
	s_xor_b64 s[4:5], exec, -1
; %bb.17963:
	s_or_b64 exec, exec, s[8:9]
	s_and_b64 s[4:5], s[4:5], exec
	s_or_saveexec_b64 s[6:7], s[6:7]
	v_mov_b32_e32 v2, s10
	s_xor_b64 exec, exec, s[6:7]
	s_cbranch_execnz .LBB1_17964
; %bb.53801:
	s_getpc_b64 s[14:15]
.Lpost_getpc12564:
	s_add_u32 s14, s14, (.LBB1_3626-.Lpost_getpc12564)&4294967295
	s_addc_u32 s15, s15, (.LBB1_3626-.Lpost_getpc12564)>>32
	s_setpc_b64 s[14:15]
.LBB1_17964:
	v_mov_b32_e32 v2, 0
	v_cmp_ne_u16_sdwa s[8:9], v6, v2 src0_sel:BYTE_0 src1_sel:DWORD
	s_andn2_b64 s[4:5], s[4:5], exec
	s_and_b64 s[8:9], s[8:9], exec
	s_or_b64 s[4:5], s[4:5], s[8:9]
	s_or_b64 exec, exec, s[6:7]
	s_and_saveexec_b64 s[6:7], s[4:5]
	s_cbranch_execz .LBB1_30485
; %bb.53803:
	s_getpc_b64 s[14:15]
.Lpost_getpc12565:
	s_add_u32 s14, s14, (.LBB1_3627-.Lpost_getpc12565)&4294967295
	s_addc_u32 s15, s15, (.LBB1_3627-.Lpost_getpc12565)>>32
	s_setpc_b64 s[14:15]
.LBB1_30485:
	s_getpc_b64 s[14:15]
.Lpost_getpc906:
	s_add_u32 s14, s14, (.LBB1_3628-.Lpost_getpc906)&4294967295
	s_addc_u32 s15, s15, (.LBB1_3628-.Lpost_getpc906)>>32
	s_setpc_b64 s[14:15]
.LBB1_17965:
	s_movk_i32 s4, 0x80
	v_cmp_eq_u16_sdwa s[12:13], v6, s4 src0_sel:BYTE_0 src1_sel:DWORD
	s_mov_b64 s[4:5], -1
                                        ; implicit-def: $sgpr10
	s_and_saveexec_b64 s[8:9], s[12:13]
; %bb.17966:
	s_mov_b32 s10, 0x7f800001
	s_xor_b64 s[4:5], exec, -1
; %bb.17967:
	s_or_b64 exec, exec, s[8:9]
	s_and_b64 s[4:5], s[4:5], exec
	s_or_saveexec_b64 s[6:7], s[6:7]
	v_mov_b32_e32 v12, s10
	s_xor_b64 exec, exec, s[6:7]
	s_cbranch_execnz .LBB1_17968
; %bb.53805:
	s_getpc_b64 s[14:15]
.Lpost_getpc12566:
	s_add_u32 s14, s14, (.LBB1_3630-.Lpost_getpc12566)&4294967295
	s_addc_u32 s15, s15, (.LBB1_3630-.Lpost_getpc12566)>>32
	s_setpc_b64 s[14:15]
.LBB1_17968:
	v_mov_b32_e32 v12, 0
	v_cmp_ne_u16_sdwa s[8:9], v6, v12 src0_sel:BYTE_0 src1_sel:DWORD
	s_andn2_b64 s[4:5], s[4:5], exec
	s_and_b64 s[8:9], s[8:9], exec
	s_or_b64 s[4:5], s[4:5], s[8:9]
	s_or_b64 exec, exec, s[6:7]
	s_and_saveexec_b64 s[6:7], s[4:5]
	s_cbranch_execz .LBB1_30487
; %bb.53807:
	s_getpc_b64 s[14:15]
.Lpost_getpc12567:
	s_add_u32 s14, s14, (.LBB1_3631-.Lpost_getpc12567)&4294967295
	s_addc_u32 s15, s15, (.LBB1_3631-.Lpost_getpc12567)>>32
	s_setpc_b64 s[14:15]
.LBB1_30487:
	s_getpc_b64 s[14:15]
.Lpost_getpc907:
	s_add_u32 s14, s14, (.LBB1_3632-.Lpost_getpc907)&4294967295
	s_addc_u32 s15, s15, (.LBB1_3632-.Lpost_getpc907)>>32
	s_setpc_b64 s[14:15]
.LBB1_17969:
	s_movk_i32 s4, 0x80
	v_cmp_eq_u16_e32 vcc, s4, v6
	s_mov_b64 s[4:5], -1
                                        ; implicit-def: $sgpr10
	s_and_saveexec_b64 s[8:9], vcc
; %bb.17970:
	s_mov_b32 s10, 0x7f800001
	s_xor_b64 s[4:5], exec, -1
; %bb.17971:
	s_or_b64 exec, exec, s[8:9]
	s_and_b64 s[4:5], s[4:5], exec
                                        ; implicit-def: $vgpr6
	s_or_saveexec_b64 s[6:7], s[6:7]
	v_mov_b32_e32 v2, s10
	s_xor_b64 exec, exec, s[6:7]
	s_cbranch_execnz .LBB1_17972
; %bb.53809:
	s_getpc_b64 s[14:15]
.Lpost_getpc12568:
	s_add_u32 s14, s14, (.LBB1_3634-.Lpost_getpc12568)&4294967295
	s_addc_u32 s15, s15, (.LBB1_3634-.Lpost_getpc12568)>>32
	s_setpc_b64 s[14:15]
.LBB1_17972:
	v_cmp_ne_u16_e32 vcc, 0, v6
	s_andn2_b64 s[4:5], s[4:5], exec
	s_and_b64 s[8:9], vcc, exec
	v_mov_b32_e32 v2, 0
	s_or_b64 s[4:5], s[4:5], s[8:9]
	s_or_b64 exec, exec, s[6:7]
	s_and_saveexec_b64 s[6:7], s[4:5]
	s_cbranch_execz .LBB1_30489
; %bb.53811:
	s_getpc_b64 s[14:15]
.Lpost_getpc12569:
	s_add_u32 s14, s14, (.LBB1_3635-.Lpost_getpc12569)&4294967295
	s_addc_u32 s15, s15, (.LBB1_3635-.Lpost_getpc12569)>>32
	s_setpc_b64 s[14:15]
.LBB1_30489:
	s_getpc_b64 s[14:15]
.Lpost_getpc908:
	s_add_u32 s14, s14, (.LBB1_3636-.Lpost_getpc908)&4294967295
	s_addc_u32 s15, s15, (.LBB1_3636-.Lpost_getpc908)>>32
	s_setpc_b64 s[14:15]
.LBB1_17973:
	s_movk_i32 s4, 0x80
	v_cmp_eq_u16_e32 vcc, s4, v6
	s_mov_b64 s[4:5], -1
                                        ; implicit-def: $sgpr10
	s_and_saveexec_b64 s[8:9], vcc
; %bb.17974:
	s_mov_b32 s10, 0x7f800001
	s_xor_b64 s[4:5], exec, -1
; %bb.17975:
	s_or_b64 exec, exec, s[8:9]
	s_and_b64 s[4:5], s[4:5], exec
                                        ; implicit-def: $vgpr6
	s_or_saveexec_b64 s[6:7], s[6:7]
	v_mov_b32_e32 v12, s10
	s_xor_b64 exec, exec, s[6:7]
	s_cbranch_execnz .LBB1_17976
; %bb.53813:
	s_getpc_b64 s[14:15]
.Lpost_getpc12570:
	s_add_u32 s14, s14, (.LBB1_3638-.Lpost_getpc12570)&4294967295
	s_addc_u32 s15, s15, (.LBB1_3638-.Lpost_getpc12570)>>32
	s_setpc_b64 s[14:15]
.LBB1_17976:
	v_cmp_ne_u16_e32 vcc, 0, v6
	s_andn2_b64 s[4:5], s[4:5], exec
	s_and_b64 s[8:9], vcc, exec
	v_mov_b32_e32 v12, 0
	s_or_b64 s[4:5], s[4:5], s[8:9]
	s_or_b64 exec, exec, s[6:7]
	s_and_saveexec_b64 s[6:7], s[4:5]
	s_cbranch_execz .LBB1_30491
; %bb.53815:
	s_getpc_b64 s[14:15]
.Lpost_getpc12571:
	s_add_u32 s14, s14, (.LBB1_3639-.Lpost_getpc12571)&4294967295
	s_addc_u32 s15, s15, (.LBB1_3639-.Lpost_getpc12571)>>32
	s_setpc_b64 s[14:15]
.LBB1_30491:
	s_getpc_b64 s[14:15]
.Lpost_getpc909:
	s_add_u32 s14, s14, (.LBB1_3640-.Lpost_getpc909)&4294967295
	s_addc_u32 s15, s15, (.LBB1_3640-.Lpost_getpc909)>>32
	s_setpc_b64 s[14:15]
.LBB1_17977:
	s_movk_i32 s4, 0x80
	v_cmp_eq_u16_sdwa s[12:13], v7, s4 src0_sel:BYTE_3 src1_sel:DWORD
	s_mov_b64 s[4:5], -1
                                        ; implicit-def: $sgpr10
	s_and_saveexec_b64 s[8:9], s[12:13]
; %bb.17978:
	s_mov_b32 s10, 0x7f800001
	s_xor_b64 s[4:5], exec, -1
; %bb.17979:
	s_or_b64 exec, exec, s[8:9]
	s_and_b64 s[4:5], s[4:5], exec
	s_or_saveexec_b64 s[6:7], s[6:7]
	v_mov_b32_e32 v2, s10
	s_xor_b64 exec, exec, s[6:7]
	s_cbranch_execnz .LBB1_17980
; %bb.53817:
	s_getpc_b64 s[14:15]
.Lpost_getpc12572:
	s_add_u32 s14, s14, (.LBB1_3642-.Lpost_getpc12572)&4294967295
	s_addc_u32 s15, s15, (.LBB1_3642-.Lpost_getpc12572)>>32
	s_setpc_b64 s[14:15]
.LBB1_17980:
	v_mov_b32_e32 v2, 0
	v_cmp_ne_u16_sdwa s[8:9], v7, v2 src0_sel:BYTE_3 src1_sel:DWORD
	s_andn2_b64 s[4:5], s[4:5], exec
	s_and_b64 s[8:9], s[8:9], exec
	s_or_b64 s[4:5], s[4:5], s[8:9]
	s_or_b64 exec, exec, s[6:7]
	s_and_saveexec_b64 s[6:7], s[4:5]
	s_cbranch_execz .LBB1_30493
; %bb.53819:
	s_getpc_b64 s[14:15]
.Lpost_getpc12573:
	s_add_u32 s14, s14, (.LBB1_3643-.Lpost_getpc12573)&4294967295
	s_addc_u32 s15, s15, (.LBB1_3643-.Lpost_getpc12573)>>32
	s_setpc_b64 s[14:15]
.LBB1_30493:
	s_getpc_b64 s[14:15]
.Lpost_getpc910:
	s_add_u32 s14, s14, (.LBB1_3644-.Lpost_getpc910)&4294967295
	s_addc_u32 s15, s15, (.LBB1_3644-.Lpost_getpc910)>>32
	s_setpc_b64 s[14:15]
.LBB1_17981:
	s_movk_i32 s4, 0x80
	v_cmp_eq_u16_sdwa s[12:13], v3, s4 src0_sel:BYTE_3 src1_sel:DWORD
	s_mov_b64 s[4:5], -1
                                        ; implicit-def: $sgpr10
	s_and_saveexec_b64 s[8:9], s[12:13]
; %bb.17982:
	s_mov_b32 s10, 0x7f800001
	s_xor_b64 s[4:5], exec, -1
; %bb.17983:
	s_or_b64 exec, exec, s[8:9]
	s_and_b64 s[4:5], s[4:5], exec
	s_or_saveexec_b64 s[6:7], s[6:7]
	v_mov_b32_e32 v6, s10
	s_xor_b64 exec, exec, s[6:7]
	s_cbranch_execnz .LBB1_17984
; %bb.53821:
	s_getpc_b64 s[14:15]
.Lpost_getpc12574:
	s_add_u32 s14, s14, (.LBB1_3646-.Lpost_getpc12574)&4294967295
	s_addc_u32 s15, s15, (.LBB1_3646-.Lpost_getpc12574)>>32
	s_setpc_b64 s[14:15]
.LBB1_17984:
	v_mov_b32_e32 v6, 0
	v_cmp_ne_u16_sdwa s[8:9], v3, v6 src0_sel:BYTE_3 src1_sel:DWORD
	s_andn2_b64 s[4:5], s[4:5], exec
	s_and_b64 s[8:9], s[8:9], exec
	s_or_b64 s[4:5], s[4:5], s[8:9]
	s_or_b64 exec, exec, s[6:7]
	s_and_saveexec_b64 s[6:7], s[4:5]
	s_cbranch_execz .LBB1_30495
; %bb.53823:
	s_getpc_b64 s[14:15]
.Lpost_getpc12575:
	s_add_u32 s14, s14, (.LBB1_3647-.Lpost_getpc12575)&4294967295
	s_addc_u32 s15, s15, (.LBB1_3647-.Lpost_getpc12575)>>32
	s_setpc_b64 s[14:15]
.LBB1_30495:
	s_getpc_b64 s[14:15]
.Lpost_getpc911:
	s_add_u32 s14, s14, (.LBB1_3648-.Lpost_getpc911)&4294967295
	s_addc_u32 s15, s15, (.LBB1_3648-.Lpost_getpc911)>>32
	s_setpc_b64 s[14:15]
.LBB1_17985:
	s_movk_i32 s4, 0x80
	v_cmp_eq_u16_sdwa s[12:13], v8, s4 src0_sel:BYTE_0 src1_sel:DWORD
	s_mov_b64 s[4:5], -1
                                        ; implicit-def: $sgpr10
	s_and_saveexec_b64 s[8:9], s[12:13]
; %bb.17986:
	s_mov_b32 s10, 0x7f800001
	s_xor_b64 s[4:5], exec, -1
; %bb.17987:
	s_or_b64 exec, exec, s[8:9]
	s_and_b64 s[4:5], s[4:5], exec
	s_or_saveexec_b64 s[6:7], s[6:7]
	v_mov_b32_e32 v2, s10
	s_xor_b64 exec, exec, s[6:7]
	s_cbranch_execnz .LBB1_17988
; %bb.53825:
	s_getpc_b64 s[14:15]
.Lpost_getpc12576:
	s_add_u32 s14, s14, (.LBB1_3650-.Lpost_getpc12576)&4294967295
	s_addc_u32 s15, s15, (.LBB1_3650-.Lpost_getpc12576)>>32
	s_setpc_b64 s[14:15]
.LBB1_17988:
	v_mov_b32_e32 v2, 0
	v_cmp_ne_u16_sdwa s[8:9], v8, v2 src0_sel:BYTE_0 src1_sel:DWORD
	s_andn2_b64 s[4:5], s[4:5], exec
	s_and_b64 s[8:9], s[8:9], exec
	s_or_b64 s[4:5], s[4:5], s[8:9]
	s_or_b64 exec, exec, s[6:7]
	s_and_saveexec_b64 s[6:7], s[4:5]
	s_cbranch_execz .LBB1_30497
; %bb.53827:
	s_getpc_b64 s[14:15]
.Lpost_getpc12577:
	s_add_u32 s14, s14, (.LBB1_3651-.Lpost_getpc12577)&4294967295
	s_addc_u32 s15, s15, (.LBB1_3651-.Lpost_getpc12577)>>32
	s_setpc_b64 s[14:15]
.LBB1_30497:
	s_getpc_b64 s[14:15]
.Lpost_getpc912:
	s_add_u32 s14, s14, (.LBB1_3652-.Lpost_getpc912)&4294967295
	s_addc_u32 s15, s15, (.LBB1_3652-.Lpost_getpc912)>>32
	s_setpc_b64 s[14:15]
.LBB1_17989:
	s_movk_i32 s4, 0x80
	v_cmp_eq_u16_sdwa s[12:13], v4, s4 src0_sel:BYTE_0 src1_sel:DWORD
	s_mov_b64 s[4:5], -1
                                        ; implicit-def: $sgpr10
	s_and_saveexec_b64 s[8:9], s[12:13]
; %bb.17990:
	s_mov_b32 s10, 0x7f800001
	s_xor_b64 s[4:5], exec, -1
; %bb.17991:
	s_or_b64 exec, exec, s[8:9]
	s_and_b64 s[4:5], s[4:5], exec
	s_or_saveexec_b64 s[6:7], s[6:7]
	v_mov_b32_e32 v3, s10
	s_xor_b64 exec, exec, s[6:7]
	s_cbranch_execnz .LBB1_17992
; %bb.53829:
	s_getpc_b64 s[14:15]
.Lpost_getpc12578:
	s_add_u32 s14, s14, (.LBB1_3654-.Lpost_getpc12578)&4294967295
	s_addc_u32 s15, s15, (.LBB1_3654-.Lpost_getpc12578)>>32
	s_setpc_b64 s[14:15]
.LBB1_17992:
	v_mov_b32_e32 v3, 0
	v_cmp_ne_u16_sdwa s[8:9], v4, v3 src0_sel:BYTE_0 src1_sel:DWORD
	s_andn2_b64 s[4:5], s[4:5], exec
	s_and_b64 s[8:9], s[8:9], exec
	s_or_b64 s[4:5], s[4:5], s[8:9]
	s_or_b64 exec, exec, s[6:7]
	s_and_saveexec_b64 s[6:7], s[4:5]
	s_cbranch_execz .LBB1_30499
; %bb.53831:
	s_getpc_b64 s[14:15]
.Lpost_getpc12579:
	s_add_u32 s14, s14, (.LBB1_3655-.Lpost_getpc12579)&4294967295
	s_addc_u32 s15, s15, (.LBB1_3655-.Lpost_getpc12579)>>32
	s_setpc_b64 s[14:15]
.LBB1_30499:
	s_getpc_b64 s[14:15]
.Lpost_getpc913:
	s_add_u32 s14, s14, (.LBB1_3656-.Lpost_getpc913)&4294967295
	s_addc_u32 s15, s15, (.LBB1_3656-.Lpost_getpc913)>>32
	s_setpc_b64 s[14:15]
.LBB1_17993:
	s_movk_i32 s4, 0x80
	v_cmp_eq_u16_sdwa s[12:13], v3, s4 src0_sel:BYTE_0 src1_sel:DWORD
	s_mov_b64 s[4:5], -1
                                        ; implicit-def: $sgpr10
	s_and_saveexec_b64 s[8:9], s[12:13]
; %bb.17994:
	s_mov_b32 s10, 0x7f800001
	s_xor_b64 s[4:5], exec, -1
; %bb.17995:
	s_or_b64 exec, exec, s[8:9]
	s_and_b64 s[4:5], s[4:5], exec
	s_or_saveexec_b64 s[6:7], s[6:7]
	v_mov_b32_e32 v2, s10
	s_xor_b64 exec, exec, s[6:7]
	s_cbranch_execnz .LBB1_17996
; %bb.53833:
	s_getpc_b64 s[14:15]
.Lpost_getpc12580:
	s_add_u32 s14, s14, (.LBB1_3658-.Lpost_getpc12580)&4294967295
	s_addc_u32 s15, s15, (.LBB1_3658-.Lpost_getpc12580)>>32
	s_setpc_b64 s[14:15]
.LBB1_17996:
	v_mov_b32_e32 v2, 0
	v_cmp_ne_u16_sdwa s[8:9], v3, v2 src0_sel:BYTE_0 src1_sel:DWORD
	s_andn2_b64 s[4:5], s[4:5], exec
	s_and_b64 s[8:9], s[8:9], exec
	s_or_b64 s[4:5], s[4:5], s[8:9]
	s_or_b64 exec, exec, s[6:7]
	s_and_saveexec_b64 s[6:7], s[4:5]
	s_cbranch_execz .LBB1_30501
; %bb.53835:
	s_getpc_b64 s[14:15]
.Lpost_getpc12581:
	s_add_u32 s14, s14, (.LBB1_3659-.Lpost_getpc12581)&4294967295
	s_addc_u32 s15, s15, (.LBB1_3659-.Lpost_getpc12581)>>32
	s_setpc_b64 s[14:15]
.LBB1_30501:
	s_getpc_b64 s[14:15]
.Lpost_getpc914:
	s_add_u32 s14, s14, (.LBB1_3660-.Lpost_getpc914)&4294967295
	s_addc_u32 s15, s15, (.LBB1_3660-.Lpost_getpc914)>>32
	s_setpc_b64 s[14:15]
.LBB1_17997:
	s_movk_i32 s4, 0x80
	v_cmp_eq_u16_sdwa s[12:13], v3, s4 src0_sel:BYTE_0 src1_sel:DWORD
	s_mov_b64 s[4:5], -1
                                        ; implicit-def: $sgpr10
	s_and_saveexec_b64 s[8:9], s[12:13]
; %bb.17998:
	s_mov_b32 s10, 0x7f800001
	s_xor_b64 s[4:5], exec, -1
; %bb.17999:
	s_or_b64 exec, exec, s[8:9]
	s_and_b64 s[4:5], s[4:5], exec
	s_or_saveexec_b64 s[6:7], s[6:7]
	v_mov_b32_e32 v6, s10
	s_xor_b64 exec, exec, s[6:7]
	s_cbranch_execnz .LBB1_18000
; %bb.53837:
	s_getpc_b64 s[14:15]
.Lpost_getpc12582:
	s_add_u32 s14, s14, (.LBB1_3662-.Lpost_getpc12582)&4294967295
	s_addc_u32 s15, s15, (.LBB1_3662-.Lpost_getpc12582)>>32
	s_setpc_b64 s[14:15]
.LBB1_18000:
	v_mov_b32_e32 v6, 0
	v_cmp_ne_u16_sdwa s[8:9], v3, v6 src0_sel:BYTE_0 src1_sel:DWORD
	s_andn2_b64 s[4:5], s[4:5], exec
	s_and_b64 s[8:9], s[8:9], exec
	s_or_b64 s[4:5], s[4:5], s[8:9]
	s_or_b64 exec, exec, s[6:7]
	s_and_saveexec_b64 s[6:7], s[4:5]
	s_cbranch_execz .LBB1_30503
; %bb.53839:
	s_getpc_b64 s[14:15]
.Lpost_getpc12583:
	s_add_u32 s14, s14, (.LBB1_3663-.Lpost_getpc12583)&4294967295
	s_addc_u32 s15, s15, (.LBB1_3663-.Lpost_getpc12583)>>32
	s_setpc_b64 s[14:15]
.LBB1_30503:
	s_getpc_b64 s[14:15]
.Lpost_getpc915:
	s_add_u32 s14, s14, (.LBB1_3664-.Lpost_getpc915)&4294967295
	s_addc_u32 s15, s15, (.LBB1_3664-.Lpost_getpc915)>>32
	s_setpc_b64 s[14:15]
.LBB1_18001:
	s_movk_i32 s4, 0x80
	v_cmp_eq_u16_e32 vcc, s4, v3
	s_mov_b64 s[4:5], -1
                                        ; implicit-def: $sgpr10
	s_and_saveexec_b64 s[8:9], vcc
; %bb.18002:
	s_mov_b32 s10, 0x7f800001
	s_xor_b64 s[4:5], exec, -1
; %bb.18003:
	s_or_b64 exec, exec, s[8:9]
	s_and_b64 s[4:5], s[4:5], exec
                                        ; implicit-def: $vgpr3
	s_or_saveexec_b64 s[6:7], s[6:7]
	v_mov_b32_e32 v2, s10
	s_xor_b64 exec, exec, s[6:7]
	s_cbranch_execnz .LBB1_18004
; %bb.53841:
	s_getpc_b64 s[14:15]
.Lpost_getpc12584:
	s_add_u32 s14, s14, (.LBB1_3666-.Lpost_getpc12584)&4294967295
	s_addc_u32 s15, s15, (.LBB1_3666-.Lpost_getpc12584)>>32
	s_setpc_b64 s[14:15]
.LBB1_18004:
	v_cmp_ne_u16_e32 vcc, 0, v3
	s_andn2_b64 s[4:5], s[4:5], exec
	s_and_b64 s[8:9], vcc, exec
	v_mov_b32_e32 v2, 0
	s_or_b64 s[4:5], s[4:5], s[8:9]
	s_or_b64 exec, exec, s[6:7]
	s_and_saveexec_b64 s[6:7], s[4:5]
	s_cbranch_execz .LBB1_30505
; %bb.53843:
	s_getpc_b64 s[14:15]
.Lpost_getpc12585:
	s_add_u32 s14, s14, (.LBB1_3667-.Lpost_getpc12585)&4294967295
	s_addc_u32 s15, s15, (.LBB1_3667-.Lpost_getpc12585)>>32
	s_setpc_b64 s[14:15]
.LBB1_30505:
	s_getpc_b64 s[14:15]
.Lpost_getpc916:
	s_add_u32 s14, s14, (.LBB1_3668-.Lpost_getpc916)&4294967295
	s_addc_u32 s15, s15, (.LBB1_3668-.Lpost_getpc916)>>32
	s_setpc_b64 s[14:15]
.LBB1_18005:
	s_movk_i32 s4, 0x80
	v_cmp_eq_u16_e32 vcc, s4, v3
	s_mov_b64 s[4:5], -1
                                        ; implicit-def: $sgpr10
	s_and_saveexec_b64 s[8:9], vcc
; %bb.18006:
	s_mov_b32 s10, 0x7f800001
	s_xor_b64 s[4:5], exec, -1
; %bb.18007:
	s_or_b64 exec, exec, s[8:9]
	s_and_b64 s[4:5], s[4:5], exec
                                        ; implicit-def: $vgpr3
	s_or_saveexec_b64 s[6:7], s[6:7]
	v_mov_b32_e32 v6, s10
	s_xor_b64 exec, exec, s[6:7]
	s_cbranch_execnz .LBB1_18008
; %bb.53845:
	s_getpc_b64 s[14:15]
.Lpost_getpc12586:
	s_add_u32 s14, s14, (.LBB1_3670-.Lpost_getpc12586)&4294967295
	s_addc_u32 s15, s15, (.LBB1_3670-.Lpost_getpc12586)>>32
	s_setpc_b64 s[14:15]
.LBB1_18008:
	v_cmp_ne_u16_e32 vcc, 0, v3
	s_andn2_b64 s[4:5], s[4:5], exec
	s_and_b64 s[8:9], vcc, exec
	v_mov_b32_e32 v6, 0
	s_or_b64 s[4:5], s[4:5], s[8:9]
	s_or_b64 exec, exec, s[6:7]
	s_and_saveexec_b64 s[6:7], s[4:5]
	s_cbranch_execz .LBB1_30507
; %bb.53847:
	s_getpc_b64 s[14:15]
.Lpost_getpc12587:
	s_add_u32 s14, s14, (.LBB1_3671-.Lpost_getpc12587)&4294967295
	s_addc_u32 s15, s15, (.LBB1_3671-.Lpost_getpc12587)>>32
	s_setpc_b64 s[14:15]
.LBB1_30507:
	s_getpc_b64 s[14:15]
.Lpost_getpc917:
	s_add_u32 s14, s14, (.LBB1_3672-.Lpost_getpc917)&4294967295
	s_addc_u32 s15, s15, (.LBB1_3672-.Lpost_getpc917)>>32
	s_setpc_b64 s[14:15]
.LBB1_18009:
	s_movk_i32 s4, 0x80
	v_cmp_eq_u16_sdwa s[12:13], v8, s4 src0_sel:BYTE_3 src1_sel:DWORD
	s_mov_b64 s[4:5], -1
                                        ; implicit-def: $sgpr10
	s_and_saveexec_b64 s[8:9], s[12:13]
; %bb.18010:
	s_mov_b32 s10, 0x7f800001
	s_xor_b64 s[4:5], exec, -1
; %bb.18011:
	s_or_b64 exec, exec, s[8:9]
	s_and_b64 s[4:5], s[4:5], exec
	s_or_saveexec_b64 s[6:7], s[6:7]
	v_mov_b32_e32 v2, s10
	s_xor_b64 exec, exec, s[6:7]
	s_cbranch_execnz .LBB1_18012
; %bb.53849:
	s_getpc_b64 s[14:15]
.Lpost_getpc12588:
	s_add_u32 s14, s14, (.LBB1_3674-.Lpost_getpc12588)&4294967295
	s_addc_u32 s15, s15, (.LBB1_3674-.Lpost_getpc12588)>>32
	s_setpc_b64 s[14:15]
.LBB1_18012:
	v_mov_b32_e32 v2, 0
	v_cmp_ne_u16_sdwa s[8:9], v8, v2 src0_sel:BYTE_3 src1_sel:DWORD
	s_andn2_b64 s[4:5], s[4:5], exec
	s_and_b64 s[8:9], s[8:9], exec
	s_or_b64 s[4:5], s[4:5], s[8:9]
	s_or_b64 exec, exec, s[6:7]
	s_and_saveexec_b64 s[6:7], s[4:5]
	s_cbranch_execz .LBB1_30509
; %bb.53851:
	s_getpc_b64 s[14:15]
.Lpost_getpc12589:
	s_add_u32 s14, s14, (.LBB1_3675-.Lpost_getpc12589)&4294967295
	s_addc_u32 s15, s15, (.LBB1_3675-.Lpost_getpc12589)>>32
	s_setpc_b64 s[14:15]
.LBB1_30509:
	s_getpc_b64 s[14:15]
.Lpost_getpc918:
	s_add_u32 s14, s14, (.LBB1_3676-.Lpost_getpc918)&4294967295
	s_addc_u32 s15, s15, (.LBB1_3676-.Lpost_getpc918)>>32
	s_setpc_b64 s[14:15]
.LBB1_18013:
	s_movk_i32 s4, 0x80
	v_cmp_eq_u16_sdwa s[12:13], v4, s4 src0_sel:BYTE_3 src1_sel:DWORD
	s_mov_b64 s[4:5], -1
                                        ; implicit-def: $sgpr10
	s_and_saveexec_b64 s[8:9], s[12:13]
; %bb.18014:
	s_mov_b32 s10, 0x7f800001
	s_xor_b64 s[4:5], exec, -1
; %bb.18015:
	s_or_b64 exec, exec, s[8:9]
	s_and_b64 s[4:5], s[4:5], exec
	s_or_saveexec_b64 s[6:7], s[6:7]
	v_mov_b32_e32 v3, s10
	s_xor_b64 exec, exec, s[6:7]
	s_cbranch_execnz .LBB1_18016
; %bb.53853:
	s_getpc_b64 s[14:15]
.Lpost_getpc12590:
	s_add_u32 s14, s14, (.LBB1_3678-.Lpost_getpc12590)&4294967295
	s_addc_u32 s15, s15, (.LBB1_3678-.Lpost_getpc12590)>>32
	s_setpc_b64 s[14:15]
.LBB1_18016:
	v_mov_b32_e32 v3, 0
	v_cmp_ne_u16_sdwa s[8:9], v4, v3 src0_sel:BYTE_3 src1_sel:DWORD
	s_andn2_b64 s[4:5], s[4:5], exec
	s_and_b64 s[8:9], s[8:9], exec
	s_or_b64 s[4:5], s[4:5], s[8:9]
	s_or_b64 exec, exec, s[6:7]
	s_and_saveexec_b64 s[6:7], s[4:5]
	s_cbranch_execz .LBB1_30511
; %bb.53855:
	s_getpc_b64 s[14:15]
.Lpost_getpc12591:
	s_add_u32 s14, s14, (.LBB1_3679-.Lpost_getpc12591)&4294967295
	s_addc_u32 s15, s15, (.LBB1_3679-.Lpost_getpc12591)>>32
	s_setpc_b64 s[14:15]
.LBB1_30511:
	s_getpc_b64 s[14:15]
.Lpost_getpc919:
	s_add_u32 s14, s14, (.LBB1_3680-.Lpost_getpc919)&4294967295
	s_addc_u32 s15, s15, (.LBB1_3680-.Lpost_getpc919)>>32
	s_setpc_b64 s[14:15]
.LBB1_18017:
	s_movk_i32 s4, 0x80
	v_cmp_eq_u16_sdwa s[12:13], v9, s4 src0_sel:BYTE_0 src1_sel:DWORD
	s_mov_b64 s[4:5], -1
                                        ; implicit-def: $sgpr10
	s_and_saveexec_b64 s[8:9], s[12:13]
; %bb.18018:
	s_mov_b32 s10, 0x7f800001
	s_xor_b64 s[4:5], exec, -1
; %bb.18019:
	s_or_b64 exec, exec, s[8:9]
	s_and_b64 s[4:5], s[4:5], exec
	s_or_saveexec_b64 s[6:7], s[6:7]
	v_mov_b32_e32 v2, s10
	s_xor_b64 exec, exec, s[6:7]
	s_cbranch_execnz .LBB1_18020
; %bb.53857:
	s_getpc_b64 s[14:15]
.Lpost_getpc12592:
	s_add_u32 s14, s14, (.LBB1_3682-.Lpost_getpc12592)&4294967295
	s_addc_u32 s15, s15, (.LBB1_3682-.Lpost_getpc12592)>>32
	s_setpc_b64 s[14:15]
.LBB1_18020:
	v_mov_b32_e32 v2, 0
	v_cmp_ne_u16_sdwa s[8:9], v9, v2 src0_sel:BYTE_0 src1_sel:DWORD
	s_andn2_b64 s[4:5], s[4:5], exec
	s_and_b64 s[8:9], s[8:9], exec
	s_or_b64 s[4:5], s[4:5], s[8:9]
	s_or_b64 exec, exec, s[6:7]
	s_and_saveexec_b64 s[6:7], s[4:5]
	s_cbranch_execz .LBB1_30513
; %bb.53859:
	s_getpc_b64 s[14:15]
.Lpost_getpc12593:
	s_add_u32 s14, s14, (.LBB1_3683-.Lpost_getpc12593)&4294967295
	s_addc_u32 s15, s15, (.LBB1_3683-.Lpost_getpc12593)>>32
	s_setpc_b64 s[14:15]
.LBB1_30513:
	s_getpc_b64 s[14:15]
.Lpost_getpc920:
	s_add_u32 s14, s14, (.LBB1_3684-.Lpost_getpc920)&4294967295
	s_addc_u32 s15, s15, (.LBB1_3684-.Lpost_getpc920)>>32
	s_setpc_b64 s[14:15]
.LBB1_18021:
	s_movk_i32 s4, 0x80
	v_cmp_eq_u16_sdwa s[12:13], v5, s4 src0_sel:BYTE_0 src1_sel:DWORD
	s_mov_b64 s[4:5], -1
                                        ; implicit-def: $sgpr10
	s_and_saveexec_b64 s[8:9], s[12:13]
; %bb.18022:
	s_mov_b32 s10, 0x7f800001
	s_xor_b64 s[4:5], exec, -1
; %bb.18023:
	s_or_b64 exec, exec, s[8:9]
	s_and_b64 s[4:5], s[4:5], exec
	s_or_saveexec_b64 s[6:7], s[6:7]
	v_mov_b32_e32 v3, s10
	s_xor_b64 exec, exec, s[6:7]
	s_cbranch_execnz .LBB1_18024
; %bb.53861:
	s_getpc_b64 s[14:15]
.Lpost_getpc12594:
	s_add_u32 s14, s14, (.LBB1_3686-.Lpost_getpc12594)&4294967295
	s_addc_u32 s15, s15, (.LBB1_3686-.Lpost_getpc12594)>>32
	s_setpc_b64 s[14:15]
.LBB1_18024:
	v_mov_b32_e32 v3, 0
	v_cmp_ne_u16_sdwa s[8:9], v5, v3 src0_sel:BYTE_0 src1_sel:DWORD
	s_andn2_b64 s[4:5], s[4:5], exec
	s_and_b64 s[8:9], s[8:9], exec
	s_or_b64 s[4:5], s[4:5], s[8:9]
	s_or_b64 exec, exec, s[6:7]
	s_and_saveexec_b64 s[6:7], s[4:5]
	s_cbranch_execz .LBB1_30515
; %bb.53863:
	s_getpc_b64 s[14:15]
.Lpost_getpc12595:
	s_add_u32 s14, s14, (.LBB1_3687-.Lpost_getpc12595)&4294967295
	s_addc_u32 s15, s15, (.LBB1_3687-.Lpost_getpc12595)>>32
	s_setpc_b64 s[14:15]
.LBB1_30515:
	s_getpc_b64 s[14:15]
.Lpost_getpc921:
	s_add_u32 s14, s14, (.LBB1_3688-.Lpost_getpc921)&4294967295
	s_addc_u32 s15, s15, (.LBB1_3688-.Lpost_getpc921)>>32
	s_setpc_b64 s[14:15]
.LBB1_18025:
	s_movk_i32 s4, 0x80
	v_cmp_eq_u16_sdwa s[12:13], v3, s4 src0_sel:BYTE_0 src1_sel:DWORD
	s_mov_b64 s[4:5], -1
                                        ; implicit-def: $sgpr10
	s_and_saveexec_b64 s[8:9], s[12:13]
; %bb.18026:
	s_mov_b32 s10, 0x7f800001
	s_xor_b64 s[4:5], exec, -1
; %bb.18027:
	s_or_b64 exec, exec, s[8:9]
	s_and_b64 s[4:5], s[4:5], exec
	s_or_saveexec_b64 s[6:7], s[6:7]
	v_mov_b32_e32 v2, s10
	s_xor_b64 exec, exec, s[6:7]
	s_cbranch_execnz .LBB1_18028
; %bb.53865:
	s_getpc_b64 s[14:15]
.Lpost_getpc12596:
	s_add_u32 s14, s14, (.LBB1_3690-.Lpost_getpc12596)&4294967295
	s_addc_u32 s15, s15, (.LBB1_3690-.Lpost_getpc12596)>>32
	s_setpc_b64 s[14:15]
.LBB1_18028:
	v_mov_b32_e32 v2, 0
	v_cmp_ne_u16_sdwa s[8:9], v3, v2 src0_sel:BYTE_0 src1_sel:DWORD
	s_andn2_b64 s[4:5], s[4:5], exec
	s_and_b64 s[8:9], s[8:9], exec
	s_or_b64 s[4:5], s[4:5], s[8:9]
	s_or_b64 exec, exec, s[6:7]
	s_and_saveexec_b64 s[6:7], s[4:5]
	s_cbranch_execz .LBB1_30517
; %bb.53867:
	s_getpc_b64 s[14:15]
.Lpost_getpc12597:
	s_add_u32 s14, s14, (.LBB1_3691-.Lpost_getpc12597)&4294967295
	s_addc_u32 s15, s15, (.LBB1_3691-.Lpost_getpc12597)>>32
	s_setpc_b64 s[14:15]
.LBB1_30517:
	s_getpc_b64 s[14:15]
.Lpost_getpc922:
	s_add_u32 s14, s14, (.LBB1_3692-.Lpost_getpc922)&4294967295
	s_addc_u32 s15, s15, (.LBB1_3692-.Lpost_getpc922)>>32
	s_setpc_b64 s[14:15]
.LBB1_18029:
	s_movk_i32 s4, 0x80
	v_cmp_eq_u16_sdwa s[12:13], v3, s4 src0_sel:BYTE_0 src1_sel:DWORD
	s_mov_b64 s[4:5], -1
                                        ; implicit-def: $sgpr10
	s_and_saveexec_b64 s[8:9], s[12:13]
; %bb.18030:
	s_mov_b32 s10, 0x7f800001
	s_xor_b64 s[4:5], exec, -1
; %bb.18031:
	s_or_b64 exec, exec, s[8:9]
	s_and_b64 s[4:5], s[4:5], exec
	s_or_saveexec_b64 s[6:7], s[6:7]
	v_mov_b32_e32 v4, s10
	s_xor_b64 exec, exec, s[6:7]
	s_cbranch_execnz .LBB1_18032
; %bb.53869:
	s_getpc_b64 s[14:15]
.Lpost_getpc12598:
	s_add_u32 s14, s14, (.LBB1_3694-.Lpost_getpc12598)&4294967295
	s_addc_u32 s15, s15, (.LBB1_3694-.Lpost_getpc12598)>>32
	s_setpc_b64 s[14:15]
.LBB1_18032:
	v_mov_b32_e32 v4, 0
	v_cmp_ne_u16_sdwa s[8:9], v3, v4 src0_sel:BYTE_0 src1_sel:DWORD
	s_andn2_b64 s[4:5], s[4:5], exec
	s_and_b64 s[8:9], s[8:9], exec
	s_or_b64 s[4:5], s[4:5], s[8:9]
	s_or_b64 exec, exec, s[6:7]
	s_and_saveexec_b64 s[6:7], s[4:5]
	s_cbranch_execz .LBB1_30519
; %bb.53871:
	s_getpc_b64 s[14:15]
.Lpost_getpc12599:
	s_add_u32 s14, s14, (.LBB1_3695-.Lpost_getpc12599)&4294967295
	s_addc_u32 s15, s15, (.LBB1_3695-.Lpost_getpc12599)>>32
	s_setpc_b64 s[14:15]
.LBB1_30519:
	s_getpc_b64 s[14:15]
.Lpost_getpc923:
	s_add_u32 s14, s14, (.LBB1_3696-.Lpost_getpc923)&4294967295
	s_addc_u32 s15, s15, (.LBB1_3696-.Lpost_getpc923)>>32
	s_setpc_b64 s[14:15]
.LBB1_18033:
	s_movk_i32 s4, 0x80
	v_cmp_eq_u16_e32 vcc, s4, v3
	s_mov_b64 s[4:5], -1
                                        ; implicit-def: $sgpr10
	s_and_saveexec_b64 s[8:9], vcc
; %bb.18034:
	s_mov_b32 s10, 0x7f800001
	s_xor_b64 s[4:5], exec, -1
; %bb.18035:
	s_or_b64 exec, exec, s[8:9]
	s_and_b64 s[4:5], s[4:5], exec
                                        ; implicit-def: $vgpr3
	s_or_saveexec_b64 s[6:7], s[6:7]
	v_mov_b32_e32 v2, s10
	s_xor_b64 exec, exec, s[6:7]
	s_cbranch_execnz .LBB1_18036
; %bb.53873:
	s_getpc_b64 s[14:15]
.Lpost_getpc12600:
	s_add_u32 s14, s14, (.LBB1_3698-.Lpost_getpc12600)&4294967295
	s_addc_u32 s15, s15, (.LBB1_3698-.Lpost_getpc12600)>>32
	s_setpc_b64 s[14:15]
.LBB1_18036:
	v_cmp_ne_u16_e32 vcc, 0, v3
	s_andn2_b64 s[4:5], s[4:5], exec
	s_and_b64 s[8:9], vcc, exec
	v_mov_b32_e32 v2, 0
	s_or_b64 s[4:5], s[4:5], s[8:9]
	s_or_b64 exec, exec, s[6:7]
	s_and_saveexec_b64 s[6:7], s[4:5]
	s_cbranch_execz .LBB1_30521
; %bb.53875:
	s_getpc_b64 s[14:15]
.Lpost_getpc12601:
	s_add_u32 s14, s14, (.LBB1_3699-.Lpost_getpc12601)&4294967295
	s_addc_u32 s15, s15, (.LBB1_3699-.Lpost_getpc12601)>>32
	s_setpc_b64 s[14:15]
.LBB1_30521:
	s_getpc_b64 s[14:15]
.Lpost_getpc924:
	s_add_u32 s14, s14, (.LBB1_3700-.Lpost_getpc924)&4294967295
	s_addc_u32 s15, s15, (.LBB1_3700-.Lpost_getpc924)>>32
	s_setpc_b64 s[14:15]
.LBB1_18037:
	s_movk_i32 s4, 0x80
	v_cmp_eq_u16_e32 vcc, s4, v3
	s_mov_b64 s[4:5], -1
                                        ; implicit-def: $sgpr10
	s_and_saveexec_b64 s[8:9], vcc
; %bb.18038:
	s_mov_b32 s10, 0x7f800001
	s_xor_b64 s[4:5], exec, -1
; %bb.18039:
	s_or_b64 exec, exec, s[8:9]
	s_and_b64 s[4:5], s[4:5], exec
                                        ; implicit-def: $vgpr3
	s_or_saveexec_b64 s[6:7], s[6:7]
	v_mov_b32_e32 v4, s10
	s_xor_b64 exec, exec, s[6:7]
	s_cbranch_execnz .LBB1_18040
; %bb.53877:
	s_getpc_b64 s[14:15]
.Lpost_getpc12602:
	s_add_u32 s14, s14, (.LBB1_3702-.Lpost_getpc12602)&4294967295
	s_addc_u32 s15, s15, (.LBB1_3702-.Lpost_getpc12602)>>32
	s_setpc_b64 s[14:15]
.LBB1_18040:
	v_cmp_ne_u16_e32 vcc, 0, v3
	s_andn2_b64 s[4:5], s[4:5], exec
	s_and_b64 s[8:9], vcc, exec
	v_mov_b32_e32 v4, 0
	s_or_b64 s[4:5], s[4:5], s[8:9]
	s_or_b64 exec, exec, s[6:7]
	s_and_saveexec_b64 s[6:7], s[4:5]
	s_cbranch_execz .LBB1_30523
; %bb.53879:
	s_getpc_b64 s[14:15]
.Lpost_getpc12603:
	s_add_u32 s14, s14, (.LBB1_3703-.Lpost_getpc12603)&4294967295
	s_addc_u32 s15, s15, (.LBB1_3703-.Lpost_getpc12603)>>32
	s_setpc_b64 s[14:15]
.LBB1_30523:
	s_getpc_b64 s[14:15]
.Lpost_getpc925:
	s_add_u32 s14, s14, (.LBB1_3704-.Lpost_getpc925)&4294967295
	s_addc_u32 s15, s15, (.LBB1_3704-.Lpost_getpc925)>>32
	s_setpc_b64 s[14:15]
.LBB1_18041:
	s_movk_i32 s4, 0x80
	v_cmp_eq_u16_sdwa s[12:13], v9, s4 src0_sel:BYTE_3 src1_sel:DWORD
	s_mov_b64 s[4:5], -1
                                        ; implicit-def: $sgpr10
	s_and_saveexec_b64 s[8:9], s[12:13]
; %bb.18042:
	s_mov_b32 s10, 0x7f800001
	s_xor_b64 s[4:5], exec, -1
; %bb.18043:
	s_or_b64 exec, exec, s[8:9]
	s_and_b64 s[4:5], s[4:5], exec
	s_or_saveexec_b64 s[6:7], s[6:7]
	v_mov_b32_e32 v2, s10
	s_xor_b64 exec, exec, s[6:7]
	s_cbranch_execnz .LBB1_18044
; %bb.53881:
	s_getpc_b64 s[14:15]
.Lpost_getpc12604:
	s_add_u32 s14, s14, (.LBB1_3706-.Lpost_getpc12604)&4294967295
	s_addc_u32 s15, s15, (.LBB1_3706-.Lpost_getpc12604)>>32
	s_setpc_b64 s[14:15]
.LBB1_18044:
	v_mov_b32_e32 v2, 0
	v_cmp_ne_u16_sdwa s[8:9], v9, v2 src0_sel:BYTE_3 src1_sel:DWORD
	s_andn2_b64 s[4:5], s[4:5], exec
	s_and_b64 s[8:9], s[8:9], exec
	s_or_b64 s[4:5], s[4:5], s[8:9]
	s_or_b64 exec, exec, s[6:7]
	s_and_saveexec_b64 s[6:7], s[4:5]
	s_cbranch_execz .LBB1_30525
; %bb.53883:
	s_getpc_b64 s[14:15]
.Lpost_getpc12605:
	s_add_u32 s14, s14, (.LBB1_3707-.Lpost_getpc12605)&4294967295
	s_addc_u32 s15, s15, (.LBB1_3707-.Lpost_getpc12605)>>32
	s_setpc_b64 s[14:15]
.LBB1_30525:
	s_getpc_b64 s[14:15]
.Lpost_getpc926:
	s_add_u32 s14, s14, (.LBB1_3708-.Lpost_getpc926)&4294967295
	s_addc_u32 s15, s15, (.LBB1_3708-.Lpost_getpc926)>>32
	s_setpc_b64 s[14:15]
.LBB1_18045:
	s_movk_i32 s4, 0x80
	v_cmp_eq_u16_sdwa s[12:13], v5, s4 src0_sel:BYTE_3 src1_sel:DWORD
	s_mov_b64 s[4:5], -1
                                        ; implicit-def: $sgpr10
	s_and_saveexec_b64 s[8:9], s[12:13]
; %bb.18046:
	s_mov_b32 s10, 0x7f800001
	s_xor_b64 s[4:5], exec, -1
; %bb.18047:
	s_or_b64 exec, exec, s[8:9]
	s_and_b64 s[4:5], s[4:5], exec
	s_or_saveexec_b64 s[6:7], s[6:7]
	v_mov_b32_e32 v3, s10
	s_xor_b64 exec, exec, s[6:7]
	s_cbranch_execnz .LBB1_18048
; %bb.53885:
	s_getpc_b64 s[14:15]
.Lpost_getpc12606:
	s_add_u32 s14, s14, (.LBB1_3710-.Lpost_getpc12606)&4294967295
	s_addc_u32 s15, s15, (.LBB1_3710-.Lpost_getpc12606)>>32
	s_setpc_b64 s[14:15]
.LBB1_18048:
	v_mov_b32_e32 v3, 0
	v_cmp_ne_u16_sdwa s[8:9], v5, v3 src0_sel:BYTE_3 src1_sel:DWORD
	s_andn2_b64 s[4:5], s[4:5], exec
	s_and_b64 s[8:9], s[8:9], exec
	s_or_b64 s[4:5], s[4:5], s[8:9]
	s_or_b64 exec, exec, s[6:7]
	s_and_saveexec_b64 s[6:7], s[4:5]
	s_cbranch_execz .LBB1_30527
; %bb.53887:
	s_getpc_b64 s[14:15]
.Lpost_getpc12607:
	s_add_u32 s14, s14, (.LBB1_3711-.Lpost_getpc12607)&4294967295
	s_addc_u32 s15, s15, (.LBB1_3711-.Lpost_getpc12607)>>32
	s_setpc_b64 s[14:15]
.LBB1_30527:
	s_getpc_b64 s[14:15]
.Lpost_getpc927:
	s_add_u32 s14, s14, (.LBB1_3712-.Lpost_getpc927)&4294967295
	s_addc_u32 s15, s15, (.LBB1_3712-.Lpost_getpc927)>>32
	s_setpc_b64 s[14:15]
.LBB1_18049:
	s_movk_i32 s4, 0x80
	v_cmp_eq_u16_sdwa s[12:13], v6, s4 src0_sel:BYTE_0 src1_sel:DWORD
	s_mov_b64 s[4:5], -1
                                        ; implicit-def: $sgpr10
	s_and_saveexec_b64 s[8:9], s[12:13]
; %bb.18050:
	s_mov_b32 s10, 0x7f800001
	s_xor_b64 s[4:5], exec, -1
; %bb.18051:
	s_or_b64 exec, exec, s[8:9]
	s_and_b64 s[4:5], s[4:5], exec
	s_or_saveexec_b64 s[6:7], s[6:7]
	v_mov_b32_e32 v12, s10
	s_xor_b64 exec, exec, s[6:7]
	s_cbranch_execnz .LBB1_18052
; %bb.53889:
	s_getpc_b64 s[14:15]
.Lpost_getpc12608:
	s_add_u32 s14, s14, (.LBB1_3714-.Lpost_getpc12608)&4294967295
	s_addc_u32 s15, s15, (.LBB1_3714-.Lpost_getpc12608)>>32
	s_setpc_b64 s[14:15]
.LBB1_18052:
	v_mov_b32_e32 v12, 0
	v_cmp_ne_u16_sdwa s[8:9], v6, v12 src0_sel:BYTE_0 src1_sel:DWORD
	s_andn2_b64 s[4:5], s[4:5], exec
	s_and_b64 s[8:9], s[8:9], exec
	s_or_b64 s[4:5], s[4:5], s[8:9]
	s_or_b64 exec, exec, s[6:7]
	s_and_saveexec_b64 s[6:7], s[4:5]
	s_cbranch_execz .LBB1_30529
; %bb.53891:
	s_getpc_b64 s[14:15]
.Lpost_getpc12609:
	s_add_u32 s14, s14, (.LBB1_3715-.Lpost_getpc12609)&4294967295
	s_addc_u32 s15, s15, (.LBB1_3715-.Lpost_getpc12609)>>32
	s_setpc_b64 s[14:15]
.LBB1_30529:
	s_getpc_b64 s[14:15]
.Lpost_getpc928:
	s_add_u32 s14, s14, (.LBB1_3716-.Lpost_getpc928)&4294967295
	s_addc_u32 s15, s15, (.LBB1_3716-.Lpost_getpc928)>>32
	s_setpc_b64 s[14:15]
.LBB1_18053:
	s_movk_i32 s4, 0x80
	v_cmp_eq_u16_sdwa s[12:13], v2, s4 src0_sel:BYTE_0 src1_sel:DWORD
	s_mov_b64 s[4:5], -1
                                        ; implicit-def: $sgpr10
	s_and_saveexec_b64 s[8:9], s[12:13]
; %bb.18054:
	s_mov_b32 s10, 0x7f800001
	s_xor_b64 s[4:5], exec, -1
; %bb.18055:
	s_or_b64 exec, exec, s[8:9]
	s_and_b64 s[4:5], s[4:5], exec
	s_or_saveexec_b64 s[6:7], s[6:7]
	v_mov_b32_e32 v13, s10
	s_xor_b64 exec, exec, s[6:7]
	s_cbranch_execnz .LBB1_18056
; %bb.53893:
	s_getpc_b64 s[14:15]
.Lpost_getpc12610:
	s_add_u32 s14, s14, (.LBB1_3718-.Lpost_getpc12610)&4294967295
	s_addc_u32 s15, s15, (.LBB1_3718-.Lpost_getpc12610)>>32
	s_setpc_b64 s[14:15]
.LBB1_18056:
	v_mov_b32_e32 v13, 0
	v_cmp_ne_u16_sdwa s[8:9], v2, v13 src0_sel:BYTE_0 src1_sel:DWORD
	s_andn2_b64 s[4:5], s[4:5], exec
	s_and_b64 s[8:9], s[8:9], exec
	s_or_b64 s[4:5], s[4:5], s[8:9]
	s_or_b64 exec, exec, s[6:7]
	s_and_saveexec_b64 s[6:7], s[4:5]
	s_cbranch_execz .LBB1_30531
; %bb.53895:
	s_getpc_b64 s[14:15]
.Lpost_getpc12611:
	s_add_u32 s14, s14, (.LBB1_3719-.Lpost_getpc12611)&4294967295
	s_addc_u32 s15, s15, (.LBB1_3719-.Lpost_getpc12611)>>32
	s_setpc_b64 s[14:15]
.LBB1_30531:
	s_getpc_b64 s[14:15]
.Lpost_getpc929:
	s_add_u32 s14, s14, (.LBB1_3720-.Lpost_getpc929)&4294967295
	s_addc_u32 s15, s15, (.LBB1_3720-.Lpost_getpc929)>>32
	s_setpc_b64 s[14:15]
.LBB1_18057:
	s_movk_i32 s4, 0x80
	v_cmp_eq_u16_sdwa s[12:13], v13, s4 src0_sel:BYTE_0 src1_sel:DWORD
	s_mov_b64 s[4:5], -1
                                        ; implicit-def: $sgpr10
	s_and_saveexec_b64 s[8:9], s[12:13]
; %bb.18058:
	s_mov_b32 s10, 0x7f800001
	s_xor_b64 s[4:5], exec, -1
; %bb.18059:
	s_or_b64 exec, exec, s[8:9]
	s_and_b64 s[4:5], s[4:5], exec
	s_or_saveexec_b64 s[6:7], s[6:7]
	v_mov_b32_e32 v12, s10
	s_xor_b64 exec, exec, s[6:7]
	s_cbranch_execnz .LBB1_18060
; %bb.53897:
	s_getpc_b64 s[14:15]
.Lpost_getpc12612:
	s_add_u32 s14, s14, (.LBB1_3722-.Lpost_getpc12612)&4294967295
	s_addc_u32 s15, s15, (.LBB1_3722-.Lpost_getpc12612)>>32
	s_setpc_b64 s[14:15]
.LBB1_18060:
	v_mov_b32_e32 v12, 0
	v_cmp_ne_u16_sdwa s[8:9], v13, v12 src0_sel:BYTE_0 src1_sel:DWORD
	s_andn2_b64 s[4:5], s[4:5], exec
	s_and_b64 s[8:9], s[8:9], exec
	s_or_b64 s[4:5], s[4:5], s[8:9]
	s_or_b64 exec, exec, s[6:7]
	s_and_saveexec_b64 s[6:7], s[4:5]
	s_cbranch_execz .LBB1_30533
; %bb.53899:
	s_getpc_b64 s[14:15]
.Lpost_getpc12613:
	s_add_u32 s14, s14, (.LBB1_3723-.Lpost_getpc12613)&4294967295
	s_addc_u32 s15, s15, (.LBB1_3723-.Lpost_getpc12613)>>32
	s_setpc_b64 s[14:15]
.LBB1_30533:
	s_getpc_b64 s[14:15]
.Lpost_getpc930:
	s_add_u32 s14, s14, (.LBB1_3724-.Lpost_getpc930)&4294967295
	s_addc_u32 s15, s15, (.LBB1_3724-.Lpost_getpc930)>>32
	s_setpc_b64 s[14:15]
.LBB1_18061:
	s_movk_i32 s4, 0x80
	v_cmp_eq_u16_sdwa s[12:13], v13, s4 src0_sel:BYTE_0 src1_sel:DWORD
	s_mov_b64 s[4:5], -1
                                        ; implicit-def: $sgpr10
	s_and_saveexec_b64 s[8:9], s[12:13]
; %bb.18062:
	s_mov_b32 s10, 0x7f800001
	s_xor_b64 s[4:5], exec, -1
; %bb.18063:
	s_or_b64 exec, exec, s[8:9]
	s_and_b64 s[4:5], s[4:5], exec
	s_or_saveexec_b64 s[6:7], s[6:7]
	v_mov_b32_e32 v14, s10
	s_xor_b64 exec, exec, s[6:7]
	s_cbranch_execnz .LBB1_18064
; %bb.53901:
	s_getpc_b64 s[14:15]
.Lpost_getpc12614:
	s_add_u32 s14, s14, (.LBB1_3726-.Lpost_getpc12614)&4294967295
	s_addc_u32 s15, s15, (.LBB1_3726-.Lpost_getpc12614)>>32
	s_setpc_b64 s[14:15]
.LBB1_18064:
	v_mov_b32_e32 v14, 0
	v_cmp_ne_u16_sdwa s[8:9], v13, v14 src0_sel:BYTE_0 src1_sel:DWORD
	s_andn2_b64 s[4:5], s[4:5], exec
	s_and_b64 s[8:9], s[8:9], exec
	s_or_b64 s[4:5], s[4:5], s[8:9]
	s_or_b64 exec, exec, s[6:7]
	s_and_saveexec_b64 s[6:7], s[4:5]
	s_cbranch_execz .LBB1_30535
; %bb.53903:
	s_getpc_b64 s[14:15]
.Lpost_getpc12615:
	s_add_u32 s14, s14, (.LBB1_3727-.Lpost_getpc12615)&4294967295
	s_addc_u32 s15, s15, (.LBB1_3727-.Lpost_getpc12615)>>32
	s_setpc_b64 s[14:15]
.LBB1_30535:
	s_getpc_b64 s[14:15]
.Lpost_getpc931:
	s_add_u32 s14, s14, (.LBB1_3728-.Lpost_getpc931)&4294967295
	s_addc_u32 s15, s15, (.LBB1_3728-.Lpost_getpc931)>>32
	s_setpc_b64 s[14:15]
.LBB1_18065:
	s_movk_i32 s4, 0x80
	v_cmp_eq_u16_e32 vcc, s4, v13
	s_mov_b64 s[4:5], -1
                                        ; implicit-def: $sgpr10
	s_and_saveexec_b64 s[8:9], vcc
; %bb.18066:
	s_mov_b32 s10, 0x7f800001
	s_xor_b64 s[4:5], exec, -1
; %bb.18067:
	s_or_b64 exec, exec, s[8:9]
	s_and_b64 s[4:5], s[4:5], exec
                                        ; implicit-def: $vgpr13
	s_or_saveexec_b64 s[6:7], s[6:7]
	v_mov_b32_e32 v12, s10
	s_xor_b64 exec, exec, s[6:7]
	s_cbranch_execnz .LBB1_18068
; %bb.53905:
	s_getpc_b64 s[14:15]
.Lpost_getpc12616:
	s_add_u32 s14, s14, (.LBB1_3730-.Lpost_getpc12616)&4294967295
	s_addc_u32 s15, s15, (.LBB1_3730-.Lpost_getpc12616)>>32
	s_setpc_b64 s[14:15]
.LBB1_18068:
	v_cmp_ne_u16_e32 vcc, 0, v13
	s_andn2_b64 s[4:5], s[4:5], exec
	s_and_b64 s[8:9], vcc, exec
	v_mov_b32_e32 v12, 0
	s_or_b64 s[4:5], s[4:5], s[8:9]
	s_or_b64 exec, exec, s[6:7]
	s_and_saveexec_b64 s[6:7], s[4:5]
	s_cbranch_execz .LBB1_30537
; %bb.53907:
	s_getpc_b64 s[14:15]
.Lpost_getpc12617:
	s_add_u32 s14, s14, (.LBB1_3731-.Lpost_getpc12617)&4294967295
	s_addc_u32 s15, s15, (.LBB1_3731-.Lpost_getpc12617)>>32
	s_setpc_b64 s[14:15]
.LBB1_30537:
	s_getpc_b64 s[14:15]
.Lpost_getpc932:
	s_add_u32 s14, s14, (.LBB1_3732-.Lpost_getpc932)&4294967295
	s_addc_u32 s15, s15, (.LBB1_3732-.Lpost_getpc932)>>32
	s_setpc_b64 s[14:15]
.LBB1_18069:
	s_movk_i32 s4, 0x80
	v_cmp_eq_u16_e32 vcc, s4, v13
	s_mov_b64 s[4:5], -1
                                        ; implicit-def: $sgpr10
	s_and_saveexec_b64 s[8:9], vcc
; %bb.18070:
	s_mov_b32 s10, 0x7f800001
	s_xor_b64 s[4:5], exec, -1
; %bb.18071:
	s_or_b64 exec, exec, s[8:9]
	s_and_b64 s[4:5], s[4:5], exec
                                        ; implicit-def: $vgpr13
	s_or_saveexec_b64 s[6:7], s[6:7]
	v_mov_b32_e32 v14, s10
	s_xor_b64 exec, exec, s[6:7]
	s_cbranch_execnz .LBB1_18072
; %bb.53909:
	s_getpc_b64 s[14:15]
.Lpost_getpc12618:
	s_add_u32 s14, s14, (.LBB1_3734-.Lpost_getpc12618)&4294967295
	s_addc_u32 s15, s15, (.LBB1_3734-.Lpost_getpc12618)>>32
	s_setpc_b64 s[14:15]
.LBB1_18072:
	v_cmp_ne_u16_e32 vcc, 0, v13
	s_andn2_b64 s[4:5], s[4:5], exec
	s_and_b64 s[8:9], vcc, exec
	v_mov_b32_e32 v14, 0
	s_or_b64 s[4:5], s[4:5], s[8:9]
	s_or_b64 exec, exec, s[6:7]
	s_and_saveexec_b64 s[6:7], s[4:5]
	s_cbranch_execz .LBB1_30539
; %bb.53911:
	s_getpc_b64 s[14:15]
.Lpost_getpc12619:
	s_add_u32 s14, s14, (.LBB1_3735-.Lpost_getpc12619)&4294967295
	s_addc_u32 s15, s15, (.LBB1_3735-.Lpost_getpc12619)>>32
	s_setpc_b64 s[14:15]
.LBB1_30539:
	s_getpc_b64 s[14:15]
.Lpost_getpc933:
	s_add_u32 s14, s14, (.LBB1_3736-.Lpost_getpc933)&4294967295
	s_addc_u32 s15, s15, (.LBB1_3736-.Lpost_getpc933)>>32
	s_setpc_b64 s[14:15]
.LBB1_18073:
	s_movk_i32 s4, 0x80
	v_cmp_eq_u16_sdwa s[12:13], v6, s4 src0_sel:BYTE_3 src1_sel:DWORD
	s_mov_b64 s[4:5], -1
                                        ; implicit-def: $sgpr10
	s_and_saveexec_b64 s[8:9], s[12:13]
; %bb.18074:
	s_mov_b32 s10, 0x7f800001
	s_xor_b64 s[4:5], exec, -1
; %bb.18075:
	s_or_b64 exec, exec, s[8:9]
	s_and_b64 s[4:5], s[4:5], exec
	s_or_saveexec_b64 s[6:7], s[6:7]
	v_mov_b32_e32 v12, s10
	s_xor_b64 exec, exec, s[6:7]
	s_cbranch_execnz .LBB1_18076
; %bb.53913:
	s_getpc_b64 s[14:15]
.Lpost_getpc12620:
	s_add_u32 s14, s14, (.LBB1_3738-.Lpost_getpc12620)&4294967295
	s_addc_u32 s15, s15, (.LBB1_3738-.Lpost_getpc12620)>>32
	s_setpc_b64 s[14:15]
.LBB1_18076:
	v_mov_b32_e32 v12, 0
	v_cmp_ne_u16_sdwa s[8:9], v6, v12 src0_sel:BYTE_3 src1_sel:DWORD
	s_andn2_b64 s[4:5], s[4:5], exec
	s_and_b64 s[8:9], s[8:9], exec
	s_or_b64 s[4:5], s[4:5], s[8:9]
	s_or_b64 exec, exec, s[6:7]
	s_and_saveexec_b64 s[6:7], s[4:5]
	s_cbranch_execz .LBB1_30541
; %bb.53915:
	s_getpc_b64 s[14:15]
.Lpost_getpc12621:
	s_add_u32 s14, s14, (.LBB1_3739-.Lpost_getpc12621)&4294967295
	s_addc_u32 s15, s15, (.LBB1_3739-.Lpost_getpc12621)>>32
	s_setpc_b64 s[14:15]
.LBB1_30541:
	s_getpc_b64 s[14:15]
.Lpost_getpc934:
	s_add_u32 s14, s14, (.LBB1_3740-.Lpost_getpc934)&4294967295
	s_addc_u32 s15, s15, (.LBB1_3740-.Lpost_getpc934)>>32
	s_setpc_b64 s[14:15]
.LBB1_18077:
	s_movk_i32 s4, 0x80
	v_cmp_eq_u16_sdwa s[12:13], v2, s4 src0_sel:BYTE_3 src1_sel:DWORD
	s_mov_b64 s[4:5], -1
                                        ; implicit-def: $sgpr10
	s_and_saveexec_b64 s[8:9], s[12:13]
; %bb.18078:
	s_mov_b32 s10, 0x7f800001
	s_xor_b64 s[4:5], exec, -1
; %bb.18079:
	s_or_b64 exec, exec, s[8:9]
	s_and_b64 s[4:5], s[4:5], exec
	s_or_saveexec_b64 s[6:7], s[6:7]
	v_mov_b32_e32 v6, s10
	s_xor_b64 exec, exec, s[6:7]
	s_cbranch_execnz .LBB1_18080
; %bb.53917:
	s_getpc_b64 s[14:15]
.Lpost_getpc12622:
	s_add_u32 s14, s14, (.LBB1_3742-.Lpost_getpc12622)&4294967295
	s_addc_u32 s15, s15, (.LBB1_3742-.Lpost_getpc12622)>>32
	s_setpc_b64 s[14:15]
.LBB1_18080:
	v_mov_b32_e32 v6, 0
	v_cmp_ne_u16_sdwa s[8:9], v2, v6 src0_sel:BYTE_3 src1_sel:DWORD
	s_andn2_b64 s[4:5], s[4:5], exec
	s_and_b64 s[8:9], s[8:9], exec
	s_or_b64 s[4:5], s[4:5], s[8:9]
	s_or_b64 exec, exec, s[6:7]
	s_and_saveexec_b64 s[6:7], s[4:5]
	s_cbranch_execz .LBB1_30543
; %bb.53919:
	s_getpc_b64 s[14:15]
.Lpost_getpc12623:
	s_add_u32 s14, s14, (.LBB1_3743-.Lpost_getpc12623)&4294967295
	s_addc_u32 s15, s15, (.LBB1_3743-.Lpost_getpc12623)>>32
	s_setpc_b64 s[14:15]
.LBB1_30543:
	s_getpc_b64 s[14:15]
.Lpost_getpc935:
	s_add_u32 s14, s14, (.LBB1_3744-.Lpost_getpc935)&4294967295
	s_addc_u32 s15, s15, (.LBB1_3744-.Lpost_getpc935)>>32
	s_setpc_b64 s[14:15]
.LBB1_18081:
	s_movk_i32 s4, 0x80
	v_cmp_eq_u16_sdwa s[12:13], v7, s4 src0_sel:BYTE_0 src1_sel:DWORD
	s_mov_b64 s[4:5], -1
                                        ; implicit-def: $sgpr10
	s_and_saveexec_b64 s[8:9], s[12:13]
; %bb.18082:
	s_mov_b32 s10, 0x7f800001
	s_xor_b64 s[4:5], exec, -1
; %bb.18083:
	s_or_b64 exec, exec, s[8:9]
	s_and_b64 s[4:5], s[4:5], exec
	s_or_saveexec_b64 s[6:7], s[6:7]
	v_mov_b32_e32 v2, s10
	s_xor_b64 exec, exec, s[6:7]
	s_cbranch_execnz .LBB1_18084
; %bb.53921:
	s_getpc_b64 s[14:15]
.Lpost_getpc12624:
	s_add_u32 s14, s14, (.LBB1_3746-.Lpost_getpc12624)&4294967295
	s_addc_u32 s15, s15, (.LBB1_3746-.Lpost_getpc12624)>>32
	s_setpc_b64 s[14:15]
.LBB1_18084:
	v_mov_b32_e32 v2, 0
	v_cmp_ne_u16_sdwa s[8:9], v7, v2 src0_sel:BYTE_0 src1_sel:DWORD
	s_andn2_b64 s[4:5], s[4:5], exec
	s_and_b64 s[8:9], s[8:9], exec
	s_or_b64 s[4:5], s[4:5], s[8:9]
	s_or_b64 exec, exec, s[6:7]
	s_and_saveexec_b64 s[6:7], s[4:5]
	s_cbranch_execz .LBB1_30545
; %bb.53923:
	s_getpc_b64 s[14:15]
.Lpost_getpc12625:
	s_add_u32 s14, s14, (.LBB1_3747-.Lpost_getpc12625)&4294967295
	s_addc_u32 s15, s15, (.LBB1_3747-.Lpost_getpc12625)>>32
	s_setpc_b64 s[14:15]
.LBB1_30545:
	s_getpc_b64 s[14:15]
.Lpost_getpc936:
	s_add_u32 s14, s14, (.LBB1_3748-.Lpost_getpc936)&4294967295
	s_addc_u32 s15, s15, (.LBB1_3748-.Lpost_getpc936)>>32
	s_setpc_b64 s[14:15]
.LBB1_18085:
	s_movk_i32 s4, 0x80
	v_cmp_eq_u16_sdwa s[12:13], v3, s4 src0_sel:BYTE_0 src1_sel:DWORD
	s_mov_b64 s[4:5], -1
                                        ; implicit-def: $sgpr10
	s_and_saveexec_b64 s[8:9], s[12:13]
; %bb.18086:
	s_mov_b32 s10, 0x7f800001
	s_xor_b64 s[4:5], exec, -1
; %bb.18087:
	s_or_b64 exec, exec, s[8:9]
	s_and_b64 s[4:5], s[4:5], exec
	s_or_saveexec_b64 s[6:7], s[6:7]
	v_mov_b32_e32 v6, s10
	s_xor_b64 exec, exec, s[6:7]
	s_cbranch_execnz .LBB1_18088
; %bb.53925:
	s_getpc_b64 s[14:15]
.Lpost_getpc12626:
	s_add_u32 s14, s14, (.LBB1_3750-.Lpost_getpc12626)&4294967295
	s_addc_u32 s15, s15, (.LBB1_3750-.Lpost_getpc12626)>>32
	s_setpc_b64 s[14:15]
.LBB1_18088:
	v_mov_b32_e32 v6, 0
	v_cmp_ne_u16_sdwa s[8:9], v3, v6 src0_sel:BYTE_0 src1_sel:DWORD
	s_andn2_b64 s[4:5], s[4:5], exec
	s_and_b64 s[8:9], s[8:9], exec
	s_or_b64 s[4:5], s[4:5], s[8:9]
	s_or_b64 exec, exec, s[6:7]
	s_and_saveexec_b64 s[6:7], s[4:5]
	s_cbranch_execz .LBB1_30547
; %bb.53927:
	s_getpc_b64 s[14:15]
.Lpost_getpc12627:
	s_add_u32 s14, s14, (.LBB1_3751-.Lpost_getpc12627)&4294967295
	s_addc_u32 s15, s15, (.LBB1_3751-.Lpost_getpc12627)>>32
	s_setpc_b64 s[14:15]
.LBB1_30547:
	s_getpc_b64 s[14:15]
.Lpost_getpc937:
	s_add_u32 s14, s14, (.LBB1_3752-.Lpost_getpc937)&4294967295
	s_addc_u32 s15, s15, (.LBB1_3752-.Lpost_getpc937)>>32
	s_setpc_b64 s[14:15]
.LBB1_18089:
	s_movk_i32 s4, 0x80
	v_cmp_eq_u16_sdwa s[12:13], v6, s4 src0_sel:BYTE_0 src1_sel:DWORD
	s_mov_b64 s[4:5], -1
                                        ; implicit-def: $sgpr10
	s_and_saveexec_b64 s[8:9], s[12:13]
; %bb.18090:
	s_mov_b32 s10, 0x7f800001
	s_xor_b64 s[4:5], exec, -1
; %bb.18091:
	s_or_b64 exec, exec, s[8:9]
	s_and_b64 s[4:5], s[4:5], exec
	s_or_saveexec_b64 s[6:7], s[6:7]
	v_mov_b32_e32 v2, s10
	s_xor_b64 exec, exec, s[6:7]
	s_cbranch_execnz .LBB1_18092
; %bb.53929:
	s_getpc_b64 s[14:15]
.Lpost_getpc12628:
	s_add_u32 s14, s14, (.LBB1_3754-.Lpost_getpc12628)&4294967295
	s_addc_u32 s15, s15, (.LBB1_3754-.Lpost_getpc12628)>>32
	s_setpc_b64 s[14:15]
.LBB1_18092:
	v_mov_b32_e32 v2, 0
	v_cmp_ne_u16_sdwa s[8:9], v6, v2 src0_sel:BYTE_0 src1_sel:DWORD
	s_andn2_b64 s[4:5], s[4:5], exec
	s_and_b64 s[8:9], s[8:9], exec
	s_or_b64 s[4:5], s[4:5], s[8:9]
	s_or_b64 exec, exec, s[6:7]
	s_and_saveexec_b64 s[6:7], s[4:5]
	s_cbranch_execz .LBB1_30549
; %bb.53931:
	s_getpc_b64 s[14:15]
.Lpost_getpc12629:
	s_add_u32 s14, s14, (.LBB1_3755-.Lpost_getpc12629)&4294967295
	s_addc_u32 s15, s15, (.LBB1_3755-.Lpost_getpc12629)>>32
	s_setpc_b64 s[14:15]
.LBB1_30549:
	s_getpc_b64 s[14:15]
.Lpost_getpc938:
	s_add_u32 s14, s14, (.LBB1_3756-.Lpost_getpc938)&4294967295
	s_addc_u32 s15, s15, (.LBB1_3756-.Lpost_getpc938)>>32
	s_setpc_b64 s[14:15]
.LBB1_18093:
	s_movk_i32 s4, 0x80
	v_cmp_eq_u16_sdwa s[12:13], v6, s4 src0_sel:BYTE_0 src1_sel:DWORD
	s_mov_b64 s[4:5], -1
                                        ; implicit-def: $sgpr10
	s_and_saveexec_b64 s[8:9], s[12:13]
; %bb.18094:
	s_mov_b32 s10, 0x7f800001
	s_xor_b64 s[4:5], exec, -1
; %bb.18095:
	s_or_b64 exec, exec, s[8:9]
	s_and_b64 s[4:5], s[4:5], exec
	s_or_saveexec_b64 s[6:7], s[6:7]
	v_mov_b32_e32 v12, s10
	s_xor_b64 exec, exec, s[6:7]
	s_cbranch_execnz .LBB1_18096
; %bb.53933:
	s_getpc_b64 s[14:15]
.Lpost_getpc12630:
	s_add_u32 s14, s14, (.LBB1_3758-.Lpost_getpc12630)&4294967295
	s_addc_u32 s15, s15, (.LBB1_3758-.Lpost_getpc12630)>>32
	s_setpc_b64 s[14:15]
.LBB1_18096:
	v_mov_b32_e32 v12, 0
	v_cmp_ne_u16_sdwa s[8:9], v6, v12 src0_sel:BYTE_0 src1_sel:DWORD
	s_andn2_b64 s[4:5], s[4:5], exec
	s_and_b64 s[8:9], s[8:9], exec
	s_or_b64 s[4:5], s[4:5], s[8:9]
	s_or_b64 exec, exec, s[6:7]
	s_and_saveexec_b64 s[6:7], s[4:5]
	s_cbranch_execz .LBB1_30551
; %bb.53935:
	s_getpc_b64 s[14:15]
.Lpost_getpc12631:
	s_add_u32 s14, s14, (.LBB1_3759-.Lpost_getpc12631)&4294967295
	s_addc_u32 s15, s15, (.LBB1_3759-.Lpost_getpc12631)>>32
	s_setpc_b64 s[14:15]
.LBB1_30551:
	s_getpc_b64 s[14:15]
.Lpost_getpc939:
	s_add_u32 s14, s14, (.LBB1_3760-.Lpost_getpc939)&4294967295
	s_addc_u32 s15, s15, (.LBB1_3760-.Lpost_getpc939)>>32
	s_setpc_b64 s[14:15]
.LBB1_18097:
	s_movk_i32 s4, 0x80
	v_cmp_eq_u16_e32 vcc, s4, v6
	s_mov_b64 s[4:5], -1
                                        ; implicit-def: $sgpr10
	s_and_saveexec_b64 s[8:9], vcc
; %bb.18098:
	s_mov_b32 s10, 0x7f800001
	s_xor_b64 s[4:5], exec, -1
; %bb.18099:
	s_or_b64 exec, exec, s[8:9]
	s_and_b64 s[4:5], s[4:5], exec
                                        ; implicit-def: $vgpr6
	s_or_saveexec_b64 s[6:7], s[6:7]
	v_mov_b32_e32 v2, s10
	s_xor_b64 exec, exec, s[6:7]
	s_cbranch_execnz .LBB1_18100
; %bb.53937:
	s_getpc_b64 s[14:15]
.Lpost_getpc12632:
	s_add_u32 s14, s14, (.LBB1_3762-.Lpost_getpc12632)&4294967295
	s_addc_u32 s15, s15, (.LBB1_3762-.Lpost_getpc12632)>>32
	s_setpc_b64 s[14:15]
.LBB1_18100:
	v_cmp_ne_u16_e32 vcc, 0, v6
	s_andn2_b64 s[4:5], s[4:5], exec
	s_and_b64 s[8:9], vcc, exec
	v_mov_b32_e32 v2, 0
	s_or_b64 s[4:5], s[4:5], s[8:9]
	s_or_b64 exec, exec, s[6:7]
	s_and_saveexec_b64 s[6:7], s[4:5]
	s_cbranch_execz .LBB1_30553
; %bb.53939:
	s_getpc_b64 s[14:15]
.Lpost_getpc12633:
	s_add_u32 s14, s14, (.LBB1_3763-.Lpost_getpc12633)&4294967295
	s_addc_u32 s15, s15, (.LBB1_3763-.Lpost_getpc12633)>>32
	s_setpc_b64 s[14:15]
.LBB1_30553:
	s_getpc_b64 s[14:15]
.Lpost_getpc940:
	s_add_u32 s14, s14, (.LBB1_3764-.Lpost_getpc940)&4294967295
	s_addc_u32 s15, s15, (.LBB1_3764-.Lpost_getpc940)>>32
	s_setpc_b64 s[14:15]
.LBB1_18101:
	s_movk_i32 s4, 0x80
	v_cmp_eq_u16_e32 vcc, s4, v6
	s_mov_b64 s[4:5], -1
                                        ; implicit-def: $sgpr10
	s_and_saveexec_b64 s[8:9], vcc
; %bb.18102:
	s_mov_b32 s10, 0x7f800001
	s_xor_b64 s[4:5], exec, -1
; %bb.18103:
	s_or_b64 exec, exec, s[8:9]
	s_and_b64 s[4:5], s[4:5], exec
                                        ; implicit-def: $vgpr6
	s_or_saveexec_b64 s[6:7], s[6:7]
	v_mov_b32_e32 v12, s10
	s_xor_b64 exec, exec, s[6:7]
	s_cbranch_execnz .LBB1_18104
; %bb.53941:
	s_getpc_b64 s[14:15]
.Lpost_getpc12634:
	s_add_u32 s14, s14, (.LBB1_3766-.Lpost_getpc12634)&4294967295
	s_addc_u32 s15, s15, (.LBB1_3766-.Lpost_getpc12634)>>32
	s_setpc_b64 s[14:15]
.LBB1_18104:
	v_cmp_ne_u16_e32 vcc, 0, v6
	s_andn2_b64 s[4:5], s[4:5], exec
	s_and_b64 s[8:9], vcc, exec
	v_mov_b32_e32 v12, 0
	s_or_b64 s[4:5], s[4:5], s[8:9]
	s_or_b64 exec, exec, s[6:7]
	s_and_saveexec_b64 s[6:7], s[4:5]
	s_cbranch_execz .LBB1_30555
; %bb.53943:
	s_getpc_b64 s[14:15]
.Lpost_getpc12635:
	s_add_u32 s14, s14, (.LBB1_3767-.Lpost_getpc12635)&4294967295
	s_addc_u32 s15, s15, (.LBB1_3767-.Lpost_getpc12635)>>32
	s_setpc_b64 s[14:15]
.LBB1_30555:
	s_getpc_b64 s[14:15]
.Lpost_getpc941:
	s_add_u32 s14, s14, (.LBB1_3768-.Lpost_getpc941)&4294967295
	s_addc_u32 s15, s15, (.LBB1_3768-.Lpost_getpc941)>>32
	s_setpc_b64 s[14:15]
.LBB1_18105:
	s_movk_i32 s4, 0x80
	v_cmp_eq_u16_sdwa s[12:13], v7, s4 src0_sel:BYTE_3 src1_sel:DWORD
	s_mov_b64 s[4:5], -1
                                        ; implicit-def: $sgpr10
	s_and_saveexec_b64 s[8:9], s[12:13]
; %bb.18106:
	s_mov_b32 s10, 0x7f800001
	s_xor_b64 s[4:5], exec, -1
; %bb.18107:
	s_or_b64 exec, exec, s[8:9]
	s_and_b64 s[4:5], s[4:5], exec
	s_or_saveexec_b64 s[6:7], s[6:7]
	v_mov_b32_e32 v2, s10
	s_xor_b64 exec, exec, s[6:7]
	s_cbranch_execnz .LBB1_18108
; %bb.53945:
	s_getpc_b64 s[14:15]
.Lpost_getpc12636:
	s_add_u32 s14, s14, (.LBB1_3770-.Lpost_getpc12636)&4294967295
	s_addc_u32 s15, s15, (.LBB1_3770-.Lpost_getpc12636)>>32
	s_setpc_b64 s[14:15]
.LBB1_18108:
	v_mov_b32_e32 v2, 0
	v_cmp_ne_u16_sdwa s[8:9], v7, v2 src0_sel:BYTE_3 src1_sel:DWORD
	s_andn2_b64 s[4:5], s[4:5], exec
	s_and_b64 s[8:9], s[8:9], exec
	s_or_b64 s[4:5], s[4:5], s[8:9]
	s_or_b64 exec, exec, s[6:7]
	s_and_saveexec_b64 s[6:7], s[4:5]
	s_cbranch_execz .LBB1_30557
; %bb.53947:
	s_getpc_b64 s[14:15]
.Lpost_getpc12637:
	s_add_u32 s14, s14, (.LBB1_3771-.Lpost_getpc12637)&4294967295
	s_addc_u32 s15, s15, (.LBB1_3771-.Lpost_getpc12637)>>32
	s_setpc_b64 s[14:15]
.LBB1_30557:
	s_getpc_b64 s[14:15]
.Lpost_getpc942:
	s_add_u32 s14, s14, (.LBB1_3772-.Lpost_getpc942)&4294967295
	s_addc_u32 s15, s15, (.LBB1_3772-.Lpost_getpc942)>>32
	s_setpc_b64 s[14:15]
.LBB1_18109:
	s_movk_i32 s4, 0x80
	v_cmp_eq_u16_sdwa s[12:13], v3, s4 src0_sel:BYTE_3 src1_sel:DWORD
	s_mov_b64 s[4:5], -1
                                        ; implicit-def: $sgpr10
	s_and_saveexec_b64 s[8:9], s[12:13]
; %bb.18110:
	s_mov_b32 s10, 0x7f800001
	s_xor_b64 s[4:5], exec, -1
; %bb.18111:
	s_or_b64 exec, exec, s[8:9]
	s_and_b64 s[4:5], s[4:5], exec
	s_or_saveexec_b64 s[6:7], s[6:7]
	v_mov_b32_e32 v6, s10
	s_xor_b64 exec, exec, s[6:7]
	s_cbranch_execnz .LBB1_18112
; %bb.53949:
	s_getpc_b64 s[14:15]
.Lpost_getpc12638:
	s_add_u32 s14, s14, (.LBB1_3774-.Lpost_getpc12638)&4294967295
	s_addc_u32 s15, s15, (.LBB1_3774-.Lpost_getpc12638)>>32
	s_setpc_b64 s[14:15]
.LBB1_18112:
	v_mov_b32_e32 v6, 0
	v_cmp_ne_u16_sdwa s[8:9], v3, v6 src0_sel:BYTE_3 src1_sel:DWORD
	s_andn2_b64 s[4:5], s[4:5], exec
	s_and_b64 s[8:9], s[8:9], exec
	s_or_b64 s[4:5], s[4:5], s[8:9]
	s_or_b64 exec, exec, s[6:7]
	s_and_saveexec_b64 s[6:7], s[4:5]
	s_cbranch_execz .LBB1_30559
; %bb.53951:
	s_getpc_b64 s[14:15]
.Lpost_getpc12639:
	s_add_u32 s14, s14, (.LBB1_3775-.Lpost_getpc12639)&4294967295
	s_addc_u32 s15, s15, (.LBB1_3775-.Lpost_getpc12639)>>32
	s_setpc_b64 s[14:15]
.LBB1_30559:
	s_getpc_b64 s[14:15]
.Lpost_getpc943:
	s_add_u32 s14, s14, (.LBB1_3776-.Lpost_getpc943)&4294967295
	s_addc_u32 s15, s15, (.LBB1_3776-.Lpost_getpc943)>>32
	s_setpc_b64 s[14:15]
.LBB1_18113:
	s_movk_i32 s4, 0x80
	v_cmp_eq_u16_sdwa s[12:13], v8, s4 src0_sel:BYTE_0 src1_sel:DWORD
	s_mov_b64 s[4:5], -1
                                        ; implicit-def: $sgpr10
	s_and_saveexec_b64 s[8:9], s[12:13]
; %bb.18114:
	s_mov_b32 s10, 0x7f800001
	s_xor_b64 s[4:5], exec, -1
; %bb.18115:
	s_or_b64 exec, exec, s[8:9]
	s_and_b64 s[4:5], s[4:5], exec
	s_or_saveexec_b64 s[6:7], s[6:7]
	v_mov_b32_e32 v2, s10
	s_xor_b64 exec, exec, s[6:7]
	s_cbranch_execnz .LBB1_18116
; %bb.53953:
	s_getpc_b64 s[14:15]
.Lpost_getpc12640:
	s_add_u32 s14, s14, (.LBB1_3778-.Lpost_getpc12640)&4294967295
	s_addc_u32 s15, s15, (.LBB1_3778-.Lpost_getpc12640)>>32
	s_setpc_b64 s[14:15]
.LBB1_18116:
	v_mov_b32_e32 v2, 0
	v_cmp_ne_u16_sdwa s[8:9], v8, v2 src0_sel:BYTE_0 src1_sel:DWORD
	s_andn2_b64 s[4:5], s[4:5], exec
	s_and_b64 s[8:9], s[8:9], exec
	s_or_b64 s[4:5], s[4:5], s[8:9]
	s_or_b64 exec, exec, s[6:7]
	s_and_saveexec_b64 s[6:7], s[4:5]
	s_cbranch_execz .LBB1_30561
; %bb.53955:
	s_getpc_b64 s[14:15]
.Lpost_getpc12641:
	s_add_u32 s14, s14, (.LBB1_3779-.Lpost_getpc12641)&4294967295
	s_addc_u32 s15, s15, (.LBB1_3779-.Lpost_getpc12641)>>32
	s_setpc_b64 s[14:15]
.LBB1_30561:
	s_getpc_b64 s[14:15]
.Lpost_getpc944:
	s_add_u32 s14, s14, (.LBB1_3780-.Lpost_getpc944)&4294967295
	s_addc_u32 s15, s15, (.LBB1_3780-.Lpost_getpc944)>>32
	s_setpc_b64 s[14:15]
.LBB1_18117:
	s_movk_i32 s4, 0x80
	v_cmp_eq_u16_sdwa s[12:13], v4, s4 src0_sel:BYTE_0 src1_sel:DWORD
	s_mov_b64 s[4:5], -1
                                        ; implicit-def: $sgpr10
	s_and_saveexec_b64 s[8:9], s[12:13]
; %bb.18118:
	s_mov_b32 s10, 0x7f800001
	s_xor_b64 s[4:5], exec, -1
; %bb.18119:
	s_or_b64 exec, exec, s[8:9]
	s_and_b64 s[4:5], s[4:5], exec
	s_or_saveexec_b64 s[6:7], s[6:7]
	v_mov_b32_e32 v3, s10
	s_xor_b64 exec, exec, s[6:7]
	s_cbranch_execnz .LBB1_18120
; %bb.53957:
	s_getpc_b64 s[14:15]
.Lpost_getpc12642:
	s_add_u32 s14, s14, (.LBB1_3782-.Lpost_getpc12642)&4294967295
	s_addc_u32 s15, s15, (.LBB1_3782-.Lpost_getpc12642)>>32
	s_setpc_b64 s[14:15]
.LBB1_18120:
	v_mov_b32_e32 v3, 0
	v_cmp_ne_u16_sdwa s[8:9], v4, v3 src0_sel:BYTE_0 src1_sel:DWORD
	s_andn2_b64 s[4:5], s[4:5], exec
	s_and_b64 s[8:9], s[8:9], exec
	s_or_b64 s[4:5], s[4:5], s[8:9]
	s_or_b64 exec, exec, s[6:7]
	s_and_saveexec_b64 s[6:7], s[4:5]
	s_cbranch_execz .LBB1_30563
; %bb.53959:
	s_getpc_b64 s[14:15]
.Lpost_getpc12643:
	s_add_u32 s14, s14, (.LBB1_3783-.Lpost_getpc12643)&4294967295
	s_addc_u32 s15, s15, (.LBB1_3783-.Lpost_getpc12643)>>32
	s_setpc_b64 s[14:15]
.LBB1_30563:
	s_getpc_b64 s[14:15]
.Lpost_getpc945:
	s_add_u32 s14, s14, (.LBB1_3784-.Lpost_getpc945)&4294967295
	s_addc_u32 s15, s15, (.LBB1_3784-.Lpost_getpc945)>>32
	s_setpc_b64 s[14:15]
.LBB1_18121:
	s_movk_i32 s4, 0x80
	v_cmp_eq_u16_sdwa s[12:13], v3, s4 src0_sel:BYTE_0 src1_sel:DWORD
	s_mov_b64 s[4:5], -1
                                        ; implicit-def: $sgpr10
	s_and_saveexec_b64 s[8:9], s[12:13]
; %bb.18122:
	s_mov_b32 s10, 0x7f800001
	s_xor_b64 s[4:5], exec, -1
; %bb.18123:
	s_or_b64 exec, exec, s[8:9]
	s_and_b64 s[4:5], s[4:5], exec
	s_or_saveexec_b64 s[6:7], s[6:7]
	v_mov_b32_e32 v2, s10
	s_xor_b64 exec, exec, s[6:7]
	s_cbranch_execnz .LBB1_18124
; %bb.53961:
	s_getpc_b64 s[14:15]
.Lpost_getpc12644:
	s_add_u32 s14, s14, (.LBB1_3786-.Lpost_getpc12644)&4294967295
	s_addc_u32 s15, s15, (.LBB1_3786-.Lpost_getpc12644)>>32
	s_setpc_b64 s[14:15]
.LBB1_18124:
	v_mov_b32_e32 v2, 0
	v_cmp_ne_u16_sdwa s[8:9], v3, v2 src0_sel:BYTE_0 src1_sel:DWORD
	s_andn2_b64 s[4:5], s[4:5], exec
	s_and_b64 s[8:9], s[8:9], exec
	s_or_b64 s[4:5], s[4:5], s[8:9]
	s_or_b64 exec, exec, s[6:7]
	s_and_saveexec_b64 s[6:7], s[4:5]
	s_cbranch_execz .LBB1_30565
; %bb.53963:
	s_getpc_b64 s[14:15]
.Lpost_getpc12645:
	s_add_u32 s14, s14, (.LBB1_3787-.Lpost_getpc12645)&4294967295
	s_addc_u32 s15, s15, (.LBB1_3787-.Lpost_getpc12645)>>32
	s_setpc_b64 s[14:15]
.LBB1_30565:
	s_getpc_b64 s[14:15]
.Lpost_getpc946:
	s_add_u32 s14, s14, (.LBB1_3788-.Lpost_getpc946)&4294967295
	s_addc_u32 s15, s15, (.LBB1_3788-.Lpost_getpc946)>>32
	s_setpc_b64 s[14:15]
.LBB1_18125:
	s_movk_i32 s4, 0x80
	v_cmp_eq_u16_sdwa s[12:13], v3, s4 src0_sel:BYTE_0 src1_sel:DWORD
	s_mov_b64 s[4:5], -1
                                        ; implicit-def: $sgpr10
	s_and_saveexec_b64 s[8:9], s[12:13]
; %bb.18126:
	s_mov_b32 s10, 0x7f800001
	s_xor_b64 s[4:5], exec, -1
; %bb.18127:
	s_or_b64 exec, exec, s[8:9]
	s_and_b64 s[4:5], s[4:5], exec
	s_or_saveexec_b64 s[6:7], s[6:7]
	v_mov_b32_e32 v6, s10
	s_xor_b64 exec, exec, s[6:7]
	s_cbranch_execnz .LBB1_18128
; %bb.53965:
	s_getpc_b64 s[14:15]
.Lpost_getpc12646:
	s_add_u32 s14, s14, (.LBB1_3790-.Lpost_getpc12646)&4294967295
	s_addc_u32 s15, s15, (.LBB1_3790-.Lpost_getpc12646)>>32
	s_setpc_b64 s[14:15]
.LBB1_18128:
	v_mov_b32_e32 v6, 0
	v_cmp_ne_u16_sdwa s[8:9], v3, v6 src0_sel:BYTE_0 src1_sel:DWORD
	s_andn2_b64 s[4:5], s[4:5], exec
	s_and_b64 s[8:9], s[8:9], exec
	s_or_b64 s[4:5], s[4:5], s[8:9]
	s_or_b64 exec, exec, s[6:7]
	s_and_saveexec_b64 s[6:7], s[4:5]
	s_cbranch_execz .LBB1_30567
; %bb.53967:
	s_getpc_b64 s[14:15]
.Lpost_getpc12647:
	s_add_u32 s14, s14, (.LBB1_3791-.Lpost_getpc12647)&4294967295
	s_addc_u32 s15, s15, (.LBB1_3791-.Lpost_getpc12647)>>32
	s_setpc_b64 s[14:15]
.LBB1_30567:
	s_getpc_b64 s[14:15]
.Lpost_getpc947:
	s_add_u32 s14, s14, (.LBB1_3792-.Lpost_getpc947)&4294967295
	s_addc_u32 s15, s15, (.LBB1_3792-.Lpost_getpc947)>>32
	s_setpc_b64 s[14:15]
.LBB1_18129:
	s_movk_i32 s4, 0x80
	v_cmp_eq_u16_e32 vcc, s4, v3
	s_mov_b64 s[4:5], -1
                                        ; implicit-def: $sgpr10
	s_and_saveexec_b64 s[8:9], vcc
; %bb.18130:
	s_mov_b32 s10, 0x7f800001
	s_xor_b64 s[4:5], exec, -1
; %bb.18131:
	s_or_b64 exec, exec, s[8:9]
	s_and_b64 s[4:5], s[4:5], exec
                                        ; implicit-def: $vgpr3
	s_or_saveexec_b64 s[6:7], s[6:7]
	v_mov_b32_e32 v2, s10
	s_xor_b64 exec, exec, s[6:7]
	s_cbranch_execnz .LBB1_18132
; %bb.53969:
	s_getpc_b64 s[14:15]
.Lpost_getpc12648:
	s_add_u32 s14, s14, (.LBB1_3794-.Lpost_getpc12648)&4294967295
	s_addc_u32 s15, s15, (.LBB1_3794-.Lpost_getpc12648)>>32
	s_setpc_b64 s[14:15]
.LBB1_18132:
	v_cmp_ne_u16_e32 vcc, 0, v3
	s_andn2_b64 s[4:5], s[4:5], exec
	s_and_b64 s[8:9], vcc, exec
	v_mov_b32_e32 v2, 0
	s_or_b64 s[4:5], s[4:5], s[8:9]
	s_or_b64 exec, exec, s[6:7]
	s_and_saveexec_b64 s[6:7], s[4:5]
	s_cbranch_execz .LBB1_30569
; %bb.53971:
	s_getpc_b64 s[14:15]
.Lpost_getpc12649:
	s_add_u32 s14, s14, (.LBB1_3795-.Lpost_getpc12649)&4294967295
	s_addc_u32 s15, s15, (.LBB1_3795-.Lpost_getpc12649)>>32
	s_setpc_b64 s[14:15]
.LBB1_30569:
	s_getpc_b64 s[14:15]
.Lpost_getpc948:
	s_add_u32 s14, s14, (.LBB1_3796-.Lpost_getpc948)&4294967295
	s_addc_u32 s15, s15, (.LBB1_3796-.Lpost_getpc948)>>32
	s_setpc_b64 s[14:15]
.LBB1_18133:
	s_movk_i32 s4, 0x80
	v_cmp_eq_u16_e32 vcc, s4, v3
	s_mov_b64 s[4:5], -1
                                        ; implicit-def: $sgpr10
	s_and_saveexec_b64 s[8:9], vcc
; %bb.18134:
	s_mov_b32 s10, 0x7f800001
	s_xor_b64 s[4:5], exec, -1
; %bb.18135:
	s_or_b64 exec, exec, s[8:9]
	s_and_b64 s[4:5], s[4:5], exec
                                        ; implicit-def: $vgpr3
	s_or_saveexec_b64 s[6:7], s[6:7]
	v_mov_b32_e32 v6, s10
	s_xor_b64 exec, exec, s[6:7]
	s_cbranch_execnz .LBB1_18136
; %bb.53973:
	s_getpc_b64 s[14:15]
.Lpost_getpc12650:
	s_add_u32 s14, s14, (.LBB1_3798-.Lpost_getpc12650)&4294967295
	s_addc_u32 s15, s15, (.LBB1_3798-.Lpost_getpc12650)>>32
	s_setpc_b64 s[14:15]
.LBB1_18136:
	v_cmp_ne_u16_e32 vcc, 0, v3
	s_andn2_b64 s[4:5], s[4:5], exec
	s_and_b64 s[8:9], vcc, exec
	v_mov_b32_e32 v6, 0
	s_or_b64 s[4:5], s[4:5], s[8:9]
	s_or_b64 exec, exec, s[6:7]
	s_and_saveexec_b64 s[6:7], s[4:5]
	s_cbranch_execz .LBB1_30571
; %bb.53975:
	s_getpc_b64 s[14:15]
.Lpost_getpc12651:
	s_add_u32 s14, s14, (.LBB1_3799-.Lpost_getpc12651)&4294967295
	s_addc_u32 s15, s15, (.LBB1_3799-.Lpost_getpc12651)>>32
	s_setpc_b64 s[14:15]
.LBB1_30571:
	s_getpc_b64 s[14:15]
.Lpost_getpc949:
	s_add_u32 s14, s14, (.LBB1_3800-.Lpost_getpc949)&4294967295
	s_addc_u32 s15, s15, (.LBB1_3800-.Lpost_getpc949)>>32
	s_setpc_b64 s[14:15]
.LBB1_18137:
	s_movk_i32 s4, 0x80
	v_cmp_eq_u16_sdwa s[12:13], v8, s4 src0_sel:BYTE_3 src1_sel:DWORD
	s_mov_b64 s[4:5], -1
                                        ; implicit-def: $sgpr10
	s_and_saveexec_b64 s[8:9], s[12:13]
; %bb.18138:
	s_mov_b32 s10, 0x7f800001
	s_xor_b64 s[4:5], exec, -1
; %bb.18139:
	s_or_b64 exec, exec, s[8:9]
	s_and_b64 s[4:5], s[4:5], exec
	s_or_saveexec_b64 s[6:7], s[6:7]
	v_mov_b32_e32 v2, s10
	s_xor_b64 exec, exec, s[6:7]
	s_cbranch_execnz .LBB1_18140
; %bb.53977:
	s_getpc_b64 s[14:15]
.Lpost_getpc12652:
	s_add_u32 s14, s14, (.LBB1_3802-.Lpost_getpc12652)&4294967295
	s_addc_u32 s15, s15, (.LBB1_3802-.Lpost_getpc12652)>>32
	s_setpc_b64 s[14:15]
.LBB1_18140:
	v_mov_b32_e32 v2, 0
	v_cmp_ne_u16_sdwa s[8:9], v8, v2 src0_sel:BYTE_3 src1_sel:DWORD
	s_andn2_b64 s[4:5], s[4:5], exec
	s_and_b64 s[8:9], s[8:9], exec
	s_or_b64 s[4:5], s[4:5], s[8:9]
	s_or_b64 exec, exec, s[6:7]
	s_and_saveexec_b64 s[6:7], s[4:5]
	s_cbranch_execz .LBB1_30573
; %bb.53979:
	s_getpc_b64 s[14:15]
.Lpost_getpc12653:
	s_add_u32 s14, s14, (.LBB1_3803-.Lpost_getpc12653)&4294967295
	s_addc_u32 s15, s15, (.LBB1_3803-.Lpost_getpc12653)>>32
	s_setpc_b64 s[14:15]
.LBB1_30573:
	s_getpc_b64 s[14:15]
.Lpost_getpc950:
	s_add_u32 s14, s14, (.LBB1_3804-.Lpost_getpc950)&4294967295
	s_addc_u32 s15, s15, (.LBB1_3804-.Lpost_getpc950)>>32
	s_setpc_b64 s[14:15]
.LBB1_18141:
	s_movk_i32 s4, 0x80
	v_cmp_eq_u16_sdwa s[12:13], v4, s4 src0_sel:BYTE_3 src1_sel:DWORD
	s_mov_b64 s[4:5], -1
                                        ; implicit-def: $sgpr10
	s_and_saveexec_b64 s[8:9], s[12:13]
; %bb.18142:
	s_mov_b32 s10, 0x7f800001
	s_xor_b64 s[4:5], exec, -1
; %bb.18143:
	s_or_b64 exec, exec, s[8:9]
	s_and_b64 s[4:5], s[4:5], exec
	s_or_saveexec_b64 s[6:7], s[6:7]
	v_mov_b32_e32 v3, s10
	s_xor_b64 exec, exec, s[6:7]
	s_cbranch_execnz .LBB1_18144
; %bb.53981:
	s_getpc_b64 s[14:15]
.Lpost_getpc12654:
	s_add_u32 s14, s14, (.LBB1_3806-.Lpost_getpc12654)&4294967295
	s_addc_u32 s15, s15, (.LBB1_3806-.Lpost_getpc12654)>>32
	s_setpc_b64 s[14:15]
.LBB1_18144:
	v_mov_b32_e32 v3, 0
	v_cmp_ne_u16_sdwa s[8:9], v4, v3 src0_sel:BYTE_3 src1_sel:DWORD
	s_andn2_b64 s[4:5], s[4:5], exec
	s_and_b64 s[8:9], s[8:9], exec
	s_or_b64 s[4:5], s[4:5], s[8:9]
	s_or_b64 exec, exec, s[6:7]
	s_and_saveexec_b64 s[6:7], s[4:5]
	s_cbranch_execz .LBB1_30575
; %bb.53983:
	s_getpc_b64 s[14:15]
.Lpost_getpc12655:
	s_add_u32 s14, s14, (.LBB1_3807-.Lpost_getpc12655)&4294967295
	s_addc_u32 s15, s15, (.LBB1_3807-.Lpost_getpc12655)>>32
	s_setpc_b64 s[14:15]
.LBB1_30575:
	s_getpc_b64 s[14:15]
.Lpost_getpc951:
	s_add_u32 s14, s14, (.LBB1_3808-.Lpost_getpc951)&4294967295
	s_addc_u32 s15, s15, (.LBB1_3808-.Lpost_getpc951)>>32
	s_setpc_b64 s[14:15]
.LBB1_18145:
	s_movk_i32 s4, 0x80
	v_cmp_eq_u16_sdwa s[12:13], v9, s4 src0_sel:BYTE_0 src1_sel:DWORD
	s_mov_b64 s[4:5], -1
                                        ; implicit-def: $sgpr10
	s_and_saveexec_b64 s[8:9], s[12:13]
; %bb.18146:
	s_mov_b32 s10, 0x7f800001
	s_xor_b64 s[4:5], exec, -1
; %bb.18147:
	s_or_b64 exec, exec, s[8:9]
	s_and_b64 s[4:5], s[4:5], exec
	s_or_saveexec_b64 s[6:7], s[6:7]
	v_mov_b32_e32 v2, s10
	s_xor_b64 exec, exec, s[6:7]
	s_cbranch_execnz .LBB1_18148
; %bb.53985:
	s_getpc_b64 s[14:15]
.Lpost_getpc12656:
	s_add_u32 s14, s14, (.LBB1_3810-.Lpost_getpc12656)&4294967295
	s_addc_u32 s15, s15, (.LBB1_3810-.Lpost_getpc12656)>>32
	s_setpc_b64 s[14:15]
.LBB1_18148:
	v_mov_b32_e32 v2, 0
	v_cmp_ne_u16_sdwa s[8:9], v9, v2 src0_sel:BYTE_0 src1_sel:DWORD
	s_andn2_b64 s[4:5], s[4:5], exec
	s_and_b64 s[8:9], s[8:9], exec
	s_or_b64 s[4:5], s[4:5], s[8:9]
	s_or_b64 exec, exec, s[6:7]
	s_and_saveexec_b64 s[6:7], s[4:5]
	s_cbranch_execz .LBB1_30577
; %bb.53987:
	s_getpc_b64 s[14:15]
.Lpost_getpc12657:
	s_add_u32 s14, s14, (.LBB1_3811-.Lpost_getpc12657)&4294967295
	s_addc_u32 s15, s15, (.LBB1_3811-.Lpost_getpc12657)>>32
	s_setpc_b64 s[14:15]
.LBB1_30577:
	s_getpc_b64 s[14:15]
.Lpost_getpc952:
	s_add_u32 s14, s14, (.LBB1_3812-.Lpost_getpc952)&4294967295
	s_addc_u32 s15, s15, (.LBB1_3812-.Lpost_getpc952)>>32
	s_setpc_b64 s[14:15]
.LBB1_18149:
	s_movk_i32 s4, 0x80
	v_cmp_eq_u16_sdwa s[12:13], v5, s4 src0_sel:BYTE_0 src1_sel:DWORD
	s_mov_b64 s[4:5], -1
                                        ; implicit-def: $sgpr10
	s_and_saveexec_b64 s[8:9], s[12:13]
; %bb.18150:
	s_mov_b32 s10, 0x7f800001
	s_xor_b64 s[4:5], exec, -1
; %bb.18151:
	s_or_b64 exec, exec, s[8:9]
	s_and_b64 s[4:5], s[4:5], exec
	s_or_saveexec_b64 s[6:7], s[6:7]
	v_mov_b32_e32 v3, s10
	s_xor_b64 exec, exec, s[6:7]
	s_cbranch_execnz .LBB1_18152
; %bb.53989:
	s_getpc_b64 s[14:15]
.Lpost_getpc12658:
	s_add_u32 s14, s14, (.LBB1_3814-.Lpost_getpc12658)&4294967295
	s_addc_u32 s15, s15, (.LBB1_3814-.Lpost_getpc12658)>>32
	s_setpc_b64 s[14:15]
.LBB1_18152:
	v_mov_b32_e32 v3, 0
	v_cmp_ne_u16_sdwa s[8:9], v5, v3 src0_sel:BYTE_0 src1_sel:DWORD
	s_andn2_b64 s[4:5], s[4:5], exec
	s_and_b64 s[8:9], s[8:9], exec
	s_or_b64 s[4:5], s[4:5], s[8:9]
	s_or_b64 exec, exec, s[6:7]
	s_and_saveexec_b64 s[6:7], s[4:5]
	s_cbranch_execz .LBB1_30579
; %bb.53991:
	s_getpc_b64 s[14:15]
.Lpost_getpc12659:
	s_add_u32 s14, s14, (.LBB1_3815-.Lpost_getpc12659)&4294967295
	s_addc_u32 s15, s15, (.LBB1_3815-.Lpost_getpc12659)>>32
	s_setpc_b64 s[14:15]
.LBB1_30579:
	s_getpc_b64 s[14:15]
.Lpost_getpc953:
	s_add_u32 s14, s14, (.LBB1_3816-.Lpost_getpc953)&4294967295
	s_addc_u32 s15, s15, (.LBB1_3816-.Lpost_getpc953)>>32
	s_setpc_b64 s[14:15]
.LBB1_18153:
	s_movk_i32 s4, 0x80
	v_cmp_eq_u16_sdwa s[12:13], v3, s4 src0_sel:BYTE_0 src1_sel:DWORD
	s_mov_b64 s[4:5], -1
                                        ; implicit-def: $sgpr10
	s_and_saveexec_b64 s[8:9], s[12:13]
; %bb.18154:
	s_mov_b32 s10, 0x7f800001
	s_xor_b64 s[4:5], exec, -1
; %bb.18155:
	s_or_b64 exec, exec, s[8:9]
	s_and_b64 s[4:5], s[4:5], exec
	s_or_saveexec_b64 s[6:7], s[6:7]
	v_mov_b32_e32 v2, s10
	s_xor_b64 exec, exec, s[6:7]
	s_cbranch_execnz .LBB1_18156
; %bb.53993:
	s_getpc_b64 s[14:15]
.Lpost_getpc12660:
	s_add_u32 s14, s14, (.LBB1_3818-.Lpost_getpc12660)&4294967295
	s_addc_u32 s15, s15, (.LBB1_3818-.Lpost_getpc12660)>>32
	s_setpc_b64 s[14:15]
.LBB1_18156:
	v_mov_b32_e32 v2, 0
	v_cmp_ne_u16_sdwa s[8:9], v3, v2 src0_sel:BYTE_0 src1_sel:DWORD
	s_andn2_b64 s[4:5], s[4:5], exec
	s_and_b64 s[8:9], s[8:9], exec
	s_or_b64 s[4:5], s[4:5], s[8:9]
	s_or_b64 exec, exec, s[6:7]
	s_and_saveexec_b64 s[6:7], s[4:5]
	s_cbranch_execz .LBB1_30581
; %bb.53995:
	s_getpc_b64 s[14:15]
.Lpost_getpc12661:
	s_add_u32 s14, s14, (.LBB1_3819-.Lpost_getpc12661)&4294967295
	s_addc_u32 s15, s15, (.LBB1_3819-.Lpost_getpc12661)>>32
	s_setpc_b64 s[14:15]
.LBB1_30581:
	s_getpc_b64 s[14:15]
.Lpost_getpc954:
	s_add_u32 s14, s14, (.LBB1_3820-.Lpost_getpc954)&4294967295
	s_addc_u32 s15, s15, (.LBB1_3820-.Lpost_getpc954)>>32
	s_setpc_b64 s[14:15]
.LBB1_18157:
	s_movk_i32 s4, 0x80
	v_cmp_eq_u16_sdwa s[12:13], v3, s4 src0_sel:BYTE_0 src1_sel:DWORD
	s_mov_b64 s[4:5], -1
                                        ; implicit-def: $sgpr10
	s_and_saveexec_b64 s[8:9], s[12:13]
; %bb.18158:
	s_mov_b32 s10, 0x7f800001
	s_xor_b64 s[4:5], exec, -1
; %bb.18159:
	s_or_b64 exec, exec, s[8:9]
	s_and_b64 s[4:5], s[4:5], exec
	s_or_saveexec_b64 s[6:7], s[6:7]
	v_mov_b32_e32 v4, s10
	s_xor_b64 exec, exec, s[6:7]
	s_cbranch_execnz .LBB1_18160
; %bb.53997:
	s_getpc_b64 s[14:15]
.Lpost_getpc12662:
	s_add_u32 s14, s14, (.LBB1_3822-.Lpost_getpc12662)&4294967295
	s_addc_u32 s15, s15, (.LBB1_3822-.Lpost_getpc12662)>>32
	s_setpc_b64 s[14:15]
.LBB1_18160:
	v_mov_b32_e32 v4, 0
	v_cmp_ne_u16_sdwa s[8:9], v3, v4 src0_sel:BYTE_0 src1_sel:DWORD
	s_andn2_b64 s[4:5], s[4:5], exec
	s_and_b64 s[8:9], s[8:9], exec
	s_or_b64 s[4:5], s[4:5], s[8:9]
	s_or_b64 exec, exec, s[6:7]
	s_and_saveexec_b64 s[6:7], s[4:5]
	s_cbranch_execz .LBB1_30583
; %bb.53999:
	s_getpc_b64 s[14:15]
.Lpost_getpc12663:
	s_add_u32 s14, s14, (.LBB1_3823-.Lpost_getpc12663)&4294967295
	s_addc_u32 s15, s15, (.LBB1_3823-.Lpost_getpc12663)>>32
	s_setpc_b64 s[14:15]
.LBB1_30583:
	s_getpc_b64 s[14:15]
.Lpost_getpc955:
	s_add_u32 s14, s14, (.LBB1_3824-.Lpost_getpc955)&4294967295
	s_addc_u32 s15, s15, (.LBB1_3824-.Lpost_getpc955)>>32
	s_setpc_b64 s[14:15]
.LBB1_18161:
	s_movk_i32 s4, 0x80
	v_cmp_eq_u16_e32 vcc, s4, v3
	s_mov_b64 s[4:5], -1
                                        ; implicit-def: $sgpr10
	s_and_saveexec_b64 s[8:9], vcc
; %bb.18162:
	s_mov_b32 s10, 0x7f800001
	s_xor_b64 s[4:5], exec, -1
; %bb.18163:
	s_or_b64 exec, exec, s[8:9]
	s_and_b64 s[4:5], s[4:5], exec
                                        ; implicit-def: $vgpr3
	s_or_saveexec_b64 s[6:7], s[6:7]
	v_mov_b32_e32 v2, s10
	s_xor_b64 exec, exec, s[6:7]
	s_cbranch_execnz .LBB1_18164
; %bb.54001:
	s_getpc_b64 s[14:15]
.Lpost_getpc12664:
	s_add_u32 s14, s14, (.LBB1_3826-.Lpost_getpc12664)&4294967295
	s_addc_u32 s15, s15, (.LBB1_3826-.Lpost_getpc12664)>>32
	s_setpc_b64 s[14:15]
.LBB1_18164:
	v_cmp_ne_u16_e32 vcc, 0, v3
	s_andn2_b64 s[4:5], s[4:5], exec
	s_and_b64 s[8:9], vcc, exec
	v_mov_b32_e32 v2, 0
	s_or_b64 s[4:5], s[4:5], s[8:9]
	s_or_b64 exec, exec, s[6:7]
	s_and_saveexec_b64 s[6:7], s[4:5]
	s_cbranch_execz .LBB1_30585
; %bb.54003:
	s_getpc_b64 s[14:15]
.Lpost_getpc12665:
	s_add_u32 s14, s14, (.LBB1_3827-.Lpost_getpc12665)&4294967295
	s_addc_u32 s15, s15, (.LBB1_3827-.Lpost_getpc12665)>>32
	s_setpc_b64 s[14:15]
.LBB1_30585:
	s_getpc_b64 s[14:15]
.Lpost_getpc956:
	s_add_u32 s14, s14, (.LBB1_3828-.Lpost_getpc956)&4294967295
	s_addc_u32 s15, s15, (.LBB1_3828-.Lpost_getpc956)>>32
	s_setpc_b64 s[14:15]
.LBB1_18165:
	s_movk_i32 s4, 0x80
	v_cmp_eq_u16_e32 vcc, s4, v3
	s_mov_b64 s[4:5], -1
                                        ; implicit-def: $sgpr10
	s_and_saveexec_b64 s[8:9], vcc
; %bb.18166:
	s_mov_b32 s10, 0x7f800001
	s_xor_b64 s[4:5], exec, -1
; %bb.18167:
	s_or_b64 exec, exec, s[8:9]
	s_and_b64 s[4:5], s[4:5], exec
                                        ; implicit-def: $vgpr3
	s_or_saveexec_b64 s[6:7], s[6:7]
	v_mov_b32_e32 v4, s10
	s_xor_b64 exec, exec, s[6:7]
	s_cbranch_execnz .LBB1_18168
; %bb.54005:
	s_getpc_b64 s[14:15]
.Lpost_getpc12666:
	s_add_u32 s14, s14, (.LBB1_3830-.Lpost_getpc12666)&4294967295
	s_addc_u32 s15, s15, (.LBB1_3830-.Lpost_getpc12666)>>32
	s_setpc_b64 s[14:15]
.LBB1_18168:
	v_cmp_ne_u16_e32 vcc, 0, v3
	s_andn2_b64 s[4:5], s[4:5], exec
	s_and_b64 s[8:9], vcc, exec
	v_mov_b32_e32 v4, 0
	s_or_b64 s[4:5], s[4:5], s[8:9]
	s_or_b64 exec, exec, s[6:7]
	s_and_saveexec_b64 s[6:7], s[4:5]
	s_cbranch_execz .LBB1_30587
; %bb.54007:
	s_getpc_b64 s[14:15]
.Lpost_getpc12667:
	s_add_u32 s14, s14, (.LBB1_3831-.Lpost_getpc12667)&4294967295
	s_addc_u32 s15, s15, (.LBB1_3831-.Lpost_getpc12667)>>32
	s_setpc_b64 s[14:15]
.LBB1_30587:
	s_getpc_b64 s[14:15]
.Lpost_getpc957:
	s_add_u32 s14, s14, (.LBB1_3832-.Lpost_getpc957)&4294967295
	s_addc_u32 s15, s15, (.LBB1_3832-.Lpost_getpc957)>>32
	s_setpc_b64 s[14:15]
.LBB1_18169:
	s_movk_i32 s4, 0x80
	v_cmp_eq_u16_sdwa s[12:13], v9, s4 src0_sel:BYTE_3 src1_sel:DWORD
	s_mov_b64 s[4:5], -1
                                        ; implicit-def: $sgpr10
	s_and_saveexec_b64 s[8:9], s[12:13]
; %bb.18170:
	s_mov_b32 s10, 0x7f800001
	s_xor_b64 s[4:5], exec, -1
; %bb.18171:
	s_or_b64 exec, exec, s[8:9]
	s_and_b64 s[4:5], s[4:5], exec
	s_or_saveexec_b64 s[6:7], s[6:7]
	v_mov_b32_e32 v2, s10
	s_xor_b64 exec, exec, s[6:7]
	s_cbranch_execnz .LBB1_18172
; %bb.54009:
	s_getpc_b64 s[14:15]
.Lpost_getpc12668:
	s_add_u32 s14, s14, (.LBB1_3834-.Lpost_getpc12668)&4294967295
	s_addc_u32 s15, s15, (.LBB1_3834-.Lpost_getpc12668)>>32
	s_setpc_b64 s[14:15]
.LBB1_18172:
	v_mov_b32_e32 v2, 0
	v_cmp_ne_u16_sdwa s[8:9], v9, v2 src0_sel:BYTE_3 src1_sel:DWORD
	s_andn2_b64 s[4:5], s[4:5], exec
	s_and_b64 s[8:9], s[8:9], exec
	s_or_b64 s[4:5], s[4:5], s[8:9]
	s_or_b64 exec, exec, s[6:7]
	s_and_saveexec_b64 s[6:7], s[4:5]
	s_cbranch_execz .LBB1_30589
; %bb.54011:
	s_getpc_b64 s[14:15]
.Lpost_getpc12669:
	s_add_u32 s14, s14, (.LBB1_3835-.Lpost_getpc12669)&4294967295
	s_addc_u32 s15, s15, (.LBB1_3835-.Lpost_getpc12669)>>32
	s_setpc_b64 s[14:15]
.LBB1_30589:
	s_getpc_b64 s[14:15]
.Lpost_getpc958:
	s_add_u32 s14, s14, (.LBB1_3836-.Lpost_getpc958)&4294967295
	s_addc_u32 s15, s15, (.LBB1_3836-.Lpost_getpc958)>>32
	s_setpc_b64 s[14:15]
.LBB1_18173:
	s_movk_i32 s4, 0x80
	v_cmp_eq_u16_sdwa s[12:13], v5, s4 src0_sel:BYTE_3 src1_sel:DWORD
	s_mov_b64 s[4:5], -1
                                        ; implicit-def: $sgpr10
	s_and_saveexec_b64 s[8:9], s[12:13]
; %bb.18174:
	s_mov_b32 s10, 0x7f800001
	s_xor_b64 s[4:5], exec, -1
; %bb.18175:
	s_or_b64 exec, exec, s[8:9]
	s_and_b64 s[4:5], s[4:5], exec
	s_or_saveexec_b64 s[6:7], s[6:7]
	v_mov_b32_e32 v3, s10
	s_xor_b64 exec, exec, s[6:7]
	s_cbranch_execnz .LBB1_18176
; %bb.54013:
	s_getpc_b64 s[14:15]
.Lpost_getpc12670:
	s_add_u32 s14, s14, (.LBB1_3838-.Lpost_getpc12670)&4294967295
	s_addc_u32 s15, s15, (.LBB1_3838-.Lpost_getpc12670)>>32
	s_setpc_b64 s[14:15]
.LBB1_18176:
	v_mov_b32_e32 v3, 0
	v_cmp_ne_u16_sdwa s[8:9], v5, v3 src0_sel:BYTE_3 src1_sel:DWORD
	s_andn2_b64 s[4:5], s[4:5], exec
	s_and_b64 s[8:9], s[8:9], exec
	s_or_b64 s[4:5], s[4:5], s[8:9]
	s_or_b64 exec, exec, s[6:7]
	s_and_saveexec_b64 s[6:7], s[4:5]
	s_cbranch_execz .LBB1_30591
; %bb.54015:
	s_getpc_b64 s[14:15]
.Lpost_getpc12671:
	s_add_u32 s14, s14, (.LBB1_3839-.Lpost_getpc12671)&4294967295
	s_addc_u32 s15, s15, (.LBB1_3839-.Lpost_getpc12671)>>32
	s_setpc_b64 s[14:15]
.LBB1_30591:
	s_getpc_b64 s[14:15]
.Lpost_getpc959:
	s_add_u32 s14, s14, (.LBB1_3840-.Lpost_getpc959)&4294967295
	s_addc_u32 s15, s15, (.LBB1_3840-.Lpost_getpc959)>>32
	s_setpc_b64 s[14:15]
.LBB1_18177:
	s_movk_i32 s4, 0x80
	v_cmp_eq_u16_sdwa s[12:13], v6, s4 src0_sel:BYTE_0 src1_sel:DWORD
	s_mov_b64 s[4:5], -1
                                        ; implicit-def: $sgpr10
	s_and_saveexec_b64 s[8:9], s[12:13]
; %bb.18178:
	s_mov_b32 s10, 0x7f800001
	s_xor_b64 s[4:5], exec, -1
; %bb.18179:
	s_or_b64 exec, exec, s[8:9]
	s_and_b64 s[4:5], s[4:5], exec
	s_or_saveexec_b64 s[6:7], s[6:7]
	v_mov_b32_e32 v12, s10
	s_xor_b64 exec, exec, s[6:7]
	s_cbranch_execnz .LBB1_18180
; %bb.54017:
	s_getpc_b64 s[14:15]
.Lpost_getpc12672:
	s_add_u32 s14, s14, (.LBB1_3842-.Lpost_getpc12672)&4294967295
	s_addc_u32 s15, s15, (.LBB1_3842-.Lpost_getpc12672)>>32
	s_setpc_b64 s[14:15]
.LBB1_18180:
	v_mov_b32_e32 v12, 0
	v_cmp_ne_u16_sdwa s[8:9], v6, v12 src0_sel:BYTE_0 src1_sel:DWORD
	s_andn2_b64 s[4:5], s[4:5], exec
	s_and_b64 s[8:9], s[8:9], exec
	s_or_b64 s[4:5], s[4:5], s[8:9]
	s_or_b64 exec, exec, s[6:7]
	s_and_saveexec_b64 s[6:7], s[4:5]
	s_cbranch_execz .LBB1_30593
; %bb.54019:
	s_getpc_b64 s[14:15]
.Lpost_getpc12673:
	s_add_u32 s14, s14, (.LBB1_3843-.Lpost_getpc12673)&4294967295
	s_addc_u32 s15, s15, (.LBB1_3843-.Lpost_getpc12673)>>32
	s_setpc_b64 s[14:15]
.LBB1_30593:
	s_getpc_b64 s[14:15]
.Lpost_getpc960:
	s_add_u32 s14, s14, (.LBB1_3844-.Lpost_getpc960)&4294967295
	s_addc_u32 s15, s15, (.LBB1_3844-.Lpost_getpc960)>>32
	s_setpc_b64 s[14:15]
.LBB1_18181:
	s_movk_i32 s4, 0x80
	v_cmp_eq_u16_sdwa s[12:13], v2, s4 src0_sel:BYTE_0 src1_sel:DWORD
	s_mov_b64 s[4:5], -1
                                        ; implicit-def: $sgpr10
	s_and_saveexec_b64 s[8:9], s[12:13]
; %bb.18182:
	s_mov_b32 s10, 0x7f800001
	s_xor_b64 s[4:5], exec, -1
; %bb.18183:
	s_or_b64 exec, exec, s[8:9]
	s_and_b64 s[4:5], s[4:5], exec
	s_or_saveexec_b64 s[6:7], s[6:7]
	v_mov_b32_e32 v13, s10
	s_xor_b64 exec, exec, s[6:7]
	s_cbranch_execnz .LBB1_18184
; %bb.54021:
	s_getpc_b64 s[14:15]
.Lpost_getpc12674:
	s_add_u32 s14, s14, (.LBB1_3846-.Lpost_getpc12674)&4294967295
	s_addc_u32 s15, s15, (.LBB1_3846-.Lpost_getpc12674)>>32
	s_setpc_b64 s[14:15]
.LBB1_18184:
	v_mov_b32_e32 v13, 0
	v_cmp_ne_u16_sdwa s[8:9], v2, v13 src0_sel:BYTE_0 src1_sel:DWORD
	s_andn2_b64 s[4:5], s[4:5], exec
	s_and_b64 s[8:9], s[8:9], exec
	s_or_b64 s[4:5], s[4:5], s[8:9]
	s_or_b64 exec, exec, s[6:7]
	s_and_saveexec_b64 s[6:7], s[4:5]
	s_cbranch_execz .LBB1_30595
; %bb.54023:
	s_getpc_b64 s[14:15]
.Lpost_getpc12675:
	s_add_u32 s14, s14, (.LBB1_3847-.Lpost_getpc12675)&4294967295
	s_addc_u32 s15, s15, (.LBB1_3847-.Lpost_getpc12675)>>32
	s_setpc_b64 s[14:15]
.LBB1_30595:
	s_getpc_b64 s[14:15]
.Lpost_getpc961:
	s_add_u32 s14, s14, (.LBB1_3848-.Lpost_getpc961)&4294967295
	s_addc_u32 s15, s15, (.LBB1_3848-.Lpost_getpc961)>>32
	s_setpc_b64 s[14:15]
.LBB1_18185:
	s_movk_i32 s4, 0x80
	v_cmp_eq_u16_sdwa s[12:13], v13, s4 src0_sel:BYTE_0 src1_sel:DWORD
	s_mov_b64 s[4:5], -1
                                        ; implicit-def: $sgpr10
	s_and_saveexec_b64 s[8:9], s[12:13]
; %bb.18186:
	s_mov_b32 s10, 0x7f800001
	s_xor_b64 s[4:5], exec, -1
; %bb.18187:
	s_or_b64 exec, exec, s[8:9]
	s_and_b64 s[4:5], s[4:5], exec
	s_or_saveexec_b64 s[6:7], s[6:7]
	v_mov_b32_e32 v12, s10
	s_xor_b64 exec, exec, s[6:7]
	s_cbranch_execnz .LBB1_18188
; %bb.54025:
	s_getpc_b64 s[14:15]
.Lpost_getpc12676:
	s_add_u32 s14, s14, (.LBB1_3850-.Lpost_getpc12676)&4294967295
	s_addc_u32 s15, s15, (.LBB1_3850-.Lpost_getpc12676)>>32
	s_setpc_b64 s[14:15]
.LBB1_18188:
	v_mov_b32_e32 v12, 0
	v_cmp_ne_u16_sdwa s[8:9], v13, v12 src0_sel:BYTE_0 src1_sel:DWORD
	s_andn2_b64 s[4:5], s[4:5], exec
	s_and_b64 s[8:9], s[8:9], exec
	s_or_b64 s[4:5], s[4:5], s[8:9]
	s_or_b64 exec, exec, s[6:7]
	s_and_saveexec_b64 s[6:7], s[4:5]
	s_cbranch_execz .LBB1_30597
; %bb.54027:
	s_getpc_b64 s[14:15]
.Lpost_getpc12677:
	s_add_u32 s14, s14, (.LBB1_3851-.Lpost_getpc12677)&4294967295
	s_addc_u32 s15, s15, (.LBB1_3851-.Lpost_getpc12677)>>32
	s_setpc_b64 s[14:15]
.LBB1_30597:
	s_getpc_b64 s[14:15]
.Lpost_getpc962:
	s_add_u32 s14, s14, (.LBB1_3852-.Lpost_getpc962)&4294967295
	s_addc_u32 s15, s15, (.LBB1_3852-.Lpost_getpc962)>>32
	s_setpc_b64 s[14:15]
.LBB1_18189:
	s_movk_i32 s4, 0x80
	v_cmp_eq_u16_sdwa s[12:13], v13, s4 src0_sel:BYTE_0 src1_sel:DWORD
	s_mov_b64 s[4:5], -1
                                        ; implicit-def: $sgpr10
	s_and_saveexec_b64 s[8:9], s[12:13]
; %bb.18190:
	s_mov_b32 s10, 0x7f800001
	s_xor_b64 s[4:5], exec, -1
; %bb.18191:
	s_or_b64 exec, exec, s[8:9]
	s_and_b64 s[4:5], s[4:5], exec
	s_or_saveexec_b64 s[6:7], s[6:7]
	v_mov_b32_e32 v14, s10
	s_xor_b64 exec, exec, s[6:7]
	s_cbranch_execnz .LBB1_18192
; %bb.54029:
	s_getpc_b64 s[14:15]
.Lpost_getpc12678:
	s_add_u32 s14, s14, (.LBB1_3854-.Lpost_getpc12678)&4294967295
	s_addc_u32 s15, s15, (.LBB1_3854-.Lpost_getpc12678)>>32
	s_setpc_b64 s[14:15]
.LBB1_18192:
	v_mov_b32_e32 v14, 0
	v_cmp_ne_u16_sdwa s[8:9], v13, v14 src0_sel:BYTE_0 src1_sel:DWORD
	s_andn2_b64 s[4:5], s[4:5], exec
	s_and_b64 s[8:9], s[8:9], exec
	s_or_b64 s[4:5], s[4:5], s[8:9]
	s_or_b64 exec, exec, s[6:7]
	s_and_saveexec_b64 s[6:7], s[4:5]
	s_cbranch_execz .LBB1_30599
; %bb.54031:
	s_getpc_b64 s[14:15]
.Lpost_getpc12679:
	s_add_u32 s14, s14, (.LBB1_3855-.Lpost_getpc12679)&4294967295
	s_addc_u32 s15, s15, (.LBB1_3855-.Lpost_getpc12679)>>32
	s_setpc_b64 s[14:15]
.LBB1_30599:
	s_getpc_b64 s[14:15]
.Lpost_getpc963:
	s_add_u32 s14, s14, (.LBB1_3856-.Lpost_getpc963)&4294967295
	s_addc_u32 s15, s15, (.LBB1_3856-.Lpost_getpc963)>>32
	s_setpc_b64 s[14:15]
.LBB1_18193:
	s_movk_i32 s4, 0x80
	v_cmp_eq_u16_e32 vcc, s4, v13
	s_mov_b64 s[4:5], -1
                                        ; implicit-def: $sgpr10
	s_and_saveexec_b64 s[8:9], vcc
; %bb.18194:
	s_mov_b32 s10, 0x7f800001
	s_xor_b64 s[4:5], exec, -1
; %bb.18195:
	s_or_b64 exec, exec, s[8:9]
	s_and_b64 s[4:5], s[4:5], exec
                                        ; implicit-def: $vgpr13
	s_or_saveexec_b64 s[6:7], s[6:7]
	v_mov_b32_e32 v12, s10
	s_xor_b64 exec, exec, s[6:7]
	s_cbranch_execnz .LBB1_18196
; %bb.54033:
	s_getpc_b64 s[14:15]
.Lpost_getpc12680:
	s_add_u32 s14, s14, (.LBB1_3858-.Lpost_getpc12680)&4294967295
	s_addc_u32 s15, s15, (.LBB1_3858-.Lpost_getpc12680)>>32
	s_setpc_b64 s[14:15]
.LBB1_18196:
	v_cmp_ne_u16_e32 vcc, 0, v13
	s_andn2_b64 s[4:5], s[4:5], exec
	s_and_b64 s[8:9], vcc, exec
	v_mov_b32_e32 v12, 0
	s_or_b64 s[4:5], s[4:5], s[8:9]
	s_or_b64 exec, exec, s[6:7]
	s_and_saveexec_b64 s[6:7], s[4:5]
	s_cbranch_execz .LBB1_30601
; %bb.54035:
	s_getpc_b64 s[14:15]
.Lpost_getpc12681:
	s_add_u32 s14, s14, (.LBB1_3859-.Lpost_getpc12681)&4294967295
	s_addc_u32 s15, s15, (.LBB1_3859-.Lpost_getpc12681)>>32
	s_setpc_b64 s[14:15]
.LBB1_30601:
	s_getpc_b64 s[14:15]
.Lpost_getpc964:
	s_add_u32 s14, s14, (.LBB1_3860-.Lpost_getpc964)&4294967295
	s_addc_u32 s15, s15, (.LBB1_3860-.Lpost_getpc964)>>32
	s_setpc_b64 s[14:15]
.LBB1_18197:
	s_movk_i32 s4, 0x80
	v_cmp_eq_u16_e32 vcc, s4, v13
	s_mov_b64 s[4:5], -1
                                        ; implicit-def: $sgpr10
	s_and_saveexec_b64 s[8:9], vcc
; %bb.18198:
	s_mov_b32 s10, 0x7f800001
	s_xor_b64 s[4:5], exec, -1
; %bb.18199:
	s_or_b64 exec, exec, s[8:9]
	s_and_b64 s[4:5], s[4:5], exec
                                        ; implicit-def: $vgpr13
	s_or_saveexec_b64 s[6:7], s[6:7]
	v_mov_b32_e32 v14, s10
	s_xor_b64 exec, exec, s[6:7]
	s_cbranch_execnz .LBB1_18200
; %bb.54037:
	s_getpc_b64 s[14:15]
.Lpost_getpc12682:
	s_add_u32 s14, s14, (.LBB1_3862-.Lpost_getpc12682)&4294967295
	s_addc_u32 s15, s15, (.LBB1_3862-.Lpost_getpc12682)>>32
	s_setpc_b64 s[14:15]
.LBB1_18200:
	v_cmp_ne_u16_e32 vcc, 0, v13
	s_andn2_b64 s[4:5], s[4:5], exec
	s_and_b64 s[8:9], vcc, exec
	v_mov_b32_e32 v14, 0
	s_or_b64 s[4:5], s[4:5], s[8:9]
	s_or_b64 exec, exec, s[6:7]
	s_and_saveexec_b64 s[6:7], s[4:5]
	s_cbranch_execz .LBB1_30603
; %bb.54039:
	s_getpc_b64 s[14:15]
.Lpost_getpc12683:
	s_add_u32 s14, s14, (.LBB1_3863-.Lpost_getpc12683)&4294967295
	s_addc_u32 s15, s15, (.LBB1_3863-.Lpost_getpc12683)>>32
	s_setpc_b64 s[14:15]
.LBB1_30603:
	s_getpc_b64 s[14:15]
.Lpost_getpc965:
	s_add_u32 s14, s14, (.LBB1_3864-.Lpost_getpc965)&4294967295
	s_addc_u32 s15, s15, (.LBB1_3864-.Lpost_getpc965)>>32
	s_setpc_b64 s[14:15]
.LBB1_18201:
	s_movk_i32 s4, 0x80
	v_cmp_eq_u16_sdwa s[12:13], v6, s4 src0_sel:BYTE_3 src1_sel:DWORD
	s_mov_b64 s[4:5], -1
                                        ; implicit-def: $sgpr10
	s_and_saveexec_b64 s[8:9], s[12:13]
; %bb.18202:
	s_mov_b32 s10, 0x7f800001
	s_xor_b64 s[4:5], exec, -1
; %bb.18203:
	s_or_b64 exec, exec, s[8:9]
	s_and_b64 s[4:5], s[4:5], exec
	s_or_saveexec_b64 s[6:7], s[6:7]
	v_mov_b32_e32 v12, s10
	s_xor_b64 exec, exec, s[6:7]
	s_cbranch_execnz .LBB1_18204
; %bb.54041:
	s_getpc_b64 s[14:15]
.Lpost_getpc12684:
	s_add_u32 s14, s14, (.LBB1_3866-.Lpost_getpc12684)&4294967295
	s_addc_u32 s15, s15, (.LBB1_3866-.Lpost_getpc12684)>>32
	s_setpc_b64 s[14:15]
.LBB1_18204:
	v_mov_b32_e32 v12, 0
	v_cmp_ne_u16_sdwa s[8:9], v6, v12 src0_sel:BYTE_3 src1_sel:DWORD
	s_andn2_b64 s[4:5], s[4:5], exec
	s_and_b64 s[8:9], s[8:9], exec
	s_or_b64 s[4:5], s[4:5], s[8:9]
	s_or_b64 exec, exec, s[6:7]
	s_and_saveexec_b64 s[6:7], s[4:5]
	s_cbranch_execz .LBB1_30605
; %bb.54043:
	s_getpc_b64 s[14:15]
.Lpost_getpc12685:
	s_add_u32 s14, s14, (.LBB1_3867-.Lpost_getpc12685)&4294967295
	s_addc_u32 s15, s15, (.LBB1_3867-.Lpost_getpc12685)>>32
	s_setpc_b64 s[14:15]
.LBB1_30605:
	s_getpc_b64 s[14:15]
.Lpost_getpc966:
	s_add_u32 s14, s14, (.LBB1_3868-.Lpost_getpc966)&4294967295
	s_addc_u32 s15, s15, (.LBB1_3868-.Lpost_getpc966)>>32
	s_setpc_b64 s[14:15]
.LBB1_18205:
	s_movk_i32 s4, 0x80
	v_cmp_eq_u16_sdwa s[12:13], v2, s4 src0_sel:BYTE_3 src1_sel:DWORD
	s_mov_b64 s[4:5], -1
                                        ; implicit-def: $sgpr10
	s_and_saveexec_b64 s[8:9], s[12:13]
; %bb.18206:
	s_mov_b32 s10, 0x7f800001
	s_xor_b64 s[4:5], exec, -1
; %bb.18207:
	s_or_b64 exec, exec, s[8:9]
	s_and_b64 s[4:5], s[4:5], exec
	s_or_saveexec_b64 s[6:7], s[6:7]
	v_mov_b32_e32 v6, s10
	s_xor_b64 exec, exec, s[6:7]
	s_cbranch_execnz .LBB1_18208
; %bb.54045:
	s_getpc_b64 s[14:15]
.Lpost_getpc12686:
	s_add_u32 s14, s14, (.LBB1_3870-.Lpost_getpc12686)&4294967295
	s_addc_u32 s15, s15, (.LBB1_3870-.Lpost_getpc12686)>>32
	s_setpc_b64 s[14:15]
.LBB1_18208:
	v_mov_b32_e32 v6, 0
	v_cmp_ne_u16_sdwa s[8:9], v2, v6 src0_sel:BYTE_3 src1_sel:DWORD
	s_andn2_b64 s[4:5], s[4:5], exec
	s_and_b64 s[8:9], s[8:9], exec
	s_or_b64 s[4:5], s[4:5], s[8:9]
	s_or_b64 exec, exec, s[6:7]
	s_and_saveexec_b64 s[6:7], s[4:5]
	s_cbranch_execz .LBB1_30607
; %bb.54047:
	s_getpc_b64 s[14:15]
.Lpost_getpc12687:
	s_add_u32 s14, s14, (.LBB1_3871-.Lpost_getpc12687)&4294967295
	s_addc_u32 s15, s15, (.LBB1_3871-.Lpost_getpc12687)>>32
	s_setpc_b64 s[14:15]
.LBB1_30607:
	s_getpc_b64 s[14:15]
.Lpost_getpc967:
	s_add_u32 s14, s14, (.LBB1_3872-.Lpost_getpc967)&4294967295
	s_addc_u32 s15, s15, (.LBB1_3872-.Lpost_getpc967)>>32
	s_setpc_b64 s[14:15]
.LBB1_18209:
	s_movk_i32 s4, 0x80
	v_cmp_eq_u16_sdwa s[12:13], v7, s4 src0_sel:BYTE_0 src1_sel:DWORD
	s_mov_b64 s[4:5], -1
                                        ; implicit-def: $sgpr10
	s_and_saveexec_b64 s[8:9], s[12:13]
; %bb.18210:
	s_mov_b32 s10, 0x7f800001
	s_xor_b64 s[4:5], exec, -1
; %bb.18211:
	s_or_b64 exec, exec, s[8:9]
	s_and_b64 s[4:5], s[4:5], exec
	s_or_saveexec_b64 s[6:7], s[6:7]
	v_mov_b32_e32 v2, s10
	s_xor_b64 exec, exec, s[6:7]
	s_cbranch_execnz .LBB1_18212
; %bb.54049:
	s_getpc_b64 s[14:15]
.Lpost_getpc12688:
	s_add_u32 s14, s14, (.LBB1_3874-.Lpost_getpc12688)&4294967295
	s_addc_u32 s15, s15, (.LBB1_3874-.Lpost_getpc12688)>>32
	s_setpc_b64 s[14:15]
.LBB1_18212:
	v_mov_b32_e32 v2, 0
	v_cmp_ne_u16_sdwa s[8:9], v7, v2 src0_sel:BYTE_0 src1_sel:DWORD
	s_andn2_b64 s[4:5], s[4:5], exec
	s_and_b64 s[8:9], s[8:9], exec
	s_or_b64 s[4:5], s[4:5], s[8:9]
	s_or_b64 exec, exec, s[6:7]
	s_and_saveexec_b64 s[6:7], s[4:5]
	s_cbranch_execz .LBB1_30609
; %bb.54051:
	s_getpc_b64 s[14:15]
.Lpost_getpc12689:
	s_add_u32 s14, s14, (.LBB1_3875-.Lpost_getpc12689)&4294967295
	s_addc_u32 s15, s15, (.LBB1_3875-.Lpost_getpc12689)>>32
	s_setpc_b64 s[14:15]
.LBB1_30609:
	s_getpc_b64 s[14:15]
.Lpost_getpc968:
	s_add_u32 s14, s14, (.LBB1_3876-.Lpost_getpc968)&4294967295
	s_addc_u32 s15, s15, (.LBB1_3876-.Lpost_getpc968)>>32
	s_setpc_b64 s[14:15]
.LBB1_18213:
	s_movk_i32 s4, 0x80
	v_cmp_eq_u16_sdwa s[12:13], v3, s4 src0_sel:BYTE_0 src1_sel:DWORD
	s_mov_b64 s[4:5], -1
                                        ; implicit-def: $sgpr10
	s_and_saveexec_b64 s[8:9], s[12:13]
; %bb.18214:
	s_mov_b32 s10, 0x7f800001
	s_xor_b64 s[4:5], exec, -1
; %bb.18215:
	s_or_b64 exec, exec, s[8:9]
	s_and_b64 s[4:5], s[4:5], exec
	s_or_saveexec_b64 s[6:7], s[6:7]
	v_mov_b32_e32 v6, s10
	s_xor_b64 exec, exec, s[6:7]
	s_cbranch_execnz .LBB1_18216
; %bb.54053:
	s_getpc_b64 s[14:15]
.Lpost_getpc12690:
	s_add_u32 s14, s14, (.LBB1_3878-.Lpost_getpc12690)&4294967295
	s_addc_u32 s15, s15, (.LBB1_3878-.Lpost_getpc12690)>>32
	s_setpc_b64 s[14:15]
.LBB1_18216:
	v_mov_b32_e32 v6, 0
	v_cmp_ne_u16_sdwa s[8:9], v3, v6 src0_sel:BYTE_0 src1_sel:DWORD
	s_andn2_b64 s[4:5], s[4:5], exec
	s_and_b64 s[8:9], s[8:9], exec
	s_or_b64 s[4:5], s[4:5], s[8:9]
	s_or_b64 exec, exec, s[6:7]
	s_and_saveexec_b64 s[6:7], s[4:5]
	s_cbranch_execz .LBB1_30611
; %bb.54055:
	s_getpc_b64 s[14:15]
.Lpost_getpc12691:
	s_add_u32 s14, s14, (.LBB1_3879-.Lpost_getpc12691)&4294967295
	s_addc_u32 s15, s15, (.LBB1_3879-.Lpost_getpc12691)>>32
	s_setpc_b64 s[14:15]
.LBB1_30611:
	s_getpc_b64 s[14:15]
.Lpost_getpc969:
	s_add_u32 s14, s14, (.LBB1_3880-.Lpost_getpc969)&4294967295
	s_addc_u32 s15, s15, (.LBB1_3880-.Lpost_getpc969)>>32
	s_setpc_b64 s[14:15]
.LBB1_18217:
	s_movk_i32 s4, 0x80
	v_cmp_eq_u16_sdwa s[12:13], v6, s4 src0_sel:BYTE_0 src1_sel:DWORD
	s_mov_b64 s[4:5], -1
                                        ; implicit-def: $sgpr10
	s_and_saveexec_b64 s[8:9], s[12:13]
; %bb.18218:
	s_mov_b32 s10, 0x7f800001
	s_xor_b64 s[4:5], exec, -1
; %bb.18219:
	s_or_b64 exec, exec, s[8:9]
	s_and_b64 s[4:5], s[4:5], exec
	s_or_saveexec_b64 s[6:7], s[6:7]
	v_mov_b32_e32 v2, s10
	s_xor_b64 exec, exec, s[6:7]
	s_cbranch_execnz .LBB1_18220
; %bb.54057:
	s_getpc_b64 s[14:15]
.Lpost_getpc12692:
	s_add_u32 s14, s14, (.LBB1_3882-.Lpost_getpc12692)&4294967295
	s_addc_u32 s15, s15, (.LBB1_3882-.Lpost_getpc12692)>>32
	s_setpc_b64 s[14:15]
.LBB1_18220:
	v_mov_b32_e32 v2, 0
	v_cmp_ne_u16_sdwa s[8:9], v6, v2 src0_sel:BYTE_0 src1_sel:DWORD
	s_andn2_b64 s[4:5], s[4:5], exec
	s_and_b64 s[8:9], s[8:9], exec
	s_or_b64 s[4:5], s[4:5], s[8:9]
	s_or_b64 exec, exec, s[6:7]
	s_and_saveexec_b64 s[6:7], s[4:5]
	s_cbranch_execz .LBB1_30613
; %bb.54059:
	s_getpc_b64 s[14:15]
.Lpost_getpc12693:
	s_add_u32 s14, s14, (.LBB1_3883-.Lpost_getpc12693)&4294967295
	s_addc_u32 s15, s15, (.LBB1_3883-.Lpost_getpc12693)>>32
	s_setpc_b64 s[14:15]
.LBB1_30613:
	s_getpc_b64 s[14:15]
.Lpost_getpc970:
	s_add_u32 s14, s14, (.LBB1_3884-.Lpost_getpc970)&4294967295
	s_addc_u32 s15, s15, (.LBB1_3884-.Lpost_getpc970)>>32
	s_setpc_b64 s[14:15]
.LBB1_18221:
	s_movk_i32 s4, 0x80
	v_cmp_eq_u16_sdwa s[12:13], v6, s4 src0_sel:BYTE_0 src1_sel:DWORD
	s_mov_b64 s[4:5], -1
                                        ; implicit-def: $sgpr10
	s_and_saveexec_b64 s[8:9], s[12:13]
; %bb.18222:
	s_mov_b32 s10, 0x7f800001
	s_xor_b64 s[4:5], exec, -1
; %bb.18223:
	s_or_b64 exec, exec, s[8:9]
	s_and_b64 s[4:5], s[4:5], exec
	s_or_saveexec_b64 s[6:7], s[6:7]
	v_mov_b32_e32 v12, s10
	s_xor_b64 exec, exec, s[6:7]
	s_cbranch_execnz .LBB1_18224
; %bb.54061:
	s_getpc_b64 s[14:15]
.Lpost_getpc12694:
	s_add_u32 s14, s14, (.LBB1_3886-.Lpost_getpc12694)&4294967295
	s_addc_u32 s15, s15, (.LBB1_3886-.Lpost_getpc12694)>>32
	s_setpc_b64 s[14:15]
.LBB1_18224:
	v_mov_b32_e32 v12, 0
	v_cmp_ne_u16_sdwa s[8:9], v6, v12 src0_sel:BYTE_0 src1_sel:DWORD
	s_andn2_b64 s[4:5], s[4:5], exec
	s_and_b64 s[8:9], s[8:9], exec
	s_or_b64 s[4:5], s[4:5], s[8:9]
	s_or_b64 exec, exec, s[6:7]
	s_and_saveexec_b64 s[6:7], s[4:5]
	s_cbranch_execz .LBB1_30615
; %bb.54063:
	s_getpc_b64 s[14:15]
.Lpost_getpc12695:
	s_add_u32 s14, s14, (.LBB1_3887-.Lpost_getpc12695)&4294967295
	s_addc_u32 s15, s15, (.LBB1_3887-.Lpost_getpc12695)>>32
	s_setpc_b64 s[14:15]
.LBB1_30615:
	s_getpc_b64 s[14:15]
.Lpost_getpc971:
	s_add_u32 s14, s14, (.LBB1_3888-.Lpost_getpc971)&4294967295
	s_addc_u32 s15, s15, (.LBB1_3888-.Lpost_getpc971)>>32
	s_setpc_b64 s[14:15]
.LBB1_18225:
	s_movk_i32 s4, 0x80
	v_cmp_eq_u16_e32 vcc, s4, v6
	s_mov_b64 s[4:5], -1
                                        ; implicit-def: $sgpr10
	s_and_saveexec_b64 s[8:9], vcc
; %bb.18226:
	s_mov_b32 s10, 0x7f800001
	s_xor_b64 s[4:5], exec, -1
; %bb.18227:
	s_or_b64 exec, exec, s[8:9]
	s_and_b64 s[4:5], s[4:5], exec
                                        ; implicit-def: $vgpr6
	s_or_saveexec_b64 s[6:7], s[6:7]
	v_mov_b32_e32 v2, s10
	s_xor_b64 exec, exec, s[6:7]
	s_cbranch_execnz .LBB1_18228
; %bb.54065:
	s_getpc_b64 s[14:15]
.Lpost_getpc12696:
	s_add_u32 s14, s14, (.LBB1_3890-.Lpost_getpc12696)&4294967295
	s_addc_u32 s15, s15, (.LBB1_3890-.Lpost_getpc12696)>>32
	s_setpc_b64 s[14:15]
.LBB1_18228:
	v_cmp_ne_u16_e32 vcc, 0, v6
	s_andn2_b64 s[4:5], s[4:5], exec
	s_and_b64 s[8:9], vcc, exec
	v_mov_b32_e32 v2, 0
	s_or_b64 s[4:5], s[4:5], s[8:9]
	s_or_b64 exec, exec, s[6:7]
	s_and_saveexec_b64 s[6:7], s[4:5]
	s_cbranch_execz .LBB1_30617
; %bb.54067:
	s_getpc_b64 s[14:15]
.Lpost_getpc12697:
	s_add_u32 s14, s14, (.LBB1_3891-.Lpost_getpc12697)&4294967295
	s_addc_u32 s15, s15, (.LBB1_3891-.Lpost_getpc12697)>>32
	s_setpc_b64 s[14:15]
.LBB1_30617:
	s_getpc_b64 s[14:15]
.Lpost_getpc972:
	s_add_u32 s14, s14, (.LBB1_3892-.Lpost_getpc972)&4294967295
	s_addc_u32 s15, s15, (.LBB1_3892-.Lpost_getpc972)>>32
	s_setpc_b64 s[14:15]
.LBB1_18229:
	s_movk_i32 s4, 0x80
	v_cmp_eq_u16_e32 vcc, s4, v6
	s_mov_b64 s[4:5], -1
                                        ; implicit-def: $sgpr10
	s_and_saveexec_b64 s[8:9], vcc
; %bb.18230:
	s_mov_b32 s10, 0x7f800001
	s_xor_b64 s[4:5], exec, -1
; %bb.18231:
	s_or_b64 exec, exec, s[8:9]
	s_and_b64 s[4:5], s[4:5], exec
                                        ; implicit-def: $vgpr6
	s_or_saveexec_b64 s[6:7], s[6:7]
	v_mov_b32_e32 v12, s10
	s_xor_b64 exec, exec, s[6:7]
	s_cbranch_execnz .LBB1_18232
; %bb.54069:
	s_getpc_b64 s[14:15]
.Lpost_getpc12698:
	s_add_u32 s14, s14, (.LBB1_3894-.Lpost_getpc12698)&4294967295
	s_addc_u32 s15, s15, (.LBB1_3894-.Lpost_getpc12698)>>32
	s_setpc_b64 s[14:15]
.LBB1_18232:
	v_cmp_ne_u16_e32 vcc, 0, v6
	s_andn2_b64 s[4:5], s[4:5], exec
	s_and_b64 s[8:9], vcc, exec
	v_mov_b32_e32 v12, 0
	s_or_b64 s[4:5], s[4:5], s[8:9]
	s_or_b64 exec, exec, s[6:7]
	s_and_saveexec_b64 s[6:7], s[4:5]
	s_cbranch_execz .LBB1_30619
; %bb.54071:
	s_getpc_b64 s[14:15]
.Lpost_getpc12699:
	s_add_u32 s14, s14, (.LBB1_3895-.Lpost_getpc12699)&4294967295
	s_addc_u32 s15, s15, (.LBB1_3895-.Lpost_getpc12699)>>32
	s_setpc_b64 s[14:15]
.LBB1_30619:
	s_getpc_b64 s[14:15]
.Lpost_getpc973:
	s_add_u32 s14, s14, (.LBB1_3896-.Lpost_getpc973)&4294967295
	s_addc_u32 s15, s15, (.LBB1_3896-.Lpost_getpc973)>>32
	s_setpc_b64 s[14:15]
.LBB1_18233:
	s_movk_i32 s4, 0x80
	v_cmp_eq_u16_sdwa s[12:13], v7, s4 src0_sel:BYTE_3 src1_sel:DWORD
	s_mov_b64 s[4:5], -1
                                        ; implicit-def: $sgpr10
	s_and_saveexec_b64 s[8:9], s[12:13]
; %bb.18234:
	s_mov_b32 s10, 0x7f800001
	s_xor_b64 s[4:5], exec, -1
; %bb.18235:
	s_or_b64 exec, exec, s[8:9]
	s_and_b64 s[4:5], s[4:5], exec
	s_or_saveexec_b64 s[6:7], s[6:7]
	v_mov_b32_e32 v2, s10
	s_xor_b64 exec, exec, s[6:7]
	s_cbranch_execnz .LBB1_18236
; %bb.54073:
	s_getpc_b64 s[14:15]
.Lpost_getpc12700:
	s_add_u32 s14, s14, (.LBB1_3898-.Lpost_getpc12700)&4294967295
	s_addc_u32 s15, s15, (.LBB1_3898-.Lpost_getpc12700)>>32
	s_setpc_b64 s[14:15]
.LBB1_18236:
	v_mov_b32_e32 v2, 0
	v_cmp_ne_u16_sdwa s[8:9], v7, v2 src0_sel:BYTE_3 src1_sel:DWORD
	s_andn2_b64 s[4:5], s[4:5], exec
	s_and_b64 s[8:9], s[8:9], exec
	s_or_b64 s[4:5], s[4:5], s[8:9]
	s_or_b64 exec, exec, s[6:7]
	s_and_saveexec_b64 s[6:7], s[4:5]
	s_cbranch_execz .LBB1_30621
; %bb.54075:
	s_getpc_b64 s[14:15]
.Lpost_getpc12701:
	s_add_u32 s14, s14, (.LBB1_3899-.Lpost_getpc12701)&4294967295
	s_addc_u32 s15, s15, (.LBB1_3899-.Lpost_getpc12701)>>32
	s_setpc_b64 s[14:15]
.LBB1_30621:
	s_getpc_b64 s[14:15]
.Lpost_getpc974:
	s_add_u32 s14, s14, (.LBB1_3900-.Lpost_getpc974)&4294967295
	s_addc_u32 s15, s15, (.LBB1_3900-.Lpost_getpc974)>>32
	s_setpc_b64 s[14:15]
.LBB1_18237:
	s_movk_i32 s4, 0x80
	v_cmp_eq_u16_sdwa s[12:13], v3, s4 src0_sel:BYTE_3 src1_sel:DWORD
	s_mov_b64 s[4:5], -1
                                        ; implicit-def: $sgpr10
	s_and_saveexec_b64 s[8:9], s[12:13]
; %bb.18238:
	s_mov_b32 s10, 0x7f800001
	s_xor_b64 s[4:5], exec, -1
; %bb.18239:
	s_or_b64 exec, exec, s[8:9]
	s_and_b64 s[4:5], s[4:5], exec
	s_or_saveexec_b64 s[6:7], s[6:7]
	v_mov_b32_e32 v6, s10
	s_xor_b64 exec, exec, s[6:7]
	s_cbranch_execnz .LBB1_18240
; %bb.54077:
	s_getpc_b64 s[14:15]
.Lpost_getpc12702:
	s_add_u32 s14, s14, (.LBB1_3902-.Lpost_getpc12702)&4294967295
	s_addc_u32 s15, s15, (.LBB1_3902-.Lpost_getpc12702)>>32
	s_setpc_b64 s[14:15]
.LBB1_18240:
	v_mov_b32_e32 v6, 0
	v_cmp_ne_u16_sdwa s[8:9], v3, v6 src0_sel:BYTE_3 src1_sel:DWORD
	s_andn2_b64 s[4:5], s[4:5], exec
	s_and_b64 s[8:9], s[8:9], exec
	s_or_b64 s[4:5], s[4:5], s[8:9]
	s_or_b64 exec, exec, s[6:7]
	s_and_saveexec_b64 s[6:7], s[4:5]
	s_cbranch_execz .LBB1_30623
; %bb.54079:
	s_getpc_b64 s[14:15]
.Lpost_getpc12703:
	s_add_u32 s14, s14, (.LBB1_3903-.Lpost_getpc12703)&4294967295
	s_addc_u32 s15, s15, (.LBB1_3903-.Lpost_getpc12703)>>32
	s_setpc_b64 s[14:15]
.LBB1_30623:
	s_getpc_b64 s[14:15]
.Lpost_getpc975:
	s_add_u32 s14, s14, (.LBB1_3904-.Lpost_getpc975)&4294967295
	s_addc_u32 s15, s15, (.LBB1_3904-.Lpost_getpc975)>>32
	s_setpc_b64 s[14:15]
.LBB1_18241:
	s_movk_i32 s4, 0x80
	v_cmp_eq_u16_sdwa s[12:13], v8, s4 src0_sel:BYTE_0 src1_sel:DWORD
	s_mov_b64 s[4:5], -1
                                        ; implicit-def: $sgpr10
	s_and_saveexec_b64 s[8:9], s[12:13]
; %bb.18242:
	s_mov_b32 s10, 0x7f800001
	s_xor_b64 s[4:5], exec, -1
; %bb.18243:
	s_or_b64 exec, exec, s[8:9]
	s_and_b64 s[4:5], s[4:5], exec
	s_or_saveexec_b64 s[6:7], s[6:7]
	v_mov_b32_e32 v2, s10
	s_xor_b64 exec, exec, s[6:7]
	s_cbranch_execnz .LBB1_18244
; %bb.54081:
	s_getpc_b64 s[14:15]
.Lpost_getpc12704:
	s_add_u32 s14, s14, (.LBB1_3906-.Lpost_getpc12704)&4294967295
	s_addc_u32 s15, s15, (.LBB1_3906-.Lpost_getpc12704)>>32
	s_setpc_b64 s[14:15]
.LBB1_18244:
	v_mov_b32_e32 v2, 0
	v_cmp_ne_u16_sdwa s[8:9], v8, v2 src0_sel:BYTE_0 src1_sel:DWORD
	s_andn2_b64 s[4:5], s[4:5], exec
	s_and_b64 s[8:9], s[8:9], exec
	s_or_b64 s[4:5], s[4:5], s[8:9]
	s_or_b64 exec, exec, s[6:7]
	s_and_saveexec_b64 s[6:7], s[4:5]
	s_cbranch_execz .LBB1_30625
; %bb.54083:
	s_getpc_b64 s[14:15]
.Lpost_getpc12705:
	s_add_u32 s14, s14, (.LBB1_3907-.Lpost_getpc12705)&4294967295
	s_addc_u32 s15, s15, (.LBB1_3907-.Lpost_getpc12705)>>32
	s_setpc_b64 s[14:15]
.LBB1_30625:
	s_getpc_b64 s[14:15]
.Lpost_getpc976:
	s_add_u32 s14, s14, (.LBB1_3908-.Lpost_getpc976)&4294967295
	s_addc_u32 s15, s15, (.LBB1_3908-.Lpost_getpc976)>>32
	s_setpc_b64 s[14:15]
.LBB1_18245:
	s_movk_i32 s4, 0x80
	v_cmp_eq_u16_sdwa s[12:13], v4, s4 src0_sel:BYTE_0 src1_sel:DWORD
	s_mov_b64 s[4:5], -1
                                        ; implicit-def: $sgpr10
	s_and_saveexec_b64 s[8:9], s[12:13]
; %bb.18246:
	s_mov_b32 s10, 0x7f800001
	s_xor_b64 s[4:5], exec, -1
; %bb.18247:
	s_or_b64 exec, exec, s[8:9]
	s_and_b64 s[4:5], s[4:5], exec
	s_or_saveexec_b64 s[6:7], s[6:7]
	v_mov_b32_e32 v3, s10
	s_xor_b64 exec, exec, s[6:7]
	s_cbranch_execnz .LBB1_18248
; %bb.54085:
	s_getpc_b64 s[14:15]
.Lpost_getpc12706:
	s_add_u32 s14, s14, (.LBB1_3910-.Lpost_getpc12706)&4294967295
	s_addc_u32 s15, s15, (.LBB1_3910-.Lpost_getpc12706)>>32
	s_setpc_b64 s[14:15]
.LBB1_18248:
	v_mov_b32_e32 v3, 0
	v_cmp_ne_u16_sdwa s[8:9], v4, v3 src0_sel:BYTE_0 src1_sel:DWORD
	s_andn2_b64 s[4:5], s[4:5], exec
	s_and_b64 s[8:9], s[8:9], exec
	s_or_b64 s[4:5], s[4:5], s[8:9]
	s_or_b64 exec, exec, s[6:7]
	s_and_saveexec_b64 s[6:7], s[4:5]
	s_cbranch_execz .LBB1_30627
; %bb.54087:
	s_getpc_b64 s[14:15]
.Lpost_getpc12707:
	s_add_u32 s14, s14, (.LBB1_3911-.Lpost_getpc12707)&4294967295
	s_addc_u32 s15, s15, (.LBB1_3911-.Lpost_getpc12707)>>32
	s_setpc_b64 s[14:15]
.LBB1_30627:
	s_getpc_b64 s[14:15]
.Lpost_getpc977:
	s_add_u32 s14, s14, (.LBB1_3912-.Lpost_getpc977)&4294967295
	s_addc_u32 s15, s15, (.LBB1_3912-.Lpost_getpc977)>>32
	s_setpc_b64 s[14:15]
.LBB1_18249:
	s_movk_i32 s4, 0x80
	v_cmp_eq_u16_sdwa s[12:13], v3, s4 src0_sel:BYTE_0 src1_sel:DWORD
	s_mov_b64 s[4:5], -1
                                        ; implicit-def: $sgpr10
	s_and_saveexec_b64 s[8:9], s[12:13]
; %bb.18250:
	s_mov_b32 s10, 0x7f800001
	s_xor_b64 s[4:5], exec, -1
; %bb.18251:
	s_or_b64 exec, exec, s[8:9]
	s_and_b64 s[4:5], s[4:5], exec
	s_or_saveexec_b64 s[6:7], s[6:7]
	v_mov_b32_e32 v2, s10
	s_xor_b64 exec, exec, s[6:7]
	s_cbranch_execnz .LBB1_18252
; %bb.54089:
	s_getpc_b64 s[14:15]
.Lpost_getpc12708:
	s_add_u32 s14, s14, (.LBB1_3914-.Lpost_getpc12708)&4294967295
	s_addc_u32 s15, s15, (.LBB1_3914-.Lpost_getpc12708)>>32
	s_setpc_b64 s[14:15]
.LBB1_18252:
	v_mov_b32_e32 v2, 0
	v_cmp_ne_u16_sdwa s[8:9], v3, v2 src0_sel:BYTE_0 src1_sel:DWORD
	s_andn2_b64 s[4:5], s[4:5], exec
	s_and_b64 s[8:9], s[8:9], exec
	s_or_b64 s[4:5], s[4:5], s[8:9]
	s_or_b64 exec, exec, s[6:7]
	s_and_saveexec_b64 s[6:7], s[4:5]
	s_cbranch_execz .LBB1_30629
; %bb.54091:
	s_getpc_b64 s[14:15]
.Lpost_getpc12709:
	s_add_u32 s14, s14, (.LBB1_3915-.Lpost_getpc12709)&4294967295
	s_addc_u32 s15, s15, (.LBB1_3915-.Lpost_getpc12709)>>32
	s_setpc_b64 s[14:15]
.LBB1_30629:
	s_getpc_b64 s[14:15]
.Lpost_getpc978:
	s_add_u32 s14, s14, (.LBB1_3916-.Lpost_getpc978)&4294967295
	s_addc_u32 s15, s15, (.LBB1_3916-.Lpost_getpc978)>>32
	s_setpc_b64 s[14:15]
.LBB1_18253:
	s_movk_i32 s4, 0x80
	v_cmp_eq_u16_sdwa s[12:13], v3, s4 src0_sel:BYTE_0 src1_sel:DWORD
	s_mov_b64 s[4:5], -1
                                        ; implicit-def: $sgpr10
	s_and_saveexec_b64 s[8:9], s[12:13]
; %bb.18254:
	s_mov_b32 s10, 0x7f800001
	s_xor_b64 s[4:5], exec, -1
; %bb.18255:
	s_or_b64 exec, exec, s[8:9]
	s_and_b64 s[4:5], s[4:5], exec
	s_or_saveexec_b64 s[6:7], s[6:7]
	v_mov_b32_e32 v6, s10
	s_xor_b64 exec, exec, s[6:7]
	s_cbranch_execnz .LBB1_18256
; %bb.54093:
	s_getpc_b64 s[14:15]
.Lpost_getpc12710:
	s_add_u32 s14, s14, (.LBB1_3918-.Lpost_getpc12710)&4294967295
	s_addc_u32 s15, s15, (.LBB1_3918-.Lpost_getpc12710)>>32
	s_setpc_b64 s[14:15]
.LBB1_18256:
	v_mov_b32_e32 v6, 0
	v_cmp_ne_u16_sdwa s[8:9], v3, v6 src0_sel:BYTE_0 src1_sel:DWORD
	s_andn2_b64 s[4:5], s[4:5], exec
	s_and_b64 s[8:9], s[8:9], exec
	s_or_b64 s[4:5], s[4:5], s[8:9]
	s_or_b64 exec, exec, s[6:7]
	s_and_saveexec_b64 s[6:7], s[4:5]
	s_cbranch_execz .LBB1_30631
; %bb.54095:
	s_getpc_b64 s[14:15]
.Lpost_getpc12711:
	s_add_u32 s14, s14, (.LBB1_3919-.Lpost_getpc12711)&4294967295
	s_addc_u32 s15, s15, (.LBB1_3919-.Lpost_getpc12711)>>32
	s_setpc_b64 s[14:15]
.LBB1_30631:
	s_getpc_b64 s[14:15]
.Lpost_getpc979:
	s_add_u32 s14, s14, (.LBB1_3920-.Lpost_getpc979)&4294967295
	s_addc_u32 s15, s15, (.LBB1_3920-.Lpost_getpc979)>>32
	s_setpc_b64 s[14:15]
.LBB1_18257:
	s_movk_i32 s4, 0x80
	v_cmp_eq_u16_e32 vcc, s4, v3
	s_mov_b64 s[4:5], -1
                                        ; implicit-def: $sgpr10
	s_and_saveexec_b64 s[8:9], vcc
; %bb.18258:
	s_mov_b32 s10, 0x7f800001
	s_xor_b64 s[4:5], exec, -1
; %bb.18259:
	s_or_b64 exec, exec, s[8:9]
	s_and_b64 s[4:5], s[4:5], exec
                                        ; implicit-def: $vgpr3
	s_or_saveexec_b64 s[6:7], s[6:7]
	v_mov_b32_e32 v2, s10
	s_xor_b64 exec, exec, s[6:7]
	s_cbranch_execnz .LBB1_18260
; %bb.54097:
	s_getpc_b64 s[14:15]
.Lpost_getpc12712:
	s_add_u32 s14, s14, (.LBB1_3922-.Lpost_getpc12712)&4294967295
	s_addc_u32 s15, s15, (.LBB1_3922-.Lpost_getpc12712)>>32
	s_setpc_b64 s[14:15]
.LBB1_18260:
	v_cmp_ne_u16_e32 vcc, 0, v3
	s_andn2_b64 s[4:5], s[4:5], exec
	s_and_b64 s[8:9], vcc, exec
	v_mov_b32_e32 v2, 0
	s_or_b64 s[4:5], s[4:5], s[8:9]
	s_or_b64 exec, exec, s[6:7]
	s_and_saveexec_b64 s[6:7], s[4:5]
	s_cbranch_execz .LBB1_30633
; %bb.54099:
	s_getpc_b64 s[14:15]
.Lpost_getpc12713:
	s_add_u32 s14, s14, (.LBB1_3923-.Lpost_getpc12713)&4294967295
	s_addc_u32 s15, s15, (.LBB1_3923-.Lpost_getpc12713)>>32
	s_setpc_b64 s[14:15]
.LBB1_30633:
	s_getpc_b64 s[14:15]
.Lpost_getpc980:
	s_add_u32 s14, s14, (.LBB1_3924-.Lpost_getpc980)&4294967295
	s_addc_u32 s15, s15, (.LBB1_3924-.Lpost_getpc980)>>32
	s_setpc_b64 s[14:15]
.LBB1_18261:
	s_movk_i32 s4, 0x80
	v_cmp_eq_u16_e32 vcc, s4, v3
	s_mov_b64 s[4:5], -1
                                        ; implicit-def: $sgpr10
	s_and_saveexec_b64 s[8:9], vcc
; %bb.18262:
	s_mov_b32 s10, 0x7f800001
	s_xor_b64 s[4:5], exec, -1
; %bb.18263:
	s_or_b64 exec, exec, s[8:9]
	s_and_b64 s[4:5], s[4:5], exec
                                        ; implicit-def: $vgpr3
	s_or_saveexec_b64 s[6:7], s[6:7]
	v_mov_b32_e32 v6, s10
	s_xor_b64 exec, exec, s[6:7]
	s_cbranch_execnz .LBB1_18264
; %bb.54101:
	s_getpc_b64 s[14:15]
.Lpost_getpc12714:
	s_add_u32 s14, s14, (.LBB1_3926-.Lpost_getpc12714)&4294967295
	s_addc_u32 s15, s15, (.LBB1_3926-.Lpost_getpc12714)>>32
	s_setpc_b64 s[14:15]
.LBB1_18264:
	v_cmp_ne_u16_e32 vcc, 0, v3
	s_andn2_b64 s[4:5], s[4:5], exec
	s_and_b64 s[8:9], vcc, exec
	v_mov_b32_e32 v6, 0
	s_or_b64 s[4:5], s[4:5], s[8:9]
	s_or_b64 exec, exec, s[6:7]
	s_and_saveexec_b64 s[6:7], s[4:5]
	s_cbranch_execz .LBB1_30635
; %bb.54103:
	s_getpc_b64 s[14:15]
.Lpost_getpc12715:
	s_add_u32 s14, s14, (.LBB1_3927-.Lpost_getpc12715)&4294967295
	s_addc_u32 s15, s15, (.LBB1_3927-.Lpost_getpc12715)>>32
	s_setpc_b64 s[14:15]
.LBB1_30635:
	s_getpc_b64 s[14:15]
.Lpost_getpc981:
	s_add_u32 s14, s14, (.LBB1_3928-.Lpost_getpc981)&4294967295
	s_addc_u32 s15, s15, (.LBB1_3928-.Lpost_getpc981)>>32
	s_setpc_b64 s[14:15]
.LBB1_18265:
	s_movk_i32 s4, 0x80
	v_cmp_eq_u16_sdwa s[12:13], v8, s4 src0_sel:BYTE_3 src1_sel:DWORD
	s_mov_b64 s[4:5], -1
                                        ; implicit-def: $sgpr10
	s_and_saveexec_b64 s[8:9], s[12:13]
; %bb.18266:
	s_mov_b32 s10, 0x7f800001
	s_xor_b64 s[4:5], exec, -1
; %bb.18267:
	s_or_b64 exec, exec, s[8:9]
	s_and_b64 s[4:5], s[4:5], exec
	s_or_saveexec_b64 s[6:7], s[6:7]
	v_mov_b32_e32 v2, s10
	s_xor_b64 exec, exec, s[6:7]
	s_cbranch_execnz .LBB1_18268
; %bb.54105:
	s_getpc_b64 s[14:15]
.Lpost_getpc12716:
	s_add_u32 s14, s14, (.LBB1_3930-.Lpost_getpc12716)&4294967295
	s_addc_u32 s15, s15, (.LBB1_3930-.Lpost_getpc12716)>>32
	s_setpc_b64 s[14:15]
.LBB1_18268:
	v_mov_b32_e32 v2, 0
	v_cmp_ne_u16_sdwa s[8:9], v8, v2 src0_sel:BYTE_3 src1_sel:DWORD
	s_andn2_b64 s[4:5], s[4:5], exec
	s_and_b64 s[8:9], s[8:9], exec
	s_or_b64 s[4:5], s[4:5], s[8:9]
	s_or_b64 exec, exec, s[6:7]
	s_and_saveexec_b64 s[6:7], s[4:5]
	s_cbranch_execz .LBB1_30637
; %bb.54107:
	s_getpc_b64 s[14:15]
.Lpost_getpc12717:
	s_add_u32 s14, s14, (.LBB1_3931-.Lpost_getpc12717)&4294967295
	s_addc_u32 s15, s15, (.LBB1_3931-.Lpost_getpc12717)>>32
	s_setpc_b64 s[14:15]
.LBB1_30637:
	s_getpc_b64 s[14:15]
.Lpost_getpc982:
	s_add_u32 s14, s14, (.LBB1_3932-.Lpost_getpc982)&4294967295
	s_addc_u32 s15, s15, (.LBB1_3932-.Lpost_getpc982)>>32
	s_setpc_b64 s[14:15]
.LBB1_18269:
	s_movk_i32 s4, 0x80
	v_cmp_eq_u16_sdwa s[12:13], v4, s4 src0_sel:BYTE_3 src1_sel:DWORD
	s_mov_b64 s[4:5], -1
                                        ; implicit-def: $sgpr10
	s_and_saveexec_b64 s[8:9], s[12:13]
; %bb.18270:
	s_mov_b32 s10, 0x7f800001
	s_xor_b64 s[4:5], exec, -1
; %bb.18271:
	s_or_b64 exec, exec, s[8:9]
	s_and_b64 s[4:5], s[4:5], exec
	s_or_saveexec_b64 s[6:7], s[6:7]
	v_mov_b32_e32 v3, s10
	s_xor_b64 exec, exec, s[6:7]
	s_cbranch_execnz .LBB1_18272
; %bb.54109:
	s_getpc_b64 s[14:15]
.Lpost_getpc12718:
	s_add_u32 s14, s14, (.LBB1_3934-.Lpost_getpc12718)&4294967295
	s_addc_u32 s15, s15, (.LBB1_3934-.Lpost_getpc12718)>>32
	s_setpc_b64 s[14:15]
.LBB1_18272:
	v_mov_b32_e32 v3, 0
	v_cmp_ne_u16_sdwa s[8:9], v4, v3 src0_sel:BYTE_3 src1_sel:DWORD
	s_andn2_b64 s[4:5], s[4:5], exec
	s_and_b64 s[8:9], s[8:9], exec
	s_or_b64 s[4:5], s[4:5], s[8:9]
	s_or_b64 exec, exec, s[6:7]
	s_and_saveexec_b64 s[6:7], s[4:5]
	s_cbranch_execz .LBB1_30639
; %bb.54111:
	s_getpc_b64 s[14:15]
.Lpost_getpc12719:
	s_add_u32 s14, s14, (.LBB1_3935-.Lpost_getpc12719)&4294967295
	s_addc_u32 s15, s15, (.LBB1_3935-.Lpost_getpc12719)>>32
	s_setpc_b64 s[14:15]
.LBB1_30639:
	s_getpc_b64 s[14:15]
.Lpost_getpc983:
	s_add_u32 s14, s14, (.LBB1_3936-.Lpost_getpc983)&4294967295
	s_addc_u32 s15, s15, (.LBB1_3936-.Lpost_getpc983)>>32
	s_setpc_b64 s[14:15]
.LBB1_18273:
	s_movk_i32 s4, 0x80
	v_cmp_eq_u16_sdwa s[12:13], v9, s4 src0_sel:BYTE_0 src1_sel:DWORD
	s_mov_b64 s[4:5], -1
                                        ; implicit-def: $sgpr10
	s_and_saveexec_b64 s[8:9], s[12:13]
; %bb.18274:
	s_mov_b32 s10, 0x7f800001
	s_xor_b64 s[4:5], exec, -1
; %bb.18275:
	s_or_b64 exec, exec, s[8:9]
	s_and_b64 s[4:5], s[4:5], exec
	s_or_saveexec_b64 s[6:7], s[6:7]
	v_mov_b32_e32 v2, s10
	s_xor_b64 exec, exec, s[6:7]
	s_cbranch_execnz .LBB1_18276
; %bb.54113:
	s_getpc_b64 s[14:15]
.Lpost_getpc12720:
	s_add_u32 s14, s14, (.LBB1_3938-.Lpost_getpc12720)&4294967295
	s_addc_u32 s15, s15, (.LBB1_3938-.Lpost_getpc12720)>>32
	s_setpc_b64 s[14:15]
.LBB1_18276:
	v_mov_b32_e32 v2, 0
	v_cmp_ne_u16_sdwa s[8:9], v9, v2 src0_sel:BYTE_0 src1_sel:DWORD
	s_andn2_b64 s[4:5], s[4:5], exec
	s_and_b64 s[8:9], s[8:9], exec
	s_or_b64 s[4:5], s[4:5], s[8:9]
	s_or_b64 exec, exec, s[6:7]
	s_and_saveexec_b64 s[6:7], s[4:5]
	s_cbranch_execz .LBB1_30641
; %bb.54115:
	s_getpc_b64 s[14:15]
.Lpost_getpc12721:
	s_add_u32 s14, s14, (.LBB1_3939-.Lpost_getpc12721)&4294967295
	s_addc_u32 s15, s15, (.LBB1_3939-.Lpost_getpc12721)>>32
	s_setpc_b64 s[14:15]
.LBB1_30641:
	s_getpc_b64 s[14:15]
.Lpost_getpc984:
	s_add_u32 s14, s14, (.LBB1_3940-.Lpost_getpc984)&4294967295
	s_addc_u32 s15, s15, (.LBB1_3940-.Lpost_getpc984)>>32
	s_setpc_b64 s[14:15]
.LBB1_18277:
	s_movk_i32 s4, 0x80
	v_cmp_eq_u16_sdwa s[12:13], v5, s4 src0_sel:BYTE_0 src1_sel:DWORD
	s_mov_b64 s[4:5], -1
                                        ; implicit-def: $sgpr10
	s_and_saveexec_b64 s[8:9], s[12:13]
; %bb.18278:
	s_mov_b32 s10, 0x7f800001
	s_xor_b64 s[4:5], exec, -1
; %bb.18279:
	s_or_b64 exec, exec, s[8:9]
	s_and_b64 s[4:5], s[4:5], exec
	s_or_saveexec_b64 s[6:7], s[6:7]
	v_mov_b32_e32 v3, s10
	s_xor_b64 exec, exec, s[6:7]
	s_cbranch_execnz .LBB1_18280
; %bb.54117:
	s_getpc_b64 s[14:15]
.Lpost_getpc12722:
	s_add_u32 s14, s14, (.LBB1_3942-.Lpost_getpc12722)&4294967295
	s_addc_u32 s15, s15, (.LBB1_3942-.Lpost_getpc12722)>>32
	s_setpc_b64 s[14:15]
.LBB1_18280:
	v_mov_b32_e32 v3, 0
	v_cmp_ne_u16_sdwa s[8:9], v5, v3 src0_sel:BYTE_0 src1_sel:DWORD
	s_andn2_b64 s[4:5], s[4:5], exec
	s_and_b64 s[8:9], s[8:9], exec
	s_or_b64 s[4:5], s[4:5], s[8:9]
	s_or_b64 exec, exec, s[6:7]
	s_and_saveexec_b64 s[6:7], s[4:5]
	s_cbranch_execz .LBB1_30643
; %bb.54119:
	s_getpc_b64 s[14:15]
.Lpost_getpc12723:
	s_add_u32 s14, s14, (.LBB1_3943-.Lpost_getpc12723)&4294967295
	s_addc_u32 s15, s15, (.LBB1_3943-.Lpost_getpc12723)>>32
	s_setpc_b64 s[14:15]
.LBB1_30643:
	s_getpc_b64 s[14:15]
.Lpost_getpc985:
	s_add_u32 s14, s14, (.LBB1_3944-.Lpost_getpc985)&4294967295
	s_addc_u32 s15, s15, (.LBB1_3944-.Lpost_getpc985)>>32
	s_setpc_b64 s[14:15]
.LBB1_18281:
	s_movk_i32 s4, 0x80
	v_cmp_eq_u16_sdwa s[12:13], v3, s4 src0_sel:BYTE_0 src1_sel:DWORD
	s_mov_b64 s[4:5], -1
                                        ; implicit-def: $sgpr10
	s_and_saveexec_b64 s[8:9], s[12:13]
; %bb.18282:
	s_mov_b32 s10, 0x7f800001
	s_xor_b64 s[4:5], exec, -1
; %bb.18283:
	s_or_b64 exec, exec, s[8:9]
	s_and_b64 s[4:5], s[4:5], exec
	s_or_saveexec_b64 s[6:7], s[6:7]
	v_mov_b32_e32 v2, s10
	s_xor_b64 exec, exec, s[6:7]
	s_cbranch_execnz .LBB1_18284
; %bb.54121:
	s_getpc_b64 s[14:15]
.Lpost_getpc12724:
	s_add_u32 s14, s14, (.LBB1_3946-.Lpost_getpc12724)&4294967295
	s_addc_u32 s15, s15, (.LBB1_3946-.Lpost_getpc12724)>>32
	s_setpc_b64 s[14:15]
.LBB1_18284:
	v_mov_b32_e32 v2, 0
	v_cmp_ne_u16_sdwa s[8:9], v3, v2 src0_sel:BYTE_0 src1_sel:DWORD
	s_andn2_b64 s[4:5], s[4:5], exec
	s_and_b64 s[8:9], s[8:9], exec
	s_or_b64 s[4:5], s[4:5], s[8:9]
	s_or_b64 exec, exec, s[6:7]
	s_and_saveexec_b64 s[6:7], s[4:5]
	s_cbranch_execz .LBB1_30645
; %bb.54123:
	s_getpc_b64 s[14:15]
.Lpost_getpc12725:
	s_add_u32 s14, s14, (.LBB1_3947-.Lpost_getpc12725)&4294967295
	s_addc_u32 s15, s15, (.LBB1_3947-.Lpost_getpc12725)>>32
	s_setpc_b64 s[14:15]
.LBB1_30645:
	s_getpc_b64 s[14:15]
.Lpost_getpc986:
	s_add_u32 s14, s14, (.LBB1_3948-.Lpost_getpc986)&4294967295
	s_addc_u32 s15, s15, (.LBB1_3948-.Lpost_getpc986)>>32
	s_setpc_b64 s[14:15]
.LBB1_18285:
	s_movk_i32 s4, 0x80
	v_cmp_eq_u16_sdwa s[12:13], v3, s4 src0_sel:BYTE_0 src1_sel:DWORD
	s_mov_b64 s[4:5], -1
                                        ; implicit-def: $sgpr10
	s_and_saveexec_b64 s[8:9], s[12:13]
; %bb.18286:
	s_mov_b32 s10, 0x7f800001
	s_xor_b64 s[4:5], exec, -1
; %bb.18287:
	s_or_b64 exec, exec, s[8:9]
	s_and_b64 s[4:5], s[4:5], exec
	s_or_saveexec_b64 s[6:7], s[6:7]
	v_mov_b32_e32 v4, s10
	s_xor_b64 exec, exec, s[6:7]
	s_cbranch_execnz .LBB1_18288
; %bb.54125:
	s_getpc_b64 s[14:15]
.Lpost_getpc12726:
	s_add_u32 s14, s14, (.LBB1_3950-.Lpost_getpc12726)&4294967295
	s_addc_u32 s15, s15, (.LBB1_3950-.Lpost_getpc12726)>>32
	s_setpc_b64 s[14:15]
.LBB1_18288:
	v_mov_b32_e32 v4, 0
	v_cmp_ne_u16_sdwa s[8:9], v3, v4 src0_sel:BYTE_0 src1_sel:DWORD
	s_andn2_b64 s[4:5], s[4:5], exec
	s_and_b64 s[8:9], s[8:9], exec
	s_or_b64 s[4:5], s[4:5], s[8:9]
	s_or_b64 exec, exec, s[6:7]
	s_and_saveexec_b64 s[6:7], s[4:5]
	s_cbranch_execz .LBB1_30647
; %bb.54127:
	s_getpc_b64 s[14:15]
.Lpost_getpc12727:
	s_add_u32 s14, s14, (.LBB1_3951-.Lpost_getpc12727)&4294967295
	s_addc_u32 s15, s15, (.LBB1_3951-.Lpost_getpc12727)>>32
	s_setpc_b64 s[14:15]
.LBB1_30647:
	s_getpc_b64 s[14:15]
.Lpost_getpc987:
	s_add_u32 s14, s14, (.LBB1_3952-.Lpost_getpc987)&4294967295
	s_addc_u32 s15, s15, (.LBB1_3952-.Lpost_getpc987)>>32
	s_setpc_b64 s[14:15]
.LBB1_18289:
	s_movk_i32 s4, 0x80
	v_cmp_eq_u16_e32 vcc, s4, v3
	s_mov_b64 s[4:5], -1
                                        ; implicit-def: $sgpr10
	s_and_saveexec_b64 s[8:9], vcc
; %bb.18290:
	s_mov_b32 s10, 0x7f800001
	s_xor_b64 s[4:5], exec, -1
; %bb.18291:
	s_or_b64 exec, exec, s[8:9]
	s_and_b64 s[4:5], s[4:5], exec
                                        ; implicit-def: $vgpr3
	s_or_saveexec_b64 s[6:7], s[6:7]
	v_mov_b32_e32 v2, s10
	s_xor_b64 exec, exec, s[6:7]
	s_cbranch_execnz .LBB1_18292
; %bb.54129:
	s_getpc_b64 s[14:15]
.Lpost_getpc12728:
	s_add_u32 s14, s14, (.LBB1_3954-.Lpost_getpc12728)&4294967295
	s_addc_u32 s15, s15, (.LBB1_3954-.Lpost_getpc12728)>>32
	s_setpc_b64 s[14:15]
.LBB1_18292:
	v_cmp_ne_u16_e32 vcc, 0, v3
	s_andn2_b64 s[4:5], s[4:5], exec
	s_and_b64 s[8:9], vcc, exec
	v_mov_b32_e32 v2, 0
	s_or_b64 s[4:5], s[4:5], s[8:9]
	s_or_b64 exec, exec, s[6:7]
	s_and_saveexec_b64 s[6:7], s[4:5]
	s_cbranch_execz .LBB1_30649
; %bb.54131:
	s_getpc_b64 s[14:15]
.Lpost_getpc12729:
	s_add_u32 s14, s14, (.LBB1_3955-.Lpost_getpc12729)&4294967295
	s_addc_u32 s15, s15, (.LBB1_3955-.Lpost_getpc12729)>>32
	s_setpc_b64 s[14:15]
.LBB1_30649:
	s_getpc_b64 s[14:15]
.Lpost_getpc988:
	s_add_u32 s14, s14, (.LBB1_3956-.Lpost_getpc988)&4294967295
	s_addc_u32 s15, s15, (.LBB1_3956-.Lpost_getpc988)>>32
	s_setpc_b64 s[14:15]
.LBB1_18293:
	s_movk_i32 s4, 0x80
	v_cmp_eq_u16_e32 vcc, s4, v3
	s_mov_b64 s[4:5], -1
                                        ; implicit-def: $sgpr10
	s_and_saveexec_b64 s[8:9], vcc
; %bb.18294:
	s_mov_b32 s10, 0x7f800001
	s_xor_b64 s[4:5], exec, -1
; %bb.18295:
	s_or_b64 exec, exec, s[8:9]
	s_and_b64 s[4:5], s[4:5], exec
                                        ; implicit-def: $vgpr3
	s_or_saveexec_b64 s[6:7], s[6:7]
	v_mov_b32_e32 v4, s10
	s_xor_b64 exec, exec, s[6:7]
	s_cbranch_execnz .LBB1_18296
; %bb.54133:
	s_getpc_b64 s[14:15]
.Lpost_getpc12730:
	s_add_u32 s14, s14, (.LBB1_3958-.Lpost_getpc12730)&4294967295
	s_addc_u32 s15, s15, (.LBB1_3958-.Lpost_getpc12730)>>32
	s_setpc_b64 s[14:15]
.LBB1_18296:
	v_cmp_ne_u16_e32 vcc, 0, v3
	s_andn2_b64 s[4:5], s[4:5], exec
	s_and_b64 s[8:9], vcc, exec
	v_mov_b32_e32 v4, 0
	s_or_b64 s[4:5], s[4:5], s[8:9]
	s_or_b64 exec, exec, s[6:7]
	s_and_saveexec_b64 s[6:7], s[4:5]
	s_cbranch_execz .LBB1_30651
; %bb.54135:
	s_getpc_b64 s[14:15]
.Lpost_getpc12731:
	s_add_u32 s14, s14, (.LBB1_3959-.Lpost_getpc12731)&4294967295
	s_addc_u32 s15, s15, (.LBB1_3959-.Lpost_getpc12731)>>32
	s_setpc_b64 s[14:15]
.LBB1_30651:
	s_getpc_b64 s[14:15]
.Lpost_getpc989:
	s_add_u32 s14, s14, (.LBB1_3960-.Lpost_getpc989)&4294967295
	s_addc_u32 s15, s15, (.LBB1_3960-.Lpost_getpc989)>>32
	s_setpc_b64 s[14:15]
.LBB1_18297:
	s_movk_i32 s4, 0x80
	v_cmp_eq_u16_sdwa s[12:13], v9, s4 src0_sel:BYTE_3 src1_sel:DWORD
	s_mov_b64 s[4:5], -1
                                        ; implicit-def: $sgpr10
	s_and_saveexec_b64 s[8:9], s[12:13]
; %bb.18298:
	s_mov_b32 s10, 0x7f800001
	s_xor_b64 s[4:5], exec, -1
; %bb.18299:
	s_or_b64 exec, exec, s[8:9]
	s_and_b64 s[4:5], s[4:5], exec
	s_or_saveexec_b64 s[6:7], s[6:7]
	v_mov_b32_e32 v2, s10
	s_xor_b64 exec, exec, s[6:7]
	s_cbranch_execnz .LBB1_18300
; %bb.54137:
	s_getpc_b64 s[14:15]
.Lpost_getpc12732:
	s_add_u32 s14, s14, (.LBB1_3962-.Lpost_getpc12732)&4294967295
	s_addc_u32 s15, s15, (.LBB1_3962-.Lpost_getpc12732)>>32
	s_setpc_b64 s[14:15]
.LBB1_18300:
	v_mov_b32_e32 v2, 0
	v_cmp_ne_u16_sdwa s[8:9], v9, v2 src0_sel:BYTE_3 src1_sel:DWORD
	s_andn2_b64 s[4:5], s[4:5], exec
	s_and_b64 s[8:9], s[8:9], exec
	s_or_b64 s[4:5], s[4:5], s[8:9]
	s_or_b64 exec, exec, s[6:7]
	s_and_saveexec_b64 s[6:7], s[4:5]
	s_cbranch_execz .LBB1_30653
; %bb.54139:
	s_getpc_b64 s[14:15]
.Lpost_getpc12733:
	s_add_u32 s14, s14, (.LBB1_3963-.Lpost_getpc12733)&4294967295
	s_addc_u32 s15, s15, (.LBB1_3963-.Lpost_getpc12733)>>32
	s_setpc_b64 s[14:15]
.LBB1_30653:
	s_getpc_b64 s[14:15]
.Lpost_getpc990:
	s_add_u32 s14, s14, (.LBB1_3964-.Lpost_getpc990)&4294967295
	s_addc_u32 s15, s15, (.LBB1_3964-.Lpost_getpc990)>>32
	s_setpc_b64 s[14:15]
.LBB1_18301:
	s_movk_i32 s4, 0x80
	v_cmp_eq_u16_sdwa s[12:13], v5, s4 src0_sel:BYTE_3 src1_sel:DWORD
	s_mov_b64 s[4:5], -1
                                        ; implicit-def: $sgpr10
	s_and_saveexec_b64 s[8:9], s[12:13]
; %bb.18302:
	s_mov_b32 s10, 0x7f800001
	s_xor_b64 s[4:5], exec, -1
; %bb.18303:
	s_or_b64 exec, exec, s[8:9]
	s_and_b64 s[4:5], s[4:5], exec
	s_or_saveexec_b64 s[6:7], s[6:7]
	v_mov_b32_e32 v3, s10
	s_xor_b64 exec, exec, s[6:7]
	s_cbranch_execnz .LBB1_18304
; %bb.54141:
	s_getpc_b64 s[14:15]
.Lpost_getpc12734:
	s_add_u32 s14, s14, (.LBB1_3966-.Lpost_getpc12734)&4294967295
	s_addc_u32 s15, s15, (.LBB1_3966-.Lpost_getpc12734)>>32
	s_setpc_b64 s[14:15]
.LBB1_18304:
	v_mov_b32_e32 v3, 0
	v_cmp_ne_u16_sdwa s[8:9], v5, v3 src0_sel:BYTE_3 src1_sel:DWORD
	s_andn2_b64 s[4:5], s[4:5], exec
	s_and_b64 s[8:9], s[8:9], exec
	s_or_b64 s[4:5], s[4:5], s[8:9]
	s_or_b64 exec, exec, s[6:7]
	s_and_saveexec_b64 s[6:7], s[4:5]
	s_cbranch_execz .LBB1_30655
; %bb.54143:
	s_getpc_b64 s[14:15]
.Lpost_getpc12735:
	s_add_u32 s14, s14, (.LBB1_3967-.Lpost_getpc12735)&4294967295
	s_addc_u32 s15, s15, (.LBB1_3967-.Lpost_getpc12735)>>32
	s_setpc_b64 s[14:15]
.LBB1_30655:
	s_getpc_b64 s[14:15]
.Lpost_getpc991:
	s_add_u32 s14, s14, (.LBB1_3968-.Lpost_getpc991)&4294967295
	s_addc_u32 s15, s15, (.LBB1_3968-.Lpost_getpc991)>>32
	s_setpc_b64 s[14:15]
.LBB1_18305:
	s_movk_i32 s4, 0x80
	v_cmp_eq_u16_sdwa s[12:13], v6, s4 src0_sel:BYTE_0 src1_sel:DWORD
	s_mov_b64 s[4:5], -1
                                        ; implicit-def: $sgpr10
	s_and_saveexec_b64 s[8:9], s[12:13]
; %bb.18306:
	s_mov_b32 s10, 0x7f800001
	s_xor_b64 s[4:5], exec, -1
; %bb.18307:
	s_or_b64 exec, exec, s[8:9]
	s_and_b64 s[4:5], s[4:5], exec
	s_or_saveexec_b64 s[6:7], s[6:7]
	v_mov_b32_e32 v12, s10
	s_xor_b64 exec, exec, s[6:7]
	s_cbranch_execnz .LBB1_18308
; %bb.54145:
	s_getpc_b64 s[14:15]
.Lpost_getpc12736:
	s_add_u32 s14, s14, (.LBB1_3970-.Lpost_getpc12736)&4294967295
	s_addc_u32 s15, s15, (.LBB1_3970-.Lpost_getpc12736)>>32
	s_setpc_b64 s[14:15]
.LBB1_18308:
	v_mov_b32_e32 v12, 0
	v_cmp_ne_u16_sdwa s[8:9], v6, v12 src0_sel:BYTE_0 src1_sel:DWORD
	s_andn2_b64 s[4:5], s[4:5], exec
	s_and_b64 s[8:9], s[8:9], exec
	s_or_b64 s[4:5], s[4:5], s[8:9]
	s_or_b64 exec, exec, s[6:7]
	s_and_saveexec_b64 s[6:7], s[4:5]
	s_cbranch_execz .LBB1_30657
; %bb.54147:
	s_getpc_b64 s[14:15]
.Lpost_getpc12737:
	s_add_u32 s14, s14, (.LBB1_3971-.Lpost_getpc12737)&4294967295
	s_addc_u32 s15, s15, (.LBB1_3971-.Lpost_getpc12737)>>32
	s_setpc_b64 s[14:15]
.LBB1_30657:
	s_getpc_b64 s[14:15]
.Lpost_getpc992:
	s_add_u32 s14, s14, (.LBB1_3972-.Lpost_getpc992)&4294967295
	s_addc_u32 s15, s15, (.LBB1_3972-.Lpost_getpc992)>>32
	s_setpc_b64 s[14:15]
.LBB1_18309:
	s_movk_i32 s4, 0x80
	v_cmp_eq_u16_sdwa s[12:13], v2, s4 src0_sel:BYTE_0 src1_sel:DWORD
	s_mov_b64 s[4:5], -1
                                        ; implicit-def: $sgpr10
	s_and_saveexec_b64 s[8:9], s[12:13]
; %bb.18310:
	s_mov_b32 s10, 0x7f800001
	s_xor_b64 s[4:5], exec, -1
; %bb.18311:
	s_or_b64 exec, exec, s[8:9]
	s_and_b64 s[4:5], s[4:5], exec
	s_or_saveexec_b64 s[6:7], s[6:7]
	v_mov_b32_e32 v13, s10
	s_xor_b64 exec, exec, s[6:7]
	s_cbranch_execnz .LBB1_18312
; %bb.54149:
	s_getpc_b64 s[14:15]
.Lpost_getpc12738:
	s_add_u32 s14, s14, (.LBB1_3974-.Lpost_getpc12738)&4294967295
	s_addc_u32 s15, s15, (.LBB1_3974-.Lpost_getpc12738)>>32
	s_setpc_b64 s[14:15]
.LBB1_18312:
	v_mov_b32_e32 v13, 0
	v_cmp_ne_u16_sdwa s[8:9], v2, v13 src0_sel:BYTE_0 src1_sel:DWORD
	s_andn2_b64 s[4:5], s[4:5], exec
	s_and_b64 s[8:9], s[8:9], exec
	s_or_b64 s[4:5], s[4:5], s[8:9]
	s_or_b64 exec, exec, s[6:7]
	s_and_saveexec_b64 s[6:7], s[4:5]
	s_cbranch_execz .LBB1_30659
; %bb.54151:
	s_getpc_b64 s[14:15]
.Lpost_getpc12739:
	s_add_u32 s14, s14, (.LBB1_3975-.Lpost_getpc12739)&4294967295
	s_addc_u32 s15, s15, (.LBB1_3975-.Lpost_getpc12739)>>32
	s_setpc_b64 s[14:15]
.LBB1_30659:
	s_getpc_b64 s[14:15]
.Lpost_getpc993:
	s_add_u32 s14, s14, (.LBB1_3976-.Lpost_getpc993)&4294967295
	s_addc_u32 s15, s15, (.LBB1_3976-.Lpost_getpc993)>>32
	s_setpc_b64 s[14:15]
.LBB1_18313:
	s_movk_i32 s4, 0x80
	v_cmp_eq_u16_sdwa s[12:13], v13, s4 src0_sel:BYTE_0 src1_sel:DWORD
	s_mov_b64 s[4:5], -1
                                        ; implicit-def: $sgpr10
	s_and_saveexec_b64 s[8:9], s[12:13]
; %bb.18314:
	s_mov_b32 s10, 0x7f800001
	s_xor_b64 s[4:5], exec, -1
; %bb.18315:
	s_or_b64 exec, exec, s[8:9]
	s_and_b64 s[4:5], s[4:5], exec
	s_or_saveexec_b64 s[6:7], s[6:7]
	v_mov_b32_e32 v12, s10
	s_xor_b64 exec, exec, s[6:7]
	s_cbranch_execnz .LBB1_18316
; %bb.54153:
	s_getpc_b64 s[14:15]
.Lpost_getpc12740:
	s_add_u32 s14, s14, (.LBB1_3978-.Lpost_getpc12740)&4294967295
	s_addc_u32 s15, s15, (.LBB1_3978-.Lpost_getpc12740)>>32
	s_setpc_b64 s[14:15]
.LBB1_18316:
	v_mov_b32_e32 v12, 0
	v_cmp_ne_u16_sdwa s[8:9], v13, v12 src0_sel:BYTE_0 src1_sel:DWORD
	s_andn2_b64 s[4:5], s[4:5], exec
	s_and_b64 s[8:9], s[8:9], exec
	s_or_b64 s[4:5], s[4:5], s[8:9]
	s_or_b64 exec, exec, s[6:7]
	s_and_saveexec_b64 s[6:7], s[4:5]
	s_cbranch_execz .LBB1_30661
; %bb.54155:
	s_getpc_b64 s[14:15]
.Lpost_getpc12741:
	s_add_u32 s14, s14, (.LBB1_3979-.Lpost_getpc12741)&4294967295
	s_addc_u32 s15, s15, (.LBB1_3979-.Lpost_getpc12741)>>32
	s_setpc_b64 s[14:15]
.LBB1_30661:
	s_getpc_b64 s[14:15]
.Lpost_getpc994:
	s_add_u32 s14, s14, (.LBB1_3980-.Lpost_getpc994)&4294967295
	s_addc_u32 s15, s15, (.LBB1_3980-.Lpost_getpc994)>>32
	s_setpc_b64 s[14:15]
.LBB1_18317:
	s_movk_i32 s4, 0x80
	v_cmp_eq_u16_sdwa s[12:13], v13, s4 src0_sel:BYTE_0 src1_sel:DWORD
	s_mov_b64 s[4:5], -1
                                        ; implicit-def: $sgpr10
	s_and_saveexec_b64 s[8:9], s[12:13]
; %bb.18318:
	s_mov_b32 s10, 0x7f800001
	s_xor_b64 s[4:5], exec, -1
; %bb.18319:
	s_or_b64 exec, exec, s[8:9]
	s_and_b64 s[4:5], s[4:5], exec
	s_or_saveexec_b64 s[6:7], s[6:7]
	v_mov_b32_e32 v14, s10
	s_xor_b64 exec, exec, s[6:7]
	s_cbranch_execnz .LBB1_18320
; %bb.54157:
	s_getpc_b64 s[14:15]
.Lpost_getpc12742:
	s_add_u32 s14, s14, (.LBB1_3982-.Lpost_getpc12742)&4294967295
	s_addc_u32 s15, s15, (.LBB1_3982-.Lpost_getpc12742)>>32
	s_setpc_b64 s[14:15]
.LBB1_18320:
	v_mov_b32_e32 v14, 0
	v_cmp_ne_u16_sdwa s[8:9], v13, v14 src0_sel:BYTE_0 src1_sel:DWORD
	s_andn2_b64 s[4:5], s[4:5], exec
	s_and_b64 s[8:9], s[8:9], exec
	s_or_b64 s[4:5], s[4:5], s[8:9]
	s_or_b64 exec, exec, s[6:7]
	s_and_saveexec_b64 s[6:7], s[4:5]
	s_cbranch_execz .LBB1_30663
; %bb.54159:
	s_getpc_b64 s[14:15]
.Lpost_getpc12743:
	s_add_u32 s14, s14, (.LBB1_3983-.Lpost_getpc12743)&4294967295
	s_addc_u32 s15, s15, (.LBB1_3983-.Lpost_getpc12743)>>32
	s_setpc_b64 s[14:15]
.LBB1_30663:
	s_getpc_b64 s[14:15]
.Lpost_getpc995:
	s_add_u32 s14, s14, (.LBB1_3984-.Lpost_getpc995)&4294967295
	s_addc_u32 s15, s15, (.LBB1_3984-.Lpost_getpc995)>>32
	s_setpc_b64 s[14:15]
.LBB1_18321:
	s_movk_i32 s4, 0x80
	v_cmp_eq_u16_e32 vcc, s4, v13
	s_mov_b64 s[4:5], -1
                                        ; implicit-def: $sgpr10
	s_and_saveexec_b64 s[8:9], vcc
; %bb.18322:
	s_mov_b32 s10, 0x7f800001
	s_xor_b64 s[4:5], exec, -1
; %bb.18323:
	s_or_b64 exec, exec, s[8:9]
	s_and_b64 s[4:5], s[4:5], exec
                                        ; implicit-def: $vgpr13
	s_or_saveexec_b64 s[6:7], s[6:7]
	v_mov_b32_e32 v12, s10
	s_xor_b64 exec, exec, s[6:7]
	s_cbranch_execnz .LBB1_18324
; %bb.54161:
	s_getpc_b64 s[14:15]
.Lpost_getpc12744:
	s_add_u32 s14, s14, (.LBB1_3986-.Lpost_getpc12744)&4294967295
	s_addc_u32 s15, s15, (.LBB1_3986-.Lpost_getpc12744)>>32
	s_setpc_b64 s[14:15]
.LBB1_18324:
	v_cmp_ne_u16_e32 vcc, 0, v13
	s_andn2_b64 s[4:5], s[4:5], exec
	s_and_b64 s[8:9], vcc, exec
	v_mov_b32_e32 v12, 0
	s_or_b64 s[4:5], s[4:5], s[8:9]
	s_or_b64 exec, exec, s[6:7]
	s_and_saveexec_b64 s[6:7], s[4:5]
	s_cbranch_execz .LBB1_30665
; %bb.54163:
	s_getpc_b64 s[14:15]
.Lpost_getpc12745:
	s_add_u32 s14, s14, (.LBB1_3987-.Lpost_getpc12745)&4294967295
	s_addc_u32 s15, s15, (.LBB1_3987-.Lpost_getpc12745)>>32
	s_setpc_b64 s[14:15]
.LBB1_30665:
	s_getpc_b64 s[14:15]
.Lpost_getpc996:
	s_add_u32 s14, s14, (.LBB1_3988-.Lpost_getpc996)&4294967295
	s_addc_u32 s15, s15, (.LBB1_3988-.Lpost_getpc996)>>32
	s_setpc_b64 s[14:15]
.LBB1_18325:
	s_movk_i32 s4, 0x80
	v_cmp_eq_u16_e32 vcc, s4, v13
	s_mov_b64 s[4:5], -1
                                        ; implicit-def: $sgpr10
	s_and_saveexec_b64 s[8:9], vcc
; %bb.18326:
	s_mov_b32 s10, 0x7f800001
	s_xor_b64 s[4:5], exec, -1
; %bb.18327:
	s_or_b64 exec, exec, s[8:9]
	s_and_b64 s[4:5], s[4:5], exec
                                        ; implicit-def: $vgpr13
	s_or_saveexec_b64 s[6:7], s[6:7]
	v_mov_b32_e32 v14, s10
	s_xor_b64 exec, exec, s[6:7]
	s_cbranch_execnz .LBB1_18328
; %bb.54165:
	s_getpc_b64 s[14:15]
.Lpost_getpc12746:
	s_add_u32 s14, s14, (.LBB1_3990-.Lpost_getpc12746)&4294967295
	s_addc_u32 s15, s15, (.LBB1_3990-.Lpost_getpc12746)>>32
	s_setpc_b64 s[14:15]
.LBB1_18328:
	v_cmp_ne_u16_e32 vcc, 0, v13
	s_andn2_b64 s[4:5], s[4:5], exec
	s_and_b64 s[8:9], vcc, exec
	v_mov_b32_e32 v14, 0
	s_or_b64 s[4:5], s[4:5], s[8:9]
	s_or_b64 exec, exec, s[6:7]
	s_and_saveexec_b64 s[6:7], s[4:5]
	s_cbranch_execz .LBB1_30667
; %bb.54167:
	s_getpc_b64 s[14:15]
.Lpost_getpc12747:
	s_add_u32 s14, s14, (.LBB1_3991-.Lpost_getpc12747)&4294967295
	s_addc_u32 s15, s15, (.LBB1_3991-.Lpost_getpc12747)>>32
	s_setpc_b64 s[14:15]
.LBB1_30667:
	s_getpc_b64 s[14:15]
.Lpost_getpc997:
	s_add_u32 s14, s14, (.LBB1_3992-.Lpost_getpc997)&4294967295
	s_addc_u32 s15, s15, (.LBB1_3992-.Lpost_getpc997)>>32
	s_setpc_b64 s[14:15]
.LBB1_18329:
	s_movk_i32 s4, 0x80
	v_cmp_eq_u16_sdwa s[12:13], v6, s4 src0_sel:BYTE_3 src1_sel:DWORD
	s_mov_b64 s[4:5], -1
                                        ; implicit-def: $sgpr10
	s_and_saveexec_b64 s[8:9], s[12:13]
; %bb.18330:
	s_mov_b32 s10, 0x7f800001
	s_xor_b64 s[4:5], exec, -1
; %bb.18331:
	s_or_b64 exec, exec, s[8:9]
	s_and_b64 s[4:5], s[4:5], exec
	s_or_saveexec_b64 s[6:7], s[6:7]
	v_mov_b32_e32 v12, s10
	s_xor_b64 exec, exec, s[6:7]
	s_cbranch_execnz .LBB1_18332
; %bb.54169:
	s_getpc_b64 s[14:15]
.Lpost_getpc12748:
	s_add_u32 s14, s14, (.LBB1_3994-.Lpost_getpc12748)&4294967295
	s_addc_u32 s15, s15, (.LBB1_3994-.Lpost_getpc12748)>>32
	s_setpc_b64 s[14:15]
.LBB1_18332:
	v_mov_b32_e32 v12, 0
	v_cmp_ne_u16_sdwa s[8:9], v6, v12 src0_sel:BYTE_3 src1_sel:DWORD
	s_andn2_b64 s[4:5], s[4:5], exec
	s_and_b64 s[8:9], s[8:9], exec
	s_or_b64 s[4:5], s[4:5], s[8:9]
	s_or_b64 exec, exec, s[6:7]
	s_and_saveexec_b64 s[6:7], s[4:5]
	s_cbranch_execz .LBB1_30669
; %bb.54171:
	s_getpc_b64 s[14:15]
.Lpost_getpc12749:
	s_add_u32 s14, s14, (.LBB1_3995-.Lpost_getpc12749)&4294967295
	s_addc_u32 s15, s15, (.LBB1_3995-.Lpost_getpc12749)>>32
	s_setpc_b64 s[14:15]
.LBB1_30669:
	s_getpc_b64 s[14:15]
.Lpost_getpc998:
	s_add_u32 s14, s14, (.LBB1_3996-.Lpost_getpc998)&4294967295
	s_addc_u32 s15, s15, (.LBB1_3996-.Lpost_getpc998)>>32
	s_setpc_b64 s[14:15]
.LBB1_18333:
	s_movk_i32 s4, 0x80
	v_cmp_eq_u16_sdwa s[12:13], v2, s4 src0_sel:BYTE_3 src1_sel:DWORD
	s_mov_b64 s[4:5], -1
                                        ; implicit-def: $sgpr10
	s_and_saveexec_b64 s[8:9], s[12:13]
; %bb.18334:
	s_mov_b32 s10, 0x7f800001
	s_xor_b64 s[4:5], exec, -1
; %bb.18335:
	s_or_b64 exec, exec, s[8:9]
	s_and_b64 s[4:5], s[4:5], exec
	s_or_saveexec_b64 s[6:7], s[6:7]
	v_mov_b32_e32 v6, s10
	s_xor_b64 exec, exec, s[6:7]
	s_cbranch_execnz .LBB1_18336
; %bb.54173:
	s_getpc_b64 s[14:15]
.Lpost_getpc12750:
	s_add_u32 s14, s14, (.LBB1_3998-.Lpost_getpc12750)&4294967295
	s_addc_u32 s15, s15, (.LBB1_3998-.Lpost_getpc12750)>>32
	s_setpc_b64 s[14:15]
.LBB1_18336:
	v_mov_b32_e32 v6, 0
	v_cmp_ne_u16_sdwa s[8:9], v2, v6 src0_sel:BYTE_3 src1_sel:DWORD
	s_andn2_b64 s[4:5], s[4:5], exec
	s_and_b64 s[8:9], s[8:9], exec
	s_or_b64 s[4:5], s[4:5], s[8:9]
	s_or_b64 exec, exec, s[6:7]
	s_and_saveexec_b64 s[6:7], s[4:5]
	s_cbranch_execz .LBB1_30671
; %bb.54175:
	s_getpc_b64 s[14:15]
.Lpost_getpc12751:
	s_add_u32 s14, s14, (.LBB1_3999-.Lpost_getpc12751)&4294967295
	s_addc_u32 s15, s15, (.LBB1_3999-.Lpost_getpc12751)>>32
	s_setpc_b64 s[14:15]
.LBB1_30671:
	s_getpc_b64 s[14:15]
.Lpost_getpc999:
	s_add_u32 s14, s14, (.LBB1_4000-.Lpost_getpc999)&4294967295
	s_addc_u32 s15, s15, (.LBB1_4000-.Lpost_getpc999)>>32
	s_setpc_b64 s[14:15]
.LBB1_18337:
	s_movk_i32 s4, 0x80
	v_cmp_eq_u16_sdwa s[12:13], v7, s4 src0_sel:BYTE_0 src1_sel:DWORD
	s_mov_b64 s[4:5], -1
                                        ; implicit-def: $sgpr10
	s_and_saveexec_b64 s[8:9], s[12:13]
; %bb.18338:
	s_mov_b32 s10, 0x7f800001
	s_xor_b64 s[4:5], exec, -1
; %bb.18339:
	s_or_b64 exec, exec, s[8:9]
	s_and_b64 s[4:5], s[4:5], exec
	s_or_saveexec_b64 s[6:7], s[6:7]
	v_mov_b32_e32 v2, s10
	s_xor_b64 exec, exec, s[6:7]
	s_cbranch_execnz .LBB1_18340
; %bb.54177:
	s_getpc_b64 s[14:15]
.Lpost_getpc12752:
	s_add_u32 s14, s14, (.LBB1_4002-.Lpost_getpc12752)&4294967295
	s_addc_u32 s15, s15, (.LBB1_4002-.Lpost_getpc12752)>>32
	s_setpc_b64 s[14:15]
.LBB1_18340:
	v_mov_b32_e32 v2, 0
	v_cmp_ne_u16_sdwa s[8:9], v7, v2 src0_sel:BYTE_0 src1_sel:DWORD
	s_andn2_b64 s[4:5], s[4:5], exec
	s_and_b64 s[8:9], s[8:9], exec
	s_or_b64 s[4:5], s[4:5], s[8:9]
	s_or_b64 exec, exec, s[6:7]
	s_and_saveexec_b64 s[6:7], s[4:5]
	s_cbranch_execz .LBB1_30673
; %bb.54179:
	s_getpc_b64 s[14:15]
.Lpost_getpc12753:
	s_add_u32 s14, s14, (.LBB1_4003-.Lpost_getpc12753)&4294967295
	s_addc_u32 s15, s15, (.LBB1_4003-.Lpost_getpc12753)>>32
	s_setpc_b64 s[14:15]
.LBB1_30673:
	s_getpc_b64 s[14:15]
.Lpost_getpc1000:
	s_add_u32 s14, s14, (.LBB1_4004-.Lpost_getpc1000)&4294967295
	s_addc_u32 s15, s15, (.LBB1_4004-.Lpost_getpc1000)>>32
	s_setpc_b64 s[14:15]
.LBB1_18341:
	s_movk_i32 s4, 0x80
	v_cmp_eq_u16_sdwa s[12:13], v3, s4 src0_sel:BYTE_0 src1_sel:DWORD
	s_mov_b64 s[4:5], -1
                                        ; implicit-def: $sgpr10
	s_and_saveexec_b64 s[8:9], s[12:13]
; %bb.18342:
	s_mov_b32 s10, 0x7f800001
	s_xor_b64 s[4:5], exec, -1
; %bb.18343:
	s_or_b64 exec, exec, s[8:9]
	s_and_b64 s[4:5], s[4:5], exec
	s_or_saveexec_b64 s[6:7], s[6:7]
	v_mov_b32_e32 v6, s10
	s_xor_b64 exec, exec, s[6:7]
	s_cbranch_execnz .LBB1_18344
; %bb.54181:
	s_getpc_b64 s[14:15]
.Lpost_getpc12754:
	s_add_u32 s14, s14, (.LBB1_4006-.Lpost_getpc12754)&4294967295
	s_addc_u32 s15, s15, (.LBB1_4006-.Lpost_getpc12754)>>32
	s_setpc_b64 s[14:15]
.LBB1_18344:
	v_mov_b32_e32 v6, 0
	v_cmp_ne_u16_sdwa s[8:9], v3, v6 src0_sel:BYTE_0 src1_sel:DWORD
	s_andn2_b64 s[4:5], s[4:5], exec
	s_and_b64 s[8:9], s[8:9], exec
	s_or_b64 s[4:5], s[4:5], s[8:9]
	s_or_b64 exec, exec, s[6:7]
	s_and_saveexec_b64 s[6:7], s[4:5]
	s_cbranch_execz .LBB1_30675
; %bb.54183:
	s_getpc_b64 s[14:15]
.Lpost_getpc12755:
	s_add_u32 s14, s14, (.LBB1_4007-.Lpost_getpc12755)&4294967295
	s_addc_u32 s15, s15, (.LBB1_4007-.Lpost_getpc12755)>>32
	s_setpc_b64 s[14:15]
.LBB1_30675:
	s_getpc_b64 s[14:15]
.Lpost_getpc1001:
	s_add_u32 s14, s14, (.LBB1_4008-.Lpost_getpc1001)&4294967295
	s_addc_u32 s15, s15, (.LBB1_4008-.Lpost_getpc1001)>>32
	s_setpc_b64 s[14:15]
.LBB1_18345:
	s_movk_i32 s4, 0x80
	v_cmp_eq_u16_sdwa s[12:13], v6, s4 src0_sel:BYTE_0 src1_sel:DWORD
	s_mov_b64 s[4:5], -1
                                        ; implicit-def: $sgpr10
	s_and_saveexec_b64 s[8:9], s[12:13]
; %bb.18346:
	s_mov_b32 s10, 0x7f800001
	s_xor_b64 s[4:5], exec, -1
; %bb.18347:
	s_or_b64 exec, exec, s[8:9]
	s_and_b64 s[4:5], s[4:5], exec
	s_or_saveexec_b64 s[6:7], s[6:7]
	v_mov_b32_e32 v2, s10
	s_xor_b64 exec, exec, s[6:7]
	s_cbranch_execnz .LBB1_18348
; %bb.54185:
	s_getpc_b64 s[14:15]
.Lpost_getpc12756:
	s_add_u32 s14, s14, (.LBB1_4010-.Lpost_getpc12756)&4294967295
	s_addc_u32 s15, s15, (.LBB1_4010-.Lpost_getpc12756)>>32
	s_setpc_b64 s[14:15]
.LBB1_18348:
	v_mov_b32_e32 v2, 0
	v_cmp_ne_u16_sdwa s[8:9], v6, v2 src0_sel:BYTE_0 src1_sel:DWORD
	s_andn2_b64 s[4:5], s[4:5], exec
	s_and_b64 s[8:9], s[8:9], exec
	s_or_b64 s[4:5], s[4:5], s[8:9]
	s_or_b64 exec, exec, s[6:7]
	s_and_saveexec_b64 s[6:7], s[4:5]
	s_cbranch_execz .LBB1_30677
; %bb.54187:
	s_getpc_b64 s[14:15]
.Lpost_getpc12757:
	s_add_u32 s14, s14, (.LBB1_4011-.Lpost_getpc12757)&4294967295
	s_addc_u32 s15, s15, (.LBB1_4011-.Lpost_getpc12757)>>32
	s_setpc_b64 s[14:15]
.LBB1_30677:
	s_getpc_b64 s[14:15]
.Lpost_getpc1002:
	s_add_u32 s14, s14, (.LBB1_4012-.Lpost_getpc1002)&4294967295
	s_addc_u32 s15, s15, (.LBB1_4012-.Lpost_getpc1002)>>32
	s_setpc_b64 s[14:15]
.LBB1_18349:
	s_movk_i32 s4, 0x80
	v_cmp_eq_u16_sdwa s[12:13], v6, s4 src0_sel:BYTE_0 src1_sel:DWORD
	s_mov_b64 s[4:5], -1
                                        ; implicit-def: $sgpr10
	s_and_saveexec_b64 s[8:9], s[12:13]
; %bb.18350:
	s_mov_b32 s10, 0x7f800001
	s_xor_b64 s[4:5], exec, -1
; %bb.18351:
	s_or_b64 exec, exec, s[8:9]
	s_and_b64 s[4:5], s[4:5], exec
	s_or_saveexec_b64 s[6:7], s[6:7]
	v_mov_b32_e32 v12, s10
	s_xor_b64 exec, exec, s[6:7]
	s_cbranch_execnz .LBB1_18352
; %bb.54189:
	s_getpc_b64 s[14:15]
.Lpost_getpc12758:
	s_add_u32 s14, s14, (.LBB1_4014-.Lpost_getpc12758)&4294967295
	s_addc_u32 s15, s15, (.LBB1_4014-.Lpost_getpc12758)>>32
	s_setpc_b64 s[14:15]
.LBB1_18352:
	v_mov_b32_e32 v12, 0
	v_cmp_ne_u16_sdwa s[8:9], v6, v12 src0_sel:BYTE_0 src1_sel:DWORD
	s_andn2_b64 s[4:5], s[4:5], exec
	s_and_b64 s[8:9], s[8:9], exec
	s_or_b64 s[4:5], s[4:5], s[8:9]
	s_or_b64 exec, exec, s[6:7]
	s_and_saveexec_b64 s[6:7], s[4:5]
	s_cbranch_execz .LBB1_30679
; %bb.54191:
	s_getpc_b64 s[14:15]
.Lpost_getpc12759:
	s_add_u32 s14, s14, (.LBB1_4015-.Lpost_getpc12759)&4294967295
	s_addc_u32 s15, s15, (.LBB1_4015-.Lpost_getpc12759)>>32
	s_setpc_b64 s[14:15]
.LBB1_30679:
	s_getpc_b64 s[14:15]
.Lpost_getpc1003:
	s_add_u32 s14, s14, (.LBB1_4016-.Lpost_getpc1003)&4294967295
	s_addc_u32 s15, s15, (.LBB1_4016-.Lpost_getpc1003)>>32
	s_setpc_b64 s[14:15]
.LBB1_18353:
	s_movk_i32 s4, 0x80
	v_cmp_eq_u16_e32 vcc, s4, v6
	s_mov_b64 s[4:5], -1
                                        ; implicit-def: $sgpr10
	s_and_saveexec_b64 s[8:9], vcc
; %bb.18354:
	s_mov_b32 s10, 0x7f800001
	s_xor_b64 s[4:5], exec, -1
; %bb.18355:
	s_or_b64 exec, exec, s[8:9]
	s_and_b64 s[4:5], s[4:5], exec
                                        ; implicit-def: $vgpr6
	s_or_saveexec_b64 s[6:7], s[6:7]
	v_mov_b32_e32 v2, s10
	s_xor_b64 exec, exec, s[6:7]
	s_cbranch_execnz .LBB1_18356
; %bb.54193:
	s_getpc_b64 s[14:15]
.Lpost_getpc12760:
	s_add_u32 s14, s14, (.LBB1_4018-.Lpost_getpc12760)&4294967295
	s_addc_u32 s15, s15, (.LBB1_4018-.Lpost_getpc12760)>>32
	s_setpc_b64 s[14:15]
.LBB1_18356:
	v_cmp_ne_u16_e32 vcc, 0, v6
	s_andn2_b64 s[4:5], s[4:5], exec
	s_and_b64 s[8:9], vcc, exec
	v_mov_b32_e32 v2, 0
	s_or_b64 s[4:5], s[4:5], s[8:9]
	s_or_b64 exec, exec, s[6:7]
	s_and_saveexec_b64 s[6:7], s[4:5]
	s_cbranch_execz .LBB1_30681
; %bb.54195:
	s_getpc_b64 s[14:15]
.Lpost_getpc12761:
	s_add_u32 s14, s14, (.LBB1_4019-.Lpost_getpc12761)&4294967295
	s_addc_u32 s15, s15, (.LBB1_4019-.Lpost_getpc12761)>>32
	s_setpc_b64 s[14:15]
.LBB1_30681:
	s_getpc_b64 s[14:15]
.Lpost_getpc1004:
	s_add_u32 s14, s14, (.LBB1_4020-.Lpost_getpc1004)&4294967295
	s_addc_u32 s15, s15, (.LBB1_4020-.Lpost_getpc1004)>>32
	s_setpc_b64 s[14:15]
.LBB1_18357:
	s_movk_i32 s4, 0x80
	v_cmp_eq_u16_e32 vcc, s4, v6
	s_mov_b64 s[4:5], -1
                                        ; implicit-def: $sgpr10
	s_and_saveexec_b64 s[8:9], vcc
; %bb.18358:
	s_mov_b32 s10, 0x7f800001
	s_xor_b64 s[4:5], exec, -1
; %bb.18359:
	s_or_b64 exec, exec, s[8:9]
	s_and_b64 s[4:5], s[4:5], exec
                                        ; implicit-def: $vgpr6
	s_or_saveexec_b64 s[6:7], s[6:7]
	v_mov_b32_e32 v12, s10
	s_xor_b64 exec, exec, s[6:7]
	s_cbranch_execnz .LBB1_18360
; %bb.54197:
	s_getpc_b64 s[14:15]
.Lpost_getpc12762:
	s_add_u32 s14, s14, (.LBB1_4022-.Lpost_getpc12762)&4294967295
	s_addc_u32 s15, s15, (.LBB1_4022-.Lpost_getpc12762)>>32
	s_setpc_b64 s[14:15]
.LBB1_18360:
	v_cmp_ne_u16_e32 vcc, 0, v6
	s_andn2_b64 s[4:5], s[4:5], exec
	s_and_b64 s[8:9], vcc, exec
	v_mov_b32_e32 v12, 0
	s_or_b64 s[4:5], s[4:5], s[8:9]
	s_or_b64 exec, exec, s[6:7]
	s_and_saveexec_b64 s[6:7], s[4:5]
	s_cbranch_execz .LBB1_30683
; %bb.54199:
	s_getpc_b64 s[14:15]
.Lpost_getpc12763:
	s_add_u32 s14, s14, (.LBB1_4023-.Lpost_getpc12763)&4294967295
	s_addc_u32 s15, s15, (.LBB1_4023-.Lpost_getpc12763)>>32
	s_setpc_b64 s[14:15]
.LBB1_30683:
	s_getpc_b64 s[14:15]
.Lpost_getpc1005:
	s_add_u32 s14, s14, (.LBB1_4024-.Lpost_getpc1005)&4294967295
	s_addc_u32 s15, s15, (.LBB1_4024-.Lpost_getpc1005)>>32
	s_setpc_b64 s[14:15]
.LBB1_18361:
	s_movk_i32 s4, 0x80
	v_cmp_eq_u16_sdwa s[12:13], v7, s4 src0_sel:BYTE_3 src1_sel:DWORD
	s_mov_b64 s[4:5], -1
                                        ; implicit-def: $sgpr10
	s_and_saveexec_b64 s[8:9], s[12:13]
; %bb.18362:
	s_mov_b32 s10, 0x7f800001
	s_xor_b64 s[4:5], exec, -1
; %bb.18363:
	s_or_b64 exec, exec, s[8:9]
	s_and_b64 s[4:5], s[4:5], exec
	s_or_saveexec_b64 s[6:7], s[6:7]
	v_mov_b32_e32 v2, s10
	s_xor_b64 exec, exec, s[6:7]
	s_cbranch_execnz .LBB1_18364
; %bb.54201:
	s_getpc_b64 s[14:15]
.Lpost_getpc12764:
	s_add_u32 s14, s14, (.LBB1_4026-.Lpost_getpc12764)&4294967295
	s_addc_u32 s15, s15, (.LBB1_4026-.Lpost_getpc12764)>>32
	s_setpc_b64 s[14:15]
.LBB1_18364:
	v_mov_b32_e32 v2, 0
	v_cmp_ne_u16_sdwa s[8:9], v7, v2 src0_sel:BYTE_3 src1_sel:DWORD
	s_andn2_b64 s[4:5], s[4:5], exec
	s_and_b64 s[8:9], s[8:9], exec
	s_or_b64 s[4:5], s[4:5], s[8:9]
	s_or_b64 exec, exec, s[6:7]
	s_and_saveexec_b64 s[6:7], s[4:5]
	s_cbranch_execz .LBB1_30685
; %bb.54203:
	s_getpc_b64 s[14:15]
.Lpost_getpc12765:
	s_add_u32 s14, s14, (.LBB1_4027-.Lpost_getpc12765)&4294967295
	s_addc_u32 s15, s15, (.LBB1_4027-.Lpost_getpc12765)>>32
	s_setpc_b64 s[14:15]
.LBB1_30685:
	s_getpc_b64 s[14:15]
.Lpost_getpc1006:
	s_add_u32 s14, s14, (.LBB1_4028-.Lpost_getpc1006)&4294967295
	s_addc_u32 s15, s15, (.LBB1_4028-.Lpost_getpc1006)>>32
	s_setpc_b64 s[14:15]
.LBB1_18365:
	s_movk_i32 s4, 0x80
	v_cmp_eq_u16_sdwa s[12:13], v3, s4 src0_sel:BYTE_3 src1_sel:DWORD
	s_mov_b64 s[4:5], -1
                                        ; implicit-def: $sgpr10
	s_and_saveexec_b64 s[8:9], s[12:13]
; %bb.18366:
	s_mov_b32 s10, 0x7f800001
	s_xor_b64 s[4:5], exec, -1
; %bb.18367:
	s_or_b64 exec, exec, s[8:9]
	s_and_b64 s[4:5], s[4:5], exec
	s_or_saveexec_b64 s[6:7], s[6:7]
	v_mov_b32_e32 v6, s10
	s_xor_b64 exec, exec, s[6:7]
	s_cbranch_execnz .LBB1_18368
; %bb.54205:
	s_getpc_b64 s[14:15]
.Lpost_getpc12766:
	s_add_u32 s14, s14, (.LBB1_4030-.Lpost_getpc12766)&4294967295
	s_addc_u32 s15, s15, (.LBB1_4030-.Lpost_getpc12766)>>32
	s_setpc_b64 s[14:15]
.LBB1_18368:
	v_mov_b32_e32 v6, 0
	v_cmp_ne_u16_sdwa s[8:9], v3, v6 src0_sel:BYTE_3 src1_sel:DWORD
	s_andn2_b64 s[4:5], s[4:5], exec
	s_and_b64 s[8:9], s[8:9], exec
	s_or_b64 s[4:5], s[4:5], s[8:9]
	s_or_b64 exec, exec, s[6:7]
	s_and_saveexec_b64 s[6:7], s[4:5]
	s_cbranch_execz .LBB1_30687
; %bb.54207:
	s_getpc_b64 s[14:15]
.Lpost_getpc12767:
	s_add_u32 s14, s14, (.LBB1_4031-.Lpost_getpc12767)&4294967295
	s_addc_u32 s15, s15, (.LBB1_4031-.Lpost_getpc12767)>>32
	s_setpc_b64 s[14:15]
.LBB1_30687:
	s_getpc_b64 s[14:15]
.Lpost_getpc1007:
	s_add_u32 s14, s14, (.LBB1_4032-.Lpost_getpc1007)&4294967295
	s_addc_u32 s15, s15, (.LBB1_4032-.Lpost_getpc1007)>>32
	s_setpc_b64 s[14:15]
.LBB1_18369:
	s_movk_i32 s4, 0x80
	v_cmp_eq_u16_sdwa s[12:13], v8, s4 src0_sel:BYTE_0 src1_sel:DWORD
	s_mov_b64 s[4:5], -1
                                        ; implicit-def: $sgpr10
	s_and_saveexec_b64 s[8:9], s[12:13]
; %bb.18370:
	s_mov_b32 s10, 0x7f800001
	s_xor_b64 s[4:5], exec, -1
; %bb.18371:
	s_or_b64 exec, exec, s[8:9]
	s_and_b64 s[4:5], s[4:5], exec
	s_or_saveexec_b64 s[6:7], s[6:7]
	v_mov_b32_e32 v2, s10
	s_xor_b64 exec, exec, s[6:7]
	s_cbranch_execnz .LBB1_18372
; %bb.54209:
	s_getpc_b64 s[14:15]
.Lpost_getpc12768:
	s_add_u32 s14, s14, (.LBB1_4034-.Lpost_getpc12768)&4294967295
	s_addc_u32 s15, s15, (.LBB1_4034-.Lpost_getpc12768)>>32
	s_setpc_b64 s[14:15]
.LBB1_18372:
	v_mov_b32_e32 v2, 0
	v_cmp_ne_u16_sdwa s[8:9], v8, v2 src0_sel:BYTE_0 src1_sel:DWORD
	s_andn2_b64 s[4:5], s[4:5], exec
	s_and_b64 s[8:9], s[8:9], exec
	s_or_b64 s[4:5], s[4:5], s[8:9]
	s_or_b64 exec, exec, s[6:7]
	s_and_saveexec_b64 s[6:7], s[4:5]
	s_cbranch_execz .LBB1_30689
; %bb.54211:
	s_getpc_b64 s[14:15]
.Lpost_getpc12769:
	s_add_u32 s14, s14, (.LBB1_4035-.Lpost_getpc12769)&4294967295
	s_addc_u32 s15, s15, (.LBB1_4035-.Lpost_getpc12769)>>32
	s_setpc_b64 s[14:15]
.LBB1_30689:
	s_getpc_b64 s[14:15]
.Lpost_getpc1008:
	s_add_u32 s14, s14, (.LBB1_4036-.Lpost_getpc1008)&4294967295
	s_addc_u32 s15, s15, (.LBB1_4036-.Lpost_getpc1008)>>32
	s_setpc_b64 s[14:15]
.LBB1_18373:
	s_movk_i32 s4, 0x80
	v_cmp_eq_u16_sdwa s[12:13], v4, s4 src0_sel:BYTE_0 src1_sel:DWORD
	s_mov_b64 s[4:5], -1
                                        ; implicit-def: $sgpr10
	s_and_saveexec_b64 s[8:9], s[12:13]
; %bb.18374:
	s_mov_b32 s10, 0x7f800001
	s_xor_b64 s[4:5], exec, -1
; %bb.18375:
	s_or_b64 exec, exec, s[8:9]
	s_and_b64 s[4:5], s[4:5], exec
	s_or_saveexec_b64 s[6:7], s[6:7]
	v_mov_b32_e32 v3, s10
	s_xor_b64 exec, exec, s[6:7]
	s_cbranch_execnz .LBB1_18376
; %bb.54213:
	s_getpc_b64 s[14:15]
.Lpost_getpc12770:
	s_add_u32 s14, s14, (.LBB1_4038-.Lpost_getpc12770)&4294967295
	s_addc_u32 s15, s15, (.LBB1_4038-.Lpost_getpc12770)>>32
	s_setpc_b64 s[14:15]
.LBB1_18376:
	v_mov_b32_e32 v3, 0
	v_cmp_ne_u16_sdwa s[8:9], v4, v3 src0_sel:BYTE_0 src1_sel:DWORD
	s_andn2_b64 s[4:5], s[4:5], exec
	s_and_b64 s[8:9], s[8:9], exec
	s_or_b64 s[4:5], s[4:5], s[8:9]
	s_or_b64 exec, exec, s[6:7]
	s_and_saveexec_b64 s[6:7], s[4:5]
	s_cbranch_execz .LBB1_30691
; %bb.54215:
	s_getpc_b64 s[14:15]
.Lpost_getpc12771:
	s_add_u32 s14, s14, (.LBB1_4039-.Lpost_getpc12771)&4294967295
	s_addc_u32 s15, s15, (.LBB1_4039-.Lpost_getpc12771)>>32
	s_setpc_b64 s[14:15]
.LBB1_30691:
	s_getpc_b64 s[14:15]
.Lpost_getpc1009:
	s_add_u32 s14, s14, (.LBB1_4040-.Lpost_getpc1009)&4294967295
	s_addc_u32 s15, s15, (.LBB1_4040-.Lpost_getpc1009)>>32
	s_setpc_b64 s[14:15]
.LBB1_18377:
	s_movk_i32 s4, 0x80
	v_cmp_eq_u16_sdwa s[12:13], v3, s4 src0_sel:BYTE_0 src1_sel:DWORD
	s_mov_b64 s[4:5], -1
                                        ; implicit-def: $sgpr10
	s_and_saveexec_b64 s[8:9], s[12:13]
; %bb.18378:
	s_mov_b32 s10, 0x7f800001
	s_xor_b64 s[4:5], exec, -1
; %bb.18379:
	s_or_b64 exec, exec, s[8:9]
	s_and_b64 s[4:5], s[4:5], exec
	s_or_saveexec_b64 s[6:7], s[6:7]
	v_mov_b32_e32 v2, s10
	s_xor_b64 exec, exec, s[6:7]
	s_cbranch_execnz .LBB1_18380
; %bb.54217:
	s_getpc_b64 s[14:15]
.Lpost_getpc12772:
	s_add_u32 s14, s14, (.LBB1_4042-.Lpost_getpc12772)&4294967295
	s_addc_u32 s15, s15, (.LBB1_4042-.Lpost_getpc12772)>>32
	s_setpc_b64 s[14:15]
.LBB1_18380:
	v_mov_b32_e32 v2, 0
	v_cmp_ne_u16_sdwa s[8:9], v3, v2 src0_sel:BYTE_0 src1_sel:DWORD
	s_andn2_b64 s[4:5], s[4:5], exec
	s_and_b64 s[8:9], s[8:9], exec
	s_or_b64 s[4:5], s[4:5], s[8:9]
	s_or_b64 exec, exec, s[6:7]
	s_and_saveexec_b64 s[6:7], s[4:5]
	s_cbranch_execz .LBB1_30693
; %bb.54219:
	s_getpc_b64 s[14:15]
.Lpost_getpc12773:
	s_add_u32 s14, s14, (.LBB1_4043-.Lpost_getpc12773)&4294967295
	s_addc_u32 s15, s15, (.LBB1_4043-.Lpost_getpc12773)>>32
	s_setpc_b64 s[14:15]
.LBB1_30693:
	s_getpc_b64 s[14:15]
.Lpost_getpc1010:
	s_add_u32 s14, s14, (.LBB1_4044-.Lpost_getpc1010)&4294967295
	s_addc_u32 s15, s15, (.LBB1_4044-.Lpost_getpc1010)>>32
	s_setpc_b64 s[14:15]
.LBB1_18381:
	s_movk_i32 s4, 0x80
	v_cmp_eq_u16_sdwa s[12:13], v3, s4 src0_sel:BYTE_0 src1_sel:DWORD
	s_mov_b64 s[4:5], -1
                                        ; implicit-def: $sgpr10
	s_and_saveexec_b64 s[8:9], s[12:13]
; %bb.18382:
	s_mov_b32 s10, 0x7f800001
	s_xor_b64 s[4:5], exec, -1
; %bb.18383:
	s_or_b64 exec, exec, s[8:9]
	s_and_b64 s[4:5], s[4:5], exec
	s_or_saveexec_b64 s[6:7], s[6:7]
	v_mov_b32_e32 v6, s10
	s_xor_b64 exec, exec, s[6:7]
	s_cbranch_execnz .LBB1_18384
; %bb.54221:
	s_getpc_b64 s[14:15]
.Lpost_getpc12774:
	s_add_u32 s14, s14, (.LBB1_4046-.Lpost_getpc12774)&4294967295
	s_addc_u32 s15, s15, (.LBB1_4046-.Lpost_getpc12774)>>32
	s_setpc_b64 s[14:15]
.LBB1_18384:
	v_mov_b32_e32 v6, 0
	v_cmp_ne_u16_sdwa s[8:9], v3, v6 src0_sel:BYTE_0 src1_sel:DWORD
	s_andn2_b64 s[4:5], s[4:5], exec
	s_and_b64 s[8:9], s[8:9], exec
	s_or_b64 s[4:5], s[4:5], s[8:9]
	s_or_b64 exec, exec, s[6:7]
	s_and_saveexec_b64 s[6:7], s[4:5]
	s_cbranch_execz .LBB1_30695
; %bb.54223:
	s_getpc_b64 s[14:15]
.Lpost_getpc12775:
	s_add_u32 s14, s14, (.LBB1_4047-.Lpost_getpc12775)&4294967295
	s_addc_u32 s15, s15, (.LBB1_4047-.Lpost_getpc12775)>>32
	s_setpc_b64 s[14:15]
.LBB1_30695:
	s_getpc_b64 s[14:15]
.Lpost_getpc1011:
	s_add_u32 s14, s14, (.LBB1_4048-.Lpost_getpc1011)&4294967295
	s_addc_u32 s15, s15, (.LBB1_4048-.Lpost_getpc1011)>>32
	s_setpc_b64 s[14:15]
.LBB1_18385:
	s_movk_i32 s4, 0x80
	v_cmp_eq_u16_e32 vcc, s4, v3
	s_mov_b64 s[4:5], -1
                                        ; implicit-def: $sgpr10
	s_and_saveexec_b64 s[8:9], vcc
; %bb.18386:
	s_mov_b32 s10, 0x7f800001
	s_xor_b64 s[4:5], exec, -1
; %bb.18387:
	s_or_b64 exec, exec, s[8:9]
	s_and_b64 s[4:5], s[4:5], exec
                                        ; implicit-def: $vgpr3
	s_or_saveexec_b64 s[6:7], s[6:7]
	v_mov_b32_e32 v2, s10
	s_xor_b64 exec, exec, s[6:7]
	s_cbranch_execnz .LBB1_18388
; %bb.54225:
	s_getpc_b64 s[14:15]
.Lpost_getpc12776:
	s_add_u32 s14, s14, (.LBB1_4050-.Lpost_getpc12776)&4294967295
	s_addc_u32 s15, s15, (.LBB1_4050-.Lpost_getpc12776)>>32
	s_setpc_b64 s[14:15]
.LBB1_18388:
	v_cmp_ne_u16_e32 vcc, 0, v3
	s_andn2_b64 s[4:5], s[4:5], exec
	s_and_b64 s[8:9], vcc, exec
	v_mov_b32_e32 v2, 0
	s_or_b64 s[4:5], s[4:5], s[8:9]
	s_or_b64 exec, exec, s[6:7]
	s_and_saveexec_b64 s[6:7], s[4:5]
	s_cbranch_execz .LBB1_30697
; %bb.54227:
	s_getpc_b64 s[14:15]
.Lpost_getpc12777:
	s_add_u32 s14, s14, (.LBB1_4051-.Lpost_getpc12777)&4294967295
	s_addc_u32 s15, s15, (.LBB1_4051-.Lpost_getpc12777)>>32
	s_setpc_b64 s[14:15]
.LBB1_30697:
	s_getpc_b64 s[14:15]
.Lpost_getpc1012:
	s_add_u32 s14, s14, (.LBB1_4052-.Lpost_getpc1012)&4294967295
	s_addc_u32 s15, s15, (.LBB1_4052-.Lpost_getpc1012)>>32
	s_setpc_b64 s[14:15]
.LBB1_18389:
	s_movk_i32 s4, 0x80
	v_cmp_eq_u16_e32 vcc, s4, v3
	s_mov_b64 s[4:5], -1
                                        ; implicit-def: $sgpr10
	s_and_saveexec_b64 s[8:9], vcc
; %bb.18390:
	s_mov_b32 s10, 0x7f800001
	s_xor_b64 s[4:5], exec, -1
; %bb.18391:
	s_or_b64 exec, exec, s[8:9]
	s_and_b64 s[4:5], s[4:5], exec
                                        ; implicit-def: $vgpr3
	s_or_saveexec_b64 s[6:7], s[6:7]
	v_mov_b32_e32 v6, s10
	s_xor_b64 exec, exec, s[6:7]
	s_cbranch_execnz .LBB1_18392
; %bb.54229:
	s_getpc_b64 s[14:15]
.Lpost_getpc12778:
	s_add_u32 s14, s14, (.LBB1_4054-.Lpost_getpc12778)&4294967295
	s_addc_u32 s15, s15, (.LBB1_4054-.Lpost_getpc12778)>>32
	s_setpc_b64 s[14:15]
.LBB1_18392:
	v_cmp_ne_u16_e32 vcc, 0, v3
	s_andn2_b64 s[4:5], s[4:5], exec
	s_and_b64 s[8:9], vcc, exec
	v_mov_b32_e32 v6, 0
	s_or_b64 s[4:5], s[4:5], s[8:9]
	s_or_b64 exec, exec, s[6:7]
	s_and_saveexec_b64 s[6:7], s[4:5]
	s_cbranch_execz .LBB1_30699
; %bb.54231:
	s_getpc_b64 s[14:15]
.Lpost_getpc12779:
	s_add_u32 s14, s14, (.LBB1_4055-.Lpost_getpc12779)&4294967295
	s_addc_u32 s15, s15, (.LBB1_4055-.Lpost_getpc12779)>>32
	s_setpc_b64 s[14:15]
.LBB1_30699:
	s_getpc_b64 s[14:15]
.Lpost_getpc1013:
	s_add_u32 s14, s14, (.LBB1_4056-.Lpost_getpc1013)&4294967295
	s_addc_u32 s15, s15, (.LBB1_4056-.Lpost_getpc1013)>>32
	s_setpc_b64 s[14:15]
.LBB1_18393:
	s_movk_i32 s4, 0x80
	v_cmp_eq_u16_sdwa s[12:13], v8, s4 src0_sel:BYTE_3 src1_sel:DWORD
	s_mov_b64 s[4:5], -1
                                        ; implicit-def: $sgpr10
	s_and_saveexec_b64 s[8:9], s[12:13]
; %bb.18394:
	s_mov_b32 s10, 0x7f800001
	s_xor_b64 s[4:5], exec, -1
; %bb.18395:
	s_or_b64 exec, exec, s[8:9]
	s_and_b64 s[4:5], s[4:5], exec
	s_or_saveexec_b64 s[6:7], s[6:7]
	v_mov_b32_e32 v2, s10
	s_xor_b64 exec, exec, s[6:7]
	s_cbranch_execnz .LBB1_18396
; %bb.54233:
	s_getpc_b64 s[14:15]
.Lpost_getpc12780:
	s_add_u32 s14, s14, (.LBB1_4058-.Lpost_getpc12780)&4294967295
	s_addc_u32 s15, s15, (.LBB1_4058-.Lpost_getpc12780)>>32
	s_setpc_b64 s[14:15]
.LBB1_18396:
	v_mov_b32_e32 v2, 0
	v_cmp_ne_u16_sdwa s[8:9], v8, v2 src0_sel:BYTE_3 src1_sel:DWORD
	s_andn2_b64 s[4:5], s[4:5], exec
	s_and_b64 s[8:9], s[8:9], exec
	s_or_b64 s[4:5], s[4:5], s[8:9]
	s_or_b64 exec, exec, s[6:7]
	s_and_saveexec_b64 s[6:7], s[4:5]
	s_cbranch_execz .LBB1_30701
; %bb.54235:
	s_getpc_b64 s[14:15]
.Lpost_getpc12781:
	s_add_u32 s14, s14, (.LBB1_4059-.Lpost_getpc12781)&4294967295
	s_addc_u32 s15, s15, (.LBB1_4059-.Lpost_getpc12781)>>32
	s_setpc_b64 s[14:15]
.LBB1_30701:
	s_getpc_b64 s[14:15]
.Lpost_getpc1014:
	s_add_u32 s14, s14, (.LBB1_4060-.Lpost_getpc1014)&4294967295
	s_addc_u32 s15, s15, (.LBB1_4060-.Lpost_getpc1014)>>32
	s_setpc_b64 s[14:15]
.LBB1_18397:
	s_movk_i32 s4, 0x80
	v_cmp_eq_u16_sdwa s[12:13], v4, s4 src0_sel:BYTE_3 src1_sel:DWORD
	s_mov_b64 s[4:5], -1
                                        ; implicit-def: $sgpr10
	s_and_saveexec_b64 s[8:9], s[12:13]
; %bb.18398:
	s_mov_b32 s10, 0x7f800001
	s_xor_b64 s[4:5], exec, -1
; %bb.18399:
	s_or_b64 exec, exec, s[8:9]
	s_and_b64 s[4:5], s[4:5], exec
	s_or_saveexec_b64 s[6:7], s[6:7]
	v_mov_b32_e32 v3, s10
	s_xor_b64 exec, exec, s[6:7]
	s_cbranch_execnz .LBB1_18400
; %bb.54237:
	s_getpc_b64 s[14:15]
.Lpost_getpc12782:
	s_add_u32 s14, s14, (.LBB1_4062-.Lpost_getpc12782)&4294967295
	s_addc_u32 s15, s15, (.LBB1_4062-.Lpost_getpc12782)>>32
	s_setpc_b64 s[14:15]
.LBB1_18400:
	v_mov_b32_e32 v3, 0
	v_cmp_ne_u16_sdwa s[8:9], v4, v3 src0_sel:BYTE_3 src1_sel:DWORD
	s_andn2_b64 s[4:5], s[4:5], exec
	s_and_b64 s[8:9], s[8:9], exec
	s_or_b64 s[4:5], s[4:5], s[8:9]
	s_or_b64 exec, exec, s[6:7]
	s_and_saveexec_b64 s[6:7], s[4:5]
	s_cbranch_execz .LBB1_30703
; %bb.54239:
	s_getpc_b64 s[14:15]
.Lpost_getpc12783:
	s_add_u32 s14, s14, (.LBB1_4063-.Lpost_getpc12783)&4294967295
	s_addc_u32 s15, s15, (.LBB1_4063-.Lpost_getpc12783)>>32
	s_setpc_b64 s[14:15]
.LBB1_30703:
	s_getpc_b64 s[14:15]
.Lpost_getpc1015:
	s_add_u32 s14, s14, (.LBB1_4064-.Lpost_getpc1015)&4294967295
	s_addc_u32 s15, s15, (.LBB1_4064-.Lpost_getpc1015)>>32
	s_setpc_b64 s[14:15]
.LBB1_18401:
	s_movk_i32 s4, 0x80
	v_cmp_eq_u16_sdwa s[12:13], v9, s4 src0_sel:BYTE_0 src1_sel:DWORD
	s_mov_b64 s[4:5], -1
                                        ; implicit-def: $sgpr10
	s_and_saveexec_b64 s[8:9], s[12:13]
; %bb.18402:
	s_mov_b32 s10, 0x7f800001
	s_xor_b64 s[4:5], exec, -1
; %bb.18403:
	s_or_b64 exec, exec, s[8:9]
	s_and_b64 s[4:5], s[4:5], exec
	s_or_saveexec_b64 s[6:7], s[6:7]
	v_mov_b32_e32 v2, s10
	s_xor_b64 exec, exec, s[6:7]
	s_cbranch_execnz .LBB1_18404
; %bb.54241:
	s_getpc_b64 s[14:15]
.Lpost_getpc12784:
	s_add_u32 s14, s14, (.LBB1_4066-.Lpost_getpc12784)&4294967295
	s_addc_u32 s15, s15, (.LBB1_4066-.Lpost_getpc12784)>>32
	s_setpc_b64 s[14:15]
.LBB1_18404:
	v_mov_b32_e32 v2, 0
	v_cmp_ne_u16_sdwa s[8:9], v9, v2 src0_sel:BYTE_0 src1_sel:DWORD
	s_andn2_b64 s[4:5], s[4:5], exec
	s_and_b64 s[8:9], s[8:9], exec
	s_or_b64 s[4:5], s[4:5], s[8:9]
	s_or_b64 exec, exec, s[6:7]
	s_and_saveexec_b64 s[6:7], s[4:5]
	s_cbranch_execz .LBB1_30705
; %bb.54243:
	s_getpc_b64 s[14:15]
.Lpost_getpc12785:
	s_add_u32 s14, s14, (.LBB1_4067-.Lpost_getpc12785)&4294967295
	s_addc_u32 s15, s15, (.LBB1_4067-.Lpost_getpc12785)>>32
	s_setpc_b64 s[14:15]
.LBB1_30705:
	s_getpc_b64 s[14:15]
.Lpost_getpc1016:
	s_add_u32 s14, s14, (.LBB1_4068-.Lpost_getpc1016)&4294967295
	s_addc_u32 s15, s15, (.LBB1_4068-.Lpost_getpc1016)>>32
	s_setpc_b64 s[14:15]
.LBB1_18405:
	s_movk_i32 s4, 0x80
	v_cmp_eq_u16_sdwa s[12:13], v5, s4 src0_sel:BYTE_0 src1_sel:DWORD
	s_mov_b64 s[4:5], -1
                                        ; implicit-def: $sgpr10
	s_and_saveexec_b64 s[8:9], s[12:13]
; %bb.18406:
	s_mov_b32 s10, 0x7f800001
	s_xor_b64 s[4:5], exec, -1
; %bb.18407:
	s_or_b64 exec, exec, s[8:9]
	s_and_b64 s[4:5], s[4:5], exec
	s_or_saveexec_b64 s[6:7], s[6:7]
	v_mov_b32_e32 v3, s10
	s_xor_b64 exec, exec, s[6:7]
	s_cbranch_execnz .LBB1_18408
; %bb.54245:
	s_getpc_b64 s[14:15]
.Lpost_getpc12786:
	s_add_u32 s14, s14, (.LBB1_4070-.Lpost_getpc12786)&4294967295
	s_addc_u32 s15, s15, (.LBB1_4070-.Lpost_getpc12786)>>32
	s_setpc_b64 s[14:15]
.LBB1_18408:
	v_mov_b32_e32 v3, 0
	v_cmp_ne_u16_sdwa s[8:9], v5, v3 src0_sel:BYTE_0 src1_sel:DWORD
	s_andn2_b64 s[4:5], s[4:5], exec
	s_and_b64 s[8:9], s[8:9], exec
	s_or_b64 s[4:5], s[4:5], s[8:9]
	s_or_b64 exec, exec, s[6:7]
	s_and_saveexec_b64 s[6:7], s[4:5]
	s_cbranch_execz .LBB1_30707
; %bb.54247:
	s_getpc_b64 s[14:15]
.Lpost_getpc12787:
	s_add_u32 s14, s14, (.LBB1_4071-.Lpost_getpc12787)&4294967295
	s_addc_u32 s15, s15, (.LBB1_4071-.Lpost_getpc12787)>>32
	s_setpc_b64 s[14:15]
.LBB1_30707:
	s_getpc_b64 s[14:15]
.Lpost_getpc1017:
	s_add_u32 s14, s14, (.LBB1_4072-.Lpost_getpc1017)&4294967295
	s_addc_u32 s15, s15, (.LBB1_4072-.Lpost_getpc1017)>>32
	s_setpc_b64 s[14:15]
.LBB1_18409:
	s_movk_i32 s4, 0x80
	v_cmp_eq_u16_sdwa s[12:13], v3, s4 src0_sel:BYTE_0 src1_sel:DWORD
	s_mov_b64 s[4:5], -1
                                        ; implicit-def: $sgpr10
	s_and_saveexec_b64 s[8:9], s[12:13]
; %bb.18410:
	s_mov_b32 s10, 0x7f800001
	s_xor_b64 s[4:5], exec, -1
; %bb.18411:
	s_or_b64 exec, exec, s[8:9]
	s_and_b64 s[4:5], s[4:5], exec
	s_or_saveexec_b64 s[6:7], s[6:7]
	v_mov_b32_e32 v2, s10
	s_xor_b64 exec, exec, s[6:7]
	s_cbranch_execnz .LBB1_18412
; %bb.54249:
	s_getpc_b64 s[14:15]
.Lpost_getpc12788:
	s_add_u32 s14, s14, (.LBB1_4074-.Lpost_getpc12788)&4294967295
	s_addc_u32 s15, s15, (.LBB1_4074-.Lpost_getpc12788)>>32
	s_setpc_b64 s[14:15]
.LBB1_18412:
	v_mov_b32_e32 v2, 0
	v_cmp_ne_u16_sdwa s[8:9], v3, v2 src0_sel:BYTE_0 src1_sel:DWORD
	s_andn2_b64 s[4:5], s[4:5], exec
	s_and_b64 s[8:9], s[8:9], exec
	s_or_b64 s[4:5], s[4:5], s[8:9]
	s_or_b64 exec, exec, s[6:7]
	s_and_saveexec_b64 s[6:7], s[4:5]
	s_cbranch_execz .LBB1_30709
; %bb.54251:
	s_getpc_b64 s[14:15]
.Lpost_getpc12789:
	s_add_u32 s14, s14, (.LBB1_4075-.Lpost_getpc12789)&4294967295
	s_addc_u32 s15, s15, (.LBB1_4075-.Lpost_getpc12789)>>32
	s_setpc_b64 s[14:15]
.LBB1_30709:
	s_getpc_b64 s[14:15]
.Lpost_getpc1018:
	s_add_u32 s14, s14, (.LBB1_4076-.Lpost_getpc1018)&4294967295
	s_addc_u32 s15, s15, (.LBB1_4076-.Lpost_getpc1018)>>32
	s_setpc_b64 s[14:15]
.LBB1_18413:
	s_movk_i32 s4, 0x80
	v_cmp_eq_u16_sdwa s[12:13], v3, s4 src0_sel:BYTE_0 src1_sel:DWORD
	s_mov_b64 s[4:5], -1
                                        ; implicit-def: $sgpr10
	s_and_saveexec_b64 s[8:9], s[12:13]
; %bb.18414:
	s_mov_b32 s10, 0x7f800001
	s_xor_b64 s[4:5], exec, -1
; %bb.18415:
	s_or_b64 exec, exec, s[8:9]
	s_and_b64 s[4:5], s[4:5], exec
	s_or_saveexec_b64 s[6:7], s[6:7]
	v_mov_b32_e32 v4, s10
	s_xor_b64 exec, exec, s[6:7]
	s_cbranch_execnz .LBB1_18416
; %bb.54253:
	s_getpc_b64 s[14:15]
.Lpost_getpc12790:
	s_add_u32 s14, s14, (.LBB1_4078-.Lpost_getpc12790)&4294967295
	s_addc_u32 s15, s15, (.LBB1_4078-.Lpost_getpc12790)>>32
	s_setpc_b64 s[14:15]
.LBB1_18416:
	v_mov_b32_e32 v4, 0
	v_cmp_ne_u16_sdwa s[8:9], v3, v4 src0_sel:BYTE_0 src1_sel:DWORD
	s_andn2_b64 s[4:5], s[4:5], exec
	s_and_b64 s[8:9], s[8:9], exec
	s_or_b64 s[4:5], s[4:5], s[8:9]
	s_or_b64 exec, exec, s[6:7]
	s_and_saveexec_b64 s[6:7], s[4:5]
	s_cbranch_execz .LBB1_30711
; %bb.54255:
	s_getpc_b64 s[14:15]
.Lpost_getpc12791:
	s_add_u32 s14, s14, (.LBB1_4079-.Lpost_getpc12791)&4294967295
	s_addc_u32 s15, s15, (.LBB1_4079-.Lpost_getpc12791)>>32
	s_setpc_b64 s[14:15]
.LBB1_30711:
	s_getpc_b64 s[14:15]
.Lpost_getpc1019:
	s_add_u32 s14, s14, (.LBB1_4080-.Lpost_getpc1019)&4294967295
	s_addc_u32 s15, s15, (.LBB1_4080-.Lpost_getpc1019)>>32
	s_setpc_b64 s[14:15]
.LBB1_18417:
	s_movk_i32 s4, 0x80
	v_cmp_eq_u16_e32 vcc, s4, v3
	s_mov_b64 s[4:5], -1
                                        ; implicit-def: $sgpr10
	s_and_saveexec_b64 s[8:9], vcc
; %bb.18418:
	s_mov_b32 s10, 0x7f800001
	s_xor_b64 s[4:5], exec, -1
; %bb.18419:
	s_or_b64 exec, exec, s[8:9]
	s_and_b64 s[4:5], s[4:5], exec
                                        ; implicit-def: $vgpr3
	s_or_saveexec_b64 s[6:7], s[6:7]
	v_mov_b32_e32 v2, s10
	s_xor_b64 exec, exec, s[6:7]
	s_cbranch_execnz .LBB1_18420
; %bb.54257:
	s_getpc_b64 s[14:15]
.Lpost_getpc12792:
	s_add_u32 s14, s14, (.LBB1_4082-.Lpost_getpc12792)&4294967295
	s_addc_u32 s15, s15, (.LBB1_4082-.Lpost_getpc12792)>>32
	s_setpc_b64 s[14:15]
.LBB1_18420:
	v_cmp_ne_u16_e32 vcc, 0, v3
	s_andn2_b64 s[4:5], s[4:5], exec
	s_and_b64 s[8:9], vcc, exec
	v_mov_b32_e32 v2, 0
	s_or_b64 s[4:5], s[4:5], s[8:9]
	s_or_b64 exec, exec, s[6:7]
	s_and_saveexec_b64 s[6:7], s[4:5]
	s_cbranch_execz .LBB1_30713
; %bb.54259:
	s_getpc_b64 s[14:15]
.Lpost_getpc12793:
	s_add_u32 s14, s14, (.LBB1_4083-.Lpost_getpc12793)&4294967295
	s_addc_u32 s15, s15, (.LBB1_4083-.Lpost_getpc12793)>>32
	s_setpc_b64 s[14:15]
.LBB1_30713:
	s_getpc_b64 s[14:15]
.Lpost_getpc1020:
	s_add_u32 s14, s14, (.LBB1_4084-.Lpost_getpc1020)&4294967295
	s_addc_u32 s15, s15, (.LBB1_4084-.Lpost_getpc1020)>>32
	s_setpc_b64 s[14:15]
.LBB1_18421:
	s_movk_i32 s4, 0x80
	v_cmp_eq_u16_e32 vcc, s4, v3
	s_mov_b64 s[4:5], -1
                                        ; implicit-def: $sgpr10
	s_and_saveexec_b64 s[8:9], vcc
; %bb.18422:
	s_mov_b32 s10, 0x7f800001
	s_xor_b64 s[4:5], exec, -1
; %bb.18423:
	s_or_b64 exec, exec, s[8:9]
	s_and_b64 s[4:5], s[4:5], exec
                                        ; implicit-def: $vgpr3
	s_or_saveexec_b64 s[6:7], s[6:7]
	v_mov_b32_e32 v4, s10
	s_xor_b64 exec, exec, s[6:7]
	s_cbranch_execnz .LBB1_18424
; %bb.54261:
	s_getpc_b64 s[14:15]
.Lpost_getpc12794:
	s_add_u32 s14, s14, (.LBB1_4086-.Lpost_getpc12794)&4294967295
	s_addc_u32 s15, s15, (.LBB1_4086-.Lpost_getpc12794)>>32
	s_setpc_b64 s[14:15]
.LBB1_18424:
	v_cmp_ne_u16_e32 vcc, 0, v3
	s_andn2_b64 s[4:5], s[4:5], exec
	s_and_b64 s[8:9], vcc, exec
	v_mov_b32_e32 v4, 0
	s_or_b64 s[4:5], s[4:5], s[8:9]
	s_or_b64 exec, exec, s[6:7]
	s_and_saveexec_b64 s[6:7], s[4:5]
	s_cbranch_execz .LBB1_30715
; %bb.54263:
	s_getpc_b64 s[14:15]
.Lpost_getpc12795:
	s_add_u32 s14, s14, (.LBB1_4087-.Lpost_getpc12795)&4294967295
	s_addc_u32 s15, s15, (.LBB1_4087-.Lpost_getpc12795)>>32
	s_setpc_b64 s[14:15]
.LBB1_30715:
	s_getpc_b64 s[14:15]
.Lpost_getpc1021:
	s_add_u32 s14, s14, (.LBB1_4088-.Lpost_getpc1021)&4294967295
	s_addc_u32 s15, s15, (.LBB1_4088-.Lpost_getpc1021)>>32
	s_setpc_b64 s[14:15]
.LBB1_18425:
	s_movk_i32 s4, 0x80
	v_cmp_eq_u16_sdwa s[12:13], v9, s4 src0_sel:BYTE_3 src1_sel:DWORD
	s_mov_b64 s[4:5], -1
                                        ; implicit-def: $sgpr10
	s_and_saveexec_b64 s[8:9], s[12:13]
; %bb.18426:
	s_mov_b32 s10, 0x7f800001
	s_xor_b64 s[4:5], exec, -1
; %bb.18427:
	s_or_b64 exec, exec, s[8:9]
	s_and_b64 s[4:5], s[4:5], exec
	s_or_saveexec_b64 s[6:7], s[6:7]
	v_mov_b32_e32 v2, s10
	s_xor_b64 exec, exec, s[6:7]
	s_cbranch_execnz .LBB1_18428
; %bb.54265:
	s_getpc_b64 s[14:15]
.Lpost_getpc12796:
	s_add_u32 s14, s14, (.LBB1_4090-.Lpost_getpc12796)&4294967295
	s_addc_u32 s15, s15, (.LBB1_4090-.Lpost_getpc12796)>>32
	s_setpc_b64 s[14:15]
.LBB1_18428:
	v_mov_b32_e32 v2, 0
	v_cmp_ne_u16_sdwa s[8:9], v9, v2 src0_sel:BYTE_3 src1_sel:DWORD
	s_andn2_b64 s[4:5], s[4:5], exec
	s_and_b64 s[8:9], s[8:9], exec
	s_or_b64 s[4:5], s[4:5], s[8:9]
	s_or_b64 exec, exec, s[6:7]
	s_and_saveexec_b64 s[6:7], s[4:5]
	s_cbranch_execz .LBB1_30717
; %bb.54267:
	s_getpc_b64 s[14:15]
.Lpost_getpc12797:
	s_add_u32 s14, s14, (.LBB1_4091-.Lpost_getpc12797)&4294967295
	s_addc_u32 s15, s15, (.LBB1_4091-.Lpost_getpc12797)>>32
	s_setpc_b64 s[14:15]
.LBB1_30717:
	s_getpc_b64 s[14:15]
.Lpost_getpc1022:
	s_add_u32 s14, s14, (.LBB1_4092-.Lpost_getpc1022)&4294967295
	s_addc_u32 s15, s15, (.LBB1_4092-.Lpost_getpc1022)>>32
	s_setpc_b64 s[14:15]
.LBB1_18429:
	s_movk_i32 s4, 0x80
	v_cmp_eq_u16_sdwa s[12:13], v5, s4 src0_sel:BYTE_3 src1_sel:DWORD
	s_mov_b64 s[4:5], -1
                                        ; implicit-def: $sgpr10
	s_and_saveexec_b64 s[8:9], s[12:13]
; %bb.18430:
	s_mov_b32 s10, 0x7f800001
	s_xor_b64 s[4:5], exec, -1
; %bb.18431:
	s_or_b64 exec, exec, s[8:9]
	s_and_b64 s[4:5], s[4:5], exec
	s_or_saveexec_b64 s[6:7], s[6:7]
	v_mov_b32_e32 v3, s10
	s_xor_b64 exec, exec, s[6:7]
	s_cbranch_execnz .LBB1_18432
; %bb.54269:
	s_getpc_b64 s[14:15]
.Lpost_getpc12798:
	s_add_u32 s14, s14, (.LBB1_4094-.Lpost_getpc12798)&4294967295
	s_addc_u32 s15, s15, (.LBB1_4094-.Lpost_getpc12798)>>32
	s_setpc_b64 s[14:15]
.LBB1_18432:
	v_mov_b32_e32 v3, 0
	v_cmp_ne_u16_sdwa s[8:9], v5, v3 src0_sel:BYTE_3 src1_sel:DWORD
	s_andn2_b64 s[4:5], s[4:5], exec
	s_and_b64 s[8:9], s[8:9], exec
	s_or_b64 s[4:5], s[4:5], s[8:9]
	s_or_b64 exec, exec, s[6:7]
	s_and_saveexec_b64 s[6:7], s[4:5]
	s_cbranch_execz .LBB1_30719
; %bb.54271:
	s_getpc_b64 s[14:15]
.Lpost_getpc12799:
	s_add_u32 s14, s14, (.LBB1_4095-.Lpost_getpc12799)&4294967295
	s_addc_u32 s15, s15, (.LBB1_4095-.Lpost_getpc12799)>>32
	s_setpc_b64 s[14:15]
.LBB1_30719:
	s_getpc_b64 s[14:15]
.Lpost_getpc1023:
	s_add_u32 s14, s14, (.LBB1_4096-.Lpost_getpc1023)&4294967295
	s_addc_u32 s15, s15, (.LBB1_4096-.Lpost_getpc1023)>>32
	s_setpc_b64 s[14:15]
.LBB1_18433:
	s_movk_i32 s4, 0x80
	v_cmp_eq_u16_sdwa s[12:13], v6, s4 src0_sel:BYTE_0 src1_sel:DWORD
	s_mov_b64 s[4:5], -1
                                        ; implicit-def: $sgpr10
	s_and_saveexec_b64 s[8:9], s[12:13]
; %bb.18434:
	s_mov_b32 s10, 0x7f800001
	s_xor_b64 s[4:5], exec, -1
; %bb.18435:
	s_or_b64 exec, exec, s[8:9]
	s_and_b64 s[4:5], s[4:5], exec
	s_or_saveexec_b64 s[6:7], s[6:7]
	v_mov_b32_e32 v12, s10
	s_xor_b64 exec, exec, s[6:7]
	s_cbranch_execnz .LBB1_18436
; %bb.54273:
	s_getpc_b64 s[14:15]
.Lpost_getpc12800:
	s_add_u32 s14, s14, (.LBB1_4098-.Lpost_getpc12800)&4294967295
	s_addc_u32 s15, s15, (.LBB1_4098-.Lpost_getpc12800)>>32
	s_setpc_b64 s[14:15]
.LBB1_18436:
	v_mov_b32_e32 v12, 0
	v_cmp_ne_u16_sdwa s[8:9], v6, v12 src0_sel:BYTE_0 src1_sel:DWORD
	s_andn2_b64 s[4:5], s[4:5], exec
	s_and_b64 s[8:9], s[8:9], exec
	s_or_b64 s[4:5], s[4:5], s[8:9]
	s_or_b64 exec, exec, s[6:7]
	s_and_saveexec_b64 s[6:7], s[4:5]
	s_cbranch_execz .LBB1_30721
; %bb.54275:
	s_getpc_b64 s[14:15]
.Lpost_getpc12801:
	s_add_u32 s14, s14, (.LBB1_4099-.Lpost_getpc12801)&4294967295
	s_addc_u32 s15, s15, (.LBB1_4099-.Lpost_getpc12801)>>32
	s_setpc_b64 s[14:15]
.LBB1_30721:
	s_getpc_b64 s[14:15]
.Lpost_getpc1024:
	s_add_u32 s14, s14, (.LBB1_4100-.Lpost_getpc1024)&4294967295
	s_addc_u32 s15, s15, (.LBB1_4100-.Lpost_getpc1024)>>32
	s_setpc_b64 s[14:15]
.LBB1_18437:
	s_movk_i32 s4, 0x80
	v_cmp_eq_u16_sdwa s[12:13], v2, s4 src0_sel:BYTE_0 src1_sel:DWORD
	s_mov_b64 s[4:5], -1
                                        ; implicit-def: $sgpr10
	s_and_saveexec_b64 s[8:9], s[12:13]
; %bb.18438:
	s_mov_b32 s10, 0x7f800001
	s_xor_b64 s[4:5], exec, -1
; %bb.18439:
	s_or_b64 exec, exec, s[8:9]
	s_and_b64 s[4:5], s[4:5], exec
	s_or_saveexec_b64 s[6:7], s[6:7]
	v_mov_b32_e32 v13, s10
	s_xor_b64 exec, exec, s[6:7]
	s_cbranch_execnz .LBB1_18440
; %bb.54277:
	s_getpc_b64 s[14:15]
.Lpost_getpc12802:
	s_add_u32 s14, s14, (.LBB1_4102-.Lpost_getpc12802)&4294967295
	s_addc_u32 s15, s15, (.LBB1_4102-.Lpost_getpc12802)>>32
	s_setpc_b64 s[14:15]
.LBB1_18440:
	v_mov_b32_e32 v13, 0
	v_cmp_ne_u16_sdwa s[8:9], v2, v13 src0_sel:BYTE_0 src1_sel:DWORD
	s_andn2_b64 s[4:5], s[4:5], exec
	s_and_b64 s[8:9], s[8:9], exec
	s_or_b64 s[4:5], s[4:5], s[8:9]
	s_or_b64 exec, exec, s[6:7]
	s_and_saveexec_b64 s[6:7], s[4:5]
	s_cbranch_execz .LBB1_30723
; %bb.54279:
	s_getpc_b64 s[14:15]
.Lpost_getpc12803:
	s_add_u32 s14, s14, (.LBB1_4103-.Lpost_getpc12803)&4294967295
	s_addc_u32 s15, s15, (.LBB1_4103-.Lpost_getpc12803)>>32
	s_setpc_b64 s[14:15]
.LBB1_30723:
	s_getpc_b64 s[14:15]
.Lpost_getpc1025:
	s_add_u32 s14, s14, (.LBB1_4104-.Lpost_getpc1025)&4294967295
	s_addc_u32 s15, s15, (.LBB1_4104-.Lpost_getpc1025)>>32
	s_setpc_b64 s[14:15]
.LBB1_18441:
	s_movk_i32 s4, 0x80
	v_cmp_eq_u16_sdwa s[12:13], v13, s4 src0_sel:BYTE_0 src1_sel:DWORD
	s_mov_b64 s[4:5], -1
                                        ; implicit-def: $sgpr10
	s_and_saveexec_b64 s[8:9], s[12:13]
; %bb.18442:
	s_mov_b32 s10, 0x7f800001
	s_xor_b64 s[4:5], exec, -1
; %bb.18443:
	s_or_b64 exec, exec, s[8:9]
	s_and_b64 s[4:5], s[4:5], exec
	s_or_saveexec_b64 s[6:7], s[6:7]
	v_mov_b32_e32 v12, s10
	s_xor_b64 exec, exec, s[6:7]
	s_cbranch_execnz .LBB1_18444
; %bb.54281:
	s_getpc_b64 s[14:15]
.Lpost_getpc12804:
	s_add_u32 s14, s14, (.LBB1_4106-.Lpost_getpc12804)&4294967295
	s_addc_u32 s15, s15, (.LBB1_4106-.Lpost_getpc12804)>>32
	s_setpc_b64 s[14:15]
.LBB1_18444:
	v_mov_b32_e32 v12, 0
	v_cmp_ne_u16_sdwa s[8:9], v13, v12 src0_sel:BYTE_0 src1_sel:DWORD
	s_andn2_b64 s[4:5], s[4:5], exec
	s_and_b64 s[8:9], s[8:9], exec
	s_or_b64 s[4:5], s[4:5], s[8:9]
	s_or_b64 exec, exec, s[6:7]
	s_and_saveexec_b64 s[6:7], s[4:5]
	s_cbranch_execz .LBB1_30725
; %bb.54283:
	s_getpc_b64 s[14:15]
.Lpost_getpc12805:
	s_add_u32 s14, s14, (.LBB1_4107-.Lpost_getpc12805)&4294967295
	s_addc_u32 s15, s15, (.LBB1_4107-.Lpost_getpc12805)>>32
	s_setpc_b64 s[14:15]
.LBB1_30725:
	s_getpc_b64 s[14:15]
.Lpost_getpc1026:
	s_add_u32 s14, s14, (.LBB1_4108-.Lpost_getpc1026)&4294967295
	s_addc_u32 s15, s15, (.LBB1_4108-.Lpost_getpc1026)>>32
	s_setpc_b64 s[14:15]
.LBB1_18445:
	s_movk_i32 s4, 0x80
	v_cmp_eq_u16_sdwa s[12:13], v13, s4 src0_sel:BYTE_0 src1_sel:DWORD
	s_mov_b64 s[4:5], -1
                                        ; implicit-def: $sgpr10
	s_and_saveexec_b64 s[8:9], s[12:13]
; %bb.18446:
	s_mov_b32 s10, 0x7f800001
	s_xor_b64 s[4:5], exec, -1
; %bb.18447:
	s_or_b64 exec, exec, s[8:9]
	s_and_b64 s[4:5], s[4:5], exec
	s_or_saveexec_b64 s[6:7], s[6:7]
	v_mov_b32_e32 v14, s10
	s_xor_b64 exec, exec, s[6:7]
	s_cbranch_execnz .LBB1_18448
; %bb.54285:
	s_getpc_b64 s[14:15]
.Lpost_getpc12806:
	s_add_u32 s14, s14, (.LBB1_4110-.Lpost_getpc12806)&4294967295
	s_addc_u32 s15, s15, (.LBB1_4110-.Lpost_getpc12806)>>32
	s_setpc_b64 s[14:15]
.LBB1_18448:
	v_mov_b32_e32 v14, 0
	v_cmp_ne_u16_sdwa s[8:9], v13, v14 src0_sel:BYTE_0 src1_sel:DWORD
	s_andn2_b64 s[4:5], s[4:5], exec
	s_and_b64 s[8:9], s[8:9], exec
	s_or_b64 s[4:5], s[4:5], s[8:9]
	s_or_b64 exec, exec, s[6:7]
	s_and_saveexec_b64 s[6:7], s[4:5]
	s_cbranch_execz .LBB1_30727
; %bb.54287:
	s_getpc_b64 s[14:15]
.Lpost_getpc12807:
	s_add_u32 s14, s14, (.LBB1_4111-.Lpost_getpc12807)&4294967295
	s_addc_u32 s15, s15, (.LBB1_4111-.Lpost_getpc12807)>>32
	s_setpc_b64 s[14:15]
.LBB1_30727:
	s_getpc_b64 s[14:15]
.Lpost_getpc1027:
	s_add_u32 s14, s14, (.LBB1_4112-.Lpost_getpc1027)&4294967295
	s_addc_u32 s15, s15, (.LBB1_4112-.Lpost_getpc1027)>>32
	s_setpc_b64 s[14:15]
.LBB1_18449:
	s_movk_i32 s4, 0x80
	v_cmp_eq_u16_e32 vcc, s4, v13
	s_mov_b64 s[4:5], -1
                                        ; implicit-def: $sgpr10
	s_and_saveexec_b64 s[8:9], vcc
; %bb.18450:
	s_mov_b32 s10, 0x7f800001
	s_xor_b64 s[4:5], exec, -1
; %bb.18451:
	s_or_b64 exec, exec, s[8:9]
	s_and_b64 s[4:5], s[4:5], exec
                                        ; implicit-def: $vgpr13
	s_or_saveexec_b64 s[6:7], s[6:7]
	v_mov_b32_e32 v12, s10
	s_xor_b64 exec, exec, s[6:7]
	s_cbranch_execnz .LBB1_18452
; %bb.54289:
	s_getpc_b64 s[14:15]
.Lpost_getpc12808:
	s_add_u32 s14, s14, (.LBB1_4114-.Lpost_getpc12808)&4294967295
	s_addc_u32 s15, s15, (.LBB1_4114-.Lpost_getpc12808)>>32
	s_setpc_b64 s[14:15]
.LBB1_18452:
	v_cmp_ne_u16_e32 vcc, 0, v13
	s_andn2_b64 s[4:5], s[4:5], exec
	s_and_b64 s[8:9], vcc, exec
	v_mov_b32_e32 v12, 0
	s_or_b64 s[4:5], s[4:5], s[8:9]
	s_or_b64 exec, exec, s[6:7]
	s_and_saveexec_b64 s[6:7], s[4:5]
	s_cbranch_execz .LBB1_30729
; %bb.54291:
	s_getpc_b64 s[14:15]
.Lpost_getpc12809:
	s_add_u32 s14, s14, (.LBB1_4115-.Lpost_getpc12809)&4294967295
	s_addc_u32 s15, s15, (.LBB1_4115-.Lpost_getpc12809)>>32
	s_setpc_b64 s[14:15]
.LBB1_30729:
	s_getpc_b64 s[14:15]
.Lpost_getpc1028:
	s_add_u32 s14, s14, (.LBB1_4116-.Lpost_getpc1028)&4294967295
	s_addc_u32 s15, s15, (.LBB1_4116-.Lpost_getpc1028)>>32
	s_setpc_b64 s[14:15]
.LBB1_18453:
	s_movk_i32 s4, 0x80
	v_cmp_eq_u16_e32 vcc, s4, v13
	s_mov_b64 s[4:5], -1
                                        ; implicit-def: $sgpr10
	s_and_saveexec_b64 s[8:9], vcc
; %bb.18454:
	s_mov_b32 s10, 0x7f800001
	s_xor_b64 s[4:5], exec, -1
; %bb.18455:
	s_or_b64 exec, exec, s[8:9]
	s_and_b64 s[4:5], s[4:5], exec
                                        ; implicit-def: $vgpr13
	s_or_saveexec_b64 s[6:7], s[6:7]
	v_mov_b32_e32 v14, s10
	s_xor_b64 exec, exec, s[6:7]
	s_cbranch_execnz .LBB1_18456
; %bb.54293:
	s_getpc_b64 s[14:15]
.Lpost_getpc12810:
	s_add_u32 s14, s14, (.LBB1_4118-.Lpost_getpc12810)&4294967295
	s_addc_u32 s15, s15, (.LBB1_4118-.Lpost_getpc12810)>>32
	s_setpc_b64 s[14:15]
.LBB1_18456:
	v_cmp_ne_u16_e32 vcc, 0, v13
	s_andn2_b64 s[4:5], s[4:5], exec
	s_and_b64 s[8:9], vcc, exec
	v_mov_b32_e32 v14, 0
	s_or_b64 s[4:5], s[4:5], s[8:9]
	s_or_b64 exec, exec, s[6:7]
	s_and_saveexec_b64 s[6:7], s[4:5]
	s_cbranch_execz .LBB1_30731
; %bb.54295:
	s_getpc_b64 s[14:15]
.Lpost_getpc12811:
	s_add_u32 s14, s14, (.LBB1_4119-.Lpost_getpc12811)&4294967295
	s_addc_u32 s15, s15, (.LBB1_4119-.Lpost_getpc12811)>>32
	s_setpc_b64 s[14:15]
.LBB1_30731:
	s_getpc_b64 s[14:15]
.Lpost_getpc1029:
	s_add_u32 s14, s14, (.LBB1_4120-.Lpost_getpc1029)&4294967295
	s_addc_u32 s15, s15, (.LBB1_4120-.Lpost_getpc1029)>>32
	s_setpc_b64 s[14:15]
.LBB1_18457:
	s_movk_i32 s4, 0x80
	v_cmp_eq_u16_sdwa s[12:13], v6, s4 src0_sel:BYTE_3 src1_sel:DWORD
	s_mov_b64 s[4:5], -1
                                        ; implicit-def: $sgpr10
	s_and_saveexec_b64 s[8:9], s[12:13]
; %bb.18458:
	s_mov_b32 s10, 0x7f800001
	s_xor_b64 s[4:5], exec, -1
; %bb.18459:
	s_or_b64 exec, exec, s[8:9]
	s_and_b64 s[4:5], s[4:5], exec
	s_or_saveexec_b64 s[6:7], s[6:7]
	v_mov_b32_e32 v12, s10
	s_xor_b64 exec, exec, s[6:7]
	s_cbranch_execnz .LBB1_18460
; %bb.54297:
	s_getpc_b64 s[14:15]
.Lpost_getpc12812:
	s_add_u32 s14, s14, (.LBB1_4122-.Lpost_getpc12812)&4294967295
	s_addc_u32 s15, s15, (.LBB1_4122-.Lpost_getpc12812)>>32
	s_setpc_b64 s[14:15]
.LBB1_18460:
	v_mov_b32_e32 v12, 0
	v_cmp_ne_u16_sdwa s[8:9], v6, v12 src0_sel:BYTE_3 src1_sel:DWORD
	s_andn2_b64 s[4:5], s[4:5], exec
	s_and_b64 s[8:9], s[8:9], exec
	s_or_b64 s[4:5], s[4:5], s[8:9]
	s_or_b64 exec, exec, s[6:7]
	s_and_saveexec_b64 s[6:7], s[4:5]
	s_cbranch_execz .LBB1_30733
; %bb.54299:
	s_getpc_b64 s[14:15]
.Lpost_getpc12813:
	s_add_u32 s14, s14, (.LBB1_4123-.Lpost_getpc12813)&4294967295
	s_addc_u32 s15, s15, (.LBB1_4123-.Lpost_getpc12813)>>32
	s_setpc_b64 s[14:15]
.LBB1_30733:
	s_getpc_b64 s[14:15]
.Lpost_getpc1030:
	s_add_u32 s14, s14, (.LBB1_4124-.Lpost_getpc1030)&4294967295
	s_addc_u32 s15, s15, (.LBB1_4124-.Lpost_getpc1030)>>32
	s_setpc_b64 s[14:15]
.LBB1_18461:
	s_movk_i32 s4, 0x80
	v_cmp_eq_u16_sdwa s[12:13], v2, s4 src0_sel:BYTE_3 src1_sel:DWORD
	s_mov_b64 s[4:5], -1
                                        ; implicit-def: $sgpr10
	s_and_saveexec_b64 s[8:9], s[12:13]
; %bb.18462:
	s_mov_b32 s10, 0x7f800001
	s_xor_b64 s[4:5], exec, -1
; %bb.18463:
	s_or_b64 exec, exec, s[8:9]
	s_and_b64 s[4:5], s[4:5], exec
	s_or_saveexec_b64 s[6:7], s[6:7]
	v_mov_b32_e32 v6, s10
	s_xor_b64 exec, exec, s[6:7]
	s_cbranch_execnz .LBB1_18464
; %bb.54301:
	s_getpc_b64 s[14:15]
.Lpost_getpc12814:
	s_add_u32 s14, s14, (.LBB1_4126-.Lpost_getpc12814)&4294967295
	s_addc_u32 s15, s15, (.LBB1_4126-.Lpost_getpc12814)>>32
	s_setpc_b64 s[14:15]
.LBB1_18464:
	v_mov_b32_e32 v6, 0
	v_cmp_ne_u16_sdwa s[8:9], v2, v6 src0_sel:BYTE_3 src1_sel:DWORD
	s_andn2_b64 s[4:5], s[4:5], exec
	s_and_b64 s[8:9], s[8:9], exec
	s_or_b64 s[4:5], s[4:5], s[8:9]
	s_or_b64 exec, exec, s[6:7]
	s_and_saveexec_b64 s[6:7], s[4:5]
	s_cbranch_execz .LBB1_30735
; %bb.54303:
	s_getpc_b64 s[14:15]
.Lpost_getpc12815:
	s_add_u32 s14, s14, (.LBB1_4127-.Lpost_getpc12815)&4294967295
	s_addc_u32 s15, s15, (.LBB1_4127-.Lpost_getpc12815)>>32
	s_setpc_b64 s[14:15]
.LBB1_30735:
	s_getpc_b64 s[14:15]
.Lpost_getpc1031:
	s_add_u32 s14, s14, (.LBB1_4128-.Lpost_getpc1031)&4294967295
	s_addc_u32 s15, s15, (.LBB1_4128-.Lpost_getpc1031)>>32
	s_setpc_b64 s[14:15]
.LBB1_18465:
	s_movk_i32 s4, 0x80
	v_cmp_eq_u16_sdwa s[12:13], v7, s4 src0_sel:BYTE_0 src1_sel:DWORD
	s_mov_b64 s[4:5], -1
                                        ; implicit-def: $sgpr10
	s_and_saveexec_b64 s[8:9], s[12:13]
; %bb.18466:
	s_mov_b32 s10, 0x7f800001
	s_xor_b64 s[4:5], exec, -1
; %bb.18467:
	s_or_b64 exec, exec, s[8:9]
	s_and_b64 s[4:5], s[4:5], exec
	s_or_saveexec_b64 s[6:7], s[6:7]
	v_mov_b32_e32 v2, s10
	s_xor_b64 exec, exec, s[6:7]
	s_cbranch_execnz .LBB1_18468
; %bb.54305:
	s_getpc_b64 s[14:15]
.Lpost_getpc12816:
	s_add_u32 s14, s14, (.LBB1_4130-.Lpost_getpc12816)&4294967295
	s_addc_u32 s15, s15, (.LBB1_4130-.Lpost_getpc12816)>>32
	s_setpc_b64 s[14:15]
.LBB1_18468:
	v_mov_b32_e32 v2, 0
	v_cmp_ne_u16_sdwa s[8:9], v7, v2 src0_sel:BYTE_0 src1_sel:DWORD
	s_andn2_b64 s[4:5], s[4:5], exec
	s_and_b64 s[8:9], s[8:9], exec
	s_or_b64 s[4:5], s[4:5], s[8:9]
	s_or_b64 exec, exec, s[6:7]
	s_and_saveexec_b64 s[6:7], s[4:5]
	s_cbranch_execz .LBB1_30737
; %bb.54307:
	s_getpc_b64 s[14:15]
.Lpost_getpc12817:
	s_add_u32 s14, s14, (.LBB1_4131-.Lpost_getpc12817)&4294967295
	s_addc_u32 s15, s15, (.LBB1_4131-.Lpost_getpc12817)>>32
	s_setpc_b64 s[14:15]
.LBB1_30737:
	s_getpc_b64 s[14:15]
.Lpost_getpc1032:
	s_add_u32 s14, s14, (.LBB1_4132-.Lpost_getpc1032)&4294967295
	s_addc_u32 s15, s15, (.LBB1_4132-.Lpost_getpc1032)>>32
	s_setpc_b64 s[14:15]
.LBB1_18469:
	s_movk_i32 s4, 0x80
	v_cmp_eq_u16_sdwa s[12:13], v3, s4 src0_sel:BYTE_0 src1_sel:DWORD
	s_mov_b64 s[4:5], -1
                                        ; implicit-def: $sgpr10
	s_and_saveexec_b64 s[8:9], s[12:13]
; %bb.18470:
	s_mov_b32 s10, 0x7f800001
	s_xor_b64 s[4:5], exec, -1
; %bb.18471:
	s_or_b64 exec, exec, s[8:9]
	s_and_b64 s[4:5], s[4:5], exec
	s_or_saveexec_b64 s[6:7], s[6:7]
	v_mov_b32_e32 v6, s10
	s_xor_b64 exec, exec, s[6:7]
	s_cbranch_execnz .LBB1_18472
; %bb.54309:
	s_getpc_b64 s[14:15]
.Lpost_getpc12818:
	s_add_u32 s14, s14, (.LBB1_4134-.Lpost_getpc12818)&4294967295
	s_addc_u32 s15, s15, (.LBB1_4134-.Lpost_getpc12818)>>32
	s_setpc_b64 s[14:15]
.LBB1_18472:
	v_mov_b32_e32 v6, 0
	v_cmp_ne_u16_sdwa s[8:9], v3, v6 src0_sel:BYTE_0 src1_sel:DWORD
	s_andn2_b64 s[4:5], s[4:5], exec
	s_and_b64 s[8:9], s[8:9], exec
	s_or_b64 s[4:5], s[4:5], s[8:9]
	s_or_b64 exec, exec, s[6:7]
	s_and_saveexec_b64 s[6:7], s[4:5]
	s_cbranch_execz .LBB1_30739
; %bb.54311:
	s_getpc_b64 s[14:15]
.Lpost_getpc12819:
	s_add_u32 s14, s14, (.LBB1_4135-.Lpost_getpc12819)&4294967295
	s_addc_u32 s15, s15, (.LBB1_4135-.Lpost_getpc12819)>>32
	s_setpc_b64 s[14:15]
.LBB1_30739:
	s_getpc_b64 s[14:15]
.Lpost_getpc1033:
	s_add_u32 s14, s14, (.LBB1_4136-.Lpost_getpc1033)&4294967295
	s_addc_u32 s15, s15, (.LBB1_4136-.Lpost_getpc1033)>>32
	s_setpc_b64 s[14:15]
.LBB1_18473:
	s_movk_i32 s4, 0x80
	v_cmp_eq_u16_sdwa s[12:13], v6, s4 src0_sel:BYTE_0 src1_sel:DWORD
	s_mov_b64 s[4:5], -1
                                        ; implicit-def: $sgpr10
	s_and_saveexec_b64 s[8:9], s[12:13]
; %bb.18474:
	s_mov_b32 s10, 0x7f800001
	s_xor_b64 s[4:5], exec, -1
; %bb.18475:
	s_or_b64 exec, exec, s[8:9]
	s_and_b64 s[4:5], s[4:5], exec
	s_or_saveexec_b64 s[6:7], s[6:7]
	v_mov_b32_e32 v2, s10
	s_xor_b64 exec, exec, s[6:7]
	s_cbranch_execnz .LBB1_18476
; %bb.54313:
	s_getpc_b64 s[14:15]
.Lpost_getpc12820:
	s_add_u32 s14, s14, (.LBB1_4138-.Lpost_getpc12820)&4294967295
	s_addc_u32 s15, s15, (.LBB1_4138-.Lpost_getpc12820)>>32
	s_setpc_b64 s[14:15]
.LBB1_18476:
	v_mov_b32_e32 v2, 0
	v_cmp_ne_u16_sdwa s[8:9], v6, v2 src0_sel:BYTE_0 src1_sel:DWORD
	s_andn2_b64 s[4:5], s[4:5], exec
	s_and_b64 s[8:9], s[8:9], exec
	s_or_b64 s[4:5], s[4:5], s[8:9]
	s_or_b64 exec, exec, s[6:7]
	s_and_saveexec_b64 s[6:7], s[4:5]
	s_cbranch_execz .LBB1_30741
; %bb.54315:
	s_getpc_b64 s[14:15]
.Lpost_getpc12821:
	s_add_u32 s14, s14, (.LBB1_4139-.Lpost_getpc12821)&4294967295
	s_addc_u32 s15, s15, (.LBB1_4139-.Lpost_getpc12821)>>32
	s_setpc_b64 s[14:15]
.LBB1_30741:
	s_getpc_b64 s[14:15]
.Lpost_getpc1034:
	s_add_u32 s14, s14, (.LBB1_4140-.Lpost_getpc1034)&4294967295
	s_addc_u32 s15, s15, (.LBB1_4140-.Lpost_getpc1034)>>32
	s_setpc_b64 s[14:15]
.LBB1_18477:
	s_movk_i32 s4, 0x80
	v_cmp_eq_u16_sdwa s[12:13], v6, s4 src0_sel:BYTE_0 src1_sel:DWORD
	s_mov_b64 s[4:5], -1
                                        ; implicit-def: $sgpr10
	s_and_saveexec_b64 s[8:9], s[12:13]
; %bb.18478:
	s_mov_b32 s10, 0x7f800001
	s_xor_b64 s[4:5], exec, -1
; %bb.18479:
	s_or_b64 exec, exec, s[8:9]
	s_and_b64 s[4:5], s[4:5], exec
	s_or_saveexec_b64 s[6:7], s[6:7]
	v_mov_b32_e32 v12, s10
	s_xor_b64 exec, exec, s[6:7]
	s_cbranch_execnz .LBB1_18480
; %bb.54317:
	s_getpc_b64 s[14:15]
.Lpost_getpc12822:
	s_add_u32 s14, s14, (.LBB1_4142-.Lpost_getpc12822)&4294967295
	s_addc_u32 s15, s15, (.LBB1_4142-.Lpost_getpc12822)>>32
	s_setpc_b64 s[14:15]
.LBB1_18480:
	v_mov_b32_e32 v12, 0
	v_cmp_ne_u16_sdwa s[8:9], v6, v12 src0_sel:BYTE_0 src1_sel:DWORD
	s_andn2_b64 s[4:5], s[4:5], exec
	s_and_b64 s[8:9], s[8:9], exec
	s_or_b64 s[4:5], s[4:5], s[8:9]
	s_or_b64 exec, exec, s[6:7]
	s_and_saveexec_b64 s[6:7], s[4:5]
	s_cbranch_execz .LBB1_30743
; %bb.54319:
	s_getpc_b64 s[14:15]
.Lpost_getpc12823:
	s_add_u32 s14, s14, (.LBB1_4143-.Lpost_getpc12823)&4294967295
	s_addc_u32 s15, s15, (.LBB1_4143-.Lpost_getpc12823)>>32
	s_setpc_b64 s[14:15]
.LBB1_30743:
	s_getpc_b64 s[14:15]
.Lpost_getpc1035:
	s_add_u32 s14, s14, (.LBB1_4144-.Lpost_getpc1035)&4294967295
	s_addc_u32 s15, s15, (.LBB1_4144-.Lpost_getpc1035)>>32
	s_setpc_b64 s[14:15]
.LBB1_18481:
	s_movk_i32 s4, 0x80
	v_cmp_eq_u16_e32 vcc, s4, v6
	s_mov_b64 s[4:5], -1
                                        ; implicit-def: $sgpr10
	s_and_saveexec_b64 s[8:9], vcc
; %bb.18482:
	s_mov_b32 s10, 0x7f800001
	s_xor_b64 s[4:5], exec, -1
; %bb.18483:
	s_or_b64 exec, exec, s[8:9]
	s_and_b64 s[4:5], s[4:5], exec
                                        ; implicit-def: $vgpr6
	s_or_saveexec_b64 s[6:7], s[6:7]
	v_mov_b32_e32 v2, s10
	s_xor_b64 exec, exec, s[6:7]
	s_cbranch_execnz .LBB1_18484
; %bb.54321:
	s_getpc_b64 s[14:15]
.Lpost_getpc12824:
	s_add_u32 s14, s14, (.LBB1_4146-.Lpost_getpc12824)&4294967295
	s_addc_u32 s15, s15, (.LBB1_4146-.Lpost_getpc12824)>>32
	s_setpc_b64 s[14:15]
.LBB1_18484:
	v_cmp_ne_u16_e32 vcc, 0, v6
	s_andn2_b64 s[4:5], s[4:5], exec
	s_and_b64 s[8:9], vcc, exec
	v_mov_b32_e32 v2, 0
	s_or_b64 s[4:5], s[4:5], s[8:9]
	s_or_b64 exec, exec, s[6:7]
	s_and_saveexec_b64 s[6:7], s[4:5]
	s_cbranch_execz .LBB1_30745
; %bb.54323:
	s_getpc_b64 s[14:15]
.Lpost_getpc12825:
	s_add_u32 s14, s14, (.LBB1_4147-.Lpost_getpc12825)&4294967295
	s_addc_u32 s15, s15, (.LBB1_4147-.Lpost_getpc12825)>>32
	s_setpc_b64 s[14:15]
.LBB1_30745:
	s_getpc_b64 s[14:15]
.Lpost_getpc1036:
	s_add_u32 s14, s14, (.LBB1_4148-.Lpost_getpc1036)&4294967295
	s_addc_u32 s15, s15, (.LBB1_4148-.Lpost_getpc1036)>>32
	s_setpc_b64 s[14:15]
.LBB1_18485:
	s_movk_i32 s4, 0x80
	v_cmp_eq_u16_e32 vcc, s4, v6
	s_mov_b64 s[4:5], -1
                                        ; implicit-def: $sgpr10
	s_and_saveexec_b64 s[8:9], vcc
; %bb.18486:
	s_mov_b32 s10, 0x7f800001
	s_xor_b64 s[4:5], exec, -1
; %bb.18487:
	s_or_b64 exec, exec, s[8:9]
	s_and_b64 s[4:5], s[4:5], exec
                                        ; implicit-def: $vgpr6
	s_or_saveexec_b64 s[6:7], s[6:7]
	v_mov_b32_e32 v12, s10
	s_xor_b64 exec, exec, s[6:7]
	s_cbranch_execnz .LBB1_18488
; %bb.54325:
	s_getpc_b64 s[14:15]
.Lpost_getpc12826:
	s_add_u32 s14, s14, (.LBB1_4150-.Lpost_getpc12826)&4294967295
	s_addc_u32 s15, s15, (.LBB1_4150-.Lpost_getpc12826)>>32
	s_setpc_b64 s[14:15]
.LBB1_18488:
	v_cmp_ne_u16_e32 vcc, 0, v6
	s_andn2_b64 s[4:5], s[4:5], exec
	s_and_b64 s[8:9], vcc, exec
	v_mov_b32_e32 v12, 0
	s_or_b64 s[4:5], s[4:5], s[8:9]
	s_or_b64 exec, exec, s[6:7]
	s_and_saveexec_b64 s[6:7], s[4:5]
	s_cbranch_execz .LBB1_30747
; %bb.54327:
	s_getpc_b64 s[14:15]
.Lpost_getpc12827:
	s_add_u32 s14, s14, (.LBB1_4151-.Lpost_getpc12827)&4294967295
	s_addc_u32 s15, s15, (.LBB1_4151-.Lpost_getpc12827)>>32
	s_setpc_b64 s[14:15]
.LBB1_30747:
	s_getpc_b64 s[14:15]
.Lpost_getpc1037:
	s_add_u32 s14, s14, (.LBB1_4152-.Lpost_getpc1037)&4294967295
	s_addc_u32 s15, s15, (.LBB1_4152-.Lpost_getpc1037)>>32
	s_setpc_b64 s[14:15]
.LBB1_18489:
	s_movk_i32 s4, 0x80
	v_cmp_eq_u16_sdwa s[12:13], v7, s4 src0_sel:BYTE_3 src1_sel:DWORD
	s_mov_b64 s[4:5], -1
                                        ; implicit-def: $sgpr10
	s_and_saveexec_b64 s[8:9], s[12:13]
; %bb.18490:
	s_mov_b32 s10, 0x7f800001
	s_xor_b64 s[4:5], exec, -1
; %bb.18491:
	s_or_b64 exec, exec, s[8:9]
	s_and_b64 s[4:5], s[4:5], exec
	s_or_saveexec_b64 s[6:7], s[6:7]
	v_mov_b32_e32 v2, s10
	s_xor_b64 exec, exec, s[6:7]
	s_cbranch_execnz .LBB1_18492
; %bb.54329:
	s_getpc_b64 s[14:15]
.Lpost_getpc12828:
	s_add_u32 s14, s14, (.LBB1_4154-.Lpost_getpc12828)&4294967295
	s_addc_u32 s15, s15, (.LBB1_4154-.Lpost_getpc12828)>>32
	s_setpc_b64 s[14:15]
.LBB1_18492:
	v_mov_b32_e32 v2, 0
	v_cmp_ne_u16_sdwa s[8:9], v7, v2 src0_sel:BYTE_3 src1_sel:DWORD
	s_andn2_b64 s[4:5], s[4:5], exec
	s_and_b64 s[8:9], s[8:9], exec
	s_or_b64 s[4:5], s[4:5], s[8:9]
	s_or_b64 exec, exec, s[6:7]
	s_and_saveexec_b64 s[6:7], s[4:5]
	s_cbranch_execz .LBB1_30749
; %bb.54331:
	s_getpc_b64 s[14:15]
.Lpost_getpc12829:
	s_add_u32 s14, s14, (.LBB1_4155-.Lpost_getpc12829)&4294967295
	s_addc_u32 s15, s15, (.LBB1_4155-.Lpost_getpc12829)>>32
	s_setpc_b64 s[14:15]
.LBB1_30749:
	s_getpc_b64 s[14:15]
.Lpost_getpc1038:
	s_add_u32 s14, s14, (.LBB1_4156-.Lpost_getpc1038)&4294967295
	s_addc_u32 s15, s15, (.LBB1_4156-.Lpost_getpc1038)>>32
	s_setpc_b64 s[14:15]
.LBB1_18493:
	s_movk_i32 s4, 0x80
	v_cmp_eq_u16_sdwa s[12:13], v3, s4 src0_sel:BYTE_3 src1_sel:DWORD
	s_mov_b64 s[4:5], -1
                                        ; implicit-def: $sgpr10
	s_and_saveexec_b64 s[8:9], s[12:13]
; %bb.18494:
	s_mov_b32 s10, 0x7f800001
	s_xor_b64 s[4:5], exec, -1
; %bb.18495:
	s_or_b64 exec, exec, s[8:9]
	s_and_b64 s[4:5], s[4:5], exec
	s_or_saveexec_b64 s[6:7], s[6:7]
	v_mov_b32_e32 v6, s10
	s_xor_b64 exec, exec, s[6:7]
	s_cbranch_execnz .LBB1_18496
; %bb.54333:
	s_getpc_b64 s[14:15]
.Lpost_getpc12830:
	s_add_u32 s14, s14, (.LBB1_4158-.Lpost_getpc12830)&4294967295
	s_addc_u32 s15, s15, (.LBB1_4158-.Lpost_getpc12830)>>32
	s_setpc_b64 s[14:15]
.LBB1_18496:
	v_mov_b32_e32 v6, 0
	v_cmp_ne_u16_sdwa s[8:9], v3, v6 src0_sel:BYTE_3 src1_sel:DWORD
	s_andn2_b64 s[4:5], s[4:5], exec
	s_and_b64 s[8:9], s[8:9], exec
	s_or_b64 s[4:5], s[4:5], s[8:9]
	s_or_b64 exec, exec, s[6:7]
	s_and_saveexec_b64 s[6:7], s[4:5]
	s_cbranch_execz .LBB1_30751
; %bb.54335:
	s_getpc_b64 s[14:15]
.Lpost_getpc12831:
	s_add_u32 s14, s14, (.LBB1_4159-.Lpost_getpc12831)&4294967295
	s_addc_u32 s15, s15, (.LBB1_4159-.Lpost_getpc12831)>>32
	s_setpc_b64 s[14:15]
.LBB1_30751:
	s_getpc_b64 s[14:15]
.Lpost_getpc1039:
	s_add_u32 s14, s14, (.LBB1_4160-.Lpost_getpc1039)&4294967295
	s_addc_u32 s15, s15, (.LBB1_4160-.Lpost_getpc1039)>>32
	s_setpc_b64 s[14:15]
.LBB1_18497:
	s_movk_i32 s4, 0x80
	v_cmp_eq_u16_sdwa s[12:13], v8, s4 src0_sel:BYTE_0 src1_sel:DWORD
	s_mov_b64 s[4:5], -1
                                        ; implicit-def: $sgpr10
	s_and_saveexec_b64 s[8:9], s[12:13]
; %bb.18498:
	s_mov_b32 s10, 0x7f800001
	s_xor_b64 s[4:5], exec, -1
; %bb.18499:
	s_or_b64 exec, exec, s[8:9]
	s_and_b64 s[4:5], s[4:5], exec
	s_or_saveexec_b64 s[6:7], s[6:7]
	v_mov_b32_e32 v2, s10
	s_xor_b64 exec, exec, s[6:7]
	s_cbranch_execnz .LBB1_18500
; %bb.54337:
	s_getpc_b64 s[14:15]
.Lpost_getpc12832:
	s_add_u32 s14, s14, (.LBB1_4162-.Lpost_getpc12832)&4294967295
	s_addc_u32 s15, s15, (.LBB1_4162-.Lpost_getpc12832)>>32
	s_setpc_b64 s[14:15]
.LBB1_18500:
	v_mov_b32_e32 v2, 0
	v_cmp_ne_u16_sdwa s[8:9], v8, v2 src0_sel:BYTE_0 src1_sel:DWORD
	s_andn2_b64 s[4:5], s[4:5], exec
	s_and_b64 s[8:9], s[8:9], exec
	s_or_b64 s[4:5], s[4:5], s[8:9]
	s_or_b64 exec, exec, s[6:7]
	s_and_saveexec_b64 s[6:7], s[4:5]
	s_cbranch_execz .LBB1_30753
; %bb.54339:
	s_getpc_b64 s[14:15]
.Lpost_getpc12833:
	s_add_u32 s14, s14, (.LBB1_4163-.Lpost_getpc12833)&4294967295
	s_addc_u32 s15, s15, (.LBB1_4163-.Lpost_getpc12833)>>32
	s_setpc_b64 s[14:15]
.LBB1_30753:
	s_getpc_b64 s[14:15]
.Lpost_getpc1040:
	s_add_u32 s14, s14, (.LBB1_4164-.Lpost_getpc1040)&4294967295
	s_addc_u32 s15, s15, (.LBB1_4164-.Lpost_getpc1040)>>32
	s_setpc_b64 s[14:15]
.LBB1_18501:
	s_movk_i32 s4, 0x80
	v_cmp_eq_u16_sdwa s[12:13], v4, s4 src0_sel:BYTE_0 src1_sel:DWORD
	s_mov_b64 s[4:5], -1
                                        ; implicit-def: $sgpr10
	s_and_saveexec_b64 s[8:9], s[12:13]
; %bb.18502:
	s_mov_b32 s10, 0x7f800001
	s_xor_b64 s[4:5], exec, -1
; %bb.18503:
	s_or_b64 exec, exec, s[8:9]
	s_and_b64 s[4:5], s[4:5], exec
	s_or_saveexec_b64 s[6:7], s[6:7]
	v_mov_b32_e32 v3, s10
	s_xor_b64 exec, exec, s[6:7]
	s_cbranch_execnz .LBB1_18504
; %bb.54341:
	s_getpc_b64 s[14:15]
.Lpost_getpc12834:
	s_add_u32 s14, s14, (.LBB1_4166-.Lpost_getpc12834)&4294967295
	s_addc_u32 s15, s15, (.LBB1_4166-.Lpost_getpc12834)>>32
	s_setpc_b64 s[14:15]
.LBB1_18504:
	v_mov_b32_e32 v3, 0
	v_cmp_ne_u16_sdwa s[8:9], v4, v3 src0_sel:BYTE_0 src1_sel:DWORD
	s_andn2_b64 s[4:5], s[4:5], exec
	s_and_b64 s[8:9], s[8:9], exec
	s_or_b64 s[4:5], s[4:5], s[8:9]
	s_or_b64 exec, exec, s[6:7]
	s_and_saveexec_b64 s[6:7], s[4:5]
	s_cbranch_execz .LBB1_30755
; %bb.54343:
	s_getpc_b64 s[14:15]
.Lpost_getpc12835:
	s_add_u32 s14, s14, (.LBB1_4167-.Lpost_getpc12835)&4294967295
	s_addc_u32 s15, s15, (.LBB1_4167-.Lpost_getpc12835)>>32
	s_setpc_b64 s[14:15]
.LBB1_30755:
	s_getpc_b64 s[14:15]
.Lpost_getpc1041:
	s_add_u32 s14, s14, (.LBB1_4168-.Lpost_getpc1041)&4294967295
	s_addc_u32 s15, s15, (.LBB1_4168-.Lpost_getpc1041)>>32
	s_setpc_b64 s[14:15]
.LBB1_18505:
	s_movk_i32 s4, 0x80
	v_cmp_eq_u16_sdwa s[12:13], v3, s4 src0_sel:BYTE_0 src1_sel:DWORD
	s_mov_b64 s[4:5], -1
                                        ; implicit-def: $sgpr10
	s_and_saveexec_b64 s[8:9], s[12:13]
; %bb.18506:
	s_mov_b32 s10, 0x7f800001
	s_xor_b64 s[4:5], exec, -1
; %bb.18507:
	s_or_b64 exec, exec, s[8:9]
	s_and_b64 s[4:5], s[4:5], exec
	s_or_saveexec_b64 s[6:7], s[6:7]
	v_mov_b32_e32 v2, s10
	s_xor_b64 exec, exec, s[6:7]
	s_cbranch_execnz .LBB1_18508
; %bb.54345:
	s_getpc_b64 s[14:15]
.Lpost_getpc12836:
	s_add_u32 s14, s14, (.LBB1_4170-.Lpost_getpc12836)&4294967295
	s_addc_u32 s15, s15, (.LBB1_4170-.Lpost_getpc12836)>>32
	s_setpc_b64 s[14:15]
.LBB1_18508:
	v_mov_b32_e32 v2, 0
	v_cmp_ne_u16_sdwa s[8:9], v3, v2 src0_sel:BYTE_0 src1_sel:DWORD
	s_andn2_b64 s[4:5], s[4:5], exec
	s_and_b64 s[8:9], s[8:9], exec
	s_or_b64 s[4:5], s[4:5], s[8:9]
	s_or_b64 exec, exec, s[6:7]
	s_and_saveexec_b64 s[6:7], s[4:5]
	s_cbranch_execz .LBB1_30757
; %bb.54347:
	s_getpc_b64 s[14:15]
.Lpost_getpc12837:
	s_add_u32 s14, s14, (.LBB1_4171-.Lpost_getpc12837)&4294967295
	s_addc_u32 s15, s15, (.LBB1_4171-.Lpost_getpc12837)>>32
	s_setpc_b64 s[14:15]
.LBB1_30757:
	s_getpc_b64 s[14:15]
.Lpost_getpc1042:
	s_add_u32 s14, s14, (.LBB1_4172-.Lpost_getpc1042)&4294967295
	s_addc_u32 s15, s15, (.LBB1_4172-.Lpost_getpc1042)>>32
	s_setpc_b64 s[14:15]
.LBB1_18509:
	s_movk_i32 s4, 0x80
	v_cmp_eq_u16_sdwa s[12:13], v3, s4 src0_sel:BYTE_0 src1_sel:DWORD
	s_mov_b64 s[4:5], -1
                                        ; implicit-def: $sgpr10
	s_and_saveexec_b64 s[8:9], s[12:13]
; %bb.18510:
	s_mov_b32 s10, 0x7f800001
	s_xor_b64 s[4:5], exec, -1
; %bb.18511:
	s_or_b64 exec, exec, s[8:9]
	s_and_b64 s[4:5], s[4:5], exec
	s_or_saveexec_b64 s[6:7], s[6:7]
	v_mov_b32_e32 v6, s10
	s_xor_b64 exec, exec, s[6:7]
	s_cbranch_execnz .LBB1_18512
; %bb.54349:
	s_getpc_b64 s[14:15]
.Lpost_getpc12838:
	s_add_u32 s14, s14, (.LBB1_4174-.Lpost_getpc12838)&4294967295
	s_addc_u32 s15, s15, (.LBB1_4174-.Lpost_getpc12838)>>32
	s_setpc_b64 s[14:15]
.LBB1_18512:
	v_mov_b32_e32 v6, 0
	v_cmp_ne_u16_sdwa s[8:9], v3, v6 src0_sel:BYTE_0 src1_sel:DWORD
	s_andn2_b64 s[4:5], s[4:5], exec
	s_and_b64 s[8:9], s[8:9], exec
	s_or_b64 s[4:5], s[4:5], s[8:9]
	s_or_b64 exec, exec, s[6:7]
	s_and_saveexec_b64 s[6:7], s[4:5]
	s_cbranch_execz .LBB1_30759
; %bb.54351:
	s_getpc_b64 s[14:15]
.Lpost_getpc12839:
	s_add_u32 s14, s14, (.LBB1_4175-.Lpost_getpc12839)&4294967295
	s_addc_u32 s15, s15, (.LBB1_4175-.Lpost_getpc12839)>>32
	s_setpc_b64 s[14:15]
.LBB1_30759:
	s_getpc_b64 s[14:15]
.Lpost_getpc1043:
	s_add_u32 s14, s14, (.LBB1_4176-.Lpost_getpc1043)&4294967295
	s_addc_u32 s15, s15, (.LBB1_4176-.Lpost_getpc1043)>>32
	s_setpc_b64 s[14:15]
.LBB1_18513:
	s_movk_i32 s4, 0x80
	v_cmp_eq_u16_e32 vcc, s4, v3
	s_mov_b64 s[4:5], -1
                                        ; implicit-def: $sgpr10
	s_and_saveexec_b64 s[8:9], vcc
; %bb.18514:
	s_mov_b32 s10, 0x7f800001
	s_xor_b64 s[4:5], exec, -1
; %bb.18515:
	s_or_b64 exec, exec, s[8:9]
	s_and_b64 s[4:5], s[4:5], exec
                                        ; implicit-def: $vgpr3
	s_or_saveexec_b64 s[6:7], s[6:7]
	v_mov_b32_e32 v2, s10
	s_xor_b64 exec, exec, s[6:7]
	s_cbranch_execnz .LBB1_18516
; %bb.54353:
	s_getpc_b64 s[14:15]
.Lpost_getpc12840:
	s_add_u32 s14, s14, (.LBB1_4178-.Lpost_getpc12840)&4294967295
	s_addc_u32 s15, s15, (.LBB1_4178-.Lpost_getpc12840)>>32
	s_setpc_b64 s[14:15]
.LBB1_18516:
	v_cmp_ne_u16_e32 vcc, 0, v3
	s_andn2_b64 s[4:5], s[4:5], exec
	s_and_b64 s[8:9], vcc, exec
	v_mov_b32_e32 v2, 0
	s_or_b64 s[4:5], s[4:5], s[8:9]
	s_or_b64 exec, exec, s[6:7]
	s_and_saveexec_b64 s[6:7], s[4:5]
	s_cbranch_execz .LBB1_30761
; %bb.54355:
	s_getpc_b64 s[14:15]
.Lpost_getpc12841:
	s_add_u32 s14, s14, (.LBB1_4179-.Lpost_getpc12841)&4294967295
	s_addc_u32 s15, s15, (.LBB1_4179-.Lpost_getpc12841)>>32
	s_setpc_b64 s[14:15]
.LBB1_30761:
	s_getpc_b64 s[14:15]
.Lpost_getpc1044:
	s_add_u32 s14, s14, (.LBB1_4180-.Lpost_getpc1044)&4294967295
	s_addc_u32 s15, s15, (.LBB1_4180-.Lpost_getpc1044)>>32
	s_setpc_b64 s[14:15]
.LBB1_18517:
	s_movk_i32 s4, 0x80
	v_cmp_eq_u16_e32 vcc, s4, v3
	s_mov_b64 s[4:5], -1
                                        ; implicit-def: $sgpr10
	s_and_saveexec_b64 s[8:9], vcc
; %bb.18518:
	s_mov_b32 s10, 0x7f800001
	s_xor_b64 s[4:5], exec, -1
; %bb.18519:
	s_or_b64 exec, exec, s[8:9]
	s_and_b64 s[4:5], s[4:5], exec
                                        ; implicit-def: $vgpr3
	s_or_saveexec_b64 s[6:7], s[6:7]
	v_mov_b32_e32 v6, s10
	s_xor_b64 exec, exec, s[6:7]
	s_cbranch_execnz .LBB1_18520
; %bb.54357:
	s_getpc_b64 s[14:15]
.Lpost_getpc12842:
	s_add_u32 s14, s14, (.LBB1_4182-.Lpost_getpc12842)&4294967295
	s_addc_u32 s15, s15, (.LBB1_4182-.Lpost_getpc12842)>>32
	s_setpc_b64 s[14:15]
.LBB1_18520:
	v_cmp_ne_u16_e32 vcc, 0, v3
	s_andn2_b64 s[4:5], s[4:5], exec
	s_and_b64 s[8:9], vcc, exec
	v_mov_b32_e32 v6, 0
	s_or_b64 s[4:5], s[4:5], s[8:9]
	s_or_b64 exec, exec, s[6:7]
	s_and_saveexec_b64 s[6:7], s[4:5]
	s_cbranch_execz .LBB1_30763
; %bb.54359:
	s_getpc_b64 s[14:15]
.Lpost_getpc12843:
	s_add_u32 s14, s14, (.LBB1_4183-.Lpost_getpc12843)&4294967295
	s_addc_u32 s15, s15, (.LBB1_4183-.Lpost_getpc12843)>>32
	s_setpc_b64 s[14:15]
.LBB1_30763:
	s_getpc_b64 s[14:15]
.Lpost_getpc1045:
	s_add_u32 s14, s14, (.LBB1_4184-.Lpost_getpc1045)&4294967295
	s_addc_u32 s15, s15, (.LBB1_4184-.Lpost_getpc1045)>>32
	s_setpc_b64 s[14:15]
.LBB1_18521:
	s_movk_i32 s4, 0x80
	v_cmp_eq_u16_sdwa s[12:13], v8, s4 src0_sel:BYTE_3 src1_sel:DWORD
	s_mov_b64 s[4:5], -1
                                        ; implicit-def: $sgpr10
	s_and_saveexec_b64 s[8:9], s[12:13]
; %bb.18522:
	s_mov_b32 s10, 0x7f800001
	s_xor_b64 s[4:5], exec, -1
; %bb.18523:
	s_or_b64 exec, exec, s[8:9]
	s_and_b64 s[4:5], s[4:5], exec
	s_or_saveexec_b64 s[6:7], s[6:7]
	v_mov_b32_e32 v2, s10
	s_xor_b64 exec, exec, s[6:7]
	s_cbranch_execnz .LBB1_18524
; %bb.54361:
	s_getpc_b64 s[14:15]
.Lpost_getpc12844:
	s_add_u32 s14, s14, (.LBB1_4186-.Lpost_getpc12844)&4294967295
	s_addc_u32 s15, s15, (.LBB1_4186-.Lpost_getpc12844)>>32
	s_setpc_b64 s[14:15]
.LBB1_18524:
	v_mov_b32_e32 v2, 0
	v_cmp_ne_u16_sdwa s[8:9], v8, v2 src0_sel:BYTE_3 src1_sel:DWORD
	s_andn2_b64 s[4:5], s[4:5], exec
	s_and_b64 s[8:9], s[8:9], exec
	s_or_b64 s[4:5], s[4:5], s[8:9]
	s_or_b64 exec, exec, s[6:7]
	s_and_saveexec_b64 s[6:7], s[4:5]
	s_cbranch_execz .LBB1_30765
; %bb.54363:
	s_getpc_b64 s[14:15]
.Lpost_getpc12845:
	s_add_u32 s14, s14, (.LBB1_4187-.Lpost_getpc12845)&4294967295
	s_addc_u32 s15, s15, (.LBB1_4187-.Lpost_getpc12845)>>32
	s_setpc_b64 s[14:15]
.LBB1_30765:
	s_getpc_b64 s[14:15]
.Lpost_getpc1046:
	s_add_u32 s14, s14, (.LBB1_4188-.Lpost_getpc1046)&4294967295
	s_addc_u32 s15, s15, (.LBB1_4188-.Lpost_getpc1046)>>32
	s_setpc_b64 s[14:15]
.LBB1_18525:
	s_movk_i32 s4, 0x80
	v_cmp_eq_u16_sdwa s[12:13], v4, s4 src0_sel:BYTE_3 src1_sel:DWORD
	s_mov_b64 s[4:5], -1
                                        ; implicit-def: $sgpr10
	s_and_saveexec_b64 s[8:9], s[12:13]
; %bb.18526:
	s_mov_b32 s10, 0x7f800001
	s_xor_b64 s[4:5], exec, -1
; %bb.18527:
	s_or_b64 exec, exec, s[8:9]
	s_and_b64 s[4:5], s[4:5], exec
	s_or_saveexec_b64 s[6:7], s[6:7]
	v_mov_b32_e32 v3, s10
	s_xor_b64 exec, exec, s[6:7]
	s_cbranch_execnz .LBB1_18528
; %bb.54365:
	s_getpc_b64 s[14:15]
.Lpost_getpc12846:
	s_add_u32 s14, s14, (.LBB1_4190-.Lpost_getpc12846)&4294967295
	s_addc_u32 s15, s15, (.LBB1_4190-.Lpost_getpc12846)>>32
	s_setpc_b64 s[14:15]
.LBB1_18528:
	v_mov_b32_e32 v3, 0
	v_cmp_ne_u16_sdwa s[8:9], v4, v3 src0_sel:BYTE_3 src1_sel:DWORD
	s_andn2_b64 s[4:5], s[4:5], exec
	s_and_b64 s[8:9], s[8:9], exec
	s_or_b64 s[4:5], s[4:5], s[8:9]
	s_or_b64 exec, exec, s[6:7]
	s_and_saveexec_b64 s[6:7], s[4:5]
	s_cbranch_execz .LBB1_30767
; %bb.54367:
	s_getpc_b64 s[14:15]
.Lpost_getpc12847:
	s_add_u32 s14, s14, (.LBB1_4191-.Lpost_getpc12847)&4294967295
	s_addc_u32 s15, s15, (.LBB1_4191-.Lpost_getpc12847)>>32
	s_setpc_b64 s[14:15]
.LBB1_30767:
	s_getpc_b64 s[14:15]
.Lpost_getpc1047:
	s_add_u32 s14, s14, (.LBB1_4192-.Lpost_getpc1047)&4294967295
	s_addc_u32 s15, s15, (.LBB1_4192-.Lpost_getpc1047)>>32
	s_setpc_b64 s[14:15]
.LBB1_18529:
	s_movk_i32 s4, 0x80
	v_cmp_eq_u16_sdwa s[12:13], v9, s4 src0_sel:BYTE_0 src1_sel:DWORD
	s_mov_b64 s[4:5], -1
                                        ; implicit-def: $sgpr10
	s_and_saveexec_b64 s[8:9], s[12:13]
; %bb.18530:
	s_mov_b32 s10, 0x7f800001
	s_xor_b64 s[4:5], exec, -1
; %bb.18531:
	s_or_b64 exec, exec, s[8:9]
	s_and_b64 s[4:5], s[4:5], exec
	s_or_saveexec_b64 s[6:7], s[6:7]
	v_mov_b32_e32 v2, s10
	s_xor_b64 exec, exec, s[6:7]
	s_cbranch_execnz .LBB1_18532
; %bb.54369:
	s_getpc_b64 s[14:15]
.Lpost_getpc12848:
	s_add_u32 s14, s14, (.LBB1_4194-.Lpost_getpc12848)&4294967295
	s_addc_u32 s15, s15, (.LBB1_4194-.Lpost_getpc12848)>>32
	s_setpc_b64 s[14:15]
.LBB1_18532:
	v_mov_b32_e32 v2, 0
	v_cmp_ne_u16_sdwa s[8:9], v9, v2 src0_sel:BYTE_0 src1_sel:DWORD
	s_andn2_b64 s[4:5], s[4:5], exec
	s_and_b64 s[8:9], s[8:9], exec
	s_or_b64 s[4:5], s[4:5], s[8:9]
	s_or_b64 exec, exec, s[6:7]
	s_and_saveexec_b64 s[6:7], s[4:5]
	s_cbranch_execz .LBB1_30769
; %bb.54371:
	s_getpc_b64 s[14:15]
.Lpost_getpc12849:
	s_add_u32 s14, s14, (.LBB1_4195-.Lpost_getpc12849)&4294967295
	s_addc_u32 s15, s15, (.LBB1_4195-.Lpost_getpc12849)>>32
	s_setpc_b64 s[14:15]
.LBB1_30769:
	s_getpc_b64 s[14:15]
.Lpost_getpc1048:
	s_add_u32 s14, s14, (.LBB1_4196-.Lpost_getpc1048)&4294967295
	s_addc_u32 s15, s15, (.LBB1_4196-.Lpost_getpc1048)>>32
	s_setpc_b64 s[14:15]
.LBB1_18533:
	s_movk_i32 s4, 0x80
	v_cmp_eq_u16_sdwa s[12:13], v5, s4 src0_sel:BYTE_0 src1_sel:DWORD
	s_mov_b64 s[4:5], -1
                                        ; implicit-def: $sgpr10
	s_and_saveexec_b64 s[8:9], s[12:13]
; %bb.18534:
	s_mov_b32 s10, 0x7f800001
	s_xor_b64 s[4:5], exec, -1
; %bb.18535:
	s_or_b64 exec, exec, s[8:9]
	s_and_b64 s[4:5], s[4:5], exec
	s_or_saveexec_b64 s[6:7], s[6:7]
	v_mov_b32_e32 v3, s10
	s_xor_b64 exec, exec, s[6:7]
	s_cbranch_execnz .LBB1_18536
; %bb.54373:
	s_getpc_b64 s[14:15]
.Lpost_getpc12850:
	s_add_u32 s14, s14, (.LBB1_4198-.Lpost_getpc12850)&4294967295
	s_addc_u32 s15, s15, (.LBB1_4198-.Lpost_getpc12850)>>32
	s_setpc_b64 s[14:15]
.LBB1_18536:
	v_mov_b32_e32 v3, 0
	v_cmp_ne_u16_sdwa s[8:9], v5, v3 src0_sel:BYTE_0 src1_sel:DWORD
	s_andn2_b64 s[4:5], s[4:5], exec
	s_and_b64 s[8:9], s[8:9], exec
	s_or_b64 s[4:5], s[4:5], s[8:9]
	s_or_b64 exec, exec, s[6:7]
	s_and_saveexec_b64 s[6:7], s[4:5]
	s_cbranch_execz .LBB1_30771
; %bb.54375:
	s_getpc_b64 s[14:15]
.Lpost_getpc12851:
	s_add_u32 s14, s14, (.LBB1_4199-.Lpost_getpc12851)&4294967295
	s_addc_u32 s15, s15, (.LBB1_4199-.Lpost_getpc12851)>>32
	s_setpc_b64 s[14:15]
.LBB1_30771:
	s_getpc_b64 s[14:15]
.Lpost_getpc1049:
	s_add_u32 s14, s14, (.LBB1_4200-.Lpost_getpc1049)&4294967295
	s_addc_u32 s15, s15, (.LBB1_4200-.Lpost_getpc1049)>>32
	s_setpc_b64 s[14:15]
.LBB1_18537:
	s_movk_i32 s4, 0x80
	v_cmp_eq_u16_sdwa s[12:13], v3, s4 src0_sel:BYTE_0 src1_sel:DWORD
	s_mov_b64 s[4:5], -1
                                        ; implicit-def: $sgpr10
	s_and_saveexec_b64 s[8:9], s[12:13]
; %bb.18538:
	s_mov_b32 s10, 0x7f800001
	s_xor_b64 s[4:5], exec, -1
; %bb.18539:
	s_or_b64 exec, exec, s[8:9]
	s_and_b64 s[4:5], s[4:5], exec
	s_or_saveexec_b64 s[6:7], s[6:7]
	v_mov_b32_e32 v2, s10
	s_xor_b64 exec, exec, s[6:7]
	s_cbranch_execnz .LBB1_18540
; %bb.54377:
	s_getpc_b64 s[14:15]
.Lpost_getpc12852:
	s_add_u32 s14, s14, (.LBB1_4202-.Lpost_getpc12852)&4294967295
	s_addc_u32 s15, s15, (.LBB1_4202-.Lpost_getpc12852)>>32
	s_setpc_b64 s[14:15]
.LBB1_18540:
	v_mov_b32_e32 v2, 0
	v_cmp_ne_u16_sdwa s[8:9], v3, v2 src0_sel:BYTE_0 src1_sel:DWORD
	s_andn2_b64 s[4:5], s[4:5], exec
	s_and_b64 s[8:9], s[8:9], exec
	s_or_b64 s[4:5], s[4:5], s[8:9]
	s_or_b64 exec, exec, s[6:7]
	s_and_saveexec_b64 s[6:7], s[4:5]
	s_cbranch_execz .LBB1_30773
; %bb.54379:
	s_getpc_b64 s[14:15]
.Lpost_getpc12853:
	s_add_u32 s14, s14, (.LBB1_4203-.Lpost_getpc12853)&4294967295
	s_addc_u32 s15, s15, (.LBB1_4203-.Lpost_getpc12853)>>32
	s_setpc_b64 s[14:15]
.LBB1_30773:
	s_getpc_b64 s[14:15]
.Lpost_getpc1050:
	s_add_u32 s14, s14, (.LBB1_4204-.Lpost_getpc1050)&4294967295
	s_addc_u32 s15, s15, (.LBB1_4204-.Lpost_getpc1050)>>32
	s_setpc_b64 s[14:15]
.LBB1_18541:
	s_movk_i32 s4, 0x80
	v_cmp_eq_u16_sdwa s[12:13], v3, s4 src0_sel:BYTE_0 src1_sel:DWORD
	s_mov_b64 s[4:5], -1
                                        ; implicit-def: $sgpr10
	s_and_saveexec_b64 s[8:9], s[12:13]
; %bb.18542:
	s_mov_b32 s10, 0x7f800001
	s_xor_b64 s[4:5], exec, -1
; %bb.18543:
	s_or_b64 exec, exec, s[8:9]
	s_and_b64 s[4:5], s[4:5], exec
	s_or_saveexec_b64 s[6:7], s[6:7]
	v_mov_b32_e32 v4, s10
	s_xor_b64 exec, exec, s[6:7]
	s_cbranch_execnz .LBB1_18544
; %bb.54381:
	s_getpc_b64 s[14:15]
.Lpost_getpc12854:
	s_add_u32 s14, s14, (.LBB1_4206-.Lpost_getpc12854)&4294967295
	s_addc_u32 s15, s15, (.LBB1_4206-.Lpost_getpc12854)>>32
	s_setpc_b64 s[14:15]
.LBB1_18544:
	v_mov_b32_e32 v4, 0
	v_cmp_ne_u16_sdwa s[8:9], v3, v4 src0_sel:BYTE_0 src1_sel:DWORD
	s_andn2_b64 s[4:5], s[4:5], exec
	s_and_b64 s[8:9], s[8:9], exec
	s_or_b64 s[4:5], s[4:5], s[8:9]
	s_or_b64 exec, exec, s[6:7]
	s_and_saveexec_b64 s[6:7], s[4:5]
	s_cbranch_execz .LBB1_30775
; %bb.54383:
	s_getpc_b64 s[14:15]
.Lpost_getpc12855:
	s_add_u32 s14, s14, (.LBB1_4207-.Lpost_getpc12855)&4294967295
	s_addc_u32 s15, s15, (.LBB1_4207-.Lpost_getpc12855)>>32
	s_setpc_b64 s[14:15]
.LBB1_30775:
	s_getpc_b64 s[14:15]
.Lpost_getpc1051:
	s_add_u32 s14, s14, (.LBB1_4208-.Lpost_getpc1051)&4294967295
	s_addc_u32 s15, s15, (.LBB1_4208-.Lpost_getpc1051)>>32
	s_setpc_b64 s[14:15]
.LBB1_18545:
	s_movk_i32 s4, 0x80
	v_cmp_eq_u16_e32 vcc, s4, v3
	s_mov_b64 s[4:5], -1
                                        ; implicit-def: $sgpr10
	s_and_saveexec_b64 s[8:9], vcc
; %bb.18546:
	s_mov_b32 s10, 0x7f800001
	s_xor_b64 s[4:5], exec, -1
; %bb.18547:
	s_or_b64 exec, exec, s[8:9]
	s_and_b64 s[4:5], s[4:5], exec
                                        ; implicit-def: $vgpr3
	s_or_saveexec_b64 s[6:7], s[6:7]
	v_mov_b32_e32 v2, s10
	s_xor_b64 exec, exec, s[6:7]
	s_cbranch_execnz .LBB1_18548
; %bb.54385:
	s_getpc_b64 s[14:15]
.Lpost_getpc12856:
	s_add_u32 s14, s14, (.LBB1_4210-.Lpost_getpc12856)&4294967295
	s_addc_u32 s15, s15, (.LBB1_4210-.Lpost_getpc12856)>>32
	s_setpc_b64 s[14:15]
.LBB1_18548:
	v_cmp_ne_u16_e32 vcc, 0, v3
	s_andn2_b64 s[4:5], s[4:5], exec
	s_and_b64 s[8:9], vcc, exec
	v_mov_b32_e32 v2, 0
	s_or_b64 s[4:5], s[4:5], s[8:9]
	s_or_b64 exec, exec, s[6:7]
	s_and_saveexec_b64 s[6:7], s[4:5]
	s_cbranch_execz .LBB1_30777
; %bb.54387:
	s_getpc_b64 s[14:15]
.Lpost_getpc12857:
	s_add_u32 s14, s14, (.LBB1_4211-.Lpost_getpc12857)&4294967295
	s_addc_u32 s15, s15, (.LBB1_4211-.Lpost_getpc12857)>>32
	s_setpc_b64 s[14:15]
.LBB1_30777:
	s_getpc_b64 s[14:15]
.Lpost_getpc1052:
	s_add_u32 s14, s14, (.LBB1_4212-.Lpost_getpc1052)&4294967295
	s_addc_u32 s15, s15, (.LBB1_4212-.Lpost_getpc1052)>>32
	s_setpc_b64 s[14:15]
.LBB1_18549:
	s_movk_i32 s4, 0x80
	v_cmp_eq_u16_e32 vcc, s4, v3
	s_mov_b64 s[4:5], -1
                                        ; implicit-def: $sgpr10
	s_and_saveexec_b64 s[8:9], vcc
; %bb.18550:
	s_mov_b32 s10, 0x7f800001
	s_xor_b64 s[4:5], exec, -1
; %bb.18551:
	s_or_b64 exec, exec, s[8:9]
	s_and_b64 s[4:5], s[4:5], exec
                                        ; implicit-def: $vgpr3
	s_or_saveexec_b64 s[6:7], s[6:7]
	v_mov_b32_e32 v4, s10
	s_xor_b64 exec, exec, s[6:7]
	s_cbranch_execnz .LBB1_18552
; %bb.54389:
	s_getpc_b64 s[14:15]
.Lpost_getpc12858:
	s_add_u32 s14, s14, (.LBB1_4214-.Lpost_getpc12858)&4294967295
	s_addc_u32 s15, s15, (.LBB1_4214-.Lpost_getpc12858)>>32
	s_setpc_b64 s[14:15]
.LBB1_18552:
	v_cmp_ne_u16_e32 vcc, 0, v3
	s_andn2_b64 s[4:5], s[4:5], exec
	s_and_b64 s[8:9], vcc, exec
	v_mov_b32_e32 v4, 0
	s_or_b64 s[4:5], s[4:5], s[8:9]
	s_or_b64 exec, exec, s[6:7]
	s_and_saveexec_b64 s[6:7], s[4:5]
	s_cbranch_execz .LBB1_30779
; %bb.54391:
	s_getpc_b64 s[14:15]
.Lpost_getpc12859:
	s_add_u32 s14, s14, (.LBB1_4215-.Lpost_getpc12859)&4294967295
	s_addc_u32 s15, s15, (.LBB1_4215-.Lpost_getpc12859)>>32
	s_setpc_b64 s[14:15]
.LBB1_30779:
	s_getpc_b64 s[14:15]
.Lpost_getpc1053:
	s_add_u32 s14, s14, (.LBB1_4216-.Lpost_getpc1053)&4294967295
	s_addc_u32 s15, s15, (.LBB1_4216-.Lpost_getpc1053)>>32
	s_setpc_b64 s[14:15]
.LBB1_18553:
	s_movk_i32 s4, 0x80
	v_cmp_eq_u16_sdwa s[12:13], v9, s4 src0_sel:BYTE_3 src1_sel:DWORD
	s_mov_b64 s[4:5], -1
                                        ; implicit-def: $sgpr10
	s_and_saveexec_b64 s[8:9], s[12:13]
; %bb.18554:
	s_mov_b32 s10, 0x7f800001
	s_xor_b64 s[4:5], exec, -1
; %bb.18555:
	s_or_b64 exec, exec, s[8:9]
	s_and_b64 s[4:5], s[4:5], exec
	s_or_saveexec_b64 s[6:7], s[6:7]
	v_mov_b32_e32 v2, s10
	s_xor_b64 exec, exec, s[6:7]
	s_cbranch_execnz .LBB1_18556
; %bb.54393:
	s_getpc_b64 s[14:15]
.Lpost_getpc12860:
	s_add_u32 s14, s14, (.LBB1_4218-.Lpost_getpc12860)&4294967295
	s_addc_u32 s15, s15, (.LBB1_4218-.Lpost_getpc12860)>>32
	s_setpc_b64 s[14:15]
.LBB1_18556:
	v_mov_b32_e32 v2, 0
	v_cmp_ne_u16_sdwa s[8:9], v9, v2 src0_sel:BYTE_3 src1_sel:DWORD
	s_andn2_b64 s[4:5], s[4:5], exec
	s_and_b64 s[8:9], s[8:9], exec
	s_or_b64 s[4:5], s[4:5], s[8:9]
	s_or_b64 exec, exec, s[6:7]
	s_and_saveexec_b64 s[6:7], s[4:5]
	s_cbranch_execz .LBB1_30781
; %bb.54395:
	s_getpc_b64 s[14:15]
.Lpost_getpc12861:
	s_add_u32 s14, s14, (.LBB1_4219-.Lpost_getpc12861)&4294967295
	s_addc_u32 s15, s15, (.LBB1_4219-.Lpost_getpc12861)>>32
	s_setpc_b64 s[14:15]
.LBB1_30781:
	s_getpc_b64 s[14:15]
.Lpost_getpc1054:
	s_add_u32 s14, s14, (.LBB1_4220-.Lpost_getpc1054)&4294967295
	s_addc_u32 s15, s15, (.LBB1_4220-.Lpost_getpc1054)>>32
	s_setpc_b64 s[14:15]
.LBB1_18557:
	s_movk_i32 s4, 0x80
	v_cmp_eq_u16_sdwa s[12:13], v5, s4 src0_sel:BYTE_3 src1_sel:DWORD
	s_mov_b64 s[4:5], -1
                                        ; implicit-def: $sgpr10
	s_and_saveexec_b64 s[8:9], s[12:13]
; %bb.18558:
	s_mov_b32 s10, 0x7f800001
	s_xor_b64 s[4:5], exec, -1
; %bb.18559:
	s_or_b64 exec, exec, s[8:9]
	s_and_b64 s[4:5], s[4:5], exec
	s_or_saveexec_b64 s[6:7], s[6:7]
	v_mov_b32_e32 v3, s10
	s_xor_b64 exec, exec, s[6:7]
	s_cbranch_execnz .LBB1_18560
; %bb.54397:
	s_getpc_b64 s[14:15]
.Lpost_getpc12862:
	s_add_u32 s14, s14, (.LBB1_4222-.Lpost_getpc12862)&4294967295
	s_addc_u32 s15, s15, (.LBB1_4222-.Lpost_getpc12862)>>32
	s_setpc_b64 s[14:15]
.LBB1_18560:
	v_mov_b32_e32 v3, 0
	v_cmp_ne_u16_sdwa s[8:9], v5, v3 src0_sel:BYTE_3 src1_sel:DWORD
	s_andn2_b64 s[4:5], s[4:5], exec
	s_and_b64 s[8:9], s[8:9], exec
	s_or_b64 s[4:5], s[4:5], s[8:9]
	s_or_b64 exec, exec, s[6:7]
	s_and_saveexec_b64 s[6:7], s[4:5]
	s_cbranch_execz .LBB1_30783
; %bb.54399:
	s_getpc_b64 s[14:15]
.Lpost_getpc12863:
	s_add_u32 s14, s14, (.LBB1_4223-.Lpost_getpc12863)&4294967295
	s_addc_u32 s15, s15, (.LBB1_4223-.Lpost_getpc12863)>>32
	s_setpc_b64 s[14:15]
.LBB1_30783:
	s_getpc_b64 s[14:15]
.Lpost_getpc1055:
	s_add_u32 s14, s14, (.LBB1_4224-.Lpost_getpc1055)&4294967295
	s_addc_u32 s15, s15, (.LBB1_4224-.Lpost_getpc1055)>>32
	s_setpc_b64 s[14:15]
.LBB1_18561:
	s_movk_i32 s4, 0x80
	v_cmp_eq_u16_sdwa s[12:13], v6, s4 src0_sel:BYTE_0 src1_sel:DWORD
	s_mov_b64 s[4:5], -1
                                        ; implicit-def: $sgpr10
	s_and_saveexec_b64 s[8:9], s[12:13]
; %bb.18562:
	s_mov_b32 s10, 0x7f800001
	s_xor_b64 s[4:5], exec, -1
; %bb.18563:
	s_or_b64 exec, exec, s[8:9]
	s_and_b64 s[4:5], s[4:5], exec
	s_or_saveexec_b64 s[6:7], s[6:7]
	v_mov_b32_e32 v12, s10
	s_xor_b64 exec, exec, s[6:7]
	s_cbranch_execnz .LBB1_18564
; %bb.54401:
	s_getpc_b64 s[14:15]
.Lpost_getpc12864:
	s_add_u32 s14, s14, (.LBB1_4226-.Lpost_getpc12864)&4294967295
	s_addc_u32 s15, s15, (.LBB1_4226-.Lpost_getpc12864)>>32
	s_setpc_b64 s[14:15]
.LBB1_18564:
	v_mov_b32_e32 v12, 0
	v_cmp_ne_u16_sdwa s[8:9], v6, v12 src0_sel:BYTE_0 src1_sel:DWORD
	s_andn2_b64 s[4:5], s[4:5], exec
	s_and_b64 s[8:9], s[8:9], exec
	s_or_b64 s[4:5], s[4:5], s[8:9]
	s_or_b64 exec, exec, s[6:7]
	s_and_saveexec_b64 s[6:7], s[4:5]
	s_cbranch_execz .LBB1_30785
; %bb.54403:
	s_getpc_b64 s[14:15]
.Lpost_getpc12865:
	s_add_u32 s14, s14, (.LBB1_4227-.Lpost_getpc12865)&4294967295
	s_addc_u32 s15, s15, (.LBB1_4227-.Lpost_getpc12865)>>32
	s_setpc_b64 s[14:15]
.LBB1_30785:
	s_getpc_b64 s[14:15]
.Lpost_getpc1056:
	s_add_u32 s14, s14, (.LBB1_4228-.Lpost_getpc1056)&4294967295
	s_addc_u32 s15, s15, (.LBB1_4228-.Lpost_getpc1056)>>32
	s_setpc_b64 s[14:15]
.LBB1_18565:
	s_movk_i32 s4, 0x80
	v_cmp_eq_u16_sdwa s[12:13], v2, s4 src0_sel:BYTE_0 src1_sel:DWORD
	s_mov_b64 s[4:5], -1
                                        ; implicit-def: $sgpr10
	s_and_saveexec_b64 s[8:9], s[12:13]
; %bb.18566:
	s_mov_b32 s10, 0x7f800001
	s_xor_b64 s[4:5], exec, -1
; %bb.18567:
	s_or_b64 exec, exec, s[8:9]
	s_and_b64 s[4:5], s[4:5], exec
	s_or_saveexec_b64 s[6:7], s[6:7]
	v_mov_b32_e32 v13, s10
	s_xor_b64 exec, exec, s[6:7]
	s_cbranch_execnz .LBB1_18568
; %bb.54405:
	s_getpc_b64 s[14:15]
.Lpost_getpc12866:
	s_add_u32 s14, s14, (.LBB1_4230-.Lpost_getpc12866)&4294967295
	s_addc_u32 s15, s15, (.LBB1_4230-.Lpost_getpc12866)>>32
	s_setpc_b64 s[14:15]
.LBB1_18568:
	v_mov_b32_e32 v13, 0
	v_cmp_ne_u16_sdwa s[8:9], v2, v13 src0_sel:BYTE_0 src1_sel:DWORD
	s_andn2_b64 s[4:5], s[4:5], exec
	s_and_b64 s[8:9], s[8:9], exec
	s_or_b64 s[4:5], s[4:5], s[8:9]
	s_or_b64 exec, exec, s[6:7]
	s_and_saveexec_b64 s[6:7], s[4:5]
	s_cbranch_execz .LBB1_30787
; %bb.54407:
	s_getpc_b64 s[14:15]
.Lpost_getpc12867:
	s_add_u32 s14, s14, (.LBB1_4231-.Lpost_getpc12867)&4294967295
	s_addc_u32 s15, s15, (.LBB1_4231-.Lpost_getpc12867)>>32
	s_setpc_b64 s[14:15]
.LBB1_30787:
	s_getpc_b64 s[14:15]
.Lpost_getpc1057:
	s_add_u32 s14, s14, (.LBB1_4232-.Lpost_getpc1057)&4294967295
	s_addc_u32 s15, s15, (.LBB1_4232-.Lpost_getpc1057)>>32
	s_setpc_b64 s[14:15]
.LBB1_18569:
	s_movk_i32 s4, 0x80
	v_cmp_eq_u16_sdwa s[12:13], v13, s4 src0_sel:BYTE_0 src1_sel:DWORD
	s_mov_b64 s[4:5], -1
                                        ; implicit-def: $sgpr10
	s_and_saveexec_b64 s[8:9], s[12:13]
; %bb.18570:
	s_mov_b32 s10, 0x7f800001
	s_xor_b64 s[4:5], exec, -1
; %bb.18571:
	s_or_b64 exec, exec, s[8:9]
	s_and_b64 s[4:5], s[4:5], exec
	s_or_saveexec_b64 s[6:7], s[6:7]
	v_mov_b32_e32 v12, s10
	s_xor_b64 exec, exec, s[6:7]
	s_cbranch_execnz .LBB1_18572
; %bb.54409:
	s_getpc_b64 s[14:15]
.Lpost_getpc12868:
	s_add_u32 s14, s14, (.LBB1_4234-.Lpost_getpc12868)&4294967295
	s_addc_u32 s15, s15, (.LBB1_4234-.Lpost_getpc12868)>>32
	s_setpc_b64 s[14:15]
.LBB1_18572:
	v_mov_b32_e32 v12, 0
	v_cmp_ne_u16_sdwa s[8:9], v13, v12 src0_sel:BYTE_0 src1_sel:DWORD
	s_andn2_b64 s[4:5], s[4:5], exec
	s_and_b64 s[8:9], s[8:9], exec
	s_or_b64 s[4:5], s[4:5], s[8:9]
	s_or_b64 exec, exec, s[6:7]
	s_and_saveexec_b64 s[6:7], s[4:5]
	s_cbranch_execz .LBB1_30789
; %bb.54411:
	s_getpc_b64 s[14:15]
.Lpost_getpc12869:
	s_add_u32 s14, s14, (.LBB1_4235-.Lpost_getpc12869)&4294967295
	s_addc_u32 s15, s15, (.LBB1_4235-.Lpost_getpc12869)>>32
	s_setpc_b64 s[14:15]
.LBB1_30789:
	s_getpc_b64 s[14:15]
.Lpost_getpc1058:
	s_add_u32 s14, s14, (.LBB1_4236-.Lpost_getpc1058)&4294967295
	s_addc_u32 s15, s15, (.LBB1_4236-.Lpost_getpc1058)>>32
	s_setpc_b64 s[14:15]
.LBB1_18573:
	s_movk_i32 s4, 0x80
	v_cmp_eq_u16_sdwa s[12:13], v13, s4 src0_sel:BYTE_0 src1_sel:DWORD
	s_mov_b64 s[4:5], -1
                                        ; implicit-def: $sgpr10
	s_and_saveexec_b64 s[8:9], s[12:13]
; %bb.18574:
	s_mov_b32 s10, 0x7f800001
	s_xor_b64 s[4:5], exec, -1
; %bb.18575:
	s_or_b64 exec, exec, s[8:9]
	s_and_b64 s[4:5], s[4:5], exec
	s_or_saveexec_b64 s[6:7], s[6:7]
	v_mov_b32_e32 v14, s10
	s_xor_b64 exec, exec, s[6:7]
	s_cbranch_execnz .LBB1_18576
; %bb.54413:
	s_getpc_b64 s[14:15]
.Lpost_getpc12870:
	s_add_u32 s14, s14, (.LBB1_4238-.Lpost_getpc12870)&4294967295
	s_addc_u32 s15, s15, (.LBB1_4238-.Lpost_getpc12870)>>32
	s_setpc_b64 s[14:15]
.LBB1_18576:
	v_mov_b32_e32 v14, 0
	v_cmp_ne_u16_sdwa s[8:9], v13, v14 src0_sel:BYTE_0 src1_sel:DWORD
	s_andn2_b64 s[4:5], s[4:5], exec
	s_and_b64 s[8:9], s[8:9], exec
	s_or_b64 s[4:5], s[4:5], s[8:9]
	s_or_b64 exec, exec, s[6:7]
	s_and_saveexec_b64 s[6:7], s[4:5]
	s_cbranch_execz .LBB1_30791
; %bb.54415:
	s_getpc_b64 s[14:15]
.Lpost_getpc12871:
	s_add_u32 s14, s14, (.LBB1_4239-.Lpost_getpc12871)&4294967295
	s_addc_u32 s15, s15, (.LBB1_4239-.Lpost_getpc12871)>>32
	s_setpc_b64 s[14:15]
.LBB1_30791:
	s_getpc_b64 s[14:15]
.Lpost_getpc1059:
	s_add_u32 s14, s14, (.LBB1_4240-.Lpost_getpc1059)&4294967295
	s_addc_u32 s15, s15, (.LBB1_4240-.Lpost_getpc1059)>>32
	s_setpc_b64 s[14:15]
.LBB1_18577:
	s_movk_i32 s4, 0x80
	v_cmp_eq_u16_e32 vcc, s4, v13
	s_mov_b64 s[4:5], -1
                                        ; implicit-def: $sgpr10
	s_and_saveexec_b64 s[8:9], vcc
; %bb.18578:
	s_mov_b32 s10, 0x7f800001
	s_xor_b64 s[4:5], exec, -1
; %bb.18579:
	s_or_b64 exec, exec, s[8:9]
	s_and_b64 s[4:5], s[4:5], exec
                                        ; implicit-def: $vgpr13
	s_or_saveexec_b64 s[6:7], s[6:7]
	v_mov_b32_e32 v12, s10
	s_xor_b64 exec, exec, s[6:7]
	s_cbranch_execnz .LBB1_18580
; %bb.54417:
	s_getpc_b64 s[14:15]
.Lpost_getpc12872:
	s_add_u32 s14, s14, (.LBB1_4242-.Lpost_getpc12872)&4294967295
	s_addc_u32 s15, s15, (.LBB1_4242-.Lpost_getpc12872)>>32
	s_setpc_b64 s[14:15]
.LBB1_18580:
	v_cmp_ne_u16_e32 vcc, 0, v13
	s_andn2_b64 s[4:5], s[4:5], exec
	s_and_b64 s[8:9], vcc, exec
	v_mov_b32_e32 v12, 0
	s_or_b64 s[4:5], s[4:5], s[8:9]
	s_or_b64 exec, exec, s[6:7]
	s_and_saveexec_b64 s[6:7], s[4:5]
	s_cbranch_execz .LBB1_30793
; %bb.54419:
	s_getpc_b64 s[14:15]
.Lpost_getpc12873:
	s_add_u32 s14, s14, (.LBB1_4243-.Lpost_getpc12873)&4294967295
	s_addc_u32 s15, s15, (.LBB1_4243-.Lpost_getpc12873)>>32
	s_setpc_b64 s[14:15]
.LBB1_30793:
	s_getpc_b64 s[14:15]
.Lpost_getpc1060:
	s_add_u32 s14, s14, (.LBB1_4244-.Lpost_getpc1060)&4294967295
	s_addc_u32 s15, s15, (.LBB1_4244-.Lpost_getpc1060)>>32
	s_setpc_b64 s[14:15]
.LBB1_18581:
	s_movk_i32 s4, 0x80
	v_cmp_eq_u16_e32 vcc, s4, v13
	s_mov_b64 s[4:5], -1
                                        ; implicit-def: $sgpr10
	s_and_saveexec_b64 s[8:9], vcc
; %bb.18582:
	s_mov_b32 s10, 0x7f800001
	s_xor_b64 s[4:5], exec, -1
; %bb.18583:
	s_or_b64 exec, exec, s[8:9]
	s_and_b64 s[4:5], s[4:5], exec
                                        ; implicit-def: $vgpr13
	s_or_saveexec_b64 s[6:7], s[6:7]
	v_mov_b32_e32 v14, s10
	s_xor_b64 exec, exec, s[6:7]
	s_cbranch_execnz .LBB1_18584
; %bb.54421:
	s_getpc_b64 s[14:15]
.Lpost_getpc12874:
	s_add_u32 s14, s14, (.LBB1_4246-.Lpost_getpc12874)&4294967295
	s_addc_u32 s15, s15, (.LBB1_4246-.Lpost_getpc12874)>>32
	s_setpc_b64 s[14:15]
.LBB1_18584:
	v_cmp_ne_u16_e32 vcc, 0, v13
	s_andn2_b64 s[4:5], s[4:5], exec
	s_and_b64 s[8:9], vcc, exec
	v_mov_b32_e32 v14, 0
	s_or_b64 s[4:5], s[4:5], s[8:9]
	s_or_b64 exec, exec, s[6:7]
	s_and_saveexec_b64 s[6:7], s[4:5]
	s_cbranch_execz .LBB1_30795
; %bb.54423:
	s_getpc_b64 s[14:15]
.Lpost_getpc12875:
	s_add_u32 s14, s14, (.LBB1_4247-.Lpost_getpc12875)&4294967295
	s_addc_u32 s15, s15, (.LBB1_4247-.Lpost_getpc12875)>>32
	s_setpc_b64 s[14:15]
.LBB1_30795:
	s_getpc_b64 s[14:15]
.Lpost_getpc1061:
	s_add_u32 s14, s14, (.LBB1_4248-.Lpost_getpc1061)&4294967295
	s_addc_u32 s15, s15, (.LBB1_4248-.Lpost_getpc1061)>>32
	s_setpc_b64 s[14:15]
.LBB1_18585:
	s_movk_i32 s4, 0x80
	v_cmp_eq_u16_sdwa s[12:13], v6, s4 src0_sel:BYTE_3 src1_sel:DWORD
	s_mov_b64 s[4:5], -1
                                        ; implicit-def: $sgpr10
	s_and_saveexec_b64 s[8:9], s[12:13]
; %bb.18586:
	s_mov_b32 s10, 0x7f800001
	s_xor_b64 s[4:5], exec, -1
; %bb.18587:
	s_or_b64 exec, exec, s[8:9]
	s_and_b64 s[4:5], s[4:5], exec
	s_or_saveexec_b64 s[6:7], s[6:7]
	v_mov_b32_e32 v12, s10
	s_xor_b64 exec, exec, s[6:7]
	s_cbranch_execnz .LBB1_18588
; %bb.54425:
	s_getpc_b64 s[14:15]
.Lpost_getpc12876:
	s_add_u32 s14, s14, (.LBB1_4250-.Lpost_getpc12876)&4294967295
	s_addc_u32 s15, s15, (.LBB1_4250-.Lpost_getpc12876)>>32
	s_setpc_b64 s[14:15]
.LBB1_18588:
	v_mov_b32_e32 v12, 0
	v_cmp_ne_u16_sdwa s[8:9], v6, v12 src0_sel:BYTE_3 src1_sel:DWORD
	s_andn2_b64 s[4:5], s[4:5], exec
	s_and_b64 s[8:9], s[8:9], exec
	s_or_b64 s[4:5], s[4:5], s[8:9]
	s_or_b64 exec, exec, s[6:7]
	s_and_saveexec_b64 s[6:7], s[4:5]
	s_cbranch_execz .LBB1_30797
; %bb.54427:
	s_getpc_b64 s[14:15]
.Lpost_getpc12877:
	s_add_u32 s14, s14, (.LBB1_4251-.Lpost_getpc12877)&4294967295
	s_addc_u32 s15, s15, (.LBB1_4251-.Lpost_getpc12877)>>32
	s_setpc_b64 s[14:15]
.LBB1_30797:
	s_getpc_b64 s[14:15]
.Lpost_getpc1062:
	s_add_u32 s14, s14, (.LBB1_4252-.Lpost_getpc1062)&4294967295
	s_addc_u32 s15, s15, (.LBB1_4252-.Lpost_getpc1062)>>32
	s_setpc_b64 s[14:15]
.LBB1_18589:
	s_movk_i32 s4, 0x80
	v_cmp_eq_u16_sdwa s[12:13], v2, s4 src0_sel:BYTE_3 src1_sel:DWORD
	s_mov_b64 s[4:5], -1
                                        ; implicit-def: $sgpr10
	s_and_saveexec_b64 s[8:9], s[12:13]
; %bb.18590:
	s_mov_b32 s10, 0x7f800001
	s_xor_b64 s[4:5], exec, -1
; %bb.18591:
	s_or_b64 exec, exec, s[8:9]
	s_and_b64 s[4:5], s[4:5], exec
	s_or_saveexec_b64 s[6:7], s[6:7]
	v_mov_b32_e32 v6, s10
	s_xor_b64 exec, exec, s[6:7]
	s_cbranch_execnz .LBB1_18592
; %bb.54429:
	s_getpc_b64 s[14:15]
.Lpost_getpc12878:
	s_add_u32 s14, s14, (.LBB1_4254-.Lpost_getpc12878)&4294967295
	s_addc_u32 s15, s15, (.LBB1_4254-.Lpost_getpc12878)>>32
	s_setpc_b64 s[14:15]
.LBB1_18592:
	v_mov_b32_e32 v6, 0
	v_cmp_ne_u16_sdwa s[8:9], v2, v6 src0_sel:BYTE_3 src1_sel:DWORD
	s_andn2_b64 s[4:5], s[4:5], exec
	s_and_b64 s[8:9], s[8:9], exec
	s_or_b64 s[4:5], s[4:5], s[8:9]
	s_or_b64 exec, exec, s[6:7]
	s_and_saveexec_b64 s[6:7], s[4:5]
	s_cbranch_execz .LBB1_30799
; %bb.54431:
	s_getpc_b64 s[14:15]
.Lpost_getpc12879:
	s_add_u32 s14, s14, (.LBB1_4255-.Lpost_getpc12879)&4294967295
	s_addc_u32 s15, s15, (.LBB1_4255-.Lpost_getpc12879)>>32
	s_setpc_b64 s[14:15]
.LBB1_30799:
	s_getpc_b64 s[14:15]
.Lpost_getpc1063:
	s_add_u32 s14, s14, (.LBB1_4256-.Lpost_getpc1063)&4294967295
	s_addc_u32 s15, s15, (.LBB1_4256-.Lpost_getpc1063)>>32
	s_setpc_b64 s[14:15]
.LBB1_18593:
	s_movk_i32 s4, 0x80
	v_cmp_eq_u16_sdwa s[12:13], v7, s4 src0_sel:BYTE_0 src1_sel:DWORD
	s_mov_b64 s[4:5], -1
                                        ; implicit-def: $sgpr10
	s_and_saveexec_b64 s[8:9], s[12:13]
; %bb.18594:
	s_mov_b32 s10, 0x7f800001
	s_xor_b64 s[4:5], exec, -1
; %bb.18595:
	s_or_b64 exec, exec, s[8:9]
	s_and_b64 s[4:5], s[4:5], exec
	s_or_saveexec_b64 s[6:7], s[6:7]
	v_mov_b32_e32 v2, s10
	s_xor_b64 exec, exec, s[6:7]
	s_cbranch_execnz .LBB1_18596
; %bb.54433:
	s_getpc_b64 s[14:15]
.Lpost_getpc12880:
	s_add_u32 s14, s14, (.LBB1_4258-.Lpost_getpc12880)&4294967295
	s_addc_u32 s15, s15, (.LBB1_4258-.Lpost_getpc12880)>>32
	s_setpc_b64 s[14:15]
.LBB1_18596:
	v_mov_b32_e32 v2, 0
	v_cmp_ne_u16_sdwa s[8:9], v7, v2 src0_sel:BYTE_0 src1_sel:DWORD
	s_andn2_b64 s[4:5], s[4:5], exec
	s_and_b64 s[8:9], s[8:9], exec
	s_or_b64 s[4:5], s[4:5], s[8:9]
	s_or_b64 exec, exec, s[6:7]
	s_and_saveexec_b64 s[6:7], s[4:5]
	s_cbranch_execz .LBB1_30801
; %bb.54435:
	s_getpc_b64 s[14:15]
.Lpost_getpc12881:
	s_add_u32 s14, s14, (.LBB1_4259-.Lpost_getpc12881)&4294967295
	s_addc_u32 s15, s15, (.LBB1_4259-.Lpost_getpc12881)>>32
	s_setpc_b64 s[14:15]
.LBB1_30801:
	s_getpc_b64 s[14:15]
.Lpost_getpc1064:
	s_add_u32 s14, s14, (.LBB1_4260-.Lpost_getpc1064)&4294967295
	s_addc_u32 s15, s15, (.LBB1_4260-.Lpost_getpc1064)>>32
	s_setpc_b64 s[14:15]
.LBB1_18597:
	s_movk_i32 s4, 0x80
	v_cmp_eq_u16_sdwa s[12:13], v3, s4 src0_sel:BYTE_0 src1_sel:DWORD
	s_mov_b64 s[4:5], -1
                                        ; implicit-def: $sgpr10
	s_and_saveexec_b64 s[8:9], s[12:13]
; %bb.18598:
	s_mov_b32 s10, 0x7f800001
	s_xor_b64 s[4:5], exec, -1
; %bb.18599:
	s_or_b64 exec, exec, s[8:9]
	s_and_b64 s[4:5], s[4:5], exec
	s_or_saveexec_b64 s[6:7], s[6:7]
	v_mov_b32_e32 v6, s10
	s_xor_b64 exec, exec, s[6:7]
	s_cbranch_execnz .LBB1_18600
; %bb.54437:
	s_getpc_b64 s[14:15]
.Lpost_getpc12882:
	s_add_u32 s14, s14, (.LBB1_4262-.Lpost_getpc12882)&4294967295
	s_addc_u32 s15, s15, (.LBB1_4262-.Lpost_getpc12882)>>32
	s_setpc_b64 s[14:15]
.LBB1_18600:
	v_mov_b32_e32 v6, 0
	v_cmp_ne_u16_sdwa s[8:9], v3, v6 src0_sel:BYTE_0 src1_sel:DWORD
	s_andn2_b64 s[4:5], s[4:5], exec
	s_and_b64 s[8:9], s[8:9], exec
	s_or_b64 s[4:5], s[4:5], s[8:9]
	s_or_b64 exec, exec, s[6:7]
	s_and_saveexec_b64 s[6:7], s[4:5]
	s_cbranch_execz .LBB1_30803
; %bb.54439:
	s_getpc_b64 s[14:15]
.Lpost_getpc12883:
	s_add_u32 s14, s14, (.LBB1_4263-.Lpost_getpc12883)&4294967295
	s_addc_u32 s15, s15, (.LBB1_4263-.Lpost_getpc12883)>>32
	s_setpc_b64 s[14:15]
.LBB1_30803:
	s_getpc_b64 s[14:15]
.Lpost_getpc1065:
	s_add_u32 s14, s14, (.LBB1_4264-.Lpost_getpc1065)&4294967295
	s_addc_u32 s15, s15, (.LBB1_4264-.Lpost_getpc1065)>>32
	s_setpc_b64 s[14:15]
.LBB1_18601:
	s_movk_i32 s4, 0x80
	v_cmp_eq_u16_sdwa s[12:13], v6, s4 src0_sel:BYTE_0 src1_sel:DWORD
	s_mov_b64 s[4:5], -1
                                        ; implicit-def: $sgpr10
	s_and_saveexec_b64 s[8:9], s[12:13]
; %bb.18602:
	s_mov_b32 s10, 0x7f800001
	s_xor_b64 s[4:5], exec, -1
; %bb.18603:
	s_or_b64 exec, exec, s[8:9]
	s_and_b64 s[4:5], s[4:5], exec
	s_or_saveexec_b64 s[6:7], s[6:7]
	v_mov_b32_e32 v2, s10
	s_xor_b64 exec, exec, s[6:7]
	s_cbranch_execnz .LBB1_18604
; %bb.54441:
	s_getpc_b64 s[14:15]
.Lpost_getpc12884:
	s_add_u32 s14, s14, (.LBB1_4266-.Lpost_getpc12884)&4294967295
	s_addc_u32 s15, s15, (.LBB1_4266-.Lpost_getpc12884)>>32
	s_setpc_b64 s[14:15]
.LBB1_18604:
	v_mov_b32_e32 v2, 0
	v_cmp_ne_u16_sdwa s[8:9], v6, v2 src0_sel:BYTE_0 src1_sel:DWORD
	s_andn2_b64 s[4:5], s[4:5], exec
	s_and_b64 s[8:9], s[8:9], exec
	s_or_b64 s[4:5], s[4:5], s[8:9]
	s_or_b64 exec, exec, s[6:7]
	s_and_saveexec_b64 s[6:7], s[4:5]
	s_cbranch_execz .LBB1_30805
; %bb.54443:
	s_getpc_b64 s[14:15]
.Lpost_getpc12885:
	s_add_u32 s14, s14, (.LBB1_4267-.Lpost_getpc12885)&4294967295
	s_addc_u32 s15, s15, (.LBB1_4267-.Lpost_getpc12885)>>32
	s_setpc_b64 s[14:15]
.LBB1_30805:
	s_getpc_b64 s[14:15]
.Lpost_getpc1066:
	s_add_u32 s14, s14, (.LBB1_4268-.Lpost_getpc1066)&4294967295
	s_addc_u32 s15, s15, (.LBB1_4268-.Lpost_getpc1066)>>32
	s_setpc_b64 s[14:15]
.LBB1_18605:
	s_movk_i32 s4, 0x80
	v_cmp_eq_u16_sdwa s[12:13], v6, s4 src0_sel:BYTE_0 src1_sel:DWORD
	s_mov_b64 s[4:5], -1
                                        ; implicit-def: $sgpr10
	s_and_saveexec_b64 s[8:9], s[12:13]
; %bb.18606:
	s_mov_b32 s10, 0x7f800001
	s_xor_b64 s[4:5], exec, -1
; %bb.18607:
	s_or_b64 exec, exec, s[8:9]
	s_and_b64 s[4:5], s[4:5], exec
	s_or_saveexec_b64 s[6:7], s[6:7]
	v_mov_b32_e32 v12, s10
	s_xor_b64 exec, exec, s[6:7]
	s_cbranch_execnz .LBB1_18608
; %bb.54445:
	s_getpc_b64 s[14:15]
.Lpost_getpc12886:
	s_add_u32 s14, s14, (.LBB1_4270-.Lpost_getpc12886)&4294967295
	s_addc_u32 s15, s15, (.LBB1_4270-.Lpost_getpc12886)>>32
	s_setpc_b64 s[14:15]
.LBB1_18608:
	v_mov_b32_e32 v12, 0
	v_cmp_ne_u16_sdwa s[8:9], v6, v12 src0_sel:BYTE_0 src1_sel:DWORD
	s_andn2_b64 s[4:5], s[4:5], exec
	s_and_b64 s[8:9], s[8:9], exec
	s_or_b64 s[4:5], s[4:5], s[8:9]
	s_or_b64 exec, exec, s[6:7]
	s_and_saveexec_b64 s[6:7], s[4:5]
	s_cbranch_execz .LBB1_30807
; %bb.54447:
	s_getpc_b64 s[14:15]
.Lpost_getpc12887:
	s_add_u32 s14, s14, (.LBB1_4271-.Lpost_getpc12887)&4294967295
	s_addc_u32 s15, s15, (.LBB1_4271-.Lpost_getpc12887)>>32
	s_setpc_b64 s[14:15]
.LBB1_30807:
	s_getpc_b64 s[14:15]
.Lpost_getpc1067:
	s_add_u32 s14, s14, (.LBB1_4272-.Lpost_getpc1067)&4294967295
	s_addc_u32 s15, s15, (.LBB1_4272-.Lpost_getpc1067)>>32
	s_setpc_b64 s[14:15]
.LBB1_18609:
	s_movk_i32 s4, 0x80
	v_cmp_eq_u16_e32 vcc, s4, v6
	s_mov_b64 s[4:5], -1
                                        ; implicit-def: $sgpr10
	s_and_saveexec_b64 s[8:9], vcc
; %bb.18610:
	s_mov_b32 s10, 0x7f800001
	s_xor_b64 s[4:5], exec, -1
; %bb.18611:
	s_or_b64 exec, exec, s[8:9]
	s_and_b64 s[4:5], s[4:5], exec
                                        ; implicit-def: $vgpr6
	s_or_saveexec_b64 s[6:7], s[6:7]
	v_mov_b32_e32 v2, s10
	s_xor_b64 exec, exec, s[6:7]
	s_cbranch_execnz .LBB1_18612
; %bb.54449:
	s_getpc_b64 s[14:15]
.Lpost_getpc12888:
	s_add_u32 s14, s14, (.LBB1_4274-.Lpost_getpc12888)&4294967295
	s_addc_u32 s15, s15, (.LBB1_4274-.Lpost_getpc12888)>>32
	s_setpc_b64 s[14:15]
.LBB1_18612:
	v_cmp_ne_u16_e32 vcc, 0, v6
	s_andn2_b64 s[4:5], s[4:5], exec
	s_and_b64 s[8:9], vcc, exec
	v_mov_b32_e32 v2, 0
	s_or_b64 s[4:5], s[4:5], s[8:9]
	s_or_b64 exec, exec, s[6:7]
	s_and_saveexec_b64 s[6:7], s[4:5]
	s_cbranch_execz .LBB1_30809
; %bb.54451:
	s_getpc_b64 s[14:15]
.Lpost_getpc12889:
	s_add_u32 s14, s14, (.LBB1_4275-.Lpost_getpc12889)&4294967295
	s_addc_u32 s15, s15, (.LBB1_4275-.Lpost_getpc12889)>>32
	s_setpc_b64 s[14:15]
.LBB1_30809:
	s_getpc_b64 s[14:15]
.Lpost_getpc1068:
	s_add_u32 s14, s14, (.LBB1_4276-.Lpost_getpc1068)&4294967295
	s_addc_u32 s15, s15, (.LBB1_4276-.Lpost_getpc1068)>>32
	s_setpc_b64 s[14:15]
.LBB1_18613:
	s_movk_i32 s4, 0x80
	v_cmp_eq_u16_e32 vcc, s4, v6
	s_mov_b64 s[4:5], -1
                                        ; implicit-def: $sgpr10
	s_and_saveexec_b64 s[8:9], vcc
; %bb.18614:
	s_mov_b32 s10, 0x7f800001
	s_xor_b64 s[4:5], exec, -1
; %bb.18615:
	s_or_b64 exec, exec, s[8:9]
	s_and_b64 s[4:5], s[4:5], exec
                                        ; implicit-def: $vgpr6
	s_or_saveexec_b64 s[6:7], s[6:7]
	v_mov_b32_e32 v12, s10
	s_xor_b64 exec, exec, s[6:7]
	s_cbranch_execnz .LBB1_18616
; %bb.54453:
	s_getpc_b64 s[14:15]
.Lpost_getpc12890:
	s_add_u32 s14, s14, (.LBB1_4278-.Lpost_getpc12890)&4294967295
	s_addc_u32 s15, s15, (.LBB1_4278-.Lpost_getpc12890)>>32
	s_setpc_b64 s[14:15]
.LBB1_18616:
	v_cmp_ne_u16_e32 vcc, 0, v6
	s_andn2_b64 s[4:5], s[4:5], exec
	s_and_b64 s[8:9], vcc, exec
	v_mov_b32_e32 v12, 0
	s_or_b64 s[4:5], s[4:5], s[8:9]
	s_or_b64 exec, exec, s[6:7]
	s_and_saveexec_b64 s[6:7], s[4:5]
	s_cbranch_execz .LBB1_30811
; %bb.54455:
	s_getpc_b64 s[14:15]
.Lpost_getpc12891:
	s_add_u32 s14, s14, (.LBB1_4279-.Lpost_getpc12891)&4294967295
	s_addc_u32 s15, s15, (.LBB1_4279-.Lpost_getpc12891)>>32
	s_setpc_b64 s[14:15]
.LBB1_30811:
	s_getpc_b64 s[14:15]
.Lpost_getpc1069:
	s_add_u32 s14, s14, (.LBB1_4280-.Lpost_getpc1069)&4294967295
	s_addc_u32 s15, s15, (.LBB1_4280-.Lpost_getpc1069)>>32
	s_setpc_b64 s[14:15]
.LBB1_18617:
	s_movk_i32 s4, 0x80
	v_cmp_eq_u16_sdwa s[12:13], v7, s4 src0_sel:BYTE_3 src1_sel:DWORD
	s_mov_b64 s[4:5], -1
                                        ; implicit-def: $sgpr10
	s_and_saveexec_b64 s[8:9], s[12:13]
; %bb.18618:
	s_mov_b32 s10, 0x7f800001
	s_xor_b64 s[4:5], exec, -1
; %bb.18619:
	s_or_b64 exec, exec, s[8:9]
	s_and_b64 s[4:5], s[4:5], exec
	s_or_saveexec_b64 s[6:7], s[6:7]
	v_mov_b32_e32 v2, s10
	s_xor_b64 exec, exec, s[6:7]
	s_cbranch_execnz .LBB1_18620
; %bb.54457:
	s_getpc_b64 s[14:15]
.Lpost_getpc12892:
	s_add_u32 s14, s14, (.LBB1_4282-.Lpost_getpc12892)&4294967295
	s_addc_u32 s15, s15, (.LBB1_4282-.Lpost_getpc12892)>>32
	s_setpc_b64 s[14:15]
.LBB1_18620:
	v_mov_b32_e32 v2, 0
	v_cmp_ne_u16_sdwa s[8:9], v7, v2 src0_sel:BYTE_3 src1_sel:DWORD
	s_andn2_b64 s[4:5], s[4:5], exec
	s_and_b64 s[8:9], s[8:9], exec
	s_or_b64 s[4:5], s[4:5], s[8:9]
	s_or_b64 exec, exec, s[6:7]
	s_and_saveexec_b64 s[6:7], s[4:5]
	s_cbranch_execz .LBB1_30813
; %bb.54459:
	s_getpc_b64 s[14:15]
.Lpost_getpc12893:
	s_add_u32 s14, s14, (.LBB1_4283-.Lpost_getpc12893)&4294967295
	s_addc_u32 s15, s15, (.LBB1_4283-.Lpost_getpc12893)>>32
	s_setpc_b64 s[14:15]
.LBB1_30813:
	s_getpc_b64 s[14:15]
.Lpost_getpc1070:
	s_add_u32 s14, s14, (.LBB1_4284-.Lpost_getpc1070)&4294967295
	s_addc_u32 s15, s15, (.LBB1_4284-.Lpost_getpc1070)>>32
	s_setpc_b64 s[14:15]
.LBB1_18621:
	s_movk_i32 s4, 0x80
	v_cmp_eq_u16_sdwa s[12:13], v3, s4 src0_sel:BYTE_3 src1_sel:DWORD
	s_mov_b64 s[4:5], -1
                                        ; implicit-def: $sgpr10
	s_and_saveexec_b64 s[8:9], s[12:13]
; %bb.18622:
	s_mov_b32 s10, 0x7f800001
	s_xor_b64 s[4:5], exec, -1
; %bb.18623:
	s_or_b64 exec, exec, s[8:9]
	s_and_b64 s[4:5], s[4:5], exec
	s_or_saveexec_b64 s[6:7], s[6:7]
	v_mov_b32_e32 v6, s10
	s_xor_b64 exec, exec, s[6:7]
	s_cbranch_execnz .LBB1_18624
; %bb.54461:
	s_getpc_b64 s[14:15]
.Lpost_getpc12894:
	s_add_u32 s14, s14, (.LBB1_4286-.Lpost_getpc12894)&4294967295
	s_addc_u32 s15, s15, (.LBB1_4286-.Lpost_getpc12894)>>32
	s_setpc_b64 s[14:15]
.LBB1_18624:
	v_mov_b32_e32 v6, 0
	v_cmp_ne_u16_sdwa s[8:9], v3, v6 src0_sel:BYTE_3 src1_sel:DWORD
	s_andn2_b64 s[4:5], s[4:5], exec
	s_and_b64 s[8:9], s[8:9], exec
	s_or_b64 s[4:5], s[4:5], s[8:9]
	s_or_b64 exec, exec, s[6:7]
	s_and_saveexec_b64 s[6:7], s[4:5]
	s_cbranch_execz .LBB1_30815
; %bb.54463:
	s_getpc_b64 s[14:15]
.Lpost_getpc12895:
	s_add_u32 s14, s14, (.LBB1_4287-.Lpost_getpc12895)&4294967295
	s_addc_u32 s15, s15, (.LBB1_4287-.Lpost_getpc12895)>>32
	s_setpc_b64 s[14:15]
.LBB1_30815:
	s_getpc_b64 s[14:15]
.Lpost_getpc1071:
	s_add_u32 s14, s14, (.LBB1_4288-.Lpost_getpc1071)&4294967295
	s_addc_u32 s15, s15, (.LBB1_4288-.Lpost_getpc1071)>>32
	s_setpc_b64 s[14:15]
.LBB1_18625:
	s_movk_i32 s4, 0x80
	v_cmp_eq_u16_sdwa s[12:13], v8, s4 src0_sel:BYTE_0 src1_sel:DWORD
	s_mov_b64 s[4:5], -1
                                        ; implicit-def: $sgpr10
	s_and_saveexec_b64 s[8:9], s[12:13]
; %bb.18626:
	s_mov_b32 s10, 0x7f800001
	s_xor_b64 s[4:5], exec, -1
; %bb.18627:
	s_or_b64 exec, exec, s[8:9]
	s_and_b64 s[4:5], s[4:5], exec
	s_or_saveexec_b64 s[6:7], s[6:7]
	v_mov_b32_e32 v2, s10
	s_xor_b64 exec, exec, s[6:7]
	s_cbranch_execnz .LBB1_18628
; %bb.54465:
	s_getpc_b64 s[14:15]
.Lpost_getpc12896:
	s_add_u32 s14, s14, (.LBB1_4290-.Lpost_getpc12896)&4294967295
	s_addc_u32 s15, s15, (.LBB1_4290-.Lpost_getpc12896)>>32
	s_setpc_b64 s[14:15]
.LBB1_18628:
	v_mov_b32_e32 v2, 0
	v_cmp_ne_u16_sdwa s[8:9], v8, v2 src0_sel:BYTE_0 src1_sel:DWORD
	s_andn2_b64 s[4:5], s[4:5], exec
	s_and_b64 s[8:9], s[8:9], exec
	s_or_b64 s[4:5], s[4:5], s[8:9]
	s_or_b64 exec, exec, s[6:7]
	s_and_saveexec_b64 s[6:7], s[4:5]
	s_cbranch_execz .LBB1_30817
; %bb.54467:
	s_getpc_b64 s[14:15]
.Lpost_getpc12897:
	s_add_u32 s14, s14, (.LBB1_4291-.Lpost_getpc12897)&4294967295
	s_addc_u32 s15, s15, (.LBB1_4291-.Lpost_getpc12897)>>32
	s_setpc_b64 s[14:15]
.LBB1_30817:
	s_getpc_b64 s[14:15]
.Lpost_getpc1072:
	s_add_u32 s14, s14, (.LBB1_4292-.Lpost_getpc1072)&4294967295
	s_addc_u32 s15, s15, (.LBB1_4292-.Lpost_getpc1072)>>32
	s_setpc_b64 s[14:15]
.LBB1_18629:
	s_movk_i32 s4, 0x80
	v_cmp_eq_u16_sdwa s[12:13], v4, s4 src0_sel:BYTE_0 src1_sel:DWORD
	s_mov_b64 s[4:5], -1
                                        ; implicit-def: $sgpr10
	s_and_saveexec_b64 s[8:9], s[12:13]
; %bb.18630:
	s_mov_b32 s10, 0x7f800001
	s_xor_b64 s[4:5], exec, -1
; %bb.18631:
	s_or_b64 exec, exec, s[8:9]
	s_and_b64 s[4:5], s[4:5], exec
	s_or_saveexec_b64 s[6:7], s[6:7]
	v_mov_b32_e32 v3, s10
	s_xor_b64 exec, exec, s[6:7]
	s_cbranch_execnz .LBB1_18632
; %bb.54469:
	s_getpc_b64 s[14:15]
.Lpost_getpc12898:
	s_add_u32 s14, s14, (.LBB1_4294-.Lpost_getpc12898)&4294967295
	s_addc_u32 s15, s15, (.LBB1_4294-.Lpost_getpc12898)>>32
	s_setpc_b64 s[14:15]
.LBB1_18632:
	v_mov_b32_e32 v3, 0
	v_cmp_ne_u16_sdwa s[8:9], v4, v3 src0_sel:BYTE_0 src1_sel:DWORD
	s_andn2_b64 s[4:5], s[4:5], exec
	s_and_b64 s[8:9], s[8:9], exec
	s_or_b64 s[4:5], s[4:5], s[8:9]
	s_or_b64 exec, exec, s[6:7]
	s_and_saveexec_b64 s[6:7], s[4:5]
	s_cbranch_execz .LBB1_30819
; %bb.54471:
	s_getpc_b64 s[14:15]
.Lpost_getpc12899:
	s_add_u32 s14, s14, (.LBB1_4295-.Lpost_getpc12899)&4294967295
	s_addc_u32 s15, s15, (.LBB1_4295-.Lpost_getpc12899)>>32
	s_setpc_b64 s[14:15]
.LBB1_30819:
	s_getpc_b64 s[14:15]
.Lpost_getpc1073:
	s_add_u32 s14, s14, (.LBB1_4296-.Lpost_getpc1073)&4294967295
	s_addc_u32 s15, s15, (.LBB1_4296-.Lpost_getpc1073)>>32
	s_setpc_b64 s[14:15]
.LBB1_18633:
	s_movk_i32 s4, 0x80
	v_cmp_eq_u16_sdwa s[12:13], v3, s4 src0_sel:BYTE_0 src1_sel:DWORD
	s_mov_b64 s[4:5], -1
                                        ; implicit-def: $sgpr10
	s_and_saveexec_b64 s[8:9], s[12:13]
; %bb.18634:
	s_mov_b32 s10, 0x7f800001
	s_xor_b64 s[4:5], exec, -1
; %bb.18635:
	s_or_b64 exec, exec, s[8:9]
	s_and_b64 s[4:5], s[4:5], exec
	s_or_saveexec_b64 s[6:7], s[6:7]
	v_mov_b32_e32 v2, s10
	s_xor_b64 exec, exec, s[6:7]
	s_cbranch_execnz .LBB1_18636
; %bb.54473:
	s_getpc_b64 s[14:15]
.Lpost_getpc12900:
	s_add_u32 s14, s14, (.LBB1_4298-.Lpost_getpc12900)&4294967295
	s_addc_u32 s15, s15, (.LBB1_4298-.Lpost_getpc12900)>>32
	s_setpc_b64 s[14:15]
.LBB1_18636:
	v_mov_b32_e32 v2, 0
	v_cmp_ne_u16_sdwa s[8:9], v3, v2 src0_sel:BYTE_0 src1_sel:DWORD
	s_andn2_b64 s[4:5], s[4:5], exec
	s_and_b64 s[8:9], s[8:9], exec
	s_or_b64 s[4:5], s[4:5], s[8:9]
	s_or_b64 exec, exec, s[6:7]
	s_and_saveexec_b64 s[6:7], s[4:5]
	s_cbranch_execz .LBB1_30821
; %bb.54475:
	s_getpc_b64 s[14:15]
.Lpost_getpc12901:
	s_add_u32 s14, s14, (.LBB1_4299-.Lpost_getpc12901)&4294967295
	s_addc_u32 s15, s15, (.LBB1_4299-.Lpost_getpc12901)>>32
	s_setpc_b64 s[14:15]
.LBB1_30821:
	s_getpc_b64 s[14:15]
.Lpost_getpc1074:
	s_add_u32 s14, s14, (.LBB1_4300-.Lpost_getpc1074)&4294967295
	s_addc_u32 s15, s15, (.LBB1_4300-.Lpost_getpc1074)>>32
	s_setpc_b64 s[14:15]
.LBB1_18637:
	s_movk_i32 s4, 0x80
	v_cmp_eq_u16_sdwa s[12:13], v3, s4 src0_sel:BYTE_0 src1_sel:DWORD
	s_mov_b64 s[4:5], -1
                                        ; implicit-def: $sgpr10
	s_and_saveexec_b64 s[8:9], s[12:13]
; %bb.18638:
	s_mov_b32 s10, 0x7f800001
	s_xor_b64 s[4:5], exec, -1
; %bb.18639:
	s_or_b64 exec, exec, s[8:9]
	s_and_b64 s[4:5], s[4:5], exec
	s_or_saveexec_b64 s[6:7], s[6:7]
	v_mov_b32_e32 v6, s10
	s_xor_b64 exec, exec, s[6:7]
	s_cbranch_execnz .LBB1_18640
; %bb.54477:
	s_getpc_b64 s[14:15]
.Lpost_getpc12902:
	s_add_u32 s14, s14, (.LBB1_4302-.Lpost_getpc12902)&4294967295
	s_addc_u32 s15, s15, (.LBB1_4302-.Lpost_getpc12902)>>32
	s_setpc_b64 s[14:15]
.LBB1_18640:
	v_mov_b32_e32 v6, 0
	v_cmp_ne_u16_sdwa s[8:9], v3, v6 src0_sel:BYTE_0 src1_sel:DWORD
	s_andn2_b64 s[4:5], s[4:5], exec
	s_and_b64 s[8:9], s[8:9], exec
	s_or_b64 s[4:5], s[4:5], s[8:9]
	s_or_b64 exec, exec, s[6:7]
	s_and_saveexec_b64 s[6:7], s[4:5]
	s_cbranch_execz .LBB1_30823
; %bb.54479:
	s_getpc_b64 s[14:15]
.Lpost_getpc12903:
	s_add_u32 s14, s14, (.LBB1_4303-.Lpost_getpc12903)&4294967295
	s_addc_u32 s15, s15, (.LBB1_4303-.Lpost_getpc12903)>>32
	s_setpc_b64 s[14:15]
.LBB1_30823:
	s_getpc_b64 s[14:15]
.Lpost_getpc1075:
	s_add_u32 s14, s14, (.LBB1_4304-.Lpost_getpc1075)&4294967295
	s_addc_u32 s15, s15, (.LBB1_4304-.Lpost_getpc1075)>>32
	s_setpc_b64 s[14:15]
.LBB1_18641:
	s_movk_i32 s4, 0x80
	v_cmp_eq_u16_e32 vcc, s4, v3
	s_mov_b64 s[4:5], -1
                                        ; implicit-def: $sgpr10
	s_and_saveexec_b64 s[8:9], vcc
; %bb.18642:
	s_mov_b32 s10, 0x7f800001
	s_xor_b64 s[4:5], exec, -1
; %bb.18643:
	s_or_b64 exec, exec, s[8:9]
	s_and_b64 s[4:5], s[4:5], exec
                                        ; implicit-def: $vgpr3
	s_or_saveexec_b64 s[6:7], s[6:7]
	v_mov_b32_e32 v2, s10
	s_xor_b64 exec, exec, s[6:7]
	s_cbranch_execnz .LBB1_18644
; %bb.54481:
	s_getpc_b64 s[14:15]
.Lpost_getpc12904:
	s_add_u32 s14, s14, (.LBB1_4306-.Lpost_getpc12904)&4294967295
	s_addc_u32 s15, s15, (.LBB1_4306-.Lpost_getpc12904)>>32
	s_setpc_b64 s[14:15]
.LBB1_18644:
	v_cmp_ne_u16_e32 vcc, 0, v3
	s_andn2_b64 s[4:5], s[4:5], exec
	s_and_b64 s[8:9], vcc, exec
	v_mov_b32_e32 v2, 0
	s_or_b64 s[4:5], s[4:5], s[8:9]
	s_or_b64 exec, exec, s[6:7]
	s_and_saveexec_b64 s[6:7], s[4:5]
	s_cbranch_execz .LBB1_30825
; %bb.54483:
	s_getpc_b64 s[14:15]
.Lpost_getpc12905:
	s_add_u32 s14, s14, (.LBB1_4307-.Lpost_getpc12905)&4294967295
	s_addc_u32 s15, s15, (.LBB1_4307-.Lpost_getpc12905)>>32
	s_setpc_b64 s[14:15]
.LBB1_30825:
	s_getpc_b64 s[14:15]
.Lpost_getpc1076:
	s_add_u32 s14, s14, (.LBB1_4308-.Lpost_getpc1076)&4294967295
	s_addc_u32 s15, s15, (.LBB1_4308-.Lpost_getpc1076)>>32
	s_setpc_b64 s[14:15]
.LBB1_18645:
	s_movk_i32 s4, 0x80
	v_cmp_eq_u16_e32 vcc, s4, v3
	s_mov_b64 s[4:5], -1
                                        ; implicit-def: $sgpr10
	s_and_saveexec_b64 s[8:9], vcc
; %bb.18646:
	s_mov_b32 s10, 0x7f800001
	s_xor_b64 s[4:5], exec, -1
; %bb.18647:
	s_or_b64 exec, exec, s[8:9]
	s_and_b64 s[4:5], s[4:5], exec
                                        ; implicit-def: $vgpr3
	s_or_saveexec_b64 s[6:7], s[6:7]
	v_mov_b32_e32 v6, s10
	s_xor_b64 exec, exec, s[6:7]
	s_cbranch_execnz .LBB1_18648
; %bb.54485:
	s_getpc_b64 s[14:15]
.Lpost_getpc12906:
	s_add_u32 s14, s14, (.LBB1_4310-.Lpost_getpc12906)&4294967295
	s_addc_u32 s15, s15, (.LBB1_4310-.Lpost_getpc12906)>>32
	s_setpc_b64 s[14:15]
.LBB1_18648:
	v_cmp_ne_u16_e32 vcc, 0, v3
	s_andn2_b64 s[4:5], s[4:5], exec
	s_and_b64 s[8:9], vcc, exec
	v_mov_b32_e32 v6, 0
	s_or_b64 s[4:5], s[4:5], s[8:9]
	s_or_b64 exec, exec, s[6:7]
	s_and_saveexec_b64 s[6:7], s[4:5]
	s_cbranch_execz .LBB1_30827
; %bb.54487:
	s_getpc_b64 s[14:15]
.Lpost_getpc12907:
	s_add_u32 s14, s14, (.LBB1_4311-.Lpost_getpc12907)&4294967295
	s_addc_u32 s15, s15, (.LBB1_4311-.Lpost_getpc12907)>>32
	s_setpc_b64 s[14:15]
.LBB1_30827:
	s_getpc_b64 s[14:15]
.Lpost_getpc1077:
	s_add_u32 s14, s14, (.LBB1_4312-.Lpost_getpc1077)&4294967295
	s_addc_u32 s15, s15, (.LBB1_4312-.Lpost_getpc1077)>>32
	s_setpc_b64 s[14:15]
.LBB1_18649:
	s_movk_i32 s4, 0x80
	v_cmp_eq_u16_sdwa s[12:13], v8, s4 src0_sel:BYTE_3 src1_sel:DWORD
	s_mov_b64 s[4:5], -1
                                        ; implicit-def: $sgpr10
	s_and_saveexec_b64 s[8:9], s[12:13]
; %bb.18650:
	s_mov_b32 s10, 0x7f800001
	s_xor_b64 s[4:5], exec, -1
; %bb.18651:
	s_or_b64 exec, exec, s[8:9]
	s_and_b64 s[4:5], s[4:5], exec
	s_or_saveexec_b64 s[6:7], s[6:7]
	v_mov_b32_e32 v2, s10
	s_xor_b64 exec, exec, s[6:7]
	s_cbranch_execnz .LBB1_18652
; %bb.54489:
	s_getpc_b64 s[14:15]
.Lpost_getpc12908:
	s_add_u32 s14, s14, (.LBB1_4314-.Lpost_getpc12908)&4294967295
	s_addc_u32 s15, s15, (.LBB1_4314-.Lpost_getpc12908)>>32
	s_setpc_b64 s[14:15]
.LBB1_18652:
	v_mov_b32_e32 v2, 0
	v_cmp_ne_u16_sdwa s[8:9], v8, v2 src0_sel:BYTE_3 src1_sel:DWORD
	s_andn2_b64 s[4:5], s[4:5], exec
	s_and_b64 s[8:9], s[8:9], exec
	s_or_b64 s[4:5], s[4:5], s[8:9]
	s_or_b64 exec, exec, s[6:7]
	s_and_saveexec_b64 s[6:7], s[4:5]
	s_cbranch_execz .LBB1_30829
; %bb.54491:
	s_getpc_b64 s[14:15]
.Lpost_getpc12909:
	s_add_u32 s14, s14, (.LBB1_4315-.Lpost_getpc12909)&4294967295
	s_addc_u32 s15, s15, (.LBB1_4315-.Lpost_getpc12909)>>32
	s_setpc_b64 s[14:15]
.LBB1_30829:
	s_getpc_b64 s[14:15]
.Lpost_getpc1078:
	s_add_u32 s14, s14, (.LBB1_4316-.Lpost_getpc1078)&4294967295
	s_addc_u32 s15, s15, (.LBB1_4316-.Lpost_getpc1078)>>32
	s_setpc_b64 s[14:15]
.LBB1_18653:
	s_movk_i32 s4, 0x80
	v_cmp_eq_u16_sdwa s[12:13], v4, s4 src0_sel:BYTE_3 src1_sel:DWORD
	s_mov_b64 s[4:5], -1
                                        ; implicit-def: $sgpr10
	s_and_saveexec_b64 s[8:9], s[12:13]
; %bb.18654:
	s_mov_b32 s10, 0x7f800001
	s_xor_b64 s[4:5], exec, -1
; %bb.18655:
	s_or_b64 exec, exec, s[8:9]
	s_and_b64 s[4:5], s[4:5], exec
	s_or_saveexec_b64 s[6:7], s[6:7]
	v_mov_b32_e32 v3, s10
	s_xor_b64 exec, exec, s[6:7]
	s_cbranch_execnz .LBB1_18656
; %bb.54493:
	s_getpc_b64 s[14:15]
.Lpost_getpc12910:
	s_add_u32 s14, s14, (.LBB1_4318-.Lpost_getpc12910)&4294967295
	s_addc_u32 s15, s15, (.LBB1_4318-.Lpost_getpc12910)>>32
	s_setpc_b64 s[14:15]
.LBB1_18656:
	v_mov_b32_e32 v3, 0
	v_cmp_ne_u16_sdwa s[8:9], v4, v3 src0_sel:BYTE_3 src1_sel:DWORD
	s_andn2_b64 s[4:5], s[4:5], exec
	s_and_b64 s[8:9], s[8:9], exec
	s_or_b64 s[4:5], s[4:5], s[8:9]
	s_or_b64 exec, exec, s[6:7]
	s_and_saveexec_b64 s[6:7], s[4:5]
	s_cbranch_execz .LBB1_30831
; %bb.54495:
	s_getpc_b64 s[14:15]
.Lpost_getpc12911:
	s_add_u32 s14, s14, (.LBB1_4319-.Lpost_getpc12911)&4294967295
	s_addc_u32 s15, s15, (.LBB1_4319-.Lpost_getpc12911)>>32
	s_setpc_b64 s[14:15]
.LBB1_30831:
	s_getpc_b64 s[14:15]
.Lpost_getpc1079:
	s_add_u32 s14, s14, (.LBB1_4320-.Lpost_getpc1079)&4294967295
	s_addc_u32 s15, s15, (.LBB1_4320-.Lpost_getpc1079)>>32
	s_setpc_b64 s[14:15]
.LBB1_18657:
	s_movk_i32 s4, 0x80
	v_cmp_eq_u16_sdwa s[12:13], v9, s4 src0_sel:BYTE_0 src1_sel:DWORD
	s_mov_b64 s[4:5], -1
                                        ; implicit-def: $sgpr10
	s_and_saveexec_b64 s[8:9], s[12:13]
; %bb.18658:
	s_mov_b32 s10, 0x7f800001
	s_xor_b64 s[4:5], exec, -1
; %bb.18659:
	s_or_b64 exec, exec, s[8:9]
	s_and_b64 s[4:5], s[4:5], exec
	s_or_saveexec_b64 s[6:7], s[6:7]
	v_mov_b32_e32 v2, s10
	s_xor_b64 exec, exec, s[6:7]
	s_cbranch_execnz .LBB1_18660
; %bb.54497:
	s_getpc_b64 s[14:15]
.Lpost_getpc12912:
	s_add_u32 s14, s14, (.LBB1_4322-.Lpost_getpc12912)&4294967295
	s_addc_u32 s15, s15, (.LBB1_4322-.Lpost_getpc12912)>>32
	s_setpc_b64 s[14:15]
.LBB1_18660:
	v_mov_b32_e32 v2, 0
	v_cmp_ne_u16_sdwa s[8:9], v9, v2 src0_sel:BYTE_0 src1_sel:DWORD
	s_andn2_b64 s[4:5], s[4:5], exec
	s_and_b64 s[8:9], s[8:9], exec
	s_or_b64 s[4:5], s[4:5], s[8:9]
	s_or_b64 exec, exec, s[6:7]
	s_and_saveexec_b64 s[6:7], s[4:5]
	s_cbranch_execz .LBB1_30833
; %bb.54499:
	s_getpc_b64 s[14:15]
.Lpost_getpc12913:
	s_add_u32 s14, s14, (.LBB1_4323-.Lpost_getpc12913)&4294967295
	s_addc_u32 s15, s15, (.LBB1_4323-.Lpost_getpc12913)>>32
	s_setpc_b64 s[14:15]
.LBB1_30833:
	s_getpc_b64 s[14:15]
.Lpost_getpc1080:
	s_add_u32 s14, s14, (.LBB1_4324-.Lpost_getpc1080)&4294967295
	s_addc_u32 s15, s15, (.LBB1_4324-.Lpost_getpc1080)>>32
	s_setpc_b64 s[14:15]
.LBB1_18661:
	s_movk_i32 s4, 0x80
	v_cmp_eq_u16_sdwa s[12:13], v5, s4 src0_sel:BYTE_0 src1_sel:DWORD
	s_mov_b64 s[4:5], -1
                                        ; implicit-def: $sgpr10
	s_and_saveexec_b64 s[8:9], s[12:13]
; %bb.18662:
	s_mov_b32 s10, 0x7f800001
	s_xor_b64 s[4:5], exec, -1
; %bb.18663:
	s_or_b64 exec, exec, s[8:9]
	s_and_b64 s[4:5], s[4:5], exec
	s_or_saveexec_b64 s[6:7], s[6:7]
	v_mov_b32_e32 v3, s10
	s_xor_b64 exec, exec, s[6:7]
	s_cbranch_execnz .LBB1_18664
; %bb.54501:
	s_getpc_b64 s[14:15]
.Lpost_getpc12914:
	s_add_u32 s14, s14, (.LBB1_4326-.Lpost_getpc12914)&4294967295
	s_addc_u32 s15, s15, (.LBB1_4326-.Lpost_getpc12914)>>32
	s_setpc_b64 s[14:15]
.LBB1_18664:
	v_mov_b32_e32 v3, 0
	v_cmp_ne_u16_sdwa s[8:9], v5, v3 src0_sel:BYTE_0 src1_sel:DWORD
	s_andn2_b64 s[4:5], s[4:5], exec
	s_and_b64 s[8:9], s[8:9], exec
	s_or_b64 s[4:5], s[4:5], s[8:9]
	s_or_b64 exec, exec, s[6:7]
	s_and_saveexec_b64 s[6:7], s[4:5]
	s_cbranch_execz .LBB1_30835
; %bb.54503:
	s_getpc_b64 s[14:15]
.Lpost_getpc12915:
	s_add_u32 s14, s14, (.LBB1_4327-.Lpost_getpc12915)&4294967295
	s_addc_u32 s15, s15, (.LBB1_4327-.Lpost_getpc12915)>>32
	s_setpc_b64 s[14:15]
.LBB1_30835:
	s_getpc_b64 s[14:15]
.Lpost_getpc1081:
	s_add_u32 s14, s14, (.LBB1_4328-.Lpost_getpc1081)&4294967295
	s_addc_u32 s15, s15, (.LBB1_4328-.Lpost_getpc1081)>>32
	s_setpc_b64 s[14:15]
.LBB1_18665:
	s_movk_i32 s4, 0x80
	v_cmp_eq_u16_sdwa s[12:13], v3, s4 src0_sel:BYTE_0 src1_sel:DWORD
	s_mov_b64 s[4:5], -1
                                        ; implicit-def: $sgpr10
	s_and_saveexec_b64 s[8:9], s[12:13]
; %bb.18666:
	s_mov_b32 s10, 0x7f800001
	s_xor_b64 s[4:5], exec, -1
; %bb.18667:
	s_or_b64 exec, exec, s[8:9]
	s_and_b64 s[4:5], s[4:5], exec
	s_or_saveexec_b64 s[6:7], s[6:7]
	v_mov_b32_e32 v2, s10
	s_xor_b64 exec, exec, s[6:7]
	s_cbranch_execnz .LBB1_18668
; %bb.54505:
	s_getpc_b64 s[14:15]
.Lpost_getpc12916:
	s_add_u32 s14, s14, (.LBB1_4330-.Lpost_getpc12916)&4294967295
	s_addc_u32 s15, s15, (.LBB1_4330-.Lpost_getpc12916)>>32
	s_setpc_b64 s[14:15]
.LBB1_18668:
	v_mov_b32_e32 v2, 0
	v_cmp_ne_u16_sdwa s[8:9], v3, v2 src0_sel:BYTE_0 src1_sel:DWORD
	s_andn2_b64 s[4:5], s[4:5], exec
	s_and_b64 s[8:9], s[8:9], exec
	s_or_b64 s[4:5], s[4:5], s[8:9]
	s_or_b64 exec, exec, s[6:7]
	s_and_saveexec_b64 s[6:7], s[4:5]
	s_cbranch_execz .LBB1_30837
; %bb.54507:
	s_getpc_b64 s[14:15]
.Lpost_getpc12917:
	s_add_u32 s14, s14, (.LBB1_4331-.Lpost_getpc12917)&4294967295
	s_addc_u32 s15, s15, (.LBB1_4331-.Lpost_getpc12917)>>32
	s_setpc_b64 s[14:15]
.LBB1_30837:
	s_getpc_b64 s[14:15]
.Lpost_getpc1082:
	s_add_u32 s14, s14, (.LBB1_4332-.Lpost_getpc1082)&4294967295
	s_addc_u32 s15, s15, (.LBB1_4332-.Lpost_getpc1082)>>32
	s_setpc_b64 s[14:15]
.LBB1_18669:
	s_movk_i32 s4, 0x80
	v_cmp_eq_u16_sdwa s[12:13], v3, s4 src0_sel:BYTE_0 src1_sel:DWORD
	s_mov_b64 s[4:5], -1
                                        ; implicit-def: $sgpr10
	s_and_saveexec_b64 s[8:9], s[12:13]
; %bb.18670:
	s_mov_b32 s10, 0x7f800001
	s_xor_b64 s[4:5], exec, -1
; %bb.18671:
	s_or_b64 exec, exec, s[8:9]
	s_and_b64 s[4:5], s[4:5], exec
	s_or_saveexec_b64 s[6:7], s[6:7]
	v_mov_b32_e32 v4, s10
	s_xor_b64 exec, exec, s[6:7]
	s_cbranch_execnz .LBB1_18672
; %bb.54509:
	s_getpc_b64 s[14:15]
.Lpost_getpc12918:
	s_add_u32 s14, s14, (.LBB1_4334-.Lpost_getpc12918)&4294967295
	s_addc_u32 s15, s15, (.LBB1_4334-.Lpost_getpc12918)>>32
	s_setpc_b64 s[14:15]
.LBB1_18672:
	v_mov_b32_e32 v4, 0
	v_cmp_ne_u16_sdwa s[8:9], v3, v4 src0_sel:BYTE_0 src1_sel:DWORD
	s_andn2_b64 s[4:5], s[4:5], exec
	s_and_b64 s[8:9], s[8:9], exec
	s_or_b64 s[4:5], s[4:5], s[8:9]
	s_or_b64 exec, exec, s[6:7]
	s_and_saveexec_b64 s[6:7], s[4:5]
	s_cbranch_execz .LBB1_30839
; %bb.54511:
	s_getpc_b64 s[14:15]
.Lpost_getpc12919:
	s_add_u32 s14, s14, (.LBB1_4335-.Lpost_getpc12919)&4294967295
	s_addc_u32 s15, s15, (.LBB1_4335-.Lpost_getpc12919)>>32
	s_setpc_b64 s[14:15]
.LBB1_30839:
	s_getpc_b64 s[14:15]
.Lpost_getpc1083:
	s_add_u32 s14, s14, (.LBB1_4336-.Lpost_getpc1083)&4294967295
	s_addc_u32 s15, s15, (.LBB1_4336-.Lpost_getpc1083)>>32
	s_setpc_b64 s[14:15]
.LBB1_18673:
	s_movk_i32 s4, 0x80
	v_cmp_eq_u16_e32 vcc, s4, v3
	s_mov_b64 s[4:5], -1
                                        ; implicit-def: $sgpr10
	s_and_saveexec_b64 s[8:9], vcc
; %bb.18674:
	s_mov_b32 s10, 0x7f800001
	s_xor_b64 s[4:5], exec, -1
; %bb.18675:
	s_or_b64 exec, exec, s[8:9]
	s_and_b64 s[4:5], s[4:5], exec
                                        ; implicit-def: $vgpr3
	s_or_saveexec_b64 s[6:7], s[6:7]
	v_mov_b32_e32 v2, s10
	s_xor_b64 exec, exec, s[6:7]
	s_cbranch_execnz .LBB1_18676
; %bb.54513:
	s_getpc_b64 s[14:15]
.Lpost_getpc12920:
	s_add_u32 s14, s14, (.LBB1_4338-.Lpost_getpc12920)&4294967295
	s_addc_u32 s15, s15, (.LBB1_4338-.Lpost_getpc12920)>>32
	s_setpc_b64 s[14:15]
.LBB1_18676:
	v_cmp_ne_u16_e32 vcc, 0, v3
	s_andn2_b64 s[4:5], s[4:5], exec
	s_and_b64 s[8:9], vcc, exec
	v_mov_b32_e32 v2, 0
	s_or_b64 s[4:5], s[4:5], s[8:9]
	s_or_b64 exec, exec, s[6:7]
	s_and_saveexec_b64 s[6:7], s[4:5]
	s_cbranch_execz .LBB1_30841
; %bb.54515:
	s_getpc_b64 s[14:15]
.Lpost_getpc12921:
	s_add_u32 s14, s14, (.LBB1_4339-.Lpost_getpc12921)&4294967295
	s_addc_u32 s15, s15, (.LBB1_4339-.Lpost_getpc12921)>>32
	s_setpc_b64 s[14:15]
.LBB1_30841:
	s_getpc_b64 s[14:15]
.Lpost_getpc1084:
	s_add_u32 s14, s14, (.LBB1_4340-.Lpost_getpc1084)&4294967295
	s_addc_u32 s15, s15, (.LBB1_4340-.Lpost_getpc1084)>>32
	s_setpc_b64 s[14:15]
.LBB1_18677:
	s_movk_i32 s4, 0x80
	v_cmp_eq_u16_e32 vcc, s4, v3
	s_mov_b64 s[4:5], -1
                                        ; implicit-def: $sgpr10
	s_and_saveexec_b64 s[8:9], vcc
; %bb.18678:
	s_mov_b32 s10, 0x7f800001
	s_xor_b64 s[4:5], exec, -1
; %bb.18679:
	s_or_b64 exec, exec, s[8:9]
	s_and_b64 s[4:5], s[4:5], exec
                                        ; implicit-def: $vgpr3
	s_or_saveexec_b64 s[6:7], s[6:7]
	v_mov_b32_e32 v4, s10
	s_xor_b64 exec, exec, s[6:7]
	s_cbranch_execnz .LBB1_18680
; %bb.54517:
	s_getpc_b64 s[14:15]
.Lpost_getpc12922:
	s_add_u32 s14, s14, (.LBB1_4342-.Lpost_getpc12922)&4294967295
	s_addc_u32 s15, s15, (.LBB1_4342-.Lpost_getpc12922)>>32
	s_setpc_b64 s[14:15]
.LBB1_18680:
	v_cmp_ne_u16_e32 vcc, 0, v3
	s_andn2_b64 s[4:5], s[4:5], exec
	s_and_b64 s[8:9], vcc, exec
	v_mov_b32_e32 v4, 0
	s_or_b64 s[4:5], s[4:5], s[8:9]
	s_or_b64 exec, exec, s[6:7]
	s_and_saveexec_b64 s[6:7], s[4:5]
	s_cbranch_execz .LBB1_30843
; %bb.54519:
	s_getpc_b64 s[14:15]
.Lpost_getpc12923:
	s_add_u32 s14, s14, (.LBB1_4343-.Lpost_getpc12923)&4294967295
	s_addc_u32 s15, s15, (.LBB1_4343-.Lpost_getpc12923)>>32
	s_setpc_b64 s[14:15]
.LBB1_30843:
	s_getpc_b64 s[14:15]
.Lpost_getpc1085:
	s_add_u32 s14, s14, (.LBB1_4344-.Lpost_getpc1085)&4294967295
	s_addc_u32 s15, s15, (.LBB1_4344-.Lpost_getpc1085)>>32
	s_setpc_b64 s[14:15]
.LBB1_18681:
	s_movk_i32 s4, 0x80
	v_cmp_eq_u16_sdwa s[12:13], v9, s4 src0_sel:BYTE_3 src1_sel:DWORD
	s_mov_b64 s[4:5], -1
                                        ; implicit-def: $sgpr10
	s_and_saveexec_b64 s[8:9], s[12:13]
; %bb.18682:
	s_mov_b32 s10, 0x7f800001
	s_xor_b64 s[4:5], exec, -1
; %bb.18683:
	s_or_b64 exec, exec, s[8:9]
	s_and_b64 s[4:5], s[4:5], exec
	s_or_saveexec_b64 s[6:7], s[6:7]
	v_mov_b32_e32 v2, s10
	s_xor_b64 exec, exec, s[6:7]
	s_cbranch_execnz .LBB1_18684
; %bb.54521:
	s_getpc_b64 s[14:15]
.Lpost_getpc12924:
	s_add_u32 s14, s14, (.LBB1_4346-.Lpost_getpc12924)&4294967295
	s_addc_u32 s15, s15, (.LBB1_4346-.Lpost_getpc12924)>>32
	s_setpc_b64 s[14:15]
.LBB1_18684:
	v_mov_b32_e32 v2, 0
	v_cmp_ne_u16_sdwa s[8:9], v9, v2 src0_sel:BYTE_3 src1_sel:DWORD
	s_andn2_b64 s[4:5], s[4:5], exec
	s_and_b64 s[8:9], s[8:9], exec
	s_or_b64 s[4:5], s[4:5], s[8:9]
	s_or_b64 exec, exec, s[6:7]
	s_and_saveexec_b64 s[6:7], s[4:5]
	s_cbranch_execz .LBB1_30845
; %bb.54523:
	s_getpc_b64 s[14:15]
.Lpost_getpc12925:
	s_add_u32 s14, s14, (.LBB1_4347-.Lpost_getpc12925)&4294967295
	s_addc_u32 s15, s15, (.LBB1_4347-.Lpost_getpc12925)>>32
	s_setpc_b64 s[14:15]
.LBB1_30845:
	s_getpc_b64 s[14:15]
.Lpost_getpc1086:
	s_add_u32 s14, s14, (.LBB1_4348-.Lpost_getpc1086)&4294967295
	s_addc_u32 s15, s15, (.LBB1_4348-.Lpost_getpc1086)>>32
	s_setpc_b64 s[14:15]
.LBB1_18685:
	s_movk_i32 s4, 0x80
	v_cmp_eq_u16_sdwa s[12:13], v5, s4 src0_sel:BYTE_3 src1_sel:DWORD
	s_mov_b64 s[4:5], -1
                                        ; implicit-def: $sgpr10
	s_and_saveexec_b64 s[8:9], s[12:13]
; %bb.18686:
	s_mov_b32 s10, 0x7f800001
	s_xor_b64 s[4:5], exec, -1
; %bb.18687:
	s_or_b64 exec, exec, s[8:9]
	s_and_b64 s[4:5], s[4:5], exec
	s_or_saveexec_b64 s[6:7], s[6:7]
	v_mov_b32_e32 v3, s10
	s_xor_b64 exec, exec, s[6:7]
	s_cbranch_execnz .LBB1_18688
; %bb.54525:
	s_getpc_b64 s[14:15]
.Lpost_getpc12926:
	s_add_u32 s14, s14, (.LBB1_4350-.Lpost_getpc12926)&4294967295
	s_addc_u32 s15, s15, (.LBB1_4350-.Lpost_getpc12926)>>32
	s_setpc_b64 s[14:15]
.LBB1_18688:
	v_mov_b32_e32 v3, 0
	v_cmp_ne_u16_sdwa s[8:9], v5, v3 src0_sel:BYTE_3 src1_sel:DWORD
	s_andn2_b64 s[4:5], s[4:5], exec
	s_and_b64 s[8:9], s[8:9], exec
	s_or_b64 s[4:5], s[4:5], s[8:9]
	s_or_b64 exec, exec, s[6:7]
	s_and_saveexec_b64 s[6:7], s[4:5]
	s_cbranch_execz .LBB1_30847
; %bb.54527:
	s_getpc_b64 s[14:15]
.Lpost_getpc12927:
	s_add_u32 s14, s14, (.LBB1_4351-.Lpost_getpc12927)&4294967295
	s_addc_u32 s15, s15, (.LBB1_4351-.Lpost_getpc12927)>>32
	s_setpc_b64 s[14:15]
.LBB1_30847:
	s_getpc_b64 s[14:15]
.Lpost_getpc1087:
	s_add_u32 s14, s14, (.LBB1_4352-.Lpost_getpc1087)&4294967295
	s_addc_u32 s15, s15, (.LBB1_4352-.Lpost_getpc1087)>>32
	s_setpc_b64 s[14:15]
.LBB1_18689:
	s_movk_i32 s4, 0x80
	v_cmp_eq_u16_sdwa s[12:13], v6, s4 src0_sel:BYTE_0 src1_sel:DWORD
	s_mov_b64 s[4:5], -1
                                        ; implicit-def: $sgpr10
	s_and_saveexec_b64 s[8:9], s[12:13]
; %bb.18690:
	s_mov_b32 s10, 0x7f800001
	s_xor_b64 s[4:5], exec, -1
; %bb.18691:
	s_or_b64 exec, exec, s[8:9]
	s_and_b64 s[4:5], s[4:5], exec
	s_or_saveexec_b64 s[6:7], s[6:7]
	v_mov_b32_e32 v12, s10
	s_xor_b64 exec, exec, s[6:7]
	s_cbranch_execnz .LBB1_18692
; %bb.54529:
	s_getpc_b64 s[14:15]
.Lpost_getpc12928:
	s_add_u32 s14, s14, (.LBB1_4354-.Lpost_getpc12928)&4294967295
	s_addc_u32 s15, s15, (.LBB1_4354-.Lpost_getpc12928)>>32
	s_setpc_b64 s[14:15]
.LBB1_18692:
	v_mov_b32_e32 v12, 0
	v_cmp_ne_u16_sdwa s[8:9], v6, v12 src0_sel:BYTE_0 src1_sel:DWORD
	s_andn2_b64 s[4:5], s[4:5], exec
	s_and_b64 s[8:9], s[8:9], exec
	s_or_b64 s[4:5], s[4:5], s[8:9]
	s_or_b64 exec, exec, s[6:7]
	s_and_saveexec_b64 s[6:7], s[4:5]
	s_cbranch_execz .LBB1_30849
; %bb.54531:
	s_getpc_b64 s[14:15]
.Lpost_getpc12929:
	s_add_u32 s14, s14, (.LBB1_4355-.Lpost_getpc12929)&4294967295
	s_addc_u32 s15, s15, (.LBB1_4355-.Lpost_getpc12929)>>32
	s_setpc_b64 s[14:15]
.LBB1_30849:
	s_getpc_b64 s[14:15]
.Lpost_getpc1088:
	s_add_u32 s14, s14, (.LBB1_4356-.Lpost_getpc1088)&4294967295
	s_addc_u32 s15, s15, (.LBB1_4356-.Lpost_getpc1088)>>32
	s_setpc_b64 s[14:15]
.LBB1_18693:
	s_movk_i32 s4, 0x80
	v_cmp_eq_u16_sdwa s[12:13], v2, s4 src0_sel:BYTE_0 src1_sel:DWORD
	s_mov_b64 s[4:5], -1
                                        ; implicit-def: $sgpr10
	s_and_saveexec_b64 s[8:9], s[12:13]
; %bb.18694:
	s_mov_b32 s10, 0x7f800001
	s_xor_b64 s[4:5], exec, -1
; %bb.18695:
	s_or_b64 exec, exec, s[8:9]
	s_and_b64 s[4:5], s[4:5], exec
	s_or_saveexec_b64 s[6:7], s[6:7]
	v_mov_b32_e32 v13, s10
	s_xor_b64 exec, exec, s[6:7]
	s_cbranch_execnz .LBB1_18696
; %bb.54533:
	s_getpc_b64 s[14:15]
.Lpost_getpc12930:
	s_add_u32 s14, s14, (.LBB1_4358-.Lpost_getpc12930)&4294967295
	s_addc_u32 s15, s15, (.LBB1_4358-.Lpost_getpc12930)>>32
	s_setpc_b64 s[14:15]
.LBB1_18696:
	v_mov_b32_e32 v13, 0
	v_cmp_ne_u16_sdwa s[8:9], v2, v13 src0_sel:BYTE_0 src1_sel:DWORD
	s_andn2_b64 s[4:5], s[4:5], exec
	s_and_b64 s[8:9], s[8:9], exec
	s_or_b64 s[4:5], s[4:5], s[8:9]
	s_or_b64 exec, exec, s[6:7]
	s_and_saveexec_b64 s[6:7], s[4:5]
	s_cbranch_execz .LBB1_30851
; %bb.54535:
	s_getpc_b64 s[14:15]
.Lpost_getpc12931:
	s_add_u32 s14, s14, (.LBB1_4359-.Lpost_getpc12931)&4294967295
	s_addc_u32 s15, s15, (.LBB1_4359-.Lpost_getpc12931)>>32
	s_setpc_b64 s[14:15]
.LBB1_30851:
	s_getpc_b64 s[14:15]
.Lpost_getpc1089:
	s_add_u32 s14, s14, (.LBB1_4360-.Lpost_getpc1089)&4294967295
	s_addc_u32 s15, s15, (.LBB1_4360-.Lpost_getpc1089)>>32
	s_setpc_b64 s[14:15]
.LBB1_18697:
	s_movk_i32 s4, 0x80
	v_cmp_eq_u16_sdwa s[12:13], v13, s4 src0_sel:BYTE_0 src1_sel:DWORD
	s_mov_b64 s[4:5], -1
                                        ; implicit-def: $sgpr10
	s_and_saveexec_b64 s[8:9], s[12:13]
; %bb.18698:
	s_mov_b32 s10, 0x7f800001
	s_xor_b64 s[4:5], exec, -1
; %bb.18699:
	s_or_b64 exec, exec, s[8:9]
	s_and_b64 s[4:5], s[4:5], exec
	s_or_saveexec_b64 s[6:7], s[6:7]
	v_mov_b32_e32 v12, s10
	s_xor_b64 exec, exec, s[6:7]
	s_cbranch_execnz .LBB1_18700
; %bb.54537:
	s_getpc_b64 s[14:15]
.Lpost_getpc12932:
	s_add_u32 s14, s14, (.LBB1_4362-.Lpost_getpc12932)&4294967295
	s_addc_u32 s15, s15, (.LBB1_4362-.Lpost_getpc12932)>>32
	s_setpc_b64 s[14:15]
.LBB1_18700:
	v_mov_b32_e32 v12, 0
	v_cmp_ne_u16_sdwa s[8:9], v13, v12 src0_sel:BYTE_0 src1_sel:DWORD
	s_andn2_b64 s[4:5], s[4:5], exec
	s_and_b64 s[8:9], s[8:9], exec
	s_or_b64 s[4:5], s[4:5], s[8:9]
	s_or_b64 exec, exec, s[6:7]
	s_and_saveexec_b64 s[6:7], s[4:5]
	s_cbranch_execz .LBB1_30853
; %bb.54539:
	s_getpc_b64 s[14:15]
.Lpost_getpc12933:
	s_add_u32 s14, s14, (.LBB1_4363-.Lpost_getpc12933)&4294967295
	s_addc_u32 s15, s15, (.LBB1_4363-.Lpost_getpc12933)>>32
	s_setpc_b64 s[14:15]
.LBB1_30853:
	s_getpc_b64 s[14:15]
.Lpost_getpc1090:
	s_add_u32 s14, s14, (.LBB1_4364-.Lpost_getpc1090)&4294967295
	s_addc_u32 s15, s15, (.LBB1_4364-.Lpost_getpc1090)>>32
	s_setpc_b64 s[14:15]
.LBB1_18701:
	s_movk_i32 s4, 0x80
	v_cmp_eq_u16_sdwa s[12:13], v13, s4 src0_sel:BYTE_0 src1_sel:DWORD
	s_mov_b64 s[4:5], -1
                                        ; implicit-def: $sgpr10
	s_and_saveexec_b64 s[8:9], s[12:13]
; %bb.18702:
	s_mov_b32 s10, 0x7f800001
	s_xor_b64 s[4:5], exec, -1
; %bb.18703:
	s_or_b64 exec, exec, s[8:9]
	s_and_b64 s[4:5], s[4:5], exec
	s_or_saveexec_b64 s[6:7], s[6:7]
	v_mov_b32_e32 v14, s10
	s_xor_b64 exec, exec, s[6:7]
	s_cbranch_execnz .LBB1_18704
; %bb.54541:
	s_getpc_b64 s[14:15]
.Lpost_getpc12934:
	s_add_u32 s14, s14, (.LBB1_4366-.Lpost_getpc12934)&4294967295
	s_addc_u32 s15, s15, (.LBB1_4366-.Lpost_getpc12934)>>32
	s_setpc_b64 s[14:15]
.LBB1_18704:
	v_mov_b32_e32 v14, 0
	v_cmp_ne_u16_sdwa s[8:9], v13, v14 src0_sel:BYTE_0 src1_sel:DWORD
	s_andn2_b64 s[4:5], s[4:5], exec
	s_and_b64 s[8:9], s[8:9], exec
	s_or_b64 s[4:5], s[4:5], s[8:9]
	s_or_b64 exec, exec, s[6:7]
	s_and_saveexec_b64 s[6:7], s[4:5]
	s_cbranch_execz .LBB1_30855
; %bb.54543:
	s_getpc_b64 s[14:15]
.Lpost_getpc12935:
	s_add_u32 s14, s14, (.LBB1_4367-.Lpost_getpc12935)&4294967295
	s_addc_u32 s15, s15, (.LBB1_4367-.Lpost_getpc12935)>>32
	s_setpc_b64 s[14:15]
.LBB1_30855:
	s_getpc_b64 s[14:15]
.Lpost_getpc1091:
	s_add_u32 s14, s14, (.LBB1_4368-.Lpost_getpc1091)&4294967295
	s_addc_u32 s15, s15, (.LBB1_4368-.Lpost_getpc1091)>>32
	s_setpc_b64 s[14:15]
.LBB1_18705:
	s_movk_i32 s4, 0x80
	v_cmp_eq_u16_e32 vcc, s4, v13
	s_mov_b64 s[4:5], -1
                                        ; implicit-def: $sgpr10
	s_and_saveexec_b64 s[8:9], vcc
; %bb.18706:
	s_mov_b32 s10, 0x7f800001
	s_xor_b64 s[4:5], exec, -1
; %bb.18707:
	s_or_b64 exec, exec, s[8:9]
	s_and_b64 s[4:5], s[4:5], exec
                                        ; implicit-def: $vgpr13
	s_or_saveexec_b64 s[6:7], s[6:7]
	v_mov_b32_e32 v12, s10
	s_xor_b64 exec, exec, s[6:7]
	s_cbranch_execnz .LBB1_18708
; %bb.54545:
	s_getpc_b64 s[14:15]
.Lpost_getpc12936:
	s_add_u32 s14, s14, (.LBB1_4370-.Lpost_getpc12936)&4294967295
	s_addc_u32 s15, s15, (.LBB1_4370-.Lpost_getpc12936)>>32
	s_setpc_b64 s[14:15]
.LBB1_18708:
	v_cmp_ne_u16_e32 vcc, 0, v13
	s_andn2_b64 s[4:5], s[4:5], exec
	s_and_b64 s[8:9], vcc, exec
	v_mov_b32_e32 v12, 0
	s_or_b64 s[4:5], s[4:5], s[8:9]
	s_or_b64 exec, exec, s[6:7]
	s_and_saveexec_b64 s[6:7], s[4:5]
	s_cbranch_execz .LBB1_30857
; %bb.54547:
	s_getpc_b64 s[14:15]
.Lpost_getpc12937:
	s_add_u32 s14, s14, (.LBB1_4371-.Lpost_getpc12937)&4294967295
	s_addc_u32 s15, s15, (.LBB1_4371-.Lpost_getpc12937)>>32
	s_setpc_b64 s[14:15]
.LBB1_30857:
	s_getpc_b64 s[14:15]
.Lpost_getpc1092:
	s_add_u32 s14, s14, (.LBB1_4372-.Lpost_getpc1092)&4294967295
	s_addc_u32 s15, s15, (.LBB1_4372-.Lpost_getpc1092)>>32
	s_setpc_b64 s[14:15]
.LBB1_18709:
	s_movk_i32 s4, 0x80
	v_cmp_eq_u16_e32 vcc, s4, v13
	s_mov_b64 s[4:5], -1
                                        ; implicit-def: $sgpr10
	s_and_saveexec_b64 s[8:9], vcc
; %bb.18710:
	s_mov_b32 s10, 0x7f800001
	s_xor_b64 s[4:5], exec, -1
; %bb.18711:
	s_or_b64 exec, exec, s[8:9]
	s_and_b64 s[4:5], s[4:5], exec
                                        ; implicit-def: $vgpr13
	s_or_saveexec_b64 s[6:7], s[6:7]
	v_mov_b32_e32 v14, s10
	s_xor_b64 exec, exec, s[6:7]
	s_cbranch_execnz .LBB1_18712
; %bb.54549:
	s_getpc_b64 s[14:15]
.Lpost_getpc12938:
	s_add_u32 s14, s14, (.LBB1_4374-.Lpost_getpc12938)&4294967295
	s_addc_u32 s15, s15, (.LBB1_4374-.Lpost_getpc12938)>>32
	s_setpc_b64 s[14:15]
.LBB1_18712:
	v_cmp_ne_u16_e32 vcc, 0, v13
	s_andn2_b64 s[4:5], s[4:5], exec
	s_and_b64 s[8:9], vcc, exec
	v_mov_b32_e32 v14, 0
	s_or_b64 s[4:5], s[4:5], s[8:9]
	s_or_b64 exec, exec, s[6:7]
	s_and_saveexec_b64 s[6:7], s[4:5]
	s_cbranch_execz .LBB1_30859
; %bb.54551:
	s_getpc_b64 s[14:15]
.Lpost_getpc12939:
	s_add_u32 s14, s14, (.LBB1_4375-.Lpost_getpc12939)&4294967295
	s_addc_u32 s15, s15, (.LBB1_4375-.Lpost_getpc12939)>>32
	s_setpc_b64 s[14:15]
.LBB1_30859:
	s_getpc_b64 s[14:15]
.Lpost_getpc1093:
	s_add_u32 s14, s14, (.LBB1_4376-.Lpost_getpc1093)&4294967295
	s_addc_u32 s15, s15, (.LBB1_4376-.Lpost_getpc1093)>>32
	s_setpc_b64 s[14:15]
.LBB1_18713:
	s_movk_i32 s4, 0x80
	v_cmp_eq_u16_sdwa s[12:13], v6, s4 src0_sel:BYTE_3 src1_sel:DWORD
	s_mov_b64 s[4:5], -1
                                        ; implicit-def: $sgpr10
	s_and_saveexec_b64 s[8:9], s[12:13]
; %bb.18714:
	s_mov_b32 s10, 0x7f800001
	s_xor_b64 s[4:5], exec, -1
; %bb.18715:
	s_or_b64 exec, exec, s[8:9]
	s_and_b64 s[4:5], s[4:5], exec
	s_or_saveexec_b64 s[6:7], s[6:7]
	v_mov_b32_e32 v12, s10
	s_xor_b64 exec, exec, s[6:7]
	s_cbranch_execnz .LBB1_18716
; %bb.54553:
	s_getpc_b64 s[14:15]
.Lpost_getpc12940:
	s_add_u32 s14, s14, (.LBB1_4378-.Lpost_getpc12940)&4294967295
	s_addc_u32 s15, s15, (.LBB1_4378-.Lpost_getpc12940)>>32
	s_setpc_b64 s[14:15]
.LBB1_18716:
	v_mov_b32_e32 v12, 0
	v_cmp_ne_u16_sdwa s[8:9], v6, v12 src0_sel:BYTE_3 src1_sel:DWORD
	s_andn2_b64 s[4:5], s[4:5], exec
	s_and_b64 s[8:9], s[8:9], exec
	s_or_b64 s[4:5], s[4:5], s[8:9]
	s_or_b64 exec, exec, s[6:7]
	s_and_saveexec_b64 s[6:7], s[4:5]
	s_cbranch_execz .LBB1_30861
; %bb.54555:
	s_getpc_b64 s[14:15]
.Lpost_getpc12941:
	s_add_u32 s14, s14, (.LBB1_4379-.Lpost_getpc12941)&4294967295
	s_addc_u32 s15, s15, (.LBB1_4379-.Lpost_getpc12941)>>32
	s_setpc_b64 s[14:15]
.LBB1_30861:
	s_getpc_b64 s[14:15]
.Lpost_getpc1094:
	s_add_u32 s14, s14, (.LBB1_4380-.Lpost_getpc1094)&4294967295
	s_addc_u32 s15, s15, (.LBB1_4380-.Lpost_getpc1094)>>32
	s_setpc_b64 s[14:15]
.LBB1_18717:
	s_movk_i32 s4, 0x80
	v_cmp_eq_u16_sdwa s[12:13], v2, s4 src0_sel:BYTE_3 src1_sel:DWORD
	s_mov_b64 s[4:5], -1
                                        ; implicit-def: $sgpr10
	s_and_saveexec_b64 s[8:9], s[12:13]
; %bb.18718:
	s_mov_b32 s10, 0x7f800001
	s_xor_b64 s[4:5], exec, -1
; %bb.18719:
	s_or_b64 exec, exec, s[8:9]
	s_and_b64 s[4:5], s[4:5], exec
	s_or_saveexec_b64 s[6:7], s[6:7]
	v_mov_b32_e32 v6, s10
	s_xor_b64 exec, exec, s[6:7]
	s_cbranch_execnz .LBB1_18720
; %bb.54557:
	s_getpc_b64 s[14:15]
.Lpost_getpc12942:
	s_add_u32 s14, s14, (.LBB1_4382-.Lpost_getpc12942)&4294967295
	s_addc_u32 s15, s15, (.LBB1_4382-.Lpost_getpc12942)>>32
	s_setpc_b64 s[14:15]
.LBB1_18720:
	v_mov_b32_e32 v6, 0
	v_cmp_ne_u16_sdwa s[8:9], v2, v6 src0_sel:BYTE_3 src1_sel:DWORD
	s_andn2_b64 s[4:5], s[4:5], exec
	s_and_b64 s[8:9], s[8:9], exec
	s_or_b64 s[4:5], s[4:5], s[8:9]
	s_or_b64 exec, exec, s[6:7]
	s_and_saveexec_b64 s[6:7], s[4:5]
	s_cbranch_execz .LBB1_30863
; %bb.54559:
	s_getpc_b64 s[14:15]
.Lpost_getpc12943:
	s_add_u32 s14, s14, (.LBB1_4383-.Lpost_getpc12943)&4294967295
	s_addc_u32 s15, s15, (.LBB1_4383-.Lpost_getpc12943)>>32
	s_setpc_b64 s[14:15]
.LBB1_30863:
	s_getpc_b64 s[14:15]
.Lpost_getpc1095:
	s_add_u32 s14, s14, (.LBB1_4384-.Lpost_getpc1095)&4294967295
	s_addc_u32 s15, s15, (.LBB1_4384-.Lpost_getpc1095)>>32
	s_setpc_b64 s[14:15]
.LBB1_18721:
	s_movk_i32 s4, 0x80
	v_cmp_eq_u16_sdwa s[12:13], v7, s4 src0_sel:BYTE_0 src1_sel:DWORD
	s_mov_b64 s[4:5], -1
                                        ; implicit-def: $sgpr10
	s_and_saveexec_b64 s[8:9], s[12:13]
; %bb.18722:
	s_mov_b32 s10, 0x7f800001
	s_xor_b64 s[4:5], exec, -1
; %bb.18723:
	s_or_b64 exec, exec, s[8:9]
	s_and_b64 s[4:5], s[4:5], exec
	s_or_saveexec_b64 s[6:7], s[6:7]
	v_mov_b32_e32 v2, s10
	s_xor_b64 exec, exec, s[6:7]
	s_cbranch_execnz .LBB1_18724
; %bb.54561:
	s_getpc_b64 s[14:15]
.Lpost_getpc12944:
	s_add_u32 s14, s14, (.LBB1_4386-.Lpost_getpc12944)&4294967295
	s_addc_u32 s15, s15, (.LBB1_4386-.Lpost_getpc12944)>>32
	s_setpc_b64 s[14:15]
.LBB1_18724:
	v_mov_b32_e32 v2, 0
	v_cmp_ne_u16_sdwa s[8:9], v7, v2 src0_sel:BYTE_0 src1_sel:DWORD
	s_andn2_b64 s[4:5], s[4:5], exec
	s_and_b64 s[8:9], s[8:9], exec
	s_or_b64 s[4:5], s[4:5], s[8:9]
	s_or_b64 exec, exec, s[6:7]
	s_and_saveexec_b64 s[6:7], s[4:5]
	s_cbranch_execz .LBB1_30865
; %bb.54563:
	s_getpc_b64 s[14:15]
.Lpost_getpc12945:
	s_add_u32 s14, s14, (.LBB1_4387-.Lpost_getpc12945)&4294967295
	s_addc_u32 s15, s15, (.LBB1_4387-.Lpost_getpc12945)>>32
	s_setpc_b64 s[14:15]
.LBB1_30865:
	s_getpc_b64 s[14:15]
.Lpost_getpc1096:
	s_add_u32 s14, s14, (.LBB1_4388-.Lpost_getpc1096)&4294967295
	s_addc_u32 s15, s15, (.LBB1_4388-.Lpost_getpc1096)>>32
	s_setpc_b64 s[14:15]
.LBB1_18725:
	s_movk_i32 s4, 0x80
	v_cmp_eq_u16_sdwa s[12:13], v3, s4 src0_sel:BYTE_0 src1_sel:DWORD
	s_mov_b64 s[4:5], -1
                                        ; implicit-def: $sgpr10
	s_and_saveexec_b64 s[8:9], s[12:13]
; %bb.18726:
	s_mov_b32 s10, 0x7f800001
	s_xor_b64 s[4:5], exec, -1
; %bb.18727:
	s_or_b64 exec, exec, s[8:9]
	s_and_b64 s[4:5], s[4:5], exec
	s_or_saveexec_b64 s[6:7], s[6:7]
	v_mov_b32_e32 v6, s10
	s_xor_b64 exec, exec, s[6:7]
	s_cbranch_execnz .LBB1_18728
; %bb.54565:
	s_getpc_b64 s[14:15]
.Lpost_getpc12946:
	s_add_u32 s14, s14, (.LBB1_4390-.Lpost_getpc12946)&4294967295
	s_addc_u32 s15, s15, (.LBB1_4390-.Lpost_getpc12946)>>32
	s_setpc_b64 s[14:15]
.LBB1_18728:
	v_mov_b32_e32 v6, 0
	v_cmp_ne_u16_sdwa s[8:9], v3, v6 src0_sel:BYTE_0 src1_sel:DWORD
	s_andn2_b64 s[4:5], s[4:5], exec
	s_and_b64 s[8:9], s[8:9], exec
	s_or_b64 s[4:5], s[4:5], s[8:9]
	s_or_b64 exec, exec, s[6:7]
	s_and_saveexec_b64 s[6:7], s[4:5]
	s_cbranch_execz .LBB1_30867
; %bb.54567:
	s_getpc_b64 s[14:15]
.Lpost_getpc12947:
	s_add_u32 s14, s14, (.LBB1_4391-.Lpost_getpc12947)&4294967295
	s_addc_u32 s15, s15, (.LBB1_4391-.Lpost_getpc12947)>>32
	s_setpc_b64 s[14:15]
.LBB1_30867:
	s_getpc_b64 s[14:15]
.Lpost_getpc1097:
	s_add_u32 s14, s14, (.LBB1_4392-.Lpost_getpc1097)&4294967295
	s_addc_u32 s15, s15, (.LBB1_4392-.Lpost_getpc1097)>>32
	s_setpc_b64 s[14:15]
.LBB1_18729:
	s_movk_i32 s4, 0x80
	v_cmp_eq_u16_sdwa s[12:13], v6, s4 src0_sel:BYTE_0 src1_sel:DWORD
	s_mov_b64 s[4:5], -1
                                        ; implicit-def: $sgpr10
	s_and_saveexec_b64 s[8:9], s[12:13]
; %bb.18730:
	s_mov_b32 s10, 0x7f800001
	s_xor_b64 s[4:5], exec, -1
; %bb.18731:
	s_or_b64 exec, exec, s[8:9]
	s_and_b64 s[4:5], s[4:5], exec
	s_or_saveexec_b64 s[6:7], s[6:7]
	v_mov_b32_e32 v2, s10
	s_xor_b64 exec, exec, s[6:7]
	s_cbranch_execnz .LBB1_18732
; %bb.54569:
	s_getpc_b64 s[14:15]
.Lpost_getpc12948:
	s_add_u32 s14, s14, (.LBB1_4394-.Lpost_getpc12948)&4294967295
	s_addc_u32 s15, s15, (.LBB1_4394-.Lpost_getpc12948)>>32
	s_setpc_b64 s[14:15]
.LBB1_18732:
	v_mov_b32_e32 v2, 0
	v_cmp_ne_u16_sdwa s[8:9], v6, v2 src0_sel:BYTE_0 src1_sel:DWORD
	s_andn2_b64 s[4:5], s[4:5], exec
	s_and_b64 s[8:9], s[8:9], exec
	s_or_b64 s[4:5], s[4:5], s[8:9]
	s_or_b64 exec, exec, s[6:7]
	s_and_saveexec_b64 s[6:7], s[4:5]
	s_cbranch_execz .LBB1_30869
; %bb.54571:
	s_getpc_b64 s[14:15]
.Lpost_getpc12949:
	s_add_u32 s14, s14, (.LBB1_4395-.Lpost_getpc12949)&4294967295
	s_addc_u32 s15, s15, (.LBB1_4395-.Lpost_getpc12949)>>32
	s_setpc_b64 s[14:15]
.LBB1_30869:
	s_getpc_b64 s[14:15]
.Lpost_getpc1098:
	s_add_u32 s14, s14, (.LBB1_4396-.Lpost_getpc1098)&4294967295
	s_addc_u32 s15, s15, (.LBB1_4396-.Lpost_getpc1098)>>32
	s_setpc_b64 s[14:15]
.LBB1_18733:
	s_movk_i32 s4, 0x80
	v_cmp_eq_u16_sdwa s[12:13], v6, s4 src0_sel:BYTE_0 src1_sel:DWORD
	s_mov_b64 s[4:5], -1
                                        ; implicit-def: $sgpr10
	s_and_saveexec_b64 s[8:9], s[12:13]
; %bb.18734:
	s_mov_b32 s10, 0x7f800001
	s_xor_b64 s[4:5], exec, -1
; %bb.18735:
	s_or_b64 exec, exec, s[8:9]
	s_and_b64 s[4:5], s[4:5], exec
	s_or_saveexec_b64 s[6:7], s[6:7]
	v_mov_b32_e32 v12, s10
	s_xor_b64 exec, exec, s[6:7]
	s_cbranch_execnz .LBB1_18736
; %bb.54573:
	s_getpc_b64 s[14:15]
.Lpost_getpc12950:
	s_add_u32 s14, s14, (.LBB1_4398-.Lpost_getpc12950)&4294967295
	s_addc_u32 s15, s15, (.LBB1_4398-.Lpost_getpc12950)>>32
	s_setpc_b64 s[14:15]
.LBB1_18736:
	v_mov_b32_e32 v12, 0
	v_cmp_ne_u16_sdwa s[8:9], v6, v12 src0_sel:BYTE_0 src1_sel:DWORD
	s_andn2_b64 s[4:5], s[4:5], exec
	s_and_b64 s[8:9], s[8:9], exec
	s_or_b64 s[4:5], s[4:5], s[8:9]
	s_or_b64 exec, exec, s[6:7]
	s_and_saveexec_b64 s[6:7], s[4:5]
	s_cbranch_execz .LBB1_30871
; %bb.54575:
	s_getpc_b64 s[14:15]
.Lpost_getpc12951:
	s_add_u32 s14, s14, (.LBB1_4399-.Lpost_getpc12951)&4294967295
	s_addc_u32 s15, s15, (.LBB1_4399-.Lpost_getpc12951)>>32
	s_setpc_b64 s[14:15]
.LBB1_30871:
	s_getpc_b64 s[14:15]
.Lpost_getpc1099:
	s_add_u32 s14, s14, (.LBB1_4400-.Lpost_getpc1099)&4294967295
	s_addc_u32 s15, s15, (.LBB1_4400-.Lpost_getpc1099)>>32
	s_setpc_b64 s[14:15]
.LBB1_18737:
	s_movk_i32 s4, 0x80
	v_cmp_eq_u16_e32 vcc, s4, v6
	s_mov_b64 s[4:5], -1
                                        ; implicit-def: $sgpr10
	s_and_saveexec_b64 s[8:9], vcc
; %bb.18738:
	s_mov_b32 s10, 0x7f800001
	s_xor_b64 s[4:5], exec, -1
; %bb.18739:
	s_or_b64 exec, exec, s[8:9]
	s_and_b64 s[4:5], s[4:5], exec
                                        ; implicit-def: $vgpr6
	s_or_saveexec_b64 s[6:7], s[6:7]
	v_mov_b32_e32 v2, s10
	s_xor_b64 exec, exec, s[6:7]
	s_cbranch_execnz .LBB1_18740
; %bb.54577:
	s_getpc_b64 s[14:15]
.Lpost_getpc12952:
	s_add_u32 s14, s14, (.LBB1_4402-.Lpost_getpc12952)&4294967295
	s_addc_u32 s15, s15, (.LBB1_4402-.Lpost_getpc12952)>>32
	s_setpc_b64 s[14:15]
.LBB1_18740:
	v_cmp_ne_u16_e32 vcc, 0, v6
	s_andn2_b64 s[4:5], s[4:5], exec
	s_and_b64 s[8:9], vcc, exec
	v_mov_b32_e32 v2, 0
	s_or_b64 s[4:5], s[4:5], s[8:9]
	s_or_b64 exec, exec, s[6:7]
	s_and_saveexec_b64 s[6:7], s[4:5]
	s_cbranch_execz .LBB1_30873
; %bb.54579:
	s_getpc_b64 s[14:15]
.Lpost_getpc12953:
	s_add_u32 s14, s14, (.LBB1_4403-.Lpost_getpc12953)&4294967295
	s_addc_u32 s15, s15, (.LBB1_4403-.Lpost_getpc12953)>>32
	s_setpc_b64 s[14:15]
.LBB1_30873:
	s_getpc_b64 s[14:15]
.Lpost_getpc1100:
	s_add_u32 s14, s14, (.LBB1_4404-.Lpost_getpc1100)&4294967295
	s_addc_u32 s15, s15, (.LBB1_4404-.Lpost_getpc1100)>>32
	s_setpc_b64 s[14:15]
.LBB1_18741:
	s_movk_i32 s4, 0x80
	v_cmp_eq_u16_e32 vcc, s4, v6
	s_mov_b64 s[4:5], -1
                                        ; implicit-def: $sgpr10
	s_and_saveexec_b64 s[8:9], vcc
; %bb.18742:
	s_mov_b32 s10, 0x7f800001
	s_xor_b64 s[4:5], exec, -1
; %bb.18743:
	s_or_b64 exec, exec, s[8:9]
	s_and_b64 s[4:5], s[4:5], exec
                                        ; implicit-def: $vgpr6
	s_or_saveexec_b64 s[6:7], s[6:7]
	v_mov_b32_e32 v12, s10
	s_xor_b64 exec, exec, s[6:7]
	s_cbranch_execnz .LBB1_18744
; %bb.54581:
	s_getpc_b64 s[14:15]
.Lpost_getpc12954:
	s_add_u32 s14, s14, (.LBB1_4406-.Lpost_getpc12954)&4294967295
	s_addc_u32 s15, s15, (.LBB1_4406-.Lpost_getpc12954)>>32
	s_setpc_b64 s[14:15]
.LBB1_18744:
	v_cmp_ne_u16_e32 vcc, 0, v6
	s_andn2_b64 s[4:5], s[4:5], exec
	s_and_b64 s[8:9], vcc, exec
	v_mov_b32_e32 v12, 0
	s_or_b64 s[4:5], s[4:5], s[8:9]
	s_or_b64 exec, exec, s[6:7]
	s_and_saveexec_b64 s[6:7], s[4:5]
	s_cbranch_execz .LBB1_30875
; %bb.54583:
	s_getpc_b64 s[14:15]
.Lpost_getpc12955:
	s_add_u32 s14, s14, (.LBB1_4407-.Lpost_getpc12955)&4294967295
	s_addc_u32 s15, s15, (.LBB1_4407-.Lpost_getpc12955)>>32
	s_setpc_b64 s[14:15]
.LBB1_30875:
	s_getpc_b64 s[14:15]
.Lpost_getpc1101:
	s_add_u32 s14, s14, (.LBB1_4408-.Lpost_getpc1101)&4294967295
	s_addc_u32 s15, s15, (.LBB1_4408-.Lpost_getpc1101)>>32
	s_setpc_b64 s[14:15]
.LBB1_18745:
	s_movk_i32 s4, 0x80
	v_cmp_eq_u16_sdwa s[12:13], v7, s4 src0_sel:BYTE_3 src1_sel:DWORD
	s_mov_b64 s[4:5], -1
                                        ; implicit-def: $sgpr10
	s_and_saveexec_b64 s[8:9], s[12:13]
; %bb.18746:
	s_mov_b32 s10, 0x7f800001
	s_xor_b64 s[4:5], exec, -1
; %bb.18747:
	s_or_b64 exec, exec, s[8:9]
	s_and_b64 s[4:5], s[4:5], exec
	s_or_saveexec_b64 s[6:7], s[6:7]
	v_mov_b32_e32 v2, s10
	s_xor_b64 exec, exec, s[6:7]
	s_cbranch_execnz .LBB1_18748
; %bb.54585:
	s_getpc_b64 s[14:15]
.Lpost_getpc12956:
	s_add_u32 s14, s14, (.LBB1_4410-.Lpost_getpc12956)&4294967295
	s_addc_u32 s15, s15, (.LBB1_4410-.Lpost_getpc12956)>>32
	s_setpc_b64 s[14:15]
.LBB1_18748:
	v_mov_b32_e32 v2, 0
	v_cmp_ne_u16_sdwa s[8:9], v7, v2 src0_sel:BYTE_3 src1_sel:DWORD
	s_andn2_b64 s[4:5], s[4:5], exec
	s_and_b64 s[8:9], s[8:9], exec
	s_or_b64 s[4:5], s[4:5], s[8:9]
	s_or_b64 exec, exec, s[6:7]
	s_and_saveexec_b64 s[6:7], s[4:5]
	s_cbranch_execz .LBB1_30877
; %bb.54587:
	s_getpc_b64 s[14:15]
.Lpost_getpc12957:
	s_add_u32 s14, s14, (.LBB1_4411-.Lpost_getpc12957)&4294967295
	s_addc_u32 s15, s15, (.LBB1_4411-.Lpost_getpc12957)>>32
	s_setpc_b64 s[14:15]
.LBB1_30877:
	s_getpc_b64 s[14:15]
.Lpost_getpc1102:
	s_add_u32 s14, s14, (.LBB1_4412-.Lpost_getpc1102)&4294967295
	s_addc_u32 s15, s15, (.LBB1_4412-.Lpost_getpc1102)>>32
	s_setpc_b64 s[14:15]
.LBB1_18749:
	s_movk_i32 s4, 0x80
	v_cmp_eq_u16_sdwa s[12:13], v3, s4 src0_sel:BYTE_3 src1_sel:DWORD
	s_mov_b64 s[4:5], -1
                                        ; implicit-def: $sgpr10
	s_and_saveexec_b64 s[8:9], s[12:13]
; %bb.18750:
	s_mov_b32 s10, 0x7f800001
	s_xor_b64 s[4:5], exec, -1
; %bb.18751:
	s_or_b64 exec, exec, s[8:9]
	s_and_b64 s[4:5], s[4:5], exec
	s_or_saveexec_b64 s[6:7], s[6:7]
	v_mov_b32_e32 v6, s10
	s_xor_b64 exec, exec, s[6:7]
	s_cbranch_execnz .LBB1_18752
; %bb.54589:
	s_getpc_b64 s[14:15]
.Lpost_getpc12958:
	s_add_u32 s14, s14, (.LBB1_4414-.Lpost_getpc12958)&4294967295
	s_addc_u32 s15, s15, (.LBB1_4414-.Lpost_getpc12958)>>32
	s_setpc_b64 s[14:15]
.LBB1_18752:
	v_mov_b32_e32 v6, 0
	v_cmp_ne_u16_sdwa s[8:9], v3, v6 src0_sel:BYTE_3 src1_sel:DWORD
	s_andn2_b64 s[4:5], s[4:5], exec
	s_and_b64 s[8:9], s[8:9], exec
	s_or_b64 s[4:5], s[4:5], s[8:9]
	s_or_b64 exec, exec, s[6:7]
	s_and_saveexec_b64 s[6:7], s[4:5]
	s_cbranch_execz .LBB1_30879
; %bb.54591:
	s_getpc_b64 s[14:15]
.Lpost_getpc12959:
	s_add_u32 s14, s14, (.LBB1_4415-.Lpost_getpc12959)&4294967295
	s_addc_u32 s15, s15, (.LBB1_4415-.Lpost_getpc12959)>>32
	s_setpc_b64 s[14:15]
.LBB1_30879:
	s_getpc_b64 s[14:15]
.Lpost_getpc1103:
	s_add_u32 s14, s14, (.LBB1_4416-.Lpost_getpc1103)&4294967295
	s_addc_u32 s15, s15, (.LBB1_4416-.Lpost_getpc1103)>>32
	s_setpc_b64 s[14:15]
.LBB1_18753:
	s_movk_i32 s4, 0x80
	v_cmp_eq_u16_sdwa s[12:13], v8, s4 src0_sel:BYTE_0 src1_sel:DWORD
	s_mov_b64 s[4:5], -1
                                        ; implicit-def: $sgpr10
	s_and_saveexec_b64 s[8:9], s[12:13]
; %bb.18754:
	s_mov_b32 s10, 0x7f800001
	s_xor_b64 s[4:5], exec, -1
; %bb.18755:
	s_or_b64 exec, exec, s[8:9]
	s_and_b64 s[4:5], s[4:5], exec
	s_or_saveexec_b64 s[6:7], s[6:7]
	v_mov_b32_e32 v2, s10
	s_xor_b64 exec, exec, s[6:7]
	s_cbranch_execnz .LBB1_18756
; %bb.54593:
	s_getpc_b64 s[14:15]
.Lpost_getpc12960:
	s_add_u32 s14, s14, (.LBB1_4418-.Lpost_getpc12960)&4294967295
	s_addc_u32 s15, s15, (.LBB1_4418-.Lpost_getpc12960)>>32
	s_setpc_b64 s[14:15]
.LBB1_18756:
	v_mov_b32_e32 v2, 0
	v_cmp_ne_u16_sdwa s[8:9], v8, v2 src0_sel:BYTE_0 src1_sel:DWORD
	s_andn2_b64 s[4:5], s[4:5], exec
	s_and_b64 s[8:9], s[8:9], exec
	s_or_b64 s[4:5], s[4:5], s[8:9]
	s_or_b64 exec, exec, s[6:7]
	s_and_saveexec_b64 s[6:7], s[4:5]
	s_cbranch_execz .LBB1_30881
; %bb.54595:
	s_getpc_b64 s[14:15]
.Lpost_getpc12961:
	s_add_u32 s14, s14, (.LBB1_4419-.Lpost_getpc12961)&4294967295
	s_addc_u32 s15, s15, (.LBB1_4419-.Lpost_getpc12961)>>32
	s_setpc_b64 s[14:15]
.LBB1_30881:
	s_getpc_b64 s[14:15]
.Lpost_getpc1104:
	s_add_u32 s14, s14, (.LBB1_4420-.Lpost_getpc1104)&4294967295
	s_addc_u32 s15, s15, (.LBB1_4420-.Lpost_getpc1104)>>32
	s_setpc_b64 s[14:15]
.LBB1_18757:
	s_movk_i32 s4, 0x80
	v_cmp_eq_u16_sdwa s[12:13], v4, s4 src0_sel:BYTE_0 src1_sel:DWORD
	s_mov_b64 s[4:5], -1
                                        ; implicit-def: $sgpr10
	s_and_saveexec_b64 s[8:9], s[12:13]
; %bb.18758:
	s_mov_b32 s10, 0x7f800001
	s_xor_b64 s[4:5], exec, -1
; %bb.18759:
	s_or_b64 exec, exec, s[8:9]
	s_and_b64 s[4:5], s[4:5], exec
	s_or_saveexec_b64 s[6:7], s[6:7]
	v_mov_b32_e32 v3, s10
	s_xor_b64 exec, exec, s[6:7]
	s_cbranch_execnz .LBB1_18760
; %bb.54597:
	s_getpc_b64 s[14:15]
.Lpost_getpc12962:
	s_add_u32 s14, s14, (.LBB1_4422-.Lpost_getpc12962)&4294967295
	s_addc_u32 s15, s15, (.LBB1_4422-.Lpost_getpc12962)>>32
	s_setpc_b64 s[14:15]
.LBB1_18760:
	v_mov_b32_e32 v3, 0
	v_cmp_ne_u16_sdwa s[8:9], v4, v3 src0_sel:BYTE_0 src1_sel:DWORD
	s_andn2_b64 s[4:5], s[4:5], exec
	s_and_b64 s[8:9], s[8:9], exec
	s_or_b64 s[4:5], s[4:5], s[8:9]
	s_or_b64 exec, exec, s[6:7]
	s_and_saveexec_b64 s[6:7], s[4:5]
	s_cbranch_execz .LBB1_30883
; %bb.54599:
	s_getpc_b64 s[14:15]
.Lpost_getpc12963:
	s_add_u32 s14, s14, (.LBB1_4423-.Lpost_getpc12963)&4294967295
	s_addc_u32 s15, s15, (.LBB1_4423-.Lpost_getpc12963)>>32
	s_setpc_b64 s[14:15]
.LBB1_30883:
	s_getpc_b64 s[14:15]
.Lpost_getpc1105:
	s_add_u32 s14, s14, (.LBB1_4424-.Lpost_getpc1105)&4294967295
	s_addc_u32 s15, s15, (.LBB1_4424-.Lpost_getpc1105)>>32
	s_setpc_b64 s[14:15]
.LBB1_18761:
	s_movk_i32 s4, 0x80
	v_cmp_eq_u16_sdwa s[12:13], v3, s4 src0_sel:BYTE_0 src1_sel:DWORD
	s_mov_b64 s[4:5], -1
                                        ; implicit-def: $sgpr10
	s_and_saveexec_b64 s[8:9], s[12:13]
; %bb.18762:
	s_mov_b32 s10, 0x7f800001
	s_xor_b64 s[4:5], exec, -1
; %bb.18763:
	s_or_b64 exec, exec, s[8:9]
	s_and_b64 s[4:5], s[4:5], exec
	s_or_saveexec_b64 s[6:7], s[6:7]
	v_mov_b32_e32 v2, s10
	s_xor_b64 exec, exec, s[6:7]
	s_cbranch_execnz .LBB1_18764
; %bb.54601:
	s_getpc_b64 s[14:15]
.Lpost_getpc12964:
	s_add_u32 s14, s14, (.LBB1_4426-.Lpost_getpc12964)&4294967295
	s_addc_u32 s15, s15, (.LBB1_4426-.Lpost_getpc12964)>>32
	s_setpc_b64 s[14:15]
.LBB1_18764:
	v_mov_b32_e32 v2, 0
	v_cmp_ne_u16_sdwa s[8:9], v3, v2 src0_sel:BYTE_0 src1_sel:DWORD
	s_andn2_b64 s[4:5], s[4:5], exec
	s_and_b64 s[8:9], s[8:9], exec
	s_or_b64 s[4:5], s[4:5], s[8:9]
	s_or_b64 exec, exec, s[6:7]
	s_and_saveexec_b64 s[6:7], s[4:5]
	s_cbranch_execz .LBB1_30885
; %bb.54603:
	s_getpc_b64 s[14:15]
.Lpost_getpc12965:
	s_add_u32 s14, s14, (.LBB1_4427-.Lpost_getpc12965)&4294967295
	s_addc_u32 s15, s15, (.LBB1_4427-.Lpost_getpc12965)>>32
	s_setpc_b64 s[14:15]
.LBB1_30885:
	s_getpc_b64 s[14:15]
.Lpost_getpc1106:
	s_add_u32 s14, s14, (.LBB1_4428-.Lpost_getpc1106)&4294967295
	s_addc_u32 s15, s15, (.LBB1_4428-.Lpost_getpc1106)>>32
	s_setpc_b64 s[14:15]
.LBB1_18765:
	s_movk_i32 s4, 0x80
	v_cmp_eq_u16_sdwa s[12:13], v3, s4 src0_sel:BYTE_0 src1_sel:DWORD
	s_mov_b64 s[4:5], -1
                                        ; implicit-def: $sgpr10
	s_and_saveexec_b64 s[8:9], s[12:13]
; %bb.18766:
	s_mov_b32 s10, 0x7f800001
	s_xor_b64 s[4:5], exec, -1
; %bb.18767:
	s_or_b64 exec, exec, s[8:9]
	s_and_b64 s[4:5], s[4:5], exec
	s_or_saveexec_b64 s[6:7], s[6:7]
	v_mov_b32_e32 v6, s10
	s_xor_b64 exec, exec, s[6:7]
	s_cbranch_execnz .LBB1_18768
; %bb.54605:
	s_getpc_b64 s[14:15]
.Lpost_getpc12966:
	s_add_u32 s14, s14, (.LBB1_4430-.Lpost_getpc12966)&4294967295
	s_addc_u32 s15, s15, (.LBB1_4430-.Lpost_getpc12966)>>32
	s_setpc_b64 s[14:15]
.LBB1_18768:
	v_mov_b32_e32 v6, 0
	v_cmp_ne_u16_sdwa s[8:9], v3, v6 src0_sel:BYTE_0 src1_sel:DWORD
	s_andn2_b64 s[4:5], s[4:5], exec
	s_and_b64 s[8:9], s[8:9], exec
	s_or_b64 s[4:5], s[4:5], s[8:9]
	s_or_b64 exec, exec, s[6:7]
	s_and_saveexec_b64 s[6:7], s[4:5]
	s_cbranch_execz .LBB1_30887
; %bb.54607:
	s_getpc_b64 s[14:15]
.Lpost_getpc12967:
	s_add_u32 s14, s14, (.LBB1_4431-.Lpost_getpc12967)&4294967295
	s_addc_u32 s15, s15, (.LBB1_4431-.Lpost_getpc12967)>>32
	s_setpc_b64 s[14:15]
.LBB1_30887:
	s_getpc_b64 s[14:15]
.Lpost_getpc1107:
	s_add_u32 s14, s14, (.LBB1_4432-.Lpost_getpc1107)&4294967295
	s_addc_u32 s15, s15, (.LBB1_4432-.Lpost_getpc1107)>>32
	s_setpc_b64 s[14:15]
.LBB1_18769:
	s_movk_i32 s4, 0x80
	v_cmp_eq_u16_e32 vcc, s4, v3
	s_mov_b64 s[4:5], -1
                                        ; implicit-def: $sgpr10
	s_and_saveexec_b64 s[8:9], vcc
; %bb.18770:
	s_mov_b32 s10, 0x7f800001
	s_xor_b64 s[4:5], exec, -1
; %bb.18771:
	s_or_b64 exec, exec, s[8:9]
	s_and_b64 s[4:5], s[4:5], exec
                                        ; implicit-def: $vgpr3
	s_or_saveexec_b64 s[6:7], s[6:7]
	v_mov_b32_e32 v2, s10
	s_xor_b64 exec, exec, s[6:7]
	s_cbranch_execnz .LBB1_18772
; %bb.54609:
	s_getpc_b64 s[14:15]
.Lpost_getpc12968:
	s_add_u32 s14, s14, (.LBB1_4434-.Lpost_getpc12968)&4294967295
	s_addc_u32 s15, s15, (.LBB1_4434-.Lpost_getpc12968)>>32
	s_setpc_b64 s[14:15]
.LBB1_18772:
	v_cmp_ne_u16_e32 vcc, 0, v3
	s_andn2_b64 s[4:5], s[4:5], exec
	s_and_b64 s[8:9], vcc, exec
	v_mov_b32_e32 v2, 0
	s_or_b64 s[4:5], s[4:5], s[8:9]
	s_or_b64 exec, exec, s[6:7]
	s_and_saveexec_b64 s[6:7], s[4:5]
	s_cbranch_execz .LBB1_30889
; %bb.54611:
	s_getpc_b64 s[14:15]
.Lpost_getpc12969:
	s_add_u32 s14, s14, (.LBB1_4435-.Lpost_getpc12969)&4294967295
	s_addc_u32 s15, s15, (.LBB1_4435-.Lpost_getpc12969)>>32
	s_setpc_b64 s[14:15]
.LBB1_30889:
	s_getpc_b64 s[14:15]
.Lpost_getpc1108:
	s_add_u32 s14, s14, (.LBB1_4436-.Lpost_getpc1108)&4294967295
	s_addc_u32 s15, s15, (.LBB1_4436-.Lpost_getpc1108)>>32
	s_setpc_b64 s[14:15]
.LBB1_18773:
	s_movk_i32 s4, 0x80
	v_cmp_eq_u16_e32 vcc, s4, v3
	s_mov_b64 s[4:5], -1
                                        ; implicit-def: $sgpr10
	s_and_saveexec_b64 s[8:9], vcc
; %bb.18774:
	s_mov_b32 s10, 0x7f800001
	s_xor_b64 s[4:5], exec, -1
; %bb.18775:
	s_or_b64 exec, exec, s[8:9]
	s_and_b64 s[4:5], s[4:5], exec
                                        ; implicit-def: $vgpr3
	s_or_saveexec_b64 s[6:7], s[6:7]
	v_mov_b32_e32 v6, s10
	s_xor_b64 exec, exec, s[6:7]
	s_cbranch_execnz .LBB1_18776
; %bb.54613:
	s_getpc_b64 s[14:15]
.Lpost_getpc12970:
	s_add_u32 s14, s14, (.LBB1_4438-.Lpost_getpc12970)&4294967295
	s_addc_u32 s15, s15, (.LBB1_4438-.Lpost_getpc12970)>>32
	s_setpc_b64 s[14:15]
.LBB1_18776:
	v_cmp_ne_u16_e32 vcc, 0, v3
	s_andn2_b64 s[4:5], s[4:5], exec
	s_and_b64 s[8:9], vcc, exec
	v_mov_b32_e32 v6, 0
	s_or_b64 s[4:5], s[4:5], s[8:9]
	s_or_b64 exec, exec, s[6:7]
	s_and_saveexec_b64 s[6:7], s[4:5]
	s_cbranch_execz .LBB1_30891
; %bb.54615:
	s_getpc_b64 s[14:15]
.Lpost_getpc12971:
	s_add_u32 s14, s14, (.LBB1_4439-.Lpost_getpc12971)&4294967295
	s_addc_u32 s15, s15, (.LBB1_4439-.Lpost_getpc12971)>>32
	s_setpc_b64 s[14:15]
.LBB1_30891:
	s_getpc_b64 s[14:15]
.Lpost_getpc1109:
	s_add_u32 s14, s14, (.LBB1_4440-.Lpost_getpc1109)&4294967295
	s_addc_u32 s15, s15, (.LBB1_4440-.Lpost_getpc1109)>>32
	s_setpc_b64 s[14:15]
.LBB1_18777:
	s_movk_i32 s4, 0x80
	v_cmp_eq_u16_sdwa s[12:13], v8, s4 src0_sel:BYTE_3 src1_sel:DWORD
	s_mov_b64 s[4:5], -1
                                        ; implicit-def: $sgpr10
	s_and_saveexec_b64 s[8:9], s[12:13]
; %bb.18778:
	s_mov_b32 s10, 0x7f800001
	s_xor_b64 s[4:5], exec, -1
; %bb.18779:
	s_or_b64 exec, exec, s[8:9]
	s_and_b64 s[4:5], s[4:5], exec
	s_or_saveexec_b64 s[6:7], s[6:7]
	v_mov_b32_e32 v2, s10
	s_xor_b64 exec, exec, s[6:7]
	s_cbranch_execnz .LBB1_18780
; %bb.54617:
	s_getpc_b64 s[14:15]
.Lpost_getpc12972:
	s_add_u32 s14, s14, (.LBB1_4442-.Lpost_getpc12972)&4294967295
	s_addc_u32 s15, s15, (.LBB1_4442-.Lpost_getpc12972)>>32
	s_setpc_b64 s[14:15]
.LBB1_18780:
	v_mov_b32_e32 v2, 0
	v_cmp_ne_u16_sdwa s[8:9], v8, v2 src0_sel:BYTE_3 src1_sel:DWORD
	s_andn2_b64 s[4:5], s[4:5], exec
	s_and_b64 s[8:9], s[8:9], exec
	s_or_b64 s[4:5], s[4:5], s[8:9]
	s_or_b64 exec, exec, s[6:7]
	s_and_saveexec_b64 s[6:7], s[4:5]
	s_cbranch_execz .LBB1_30893
; %bb.54619:
	s_getpc_b64 s[14:15]
.Lpost_getpc12973:
	s_add_u32 s14, s14, (.LBB1_4443-.Lpost_getpc12973)&4294967295
	s_addc_u32 s15, s15, (.LBB1_4443-.Lpost_getpc12973)>>32
	s_setpc_b64 s[14:15]
.LBB1_30893:
	s_getpc_b64 s[14:15]
.Lpost_getpc1110:
	s_add_u32 s14, s14, (.LBB1_4444-.Lpost_getpc1110)&4294967295
	s_addc_u32 s15, s15, (.LBB1_4444-.Lpost_getpc1110)>>32
	s_setpc_b64 s[14:15]
.LBB1_18781:
	s_movk_i32 s4, 0x80
	v_cmp_eq_u16_sdwa s[12:13], v4, s4 src0_sel:BYTE_3 src1_sel:DWORD
	s_mov_b64 s[4:5], -1
                                        ; implicit-def: $sgpr10
	s_and_saveexec_b64 s[8:9], s[12:13]
; %bb.18782:
	s_mov_b32 s10, 0x7f800001
	s_xor_b64 s[4:5], exec, -1
; %bb.18783:
	s_or_b64 exec, exec, s[8:9]
	s_and_b64 s[4:5], s[4:5], exec
	s_or_saveexec_b64 s[6:7], s[6:7]
	v_mov_b32_e32 v3, s10
	s_xor_b64 exec, exec, s[6:7]
	s_cbranch_execnz .LBB1_18784
; %bb.54621:
	s_getpc_b64 s[14:15]
.Lpost_getpc12974:
	s_add_u32 s14, s14, (.LBB1_4446-.Lpost_getpc12974)&4294967295
	s_addc_u32 s15, s15, (.LBB1_4446-.Lpost_getpc12974)>>32
	s_setpc_b64 s[14:15]
.LBB1_18784:
	v_mov_b32_e32 v3, 0
	v_cmp_ne_u16_sdwa s[8:9], v4, v3 src0_sel:BYTE_3 src1_sel:DWORD
	s_andn2_b64 s[4:5], s[4:5], exec
	s_and_b64 s[8:9], s[8:9], exec
	s_or_b64 s[4:5], s[4:5], s[8:9]
	s_or_b64 exec, exec, s[6:7]
	s_and_saveexec_b64 s[6:7], s[4:5]
	s_cbranch_execz .LBB1_30895
; %bb.54623:
	s_getpc_b64 s[14:15]
.Lpost_getpc12975:
	s_add_u32 s14, s14, (.LBB1_4447-.Lpost_getpc12975)&4294967295
	s_addc_u32 s15, s15, (.LBB1_4447-.Lpost_getpc12975)>>32
	s_setpc_b64 s[14:15]
.LBB1_30895:
	s_getpc_b64 s[14:15]
.Lpost_getpc1111:
	s_add_u32 s14, s14, (.LBB1_4448-.Lpost_getpc1111)&4294967295
	s_addc_u32 s15, s15, (.LBB1_4448-.Lpost_getpc1111)>>32
	s_setpc_b64 s[14:15]
.LBB1_18785:
	s_movk_i32 s4, 0x80
	v_cmp_eq_u16_sdwa s[12:13], v9, s4 src0_sel:BYTE_0 src1_sel:DWORD
	s_mov_b64 s[4:5], -1
                                        ; implicit-def: $sgpr10
	s_and_saveexec_b64 s[8:9], s[12:13]
; %bb.18786:
	s_mov_b32 s10, 0x7f800001
	s_xor_b64 s[4:5], exec, -1
; %bb.18787:
	s_or_b64 exec, exec, s[8:9]
	s_and_b64 s[4:5], s[4:5], exec
	s_or_saveexec_b64 s[6:7], s[6:7]
	v_mov_b32_e32 v2, s10
	s_xor_b64 exec, exec, s[6:7]
	s_cbranch_execnz .LBB1_18788
; %bb.54625:
	s_getpc_b64 s[14:15]
.Lpost_getpc12976:
	s_add_u32 s14, s14, (.LBB1_4450-.Lpost_getpc12976)&4294967295
	s_addc_u32 s15, s15, (.LBB1_4450-.Lpost_getpc12976)>>32
	s_setpc_b64 s[14:15]
.LBB1_18788:
	v_mov_b32_e32 v2, 0
	v_cmp_ne_u16_sdwa s[8:9], v9, v2 src0_sel:BYTE_0 src1_sel:DWORD
	s_andn2_b64 s[4:5], s[4:5], exec
	s_and_b64 s[8:9], s[8:9], exec
	s_or_b64 s[4:5], s[4:5], s[8:9]
	s_or_b64 exec, exec, s[6:7]
	s_and_saveexec_b64 s[6:7], s[4:5]
	s_cbranch_execz .LBB1_30897
; %bb.54627:
	s_getpc_b64 s[14:15]
.Lpost_getpc12977:
	s_add_u32 s14, s14, (.LBB1_4451-.Lpost_getpc12977)&4294967295
	s_addc_u32 s15, s15, (.LBB1_4451-.Lpost_getpc12977)>>32
	s_setpc_b64 s[14:15]
.LBB1_30897:
	s_getpc_b64 s[14:15]
.Lpost_getpc1112:
	s_add_u32 s14, s14, (.LBB1_4452-.Lpost_getpc1112)&4294967295
	s_addc_u32 s15, s15, (.LBB1_4452-.Lpost_getpc1112)>>32
	s_setpc_b64 s[14:15]
.LBB1_18789:
	s_movk_i32 s4, 0x80
	v_cmp_eq_u16_sdwa s[12:13], v5, s4 src0_sel:BYTE_0 src1_sel:DWORD
	s_mov_b64 s[4:5], -1
                                        ; implicit-def: $sgpr10
	s_and_saveexec_b64 s[8:9], s[12:13]
; %bb.18790:
	s_mov_b32 s10, 0x7f800001
	s_xor_b64 s[4:5], exec, -1
; %bb.18791:
	s_or_b64 exec, exec, s[8:9]
	s_and_b64 s[4:5], s[4:5], exec
	s_or_saveexec_b64 s[6:7], s[6:7]
	v_mov_b32_e32 v3, s10
	s_xor_b64 exec, exec, s[6:7]
	s_cbranch_execnz .LBB1_18792
; %bb.54629:
	s_getpc_b64 s[14:15]
.Lpost_getpc12978:
	s_add_u32 s14, s14, (.LBB1_4454-.Lpost_getpc12978)&4294967295
	s_addc_u32 s15, s15, (.LBB1_4454-.Lpost_getpc12978)>>32
	s_setpc_b64 s[14:15]
.LBB1_18792:
	v_mov_b32_e32 v3, 0
	v_cmp_ne_u16_sdwa s[8:9], v5, v3 src0_sel:BYTE_0 src1_sel:DWORD
	s_andn2_b64 s[4:5], s[4:5], exec
	s_and_b64 s[8:9], s[8:9], exec
	s_or_b64 s[4:5], s[4:5], s[8:9]
	s_or_b64 exec, exec, s[6:7]
	s_and_saveexec_b64 s[6:7], s[4:5]
	s_cbranch_execz .LBB1_30899
; %bb.54631:
	s_getpc_b64 s[14:15]
.Lpost_getpc12979:
	s_add_u32 s14, s14, (.LBB1_4455-.Lpost_getpc12979)&4294967295
	s_addc_u32 s15, s15, (.LBB1_4455-.Lpost_getpc12979)>>32
	s_setpc_b64 s[14:15]
.LBB1_30899:
	s_getpc_b64 s[14:15]
.Lpost_getpc1113:
	s_add_u32 s14, s14, (.LBB1_4456-.Lpost_getpc1113)&4294967295
	s_addc_u32 s15, s15, (.LBB1_4456-.Lpost_getpc1113)>>32
	s_setpc_b64 s[14:15]
.LBB1_18793:
	s_movk_i32 s4, 0x80
	v_cmp_eq_u16_sdwa s[12:13], v3, s4 src0_sel:BYTE_0 src1_sel:DWORD
	s_mov_b64 s[4:5], -1
                                        ; implicit-def: $sgpr10
	s_and_saveexec_b64 s[8:9], s[12:13]
; %bb.18794:
	s_mov_b32 s10, 0x7f800001
	s_xor_b64 s[4:5], exec, -1
; %bb.18795:
	s_or_b64 exec, exec, s[8:9]
	s_and_b64 s[4:5], s[4:5], exec
	s_or_saveexec_b64 s[6:7], s[6:7]
	v_mov_b32_e32 v2, s10
	s_xor_b64 exec, exec, s[6:7]
	s_cbranch_execnz .LBB1_18796
; %bb.54633:
	s_getpc_b64 s[14:15]
.Lpost_getpc12980:
	s_add_u32 s14, s14, (.LBB1_4458-.Lpost_getpc12980)&4294967295
	s_addc_u32 s15, s15, (.LBB1_4458-.Lpost_getpc12980)>>32
	s_setpc_b64 s[14:15]
.LBB1_18796:
	v_mov_b32_e32 v2, 0
	v_cmp_ne_u16_sdwa s[8:9], v3, v2 src0_sel:BYTE_0 src1_sel:DWORD
	s_andn2_b64 s[4:5], s[4:5], exec
	s_and_b64 s[8:9], s[8:9], exec
	s_or_b64 s[4:5], s[4:5], s[8:9]
	s_or_b64 exec, exec, s[6:7]
	s_and_saveexec_b64 s[6:7], s[4:5]
	s_cbranch_execz .LBB1_30901
; %bb.54635:
	s_getpc_b64 s[14:15]
.Lpost_getpc12981:
	s_add_u32 s14, s14, (.LBB1_4459-.Lpost_getpc12981)&4294967295
	s_addc_u32 s15, s15, (.LBB1_4459-.Lpost_getpc12981)>>32
	s_setpc_b64 s[14:15]
.LBB1_30901:
	s_getpc_b64 s[14:15]
.Lpost_getpc1114:
	s_add_u32 s14, s14, (.LBB1_4460-.Lpost_getpc1114)&4294967295
	s_addc_u32 s15, s15, (.LBB1_4460-.Lpost_getpc1114)>>32
	s_setpc_b64 s[14:15]
.LBB1_18797:
	s_movk_i32 s4, 0x80
	v_cmp_eq_u16_sdwa s[12:13], v3, s4 src0_sel:BYTE_0 src1_sel:DWORD
	s_mov_b64 s[4:5], -1
                                        ; implicit-def: $sgpr10
	s_and_saveexec_b64 s[8:9], s[12:13]
; %bb.18798:
	s_mov_b32 s10, 0x7f800001
	s_xor_b64 s[4:5], exec, -1
; %bb.18799:
	s_or_b64 exec, exec, s[8:9]
	s_and_b64 s[4:5], s[4:5], exec
	s_or_saveexec_b64 s[6:7], s[6:7]
	v_mov_b32_e32 v4, s10
	s_xor_b64 exec, exec, s[6:7]
	s_cbranch_execnz .LBB1_18800
; %bb.54637:
	s_getpc_b64 s[14:15]
.Lpost_getpc12982:
	s_add_u32 s14, s14, (.LBB1_4462-.Lpost_getpc12982)&4294967295
	s_addc_u32 s15, s15, (.LBB1_4462-.Lpost_getpc12982)>>32
	s_setpc_b64 s[14:15]
.LBB1_18800:
	v_mov_b32_e32 v4, 0
	v_cmp_ne_u16_sdwa s[8:9], v3, v4 src0_sel:BYTE_0 src1_sel:DWORD
	s_andn2_b64 s[4:5], s[4:5], exec
	s_and_b64 s[8:9], s[8:9], exec
	s_or_b64 s[4:5], s[4:5], s[8:9]
	s_or_b64 exec, exec, s[6:7]
	s_and_saveexec_b64 s[6:7], s[4:5]
	s_cbranch_execz .LBB1_30903
; %bb.54639:
	s_getpc_b64 s[14:15]
.Lpost_getpc12983:
	s_add_u32 s14, s14, (.LBB1_4463-.Lpost_getpc12983)&4294967295
	s_addc_u32 s15, s15, (.LBB1_4463-.Lpost_getpc12983)>>32
	s_setpc_b64 s[14:15]
.LBB1_30903:
	s_getpc_b64 s[14:15]
.Lpost_getpc1115:
	s_add_u32 s14, s14, (.LBB1_4464-.Lpost_getpc1115)&4294967295
	s_addc_u32 s15, s15, (.LBB1_4464-.Lpost_getpc1115)>>32
	s_setpc_b64 s[14:15]
.LBB1_18801:
	s_movk_i32 s4, 0x80
	v_cmp_eq_u16_e32 vcc, s4, v3
	s_mov_b64 s[4:5], -1
                                        ; implicit-def: $sgpr10
	s_and_saveexec_b64 s[8:9], vcc
; %bb.18802:
	s_mov_b32 s10, 0x7f800001
	s_xor_b64 s[4:5], exec, -1
; %bb.18803:
	s_or_b64 exec, exec, s[8:9]
	s_and_b64 s[4:5], s[4:5], exec
                                        ; implicit-def: $vgpr3
	s_or_saveexec_b64 s[6:7], s[6:7]
	v_mov_b32_e32 v2, s10
	s_xor_b64 exec, exec, s[6:7]
	s_cbranch_execnz .LBB1_18804
; %bb.54641:
	s_getpc_b64 s[14:15]
.Lpost_getpc12984:
	s_add_u32 s14, s14, (.LBB1_4466-.Lpost_getpc12984)&4294967295
	s_addc_u32 s15, s15, (.LBB1_4466-.Lpost_getpc12984)>>32
	s_setpc_b64 s[14:15]
.LBB1_18804:
	v_cmp_ne_u16_e32 vcc, 0, v3
	s_andn2_b64 s[4:5], s[4:5], exec
	s_and_b64 s[8:9], vcc, exec
	v_mov_b32_e32 v2, 0
	s_or_b64 s[4:5], s[4:5], s[8:9]
	s_or_b64 exec, exec, s[6:7]
	s_and_saveexec_b64 s[6:7], s[4:5]
	s_cbranch_execz .LBB1_30905
; %bb.54643:
	s_getpc_b64 s[14:15]
.Lpost_getpc12985:
	s_add_u32 s14, s14, (.LBB1_4467-.Lpost_getpc12985)&4294967295
	s_addc_u32 s15, s15, (.LBB1_4467-.Lpost_getpc12985)>>32
	s_setpc_b64 s[14:15]
.LBB1_30905:
	s_getpc_b64 s[14:15]
.Lpost_getpc1116:
	s_add_u32 s14, s14, (.LBB1_4468-.Lpost_getpc1116)&4294967295
	s_addc_u32 s15, s15, (.LBB1_4468-.Lpost_getpc1116)>>32
	s_setpc_b64 s[14:15]
.LBB1_18805:
	s_movk_i32 s4, 0x80
	v_cmp_eq_u16_e32 vcc, s4, v3
	s_mov_b64 s[4:5], -1
                                        ; implicit-def: $sgpr10
	s_and_saveexec_b64 s[8:9], vcc
; %bb.18806:
	s_mov_b32 s10, 0x7f800001
	s_xor_b64 s[4:5], exec, -1
; %bb.18807:
	s_or_b64 exec, exec, s[8:9]
	s_and_b64 s[4:5], s[4:5], exec
                                        ; implicit-def: $vgpr3
	s_or_saveexec_b64 s[6:7], s[6:7]
	v_mov_b32_e32 v4, s10
	s_xor_b64 exec, exec, s[6:7]
	s_cbranch_execnz .LBB1_18808
; %bb.54645:
	s_getpc_b64 s[14:15]
.Lpost_getpc12986:
	s_add_u32 s14, s14, (.LBB1_4470-.Lpost_getpc12986)&4294967295
	s_addc_u32 s15, s15, (.LBB1_4470-.Lpost_getpc12986)>>32
	s_setpc_b64 s[14:15]
.LBB1_18808:
	v_cmp_ne_u16_e32 vcc, 0, v3
	s_andn2_b64 s[4:5], s[4:5], exec
	s_and_b64 s[8:9], vcc, exec
	v_mov_b32_e32 v4, 0
	s_or_b64 s[4:5], s[4:5], s[8:9]
	s_or_b64 exec, exec, s[6:7]
	s_and_saveexec_b64 s[6:7], s[4:5]
	s_cbranch_execz .LBB1_30907
; %bb.54647:
	s_getpc_b64 s[14:15]
.Lpost_getpc12987:
	s_add_u32 s14, s14, (.LBB1_4471-.Lpost_getpc12987)&4294967295
	s_addc_u32 s15, s15, (.LBB1_4471-.Lpost_getpc12987)>>32
	s_setpc_b64 s[14:15]
.LBB1_30907:
	s_getpc_b64 s[14:15]
.Lpost_getpc1117:
	s_add_u32 s14, s14, (.LBB1_4472-.Lpost_getpc1117)&4294967295
	s_addc_u32 s15, s15, (.LBB1_4472-.Lpost_getpc1117)>>32
	s_setpc_b64 s[14:15]
.LBB1_18809:
	s_movk_i32 s4, 0x80
	v_cmp_eq_u16_sdwa s[12:13], v9, s4 src0_sel:BYTE_3 src1_sel:DWORD
	s_mov_b64 s[4:5], -1
                                        ; implicit-def: $sgpr10
	s_and_saveexec_b64 s[8:9], s[12:13]
; %bb.18810:
	s_mov_b32 s10, 0x7f800001
	s_xor_b64 s[4:5], exec, -1
; %bb.18811:
	s_or_b64 exec, exec, s[8:9]
	s_and_b64 s[4:5], s[4:5], exec
	s_or_saveexec_b64 s[6:7], s[6:7]
	v_mov_b32_e32 v2, s10
	s_xor_b64 exec, exec, s[6:7]
	s_cbranch_execnz .LBB1_18812
; %bb.54649:
	s_getpc_b64 s[14:15]
.Lpost_getpc12988:
	s_add_u32 s14, s14, (.LBB1_4474-.Lpost_getpc12988)&4294967295
	s_addc_u32 s15, s15, (.LBB1_4474-.Lpost_getpc12988)>>32
	s_setpc_b64 s[14:15]
.LBB1_18812:
	v_mov_b32_e32 v2, 0
	v_cmp_ne_u16_sdwa s[8:9], v9, v2 src0_sel:BYTE_3 src1_sel:DWORD
	s_andn2_b64 s[4:5], s[4:5], exec
	s_and_b64 s[8:9], s[8:9], exec
	s_or_b64 s[4:5], s[4:5], s[8:9]
	s_or_b64 exec, exec, s[6:7]
	s_and_saveexec_b64 s[6:7], s[4:5]
	s_cbranch_execz .LBB1_30909
; %bb.54651:
	s_getpc_b64 s[14:15]
.Lpost_getpc12989:
	s_add_u32 s14, s14, (.LBB1_4475-.Lpost_getpc12989)&4294967295
	s_addc_u32 s15, s15, (.LBB1_4475-.Lpost_getpc12989)>>32
	s_setpc_b64 s[14:15]
.LBB1_30909:
	s_getpc_b64 s[14:15]
.Lpost_getpc1118:
	s_add_u32 s14, s14, (.LBB1_4476-.Lpost_getpc1118)&4294967295
	s_addc_u32 s15, s15, (.LBB1_4476-.Lpost_getpc1118)>>32
	s_setpc_b64 s[14:15]
.LBB1_18813:
	s_movk_i32 s4, 0x80
	v_cmp_eq_u16_sdwa s[12:13], v5, s4 src0_sel:BYTE_3 src1_sel:DWORD
	s_mov_b64 s[4:5], -1
                                        ; implicit-def: $sgpr10
	s_and_saveexec_b64 s[8:9], s[12:13]
; %bb.18814:
	s_mov_b32 s10, 0x7f800001
	s_xor_b64 s[4:5], exec, -1
; %bb.18815:
	s_or_b64 exec, exec, s[8:9]
	s_and_b64 s[4:5], s[4:5], exec
	s_or_saveexec_b64 s[6:7], s[6:7]
	v_mov_b32_e32 v3, s10
	s_xor_b64 exec, exec, s[6:7]
	s_cbranch_execnz .LBB1_18816
; %bb.54653:
	s_getpc_b64 s[14:15]
.Lpost_getpc12990:
	s_add_u32 s14, s14, (.LBB1_4478-.Lpost_getpc12990)&4294967295
	s_addc_u32 s15, s15, (.LBB1_4478-.Lpost_getpc12990)>>32
	s_setpc_b64 s[14:15]
.LBB1_18816:
	v_mov_b32_e32 v3, 0
	v_cmp_ne_u16_sdwa s[8:9], v5, v3 src0_sel:BYTE_3 src1_sel:DWORD
	s_andn2_b64 s[4:5], s[4:5], exec
	s_and_b64 s[8:9], s[8:9], exec
	s_or_b64 s[4:5], s[4:5], s[8:9]
	s_or_b64 exec, exec, s[6:7]
	s_and_saveexec_b64 s[6:7], s[4:5]
	s_cbranch_execz .LBB1_30911
; %bb.54655:
	s_getpc_b64 s[14:15]
.Lpost_getpc12991:
	s_add_u32 s14, s14, (.LBB1_4479-.Lpost_getpc12991)&4294967295
	s_addc_u32 s15, s15, (.LBB1_4479-.Lpost_getpc12991)>>32
	s_setpc_b64 s[14:15]
.LBB1_30911:
	s_getpc_b64 s[14:15]
.Lpost_getpc1119:
	s_add_u32 s14, s14, (.LBB1_4480-.Lpost_getpc1119)&4294967295
	s_addc_u32 s15, s15, (.LBB1_4480-.Lpost_getpc1119)>>32
	s_setpc_b64 s[14:15]
.LBB1_18817:
	s_movk_i32 s4, 0x80
	v_cmp_eq_u16_sdwa s[12:13], v6, s4 src0_sel:BYTE_0 src1_sel:DWORD
	s_mov_b64 s[4:5], -1
                                        ; implicit-def: $sgpr10
	s_and_saveexec_b64 s[8:9], s[12:13]
; %bb.18818:
	s_mov_b32 s10, 0x7f800001
	s_xor_b64 s[4:5], exec, -1
; %bb.18819:
	s_or_b64 exec, exec, s[8:9]
	s_and_b64 s[4:5], s[4:5], exec
	s_or_saveexec_b64 s[6:7], s[6:7]
	v_mov_b32_e32 v12, s10
	s_xor_b64 exec, exec, s[6:7]
	s_cbranch_execnz .LBB1_18820
; %bb.54657:
	s_getpc_b64 s[14:15]
.Lpost_getpc12992:
	s_add_u32 s14, s14, (.LBB1_4482-.Lpost_getpc12992)&4294967295
	s_addc_u32 s15, s15, (.LBB1_4482-.Lpost_getpc12992)>>32
	s_setpc_b64 s[14:15]
.LBB1_18820:
	v_mov_b32_e32 v12, 0
	v_cmp_ne_u16_sdwa s[8:9], v6, v12 src0_sel:BYTE_0 src1_sel:DWORD
	s_andn2_b64 s[4:5], s[4:5], exec
	s_and_b64 s[8:9], s[8:9], exec
	s_or_b64 s[4:5], s[4:5], s[8:9]
	s_or_b64 exec, exec, s[6:7]
	s_and_saveexec_b64 s[6:7], s[4:5]
	s_cbranch_execz .LBB1_30913
; %bb.54659:
	s_getpc_b64 s[14:15]
.Lpost_getpc12993:
	s_add_u32 s14, s14, (.LBB1_4483-.Lpost_getpc12993)&4294967295
	s_addc_u32 s15, s15, (.LBB1_4483-.Lpost_getpc12993)>>32
	s_setpc_b64 s[14:15]
.LBB1_30913:
	s_getpc_b64 s[14:15]
.Lpost_getpc1120:
	s_add_u32 s14, s14, (.LBB1_4484-.Lpost_getpc1120)&4294967295
	s_addc_u32 s15, s15, (.LBB1_4484-.Lpost_getpc1120)>>32
	s_setpc_b64 s[14:15]
.LBB1_18821:
	s_movk_i32 s4, 0x80
	v_cmp_eq_u16_sdwa s[12:13], v2, s4 src0_sel:BYTE_0 src1_sel:DWORD
	s_mov_b64 s[4:5], -1
                                        ; implicit-def: $sgpr10
	s_and_saveexec_b64 s[8:9], s[12:13]
; %bb.18822:
	s_mov_b32 s10, 0x7f800001
	s_xor_b64 s[4:5], exec, -1
; %bb.18823:
	s_or_b64 exec, exec, s[8:9]
	s_and_b64 s[4:5], s[4:5], exec
	s_or_saveexec_b64 s[6:7], s[6:7]
	v_mov_b32_e32 v13, s10
	s_xor_b64 exec, exec, s[6:7]
	s_cbranch_execnz .LBB1_18824
; %bb.54661:
	s_getpc_b64 s[14:15]
.Lpost_getpc12994:
	s_add_u32 s14, s14, (.LBB1_4486-.Lpost_getpc12994)&4294967295
	s_addc_u32 s15, s15, (.LBB1_4486-.Lpost_getpc12994)>>32
	s_setpc_b64 s[14:15]
.LBB1_18824:
	v_mov_b32_e32 v13, 0
	v_cmp_ne_u16_sdwa s[8:9], v2, v13 src0_sel:BYTE_0 src1_sel:DWORD
	s_andn2_b64 s[4:5], s[4:5], exec
	s_and_b64 s[8:9], s[8:9], exec
	s_or_b64 s[4:5], s[4:5], s[8:9]
	s_or_b64 exec, exec, s[6:7]
	s_and_saveexec_b64 s[6:7], s[4:5]
	s_cbranch_execz .LBB1_30915
; %bb.54663:
	s_getpc_b64 s[14:15]
.Lpost_getpc12995:
	s_add_u32 s14, s14, (.LBB1_4487-.Lpost_getpc12995)&4294967295
	s_addc_u32 s15, s15, (.LBB1_4487-.Lpost_getpc12995)>>32
	s_setpc_b64 s[14:15]
.LBB1_30915:
	s_getpc_b64 s[14:15]
.Lpost_getpc1121:
	s_add_u32 s14, s14, (.LBB1_4488-.Lpost_getpc1121)&4294967295
	s_addc_u32 s15, s15, (.LBB1_4488-.Lpost_getpc1121)>>32
	s_setpc_b64 s[14:15]
.LBB1_18825:
	s_movk_i32 s4, 0x80
	v_cmp_eq_u16_sdwa s[12:13], v13, s4 src0_sel:BYTE_0 src1_sel:DWORD
	s_mov_b64 s[4:5], -1
                                        ; implicit-def: $sgpr10
	s_and_saveexec_b64 s[8:9], s[12:13]
; %bb.18826:
	s_mov_b32 s10, 0x7f800001
	s_xor_b64 s[4:5], exec, -1
; %bb.18827:
	s_or_b64 exec, exec, s[8:9]
	s_and_b64 s[4:5], s[4:5], exec
	s_or_saveexec_b64 s[6:7], s[6:7]
	v_mov_b32_e32 v12, s10
	s_xor_b64 exec, exec, s[6:7]
	s_cbranch_execnz .LBB1_18828
; %bb.54665:
	s_getpc_b64 s[14:15]
.Lpost_getpc12996:
	s_add_u32 s14, s14, (.LBB1_4490-.Lpost_getpc12996)&4294967295
	s_addc_u32 s15, s15, (.LBB1_4490-.Lpost_getpc12996)>>32
	s_setpc_b64 s[14:15]
.LBB1_18828:
	v_mov_b32_e32 v12, 0
	v_cmp_ne_u16_sdwa s[8:9], v13, v12 src0_sel:BYTE_0 src1_sel:DWORD
	s_andn2_b64 s[4:5], s[4:5], exec
	s_and_b64 s[8:9], s[8:9], exec
	s_or_b64 s[4:5], s[4:5], s[8:9]
	s_or_b64 exec, exec, s[6:7]
	s_and_saveexec_b64 s[6:7], s[4:5]
	s_cbranch_execz .LBB1_30917
; %bb.54667:
	s_getpc_b64 s[14:15]
.Lpost_getpc12997:
	s_add_u32 s14, s14, (.LBB1_4491-.Lpost_getpc12997)&4294967295
	s_addc_u32 s15, s15, (.LBB1_4491-.Lpost_getpc12997)>>32
	s_setpc_b64 s[14:15]
.LBB1_30917:
	s_getpc_b64 s[14:15]
.Lpost_getpc1122:
	s_add_u32 s14, s14, (.LBB1_4492-.Lpost_getpc1122)&4294967295
	s_addc_u32 s15, s15, (.LBB1_4492-.Lpost_getpc1122)>>32
	s_setpc_b64 s[14:15]
.LBB1_18829:
	s_movk_i32 s4, 0x80
	v_cmp_eq_u16_sdwa s[12:13], v13, s4 src0_sel:BYTE_0 src1_sel:DWORD
	s_mov_b64 s[4:5], -1
                                        ; implicit-def: $sgpr10
	s_and_saveexec_b64 s[8:9], s[12:13]
; %bb.18830:
	s_mov_b32 s10, 0x7f800001
	s_xor_b64 s[4:5], exec, -1
; %bb.18831:
	s_or_b64 exec, exec, s[8:9]
	s_and_b64 s[4:5], s[4:5], exec
	s_or_saveexec_b64 s[6:7], s[6:7]
	v_mov_b32_e32 v14, s10
	s_xor_b64 exec, exec, s[6:7]
	s_cbranch_execnz .LBB1_18832
; %bb.54669:
	s_getpc_b64 s[14:15]
.Lpost_getpc12998:
	s_add_u32 s14, s14, (.LBB1_4494-.Lpost_getpc12998)&4294967295
	s_addc_u32 s15, s15, (.LBB1_4494-.Lpost_getpc12998)>>32
	s_setpc_b64 s[14:15]
.LBB1_18832:
	v_mov_b32_e32 v14, 0
	v_cmp_ne_u16_sdwa s[8:9], v13, v14 src0_sel:BYTE_0 src1_sel:DWORD
	s_andn2_b64 s[4:5], s[4:5], exec
	s_and_b64 s[8:9], s[8:9], exec
	s_or_b64 s[4:5], s[4:5], s[8:9]
	s_or_b64 exec, exec, s[6:7]
	s_and_saveexec_b64 s[6:7], s[4:5]
	s_cbranch_execz .LBB1_30919
; %bb.54671:
	s_getpc_b64 s[14:15]
.Lpost_getpc12999:
	s_add_u32 s14, s14, (.LBB1_4495-.Lpost_getpc12999)&4294967295
	s_addc_u32 s15, s15, (.LBB1_4495-.Lpost_getpc12999)>>32
	s_setpc_b64 s[14:15]
.LBB1_30919:
	s_getpc_b64 s[14:15]
.Lpost_getpc1123:
	s_add_u32 s14, s14, (.LBB1_4496-.Lpost_getpc1123)&4294967295
	s_addc_u32 s15, s15, (.LBB1_4496-.Lpost_getpc1123)>>32
	s_setpc_b64 s[14:15]
.LBB1_18833:
	s_movk_i32 s4, 0x80
	v_cmp_eq_u16_e32 vcc, s4, v13
	s_mov_b64 s[4:5], -1
                                        ; implicit-def: $sgpr10
	s_and_saveexec_b64 s[8:9], vcc
; %bb.18834:
	s_mov_b32 s10, 0x7f800001
	s_xor_b64 s[4:5], exec, -1
; %bb.18835:
	s_or_b64 exec, exec, s[8:9]
	s_and_b64 s[4:5], s[4:5], exec
                                        ; implicit-def: $vgpr13
	s_or_saveexec_b64 s[6:7], s[6:7]
	v_mov_b32_e32 v12, s10
	s_xor_b64 exec, exec, s[6:7]
	s_cbranch_execnz .LBB1_18836
; %bb.54673:
	s_getpc_b64 s[14:15]
.Lpost_getpc13000:
	s_add_u32 s14, s14, (.LBB1_4498-.Lpost_getpc13000)&4294967295
	s_addc_u32 s15, s15, (.LBB1_4498-.Lpost_getpc13000)>>32
	s_setpc_b64 s[14:15]
.LBB1_18836:
	v_cmp_ne_u16_e32 vcc, 0, v13
	s_andn2_b64 s[4:5], s[4:5], exec
	s_and_b64 s[8:9], vcc, exec
	v_mov_b32_e32 v12, 0
	s_or_b64 s[4:5], s[4:5], s[8:9]
	s_or_b64 exec, exec, s[6:7]
	s_and_saveexec_b64 s[6:7], s[4:5]
	s_cbranch_execz .LBB1_30921
; %bb.54675:
	s_getpc_b64 s[14:15]
.Lpost_getpc13001:
	s_add_u32 s14, s14, (.LBB1_4499-.Lpost_getpc13001)&4294967295
	s_addc_u32 s15, s15, (.LBB1_4499-.Lpost_getpc13001)>>32
	s_setpc_b64 s[14:15]
.LBB1_30921:
	s_getpc_b64 s[14:15]
.Lpost_getpc1124:
	s_add_u32 s14, s14, (.LBB1_4500-.Lpost_getpc1124)&4294967295
	s_addc_u32 s15, s15, (.LBB1_4500-.Lpost_getpc1124)>>32
	s_setpc_b64 s[14:15]
.LBB1_18837:
	s_movk_i32 s4, 0x80
	v_cmp_eq_u16_e32 vcc, s4, v13
	s_mov_b64 s[4:5], -1
                                        ; implicit-def: $sgpr10
	s_and_saveexec_b64 s[8:9], vcc
; %bb.18838:
	s_mov_b32 s10, 0x7f800001
	s_xor_b64 s[4:5], exec, -1
; %bb.18839:
	s_or_b64 exec, exec, s[8:9]
	s_and_b64 s[4:5], s[4:5], exec
                                        ; implicit-def: $vgpr13
	s_or_saveexec_b64 s[6:7], s[6:7]
	v_mov_b32_e32 v14, s10
	s_xor_b64 exec, exec, s[6:7]
	s_cbranch_execnz .LBB1_18840
; %bb.54677:
	s_getpc_b64 s[14:15]
.Lpost_getpc13002:
	s_add_u32 s14, s14, (.LBB1_4502-.Lpost_getpc13002)&4294967295
	s_addc_u32 s15, s15, (.LBB1_4502-.Lpost_getpc13002)>>32
	s_setpc_b64 s[14:15]
.LBB1_18840:
	v_cmp_ne_u16_e32 vcc, 0, v13
	s_andn2_b64 s[4:5], s[4:5], exec
	s_and_b64 s[8:9], vcc, exec
	v_mov_b32_e32 v14, 0
	s_or_b64 s[4:5], s[4:5], s[8:9]
	s_or_b64 exec, exec, s[6:7]
	s_and_saveexec_b64 s[6:7], s[4:5]
	s_cbranch_execz .LBB1_30923
; %bb.54679:
	s_getpc_b64 s[14:15]
.Lpost_getpc13003:
	s_add_u32 s14, s14, (.LBB1_4503-.Lpost_getpc13003)&4294967295
	s_addc_u32 s15, s15, (.LBB1_4503-.Lpost_getpc13003)>>32
	s_setpc_b64 s[14:15]
.LBB1_30923:
	s_getpc_b64 s[14:15]
.Lpost_getpc1125:
	s_add_u32 s14, s14, (.LBB1_4504-.Lpost_getpc1125)&4294967295
	s_addc_u32 s15, s15, (.LBB1_4504-.Lpost_getpc1125)>>32
	s_setpc_b64 s[14:15]
.LBB1_18841:
	s_movk_i32 s4, 0x80
	v_cmp_eq_u16_sdwa s[12:13], v6, s4 src0_sel:BYTE_3 src1_sel:DWORD
	s_mov_b64 s[4:5], -1
                                        ; implicit-def: $sgpr10
	s_and_saveexec_b64 s[8:9], s[12:13]
; %bb.18842:
	s_mov_b32 s10, 0x7f800001
	s_xor_b64 s[4:5], exec, -1
; %bb.18843:
	s_or_b64 exec, exec, s[8:9]
	s_and_b64 s[4:5], s[4:5], exec
	s_or_saveexec_b64 s[6:7], s[6:7]
	v_mov_b32_e32 v12, s10
	s_xor_b64 exec, exec, s[6:7]
	s_cbranch_execnz .LBB1_18844
; %bb.54681:
	s_getpc_b64 s[14:15]
.Lpost_getpc13004:
	s_add_u32 s14, s14, (.LBB1_4506-.Lpost_getpc13004)&4294967295
	s_addc_u32 s15, s15, (.LBB1_4506-.Lpost_getpc13004)>>32
	s_setpc_b64 s[14:15]
.LBB1_18844:
	v_mov_b32_e32 v12, 0
	v_cmp_ne_u16_sdwa s[8:9], v6, v12 src0_sel:BYTE_3 src1_sel:DWORD
	s_andn2_b64 s[4:5], s[4:5], exec
	s_and_b64 s[8:9], s[8:9], exec
	s_or_b64 s[4:5], s[4:5], s[8:9]
	s_or_b64 exec, exec, s[6:7]
	s_and_saveexec_b64 s[6:7], s[4:5]
	s_cbranch_execz .LBB1_30925
; %bb.54683:
	s_getpc_b64 s[14:15]
.Lpost_getpc13005:
	s_add_u32 s14, s14, (.LBB1_4507-.Lpost_getpc13005)&4294967295
	s_addc_u32 s15, s15, (.LBB1_4507-.Lpost_getpc13005)>>32
	s_setpc_b64 s[14:15]
.LBB1_30925:
	s_getpc_b64 s[14:15]
.Lpost_getpc1126:
	s_add_u32 s14, s14, (.LBB1_4508-.Lpost_getpc1126)&4294967295
	s_addc_u32 s15, s15, (.LBB1_4508-.Lpost_getpc1126)>>32
	s_setpc_b64 s[14:15]
.LBB1_18845:
	s_movk_i32 s4, 0x80
	v_cmp_eq_u16_sdwa s[12:13], v2, s4 src0_sel:BYTE_3 src1_sel:DWORD
	s_mov_b64 s[4:5], -1
                                        ; implicit-def: $sgpr10
	s_and_saveexec_b64 s[8:9], s[12:13]
; %bb.18846:
	s_mov_b32 s10, 0x7f800001
	s_xor_b64 s[4:5], exec, -1
; %bb.18847:
	s_or_b64 exec, exec, s[8:9]
	s_and_b64 s[4:5], s[4:5], exec
	s_or_saveexec_b64 s[6:7], s[6:7]
	v_mov_b32_e32 v6, s10
	s_xor_b64 exec, exec, s[6:7]
	s_cbranch_execnz .LBB1_18848
; %bb.54685:
	s_getpc_b64 s[14:15]
.Lpost_getpc13006:
	s_add_u32 s14, s14, (.LBB1_4510-.Lpost_getpc13006)&4294967295
	s_addc_u32 s15, s15, (.LBB1_4510-.Lpost_getpc13006)>>32
	s_setpc_b64 s[14:15]
.LBB1_18848:
	v_mov_b32_e32 v6, 0
	v_cmp_ne_u16_sdwa s[8:9], v2, v6 src0_sel:BYTE_3 src1_sel:DWORD
	s_andn2_b64 s[4:5], s[4:5], exec
	s_and_b64 s[8:9], s[8:9], exec
	s_or_b64 s[4:5], s[4:5], s[8:9]
	s_or_b64 exec, exec, s[6:7]
	s_and_saveexec_b64 s[6:7], s[4:5]
	s_cbranch_execz .LBB1_30927
; %bb.54687:
	s_getpc_b64 s[14:15]
.Lpost_getpc13007:
	s_add_u32 s14, s14, (.LBB1_4511-.Lpost_getpc13007)&4294967295
	s_addc_u32 s15, s15, (.LBB1_4511-.Lpost_getpc13007)>>32
	s_setpc_b64 s[14:15]
.LBB1_30927:
	s_getpc_b64 s[14:15]
.Lpost_getpc1127:
	s_add_u32 s14, s14, (.LBB1_4512-.Lpost_getpc1127)&4294967295
	s_addc_u32 s15, s15, (.LBB1_4512-.Lpost_getpc1127)>>32
	s_setpc_b64 s[14:15]
.LBB1_18849:
	s_movk_i32 s4, 0x80
	v_cmp_eq_u16_sdwa s[12:13], v7, s4 src0_sel:BYTE_0 src1_sel:DWORD
	s_mov_b64 s[4:5], -1
                                        ; implicit-def: $sgpr10
	s_and_saveexec_b64 s[8:9], s[12:13]
; %bb.18850:
	s_mov_b32 s10, 0x7f800001
	s_xor_b64 s[4:5], exec, -1
; %bb.18851:
	s_or_b64 exec, exec, s[8:9]
	s_and_b64 s[4:5], s[4:5], exec
	s_or_saveexec_b64 s[6:7], s[6:7]
	v_mov_b32_e32 v2, s10
	s_xor_b64 exec, exec, s[6:7]
	s_cbranch_execnz .LBB1_18852
; %bb.54689:
	s_getpc_b64 s[14:15]
.Lpost_getpc13008:
	s_add_u32 s14, s14, (.LBB1_4514-.Lpost_getpc13008)&4294967295
	s_addc_u32 s15, s15, (.LBB1_4514-.Lpost_getpc13008)>>32
	s_setpc_b64 s[14:15]
.LBB1_18852:
	v_mov_b32_e32 v2, 0
	v_cmp_ne_u16_sdwa s[8:9], v7, v2 src0_sel:BYTE_0 src1_sel:DWORD
	s_andn2_b64 s[4:5], s[4:5], exec
	s_and_b64 s[8:9], s[8:9], exec
	s_or_b64 s[4:5], s[4:5], s[8:9]
	s_or_b64 exec, exec, s[6:7]
	s_and_saveexec_b64 s[6:7], s[4:5]
	s_cbranch_execz .LBB1_30929
; %bb.54691:
	s_getpc_b64 s[14:15]
.Lpost_getpc13009:
	s_add_u32 s14, s14, (.LBB1_4515-.Lpost_getpc13009)&4294967295
	s_addc_u32 s15, s15, (.LBB1_4515-.Lpost_getpc13009)>>32
	s_setpc_b64 s[14:15]
.LBB1_30929:
	s_getpc_b64 s[14:15]
.Lpost_getpc1128:
	s_add_u32 s14, s14, (.LBB1_4516-.Lpost_getpc1128)&4294967295
	s_addc_u32 s15, s15, (.LBB1_4516-.Lpost_getpc1128)>>32
	s_setpc_b64 s[14:15]
.LBB1_18853:
	s_movk_i32 s4, 0x80
	v_cmp_eq_u16_sdwa s[12:13], v3, s4 src0_sel:BYTE_0 src1_sel:DWORD
	s_mov_b64 s[4:5], -1
                                        ; implicit-def: $sgpr10
	s_and_saveexec_b64 s[8:9], s[12:13]
; %bb.18854:
	s_mov_b32 s10, 0x7f800001
	s_xor_b64 s[4:5], exec, -1
; %bb.18855:
	s_or_b64 exec, exec, s[8:9]
	s_and_b64 s[4:5], s[4:5], exec
	s_or_saveexec_b64 s[6:7], s[6:7]
	v_mov_b32_e32 v6, s10
	s_xor_b64 exec, exec, s[6:7]
	s_cbranch_execnz .LBB1_18856
; %bb.54693:
	s_getpc_b64 s[14:15]
.Lpost_getpc13010:
	s_add_u32 s14, s14, (.LBB1_4518-.Lpost_getpc13010)&4294967295
	s_addc_u32 s15, s15, (.LBB1_4518-.Lpost_getpc13010)>>32
	s_setpc_b64 s[14:15]
.LBB1_18856:
	v_mov_b32_e32 v6, 0
	v_cmp_ne_u16_sdwa s[8:9], v3, v6 src0_sel:BYTE_0 src1_sel:DWORD
	s_andn2_b64 s[4:5], s[4:5], exec
	s_and_b64 s[8:9], s[8:9], exec
	s_or_b64 s[4:5], s[4:5], s[8:9]
	s_or_b64 exec, exec, s[6:7]
	s_and_saveexec_b64 s[6:7], s[4:5]
	s_cbranch_execz .LBB1_30931
; %bb.54695:
	s_getpc_b64 s[14:15]
.Lpost_getpc13011:
	s_add_u32 s14, s14, (.LBB1_4519-.Lpost_getpc13011)&4294967295
	s_addc_u32 s15, s15, (.LBB1_4519-.Lpost_getpc13011)>>32
	s_setpc_b64 s[14:15]
.LBB1_30931:
	s_getpc_b64 s[14:15]
.Lpost_getpc1129:
	s_add_u32 s14, s14, (.LBB1_4520-.Lpost_getpc1129)&4294967295
	s_addc_u32 s15, s15, (.LBB1_4520-.Lpost_getpc1129)>>32
	s_setpc_b64 s[14:15]
.LBB1_18857:
	s_movk_i32 s4, 0x80
	v_cmp_eq_u16_sdwa s[12:13], v6, s4 src0_sel:BYTE_0 src1_sel:DWORD
	s_mov_b64 s[4:5], -1
                                        ; implicit-def: $sgpr10
	s_and_saveexec_b64 s[8:9], s[12:13]
; %bb.18858:
	s_mov_b32 s10, 0x7f800001
	s_xor_b64 s[4:5], exec, -1
; %bb.18859:
	s_or_b64 exec, exec, s[8:9]
	s_and_b64 s[4:5], s[4:5], exec
	s_or_saveexec_b64 s[6:7], s[6:7]
	v_mov_b32_e32 v2, s10
	s_xor_b64 exec, exec, s[6:7]
	s_cbranch_execnz .LBB1_18860
; %bb.54697:
	s_getpc_b64 s[14:15]
.Lpost_getpc13012:
	s_add_u32 s14, s14, (.LBB1_4522-.Lpost_getpc13012)&4294967295
	s_addc_u32 s15, s15, (.LBB1_4522-.Lpost_getpc13012)>>32
	s_setpc_b64 s[14:15]
.LBB1_18860:
	v_mov_b32_e32 v2, 0
	v_cmp_ne_u16_sdwa s[8:9], v6, v2 src0_sel:BYTE_0 src1_sel:DWORD
	s_andn2_b64 s[4:5], s[4:5], exec
	s_and_b64 s[8:9], s[8:9], exec
	s_or_b64 s[4:5], s[4:5], s[8:9]
	s_or_b64 exec, exec, s[6:7]
	s_and_saveexec_b64 s[6:7], s[4:5]
	s_cbranch_execz .LBB1_30933
; %bb.54699:
	s_getpc_b64 s[14:15]
.Lpost_getpc13013:
	s_add_u32 s14, s14, (.LBB1_4523-.Lpost_getpc13013)&4294967295
	s_addc_u32 s15, s15, (.LBB1_4523-.Lpost_getpc13013)>>32
	s_setpc_b64 s[14:15]
.LBB1_30933:
	s_getpc_b64 s[14:15]
.Lpost_getpc1130:
	s_add_u32 s14, s14, (.LBB1_4524-.Lpost_getpc1130)&4294967295
	s_addc_u32 s15, s15, (.LBB1_4524-.Lpost_getpc1130)>>32
	s_setpc_b64 s[14:15]
.LBB1_18861:
	s_movk_i32 s4, 0x80
	v_cmp_eq_u16_sdwa s[12:13], v6, s4 src0_sel:BYTE_0 src1_sel:DWORD
	s_mov_b64 s[4:5], -1
                                        ; implicit-def: $sgpr10
	s_and_saveexec_b64 s[8:9], s[12:13]
; %bb.18862:
	s_mov_b32 s10, 0x7f800001
	s_xor_b64 s[4:5], exec, -1
; %bb.18863:
	s_or_b64 exec, exec, s[8:9]
	s_and_b64 s[4:5], s[4:5], exec
	s_or_saveexec_b64 s[6:7], s[6:7]
	v_mov_b32_e32 v12, s10
	s_xor_b64 exec, exec, s[6:7]
	s_cbranch_execnz .LBB1_18864
; %bb.54701:
	s_getpc_b64 s[14:15]
.Lpost_getpc13014:
	s_add_u32 s14, s14, (.LBB1_4526-.Lpost_getpc13014)&4294967295
	s_addc_u32 s15, s15, (.LBB1_4526-.Lpost_getpc13014)>>32
	s_setpc_b64 s[14:15]
.LBB1_18864:
	v_mov_b32_e32 v12, 0
	v_cmp_ne_u16_sdwa s[8:9], v6, v12 src0_sel:BYTE_0 src1_sel:DWORD
	s_andn2_b64 s[4:5], s[4:5], exec
	s_and_b64 s[8:9], s[8:9], exec
	s_or_b64 s[4:5], s[4:5], s[8:9]
	s_or_b64 exec, exec, s[6:7]
	s_and_saveexec_b64 s[6:7], s[4:5]
	s_cbranch_execz .LBB1_30935
; %bb.54703:
	s_getpc_b64 s[14:15]
.Lpost_getpc13015:
	s_add_u32 s14, s14, (.LBB1_4527-.Lpost_getpc13015)&4294967295
	s_addc_u32 s15, s15, (.LBB1_4527-.Lpost_getpc13015)>>32
	s_setpc_b64 s[14:15]
.LBB1_30935:
	s_getpc_b64 s[14:15]
.Lpost_getpc1131:
	s_add_u32 s14, s14, (.LBB1_4528-.Lpost_getpc1131)&4294967295
	s_addc_u32 s15, s15, (.LBB1_4528-.Lpost_getpc1131)>>32
	s_setpc_b64 s[14:15]
.LBB1_18865:
	s_movk_i32 s4, 0x80
	v_cmp_eq_u16_e32 vcc, s4, v6
	s_mov_b64 s[4:5], -1
                                        ; implicit-def: $sgpr10
	s_and_saveexec_b64 s[8:9], vcc
; %bb.18866:
	s_mov_b32 s10, 0x7f800001
	s_xor_b64 s[4:5], exec, -1
; %bb.18867:
	s_or_b64 exec, exec, s[8:9]
	s_and_b64 s[4:5], s[4:5], exec
                                        ; implicit-def: $vgpr6
	s_or_saveexec_b64 s[6:7], s[6:7]
	v_mov_b32_e32 v2, s10
	s_xor_b64 exec, exec, s[6:7]
	s_cbranch_execnz .LBB1_18868
; %bb.54705:
	s_getpc_b64 s[14:15]
.Lpost_getpc13016:
	s_add_u32 s14, s14, (.LBB1_4530-.Lpost_getpc13016)&4294967295
	s_addc_u32 s15, s15, (.LBB1_4530-.Lpost_getpc13016)>>32
	s_setpc_b64 s[14:15]
.LBB1_18868:
	v_cmp_ne_u16_e32 vcc, 0, v6
	s_andn2_b64 s[4:5], s[4:5], exec
	s_and_b64 s[8:9], vcc, exec
	v_mov_b32_e32 v2, 0
	s_or_b64 s[4:5], s[4:5], s[8:9]
	s_or_b64 exec, exec, s[6:7]
	s_and_saveexec_b64 s[6:7], s[4:5]
	s_cbranch_execz .LBB1_30937
; %bb.54707:
	s_getpc_b64 s[14:15]
.Lpost_getpc13017:
	s_add_u32 s14, s14, (.LBB1_4531-.Lpost_getpc13017)&4294967295
	s_addc_u32 s15, s15, (.LBB1_4531-.Lpost_getpc13017)>>32
	s_setpc_b64 s[14:15]
.LBB1_30937:
	s_getpc_b64 s[14:15]
.Lpost_getpc1132:
	s_add_u32 s14, s14, (.LBB1_4532-.Lpost_getpc1132)&4294967295
	s_addc_u32 s15, s15, (.LBB1_4532-.Lpost_getpc1132)>>32
	s_setpc_b64 s[14:15]
.LBB1_18869:
	s_movk_i32 s4, 0x80
	v_cmp_eq_u16_e32 vcc, s4, v6
	s_mov_b64 s[4:5], -1
                                        ; implicit-def: $sgpr10
	s_and_saveexec_b64 s[8:9], vcc
; %bb.18870:
	s_mov_b32 s10, 0x7f800001
	s_xor_b64 s[4:5], exec, -1
; %bb.18871:
	s_or_b64 exec, exec, s[8:9]
	s_and_b64 s[4:5], s[4:5], exec
                                        ; implicit-def: $vgpr6
	s_or_saveexec_b64 s[6:7], s[6:7]
	v_mov_b32_e32 v12, s10
	s_xor_b64 exec, exec, s[6:7]
	s_cbranch_execnz .LBB1_18872
; %bb.54709:
	s_getpc_b64 s[14:15]
.Lpost_getpc13018:
	s_add_u32 s14, s14, (.LBB1_4534-.Lpost_getpc13018)&4294967295
	s_addc_u32 s15, s15, (.LBB1_4534-.Lpost_getpc13018)>>32
	s_setpc_b64 s[14:15]
.LBB1_18872:
	v_cmp_ne_u16_e32 vcc, 0, v6
	s_andn2_b64 s[4:5], s[4:5], exec
	s_and_b64 s[8:9], vcc, exec
	v_mov_b32_e32 v12, 0
	s_or_b64 s[4:5], s[4:5], s[8:9]
	s_or_b64 exec, exec, s[6:7]
	s_and_saveexec_b64 s[6:7], s[4:5]
	s_cbranch_execz .LBB1_30939
; %bb.54711:
	s_getpc_b64 s[14:15]
.Lpost_getpc13019:
	s_add_u32 s14, s14, (.LBB1_4535-.Lpost_getpc13019)&4294967295
	s_addc_u32 s15, s15, (.LBB1_4535-.Lpost_getpc13019)>>32
	s_setpc_b64 s[14:15]
.LBB1_30939:
	s_getpc_b64 s[14:15]
.Lpost_getpc1133:
	s_add_u32 s14, s14, (.LBB1_4536-.Lpost_getpc1133)&4294967295
	s_addc_u32 s15, s15, (.LBB1_4536-.Lpost_getpc1133)>>32
	s_setpc_b64 s[14:15]
.LBB1_18873:
	s_movk_i32 s4, 0x80
	v_cmp_eq_u16_sdwa s[12:13], v7, s4 src0_sel:BYTE_3 src1_sel:DWORD
	s_mov_b64 s[4:5], -1
                                        ; implicit-def: $sgpr10
	s_and_saveexec_b64 s[8:9], s[12:13]
; %bb.18874:
	s_mov_b32 s10, 0x7f800001
	s_xor_b64 s[4:5], exec, -1
; %bb.18875:
	s_or_b64 exec, exec, s[8:9]
	s_and_b64 s[4:5], s[4:5], exec
	s_or_saveexec_b64 s[6:7], s[6:7]
	v_mov_b32_e32 v2, s10
	s_xor_b64 exec, exec, s[6:7]
	s_cbranch_execnz .LBB1_18876
; %bb.54713:
	s_getpc_b64 s[14:15]
.Lpost_getpc13020:
	s_add_u32 s14, s14, (.LBB1_4538-.Lpost_getpc13020)&4294967295
	s_addc_u32 s15, s15, (.LBB1_4538-.Lpost_getpc13020)>>32
	s_setpc_b64 s[14:15]
.LBB1_18876:
	v_mov_b32_e32 v2, 0
	v_cmp_ne_u16_sdwa s[8:9], v7, v2 src0_sel:BYTE_3 src1_sel:DWORD
	s_andn2_b64 s[4:5], s[4:5], exec
	s_and_b64 s[8:9], s[8:9], exec
	s_or_b64 s[4:5], s[4:5], s[8:9]
	s_or_b64 exec, exec, s[6:7]
	s_and_saveexec_b64 s[6:7], s[4:5]
	s_cbranch_execz .LBB1_30941
; %bb.54715:
	s_getpc_b64 s[14:15]
.Lpost_getpc13021:
	s_add_u32 s14, s14, (.LBB1_4539-.Lpost_getpc13021)&4294967295
	s_addc_u32 s15, s15, (.LBB1_4539-.Lpost_getpc13021)>>32
	s_setpc_b64 s[14:15]
.LBB1_30941:
	s_getpc_b64 s[14:15]
.Lpost_getpc1134:
	s_add_u32 s14, s14, (.LBB1_4540-.Lpost_getpc1134)&4294967295
	s_addc_u32 s15, s15, (.LBB1_4540-.Lpost_getpc1134)>>32
	s_setpc_b64 s[14:15]
.LBB1_18877:
	s_movk_i32 s4, 0x80
	v_cmp_eq_u16_sdwa s[12:13], v3, s4 src0_sel:BYTE_3 src1_sel:DWORD
	s_mov_b64 s[4:5], -1
                                        ; implicit-def: $sgpr10
	s_and_saveexec_b64 s[8:9], s[12:13]
; %bb.18878:
	s_mov_b32 s10, 0x7f800001
	s_xor_b64 s[4:5], exec, -1
; %bb.18879:
	s_or_b64 exec, exec, s[8:9]
	s_and_b64 s[4:5], s[4:5], exec
	s_or_saveexec_b64 s[6:7], s[6:7]
	v_mov_b32_e32 v6, s10
	s_xor_b64 exec, exec, s[6:7]
	s_cbranch_execnz .LBB1_18880
; %bb.54717:
	s_getpc_b64 s[14:15]
.Lpost_getpc13022:
	s_add_u32 s14, s14, (.LBB1_4542-.Lpost_getpc13022)&4294967295
	s_addc_u32 s15, s15, (.LBB1_4542-.Lpost_getpc13022)>>32
	s_setpc_b64 s[14:15]
.LBB1_18880:
	v_mov_b32_e32 v6, 0
	v_cmp_ne_u16_sdwa s[8:9], v3, v6 src0_sel:BYTE_3 src1_sel:DWORD
	s_andn2_b64 s[4:5], s[4:5], exec
	s_and_b64 s[8:9], s[8:9], exec
	s_or_b64 s[4:5], s[4:5], s[8:9]
	s_or_b64 exec, exec, s[6:7]
	s_and_saveexec_b64 s[6:7], s[4:5]
	s_cbranch_execz .LBB1_30943
; %bb.54719:
	s_getpc_b64 s[14:15]
.Lpost_getpc13023:
	s_add_u32 s14, s14, (.LBB1_4543-.Lpost_getpc13023)&4294967295
	s_addc_u32 s15, s15, (.LBB1_4543-.Lpost_getpc13023)>>32
	s_setpc_b64 s[14:15]
.LBB1_30943:
	s_getpc_b64 s[14:15]
.Lpost_getpc1135:
	s_add_u32 s14, s14, (.LBB1_4544-.Lpost_getpc1135)&4294967295
	s_addc_u32 s15, s15, (.LBB1_4544-.Lpost_getpc1135)>>32
	s_setpc_b64 s[14:15]
.LBB1_18881:
	s_movk_i32 s4, 0x80
	v_cmp_eq_u16_sdwa s[12:13], v8, s4 src0_sel:BYTE_0 src1_sel:DWORD
	s_mov_b64 s[4:5], -1
                                        ; implicit-def: $sgpr10
	s_and_saveexec_b64 s[8:9], s[12:13]
; %bb.18882:
	s_mov_b32 s10, 0x7f800001
	s_xor_b64 s[4:5], exec, -1
; %bb.18883:
	s_or_b64 exec, exec, s[8:9]
	s_and_b64 s[4:5], s[4:5], exec
	s_or_saveexec_b64 s[6:7], s[6:7]
	v_mov_b32_e32 v2, s10
	s_xor_b64 exec, exec, s[6:7]
	s_cbranch_execnz .LBB1_18884
; %bb.54721:
	s_getpc_b64 s[14:15]
.Lpost_getpc13024:
	s_add_u32 s14, s14, (.LBB1_4546-.Lpost_getpc13024)&4294967295
	s_addc_u32 s15, s15, (.LBB1_4546-.Lpost_getpc13024)>>32
	s_setpc_b64 s[14:15]
.LBB1_18884:
	v_mov_b32_e32 v2, 0
	v_cmp_ne_u16_sdwa s[8:9], v8, v2 src0_sel:BYTE_0 src1_sel:DWORD
	s_andn2_b64 s[4:5], s[4:5], exec
	s_and_b64 s[8:9], s[8:9], exec
	s_or_b64 s[4:5], s[4:5], s[8:9]
	s_or_b64 exec, exec, s[6:7]
	s_and_saveexec_b64 s[6:7], s[4:5]
	s_cbranch_execz .LBB1_30945
; %bb.54723:
	s_getpc_b64 s[14:15]
.Lpost_getpc13025:
	s_add_u32 s14, s14, (.LBB1_4547-.Lpost_getpc13025)&4294967295
	s_addc_u32 s15, s15, (.LBB1_4547-.Lpost_getpc13025)>>32
	s_setpc_b64 s[14:15]
.LBB1_30945:
	s_getpc_b64 s[14:15]
.Lpost_getpc1136:
	s_add_u32 s14, s14, (.LBB1_4548-.Lpost_getpc1136)&4294967295
	s_addc_u32 s15, s15, (.LBB1_4548-.Lpost_getpc1136)>>32
	s_setpc_b64 s[14:15]
.LBB1_18885:
	s_movk_i32 s4, 0x80
	v_cmp_eq_u16_sdwa s[12:13], v4, s4 src0_sel:BYTE_0 src1_sel:DWORD
	s_mov_b64 s[4:5], -1
                                        ; implicit-def: $sgpr10
	s_and_saveexec_b64 s[8:9], s[12:13]
; %bb.18886:
	s_mov_b32 s10, 0x7f800001
	s_xor_b64 s[4:5], exec, -1
; %bb.18887:
	s_or_b64 exec, exec, s[8:9]
	s_and_b64 s[4:5], s[4:5], exec
	s_or_saveexec_b64 s[6:7], s[6:7]
	v_mov_b32_e32 v3, s10
	s_xor_b64 exec, exec, s[6:7]
	s_cbranch_execnz .LBB1_18888
; %bb.54725:
	s_getpc_b64 s[14:15]
.Lpost_getpc13026:
	s_add_u32 s14, s14, (.LBB1_4550-.Lpost_getpc13026)&4294967295
	s_addc_u32 s15, s15, (.LBB1_4550-.Lpost_getpc13026)>>32
	s_setpc_b64 s[14:15]
.LBB1_18888:
	v_mov_b32_e32 v3, 0
	v_cmp_ne_u16_sdwa s[8:9], v4, v3 src0_sel:BYTE_0 src1_sel:DWORD
	s_andn2_b64 s[4:5], s[4:5], exec
	s_and_b64 s[8:9], s[8:9], exec
	s_or_b64 s[4:5], s[4:5], s[8:9]
	s_or_b64 exec, exec, s[6:7]
	s_and_saveexec_b64 s[6:7], s[4:5]
	s_cbranch_execz .LBB1_30947
; %bb.54727:
	s_getpc_b64 s[14:15]
.Lpost_getpc13027:
	s_add_u32 s14, s14, (.LBB1_4551-.Lpost_getpc13027)&4294967295
	s_addc_u32 s15, s15, (.LBB1_4551-.Lpost_getpc13027)>>32
	s_setpc_b64 s[14:15]
.LBB1_30947:
	s_getpc_b64 s[14:15]
.Lpost_getpc1137:
	s_add_u32 s14, s14, (.LBB1_4552-.Lpost_getpc1137)&4294967295
	s_addc_u32 s15, s15, (.LBB1_4552-.Lpost_getpc1137)>>32
	s_setpc_b64 s[14:15]
.LBB1_18889:
	s_movk_i32 s4, 0x80
	v_cmp_eq_u16_sdwa s[12:13], v3, s4 src0_sel:BYTE_0 src1_sel:DWORD
	s_mov_b64 s[4:5], -1
                                        ; implicit-def: $sgpr10
	s_and_saveexec_b64 s[8:9], s[12:13]
; %bb.18890:
	s_mov_b32 s10, 0x7f800001
	s_xor_b64 s[4:5], exec, -1
; %bb.18891:
	s_or_b64 exec, exec, s[8:9]
	s_and_b64 s[4:5], s[4:5], exec
	s_or_saveexec_b64 s[6:7], s[6:7]
	v_mov_b32_e32 v2, s10
	s_xor_b64 exec, exec, s[6:7]
	s_cbranch_execnz .LBB1_18892
; %bb.54729:
	s_getpc_b64 s[14:15]
.Lpost_getpc13028:
	s_add_u32 s14, s14, (.LBB1_4554-.Lpost_getpc13028)&4294967295
	s_addc_u32 s15, s15, (.LBB1_4554-.Lpost_getpc13028)>>32
	s_setpc_b64 s[14:15]
.LBB1_18892:
	v_mov_b32_e32 v2, 0
	v_cmp_ne_u16_sdwa s[8:9], v3, v2 src0_sel:BYTE_0 src1_sel:DWORD
	s_andn2_b64 s[4:5], s[4:5], exec
	s_and_b64 s[8:9], s[8:9], exec
	s_or_b64 s[4:5], s[4:5], s[8:9]
	s_or_b64 exec, exec, s[6:7]
	s_and_saveexec_b64 s[6:7], s[4:5]
	s_cbranch_execz .LBB1_30949
; %bb.54731:
	s_getpc_b64 s[14:15]
.Lpost_getpc13029:
	s_add_u32 s14, s14, (.LBB1_4555-.Lpost_getpc13029)&4294967295
	s_addc_u32 s15, s15, (.LBB1_4555-.Lpost_getpc13029)>>32
	s_setpc_b64 s[14:15]
.LBB1_30949:
	s_getpc_b64 s[14:15]
.Lpost_getpc1138:
	s_add_u32 s14, s14, (.LBB1_4556-.Lpost_getpc1138)&4294967295
	s_addc_u32 s15, s15, (.LBB1_4556-.Lpost_getpc1138)>>32
	s_setpc_b64 s[14:15]
.LBB1_18893:
	s_movk_i32 s4, 0x80
	v_cmp_eq_u16_sdwa s[12:13], v3, s4 src0_sel:BYTE_0 src1_sel:DWORD
	s_mov_b64 s[4:5], -1
                                        ; implicit-def: $sgpr10
	s_and_saveexec_b64 s[8:9], s[12:13]
; %bb.18894:
	s_mov_b32 s10, 0x7f800001
	s_xor_b64 s[4:5], exec, -1
; %bb.18895:
	s_or_b64 exec, exec, s[8:9]
	s_and_b64 s[4:5], s[4:5], exec
	s_or_saveexec_b64 s[6:7], s[6:7]
	v_mov_b32_e32 v6, s10
	s_xor_b64 exec, exec, s[6:7]
	s_cbranch_execnz .LBB1_18896
; %bb.54733:
	s_getpc_b64 s[14:15]
.Lpost_getpc13030:
	s_add_u32 s14, s14, (.LBB1_4558-.Lpost_getpc13030)&4294967295
	s_addc_u32 s15, s15, (.LBB1_4558-.Lpost_getpc13030)>>32
	s_setpc_b64 s[14:15]
.LBB1_18896:
	v_mov_b32_e32 v6, 0
	v_cmp_ne_u16_sdwa s[8:9], v3, v6 src0_sel:BYTE_0 src1_sel:DWORD
	s_andn2_b64 s[4:5], s[4:5], exec
	s_and_b64 s[8:9], s[8:9], exec
	s_or_b64 s[4:5], s[4:5], s[8:9]
	s_or_b64 exec, exec, s[6:7]
	s_and_saveexec_b64 s[6:7], s[4:5]
	s_cbranch_execz .LBB1_30951
; %bb.54735:
	s_getpc_b64 s[14:15]
.Lpost_getpc13031:
	s_add_u32 s14, s14, (.LBB1_4559-.Lpost_getpc13031)&4294967295
	s_addc_u32 s15, s15, (.LBB1_4559-.Lpost_getpc13031)>>32
	s_setpc_b64 s[14:15]
.LBB1_30951:
	s_getpc_b64 s[14:15]
.Lpost_getpc1139:
	s_add_u32 s14, s14, (.LBB1_4560-.Lpost_getpc1139)&4294967295
	s_addc_u32 s15, s15, (.LBB1_4560-.Lpost_getpc1139)>>32
	s_setpc_b64 s[14:15]
.LBB1_18897:
	s_movk_i32 s4, 0x80
	v_cmp_eq_u16_e32 vcc, s4, v3
	s_mov_b64 s[4:5], -1
                                        ; implicit-def: $sgpr10
	s_and_saveexec_b64 s[8:9], vcc
; %bb.18898:
	s_mov_b32 s10, 0x7f800001
	s_xor_b64 s[4:5], exec, -1
; %bb.18899:
	s_or_b64 exec, exec, s[8:9]
	s_and_b64 s[4:5], s[4:5], exec
                                        ; implicit-def: $vgpr3
	s_or_saveexec_b64 s[6:7], s[6:7]
	v_mov_b32_e32 v2, s10
	s_xor_b64 exec, exec, s[6:7]
	s_cbranch_execnz .LBB1_18900
; %bb.54737:
	s_getpc_b64 s[14:15]
.Lpost_getpc13032:
	s_add_u32 s14, s14, (.LBB1_4562-.Lpost_getpc13032)&4294967295
	s_addc_u32 s15, s15, (.LBB1_4562-.Lpost_getpc13032)>>32
	s_setpc_b64 s[14:15]
.LBB1_18900:
	v_cmp_ne_u16_e32 vcc, 0, v3
	s_andn2_b64 s[4:5], s[4:5], exec
	s_and_b64 s[8:9], vcc, exec
	v_mov_b32_e32 v2, 0
	s_or_b64 s[4:5], s[4:5], s[8:9]
	s_or_b64 exec, exec, s[6:7]
	s_and_saveexec_b64 s[6:7], s[4:5]
	s_cbranch_execz .LBB1_30953
; %bb.54739:
	s_getpc_b64 s[14:15]
.Lpost_getpc13033:
	s_add_u32 s14, s14, (.LBB1_4563-.Lpost_getpc13033)&4294967295
	s_addc_u32 s15, s15, (.LBB1_4563-.Lpost_getpc13033)>>32
	s_setpc_b64 s[14:15]
.LBB1_30953:
	s_getpc_b64 s[14:15]
.Lpost_getpc1140:
	s_add_u32 s14, s14, (.LBB1_4564-.Lpost_getpc1140)&4294967295
	s_addc_u32 s15, s15, (.LBB1_4564-.Lpost_getpc1140)>>32
	s_setpc_b64 s[14:15]
.LBB1_18901:
	s_movk_i32 s4, 0x80
	v_cmp_eq_u16_e32 vcc, s4, v3
	s_mov_b64 s[4:5], -1
                                        ; implicit-def: $sgpr10
	s_and_saveexec_b64 s[8:9], vcc
; %bb.18902:
	s_mov_b32 s10, 0x7f800001
	s_xor_b64 s[4:5], exec, -1
; %bb.18903:
	s_or_b64 exec, exec, s[8:9]
	s_and_b64 s[4:5], s[4:5], exec
                                        ; implicit-def: $vgpr3
	s_or_saveexec_b64 s[6:7], s[6:7]
	v_mov_b32_e32 v6, s10
	s_xor_b64 exec, exec, s[6:7]
	s_cbranch_execnz .LBB1_18904
; %bb.54741:
	s_getpc_b64 s[14:15]
.Lpost_getpc13034:
	s_add_u32 s14, s14, (.LBB1_4566-.Lpost_getpc13034)&4294967295
	s_addc_u32 s15, s15, (.LBB1_4566-.Lpost_getpc13034)>>32
	s_setpc_b64 s[14:15]
.LBB1_18904:
	v_cmp_ne_u16_e32 vcc, 0, v3
	s_andn2_b64 s[4:5], s[4:5], exec
	s_and_b64 s[8:9], vcc, exec
	v_mov_b32_e32 v6, 0
	s_or_b64 s[4:5], s[4:5], s[8:9]
	s_or_b64 exec, exec, s[6:7]
	s_and_saveexec_b64 s[6:7], s[4:5]
	s_cbranch_execz .LBB1_30955
; %bb.54743:
	s_getpc_b64 s[14:15]
.Lpost_getpc13035:
	s_add_u32 s14, s14, (.LBB1_4567-.Lpost_getpc13035)&4294967295
	s_addc_u32 s15, s15, (.LBB1_4567-.Lpost_getpc13035)>>32
	s_setpc_b64 s[14:15]
.LBB1_30955:
	s_getpc_b64 s[14:15]
.Lpost_getpc1141:
	s_add_u32 s14, s14, (.LBB1_4568-.Lpost_getpc1141)&4294967295
	s_addc_u32 s15, s15, (.LBB1_4568-.Lpost_getpc1141)>>32
	s_setpc_b64 s[14:15]
.LBB1_18905:
	s_movk_i32 s4, 0x80
	v_cmp_eq_u16_sdwa s[12:13], v8, s4 src0_sel:BYTE_3 src1_sel:DWORD
	s_mov_b64 s[4:5], -1
                                        ; implicit-def: $sgpr10
	s_and_saveexec_b64 s[8:9], s[12:13]
; %bb.18906:
	s_mov_b32 s10, 0x7f800001
	s_xor_b64 s[4:5], exec, -1
; %bb.18907:
	s_or_b64 exec, exec, s[8:9]
	s_and_b64 s[4:5], s[4:5], exec
	s_or_saveexec_b64 s[6:7], s[6:7]
	v_mov_b32_e32 v2, s10
	s_xor_b64 exec, exec, s[6:7]
	s_cbranch_execnz .LBB1_18908
; %bb.54745:
	s_getpc_b64 s[14:15]
.Lpost_getpc13036:
	s_add_u32 s14, s14, (.LBB1_4570-.Lpost_getpc13036)&4294967295
	s_addc_u32 s15, s15, (.LBB1_4570-.Lpost_getpc13036)>>32
	s_setpc_b64 s[14:15]
.LBB1_18908:
	v_mov_b32_e32 v2, 0
	v_cmp_ne_u16_sdwa s[8:9], v8, v2 src0_sel:BYTE_3 src1_sel:DWORD
	s_andn2_b64 s[4:5], s[4:5], exec
	s_and_b64 s[8:9], s[8:9], exec
	s_or_b64 s[4:5], s[4:5], s[8:9]
	s_or_b64 exec, exec, s[6:7]
	s_and_saveexec_b64 s[6:7], s[4:5]
	s_cbranch_execz .LBB1_30957
; %bb.54747:
	s_getpc_b64 s[14:15]
.Lpost_getpc13037:
	s_add_u32 s14, s14, (.LBB1_4571-.Lpost_getpc13037)&4294967295
	s_addc_u32 s15, s15, (.LBB1_4571-.Lpost_getpc13037)>>32
	s_setpc_b64 s[14:15]
.LBB1_30957:
	s_getpc_b64 s[14:15]
.Lpost_getpc1142:
	s_add_u32 s14, s14, (.LBB1_4572-.Lpost_getpc1142)&4294967295
	s_addc_u32 s15, s15, (.LBB1_4572-.Lpost_getpc1142)>>32
	s_setpc_b64 s[14:15]
.LBB1_18909:
	s_movk_i32 s4, 0x80
	v_cmp_eq_u16_sdwa s[12:13], v4, s4 src0_sel:BYTE_3 src1_sel:DWORD
	s_mov_b64 s[4:5], -1
                                        ; implicit-def: $sgpr10
	s_and_saveexec_b64 s[8:9], s[12:13]
; %bb.18910:
	s_mov_b32 s10, 0x7f800001
	s_xor_b64 s[4:5], exec, -1
; %bb.18911:
	s_or_b64 exec, exec, s[8:9]
	s_and_b64 s[4:5], s[4:5], exec
	s_or_saveexec_b64 s[6:7], s[6:7]
	v_mov_b32_e32 v3, s10
	s_xor_b64 exec, exec, s[6:7]
	s_cbranch_execnz .LBB1_18912
; %bb.54749:
	s_getpc_b64 s[14:15]
.Lpost_getpc13038:
	s_add_u32 s14, s14, (.LBB1_4574-.Lpost_getpc13038)&4294967295
	s_addc_u32 s15, s15, (.LBB1_4574-.Lpost_getpc13038)>>32
	s_setpc_b64 s[14:15]
.LBB1_18912:
	v_mov_b32_e32 v3, 0
	v_cmp_ne_u16_sdwa s[8:9], v4, v3 src0_sel:BYTE_3 src1_sel:DWORD
	s_andn2_b64 s[4:5], s[4:5], exec
	s_and_b64 s[8:9], s[8:9], exec
	s_or_b64 s[4:5], s[4:5], s[8:9]
	s_or_b64 exec, exec, s[6:7]
	s_and_saveexec_b64 s[6:7], s[4:5]
	s_cbranch_execz .LBB1_30959
; %bb.54751:
	s_getpc_b64 s[14:15]
.Lpost_getpc13039:
	s_add_u32 s14, s14, (.LBB1_4575-.Lpost_getpc13039)&4294967295
	s_addc_u32 s15, s15, (.LBB1_4575-.Lpost_getpc13039)>>32
	s_setpc_b64 s[14:15]
.LBB1_30959:
	s_getpc_b64 s[14:15]
.Lpost_getpc1143:
	s_add_u32 s14, s14, (.LBB1_4576-.Lpost_getpc1143)&4294967295
	s_addc_u32 s15, s15, (.LBB1_4576-.Lpost_getpc1143)>>32
	s_setpc_b64 s[14:15]
.LBB1_18913:
	s_movk_i32 s4, 0x80
	v_cmp_eq_u16_sdwa s[12:13], v9, s4 src0_sel:BYTE_0 src1_sel:DWORD
	s_mov_b64 s[4:5], -1
                                        ; implicit-def: $sgpr10
	s_and_saveexec_b64 s[8:9], s[12:13]
; %bb.18914:
	s_mov_b32 s10, 0x7f800001
	s_xor_b64 s[4:5], exec, -1
; %bb.18915:
	s_or_b64 exec, exec, s[8:9]
	s_and_b64 s[4:5], s[4:5], exec
	s_or_saveexec_b64 s[6:7], s[6:7]
	v_mov_b32_e32 v2, s10
	s_xor_b64 exec, exec, s[6:7]
	s_cbranch_execnz .LBB1_18916
; %bb.54753:
	s_getpc_b64 s[14:15]
.Lpost_getpc13040:
	s_add_u32 s14, s14, (.LBB1_4578-.Lpost_getpc13040)&4294967295
	s_addc_u32 s15, s15, (.LBB1_4578-.Lpost_getpc13040)>>32
	s_setpc_b64 s[14:15]
.LBB1_18916:
	v_mov_b32_e32 v2, 0
	v_cmp_ne_u16_sdwa s[8:9], v9, v2 src0_sel:BYTE_0 src1_sel:DWORD
	s_andn2_b64 s[4:5], s[4:5], exec
	s_and_b64 s[8:9], s[8:9], exec
	s_or_b64 s[4:5], s[4:5], s[8:9]
	s_or_b64 exec, exec, s[6:7]
	s_and_saveexec_b64 s[6:7], s[4:5]
	s_cbranch_execz .LBB1_30961
; %bb.54755:
	s_getpc_b64 s[14:15]
.Lpost_getpc13041:
	s_add_u32 s14, s14, (.LBB1_4579-.Lpost_getpc13041)&4294967295
	s_addc_u32 s15, s15, (.LBB1_4579-.Lpost_getpc13041)>>32
	s_setpc_b64 s[14:15]
.LBB1_30961:
	s_getpc_b64 s[14:15]
.Lpost_getpc1144:
	s_add_u32 s14, s14, (.LBB1_4580-.Lpost_getpc1144)&4294967295
	s_addc_u32 s15, s15, (.LBB1_4580-.Lpost_getpc1144)>>32
	s_setpc_b64 s[14:15]
.LBB1_18917:
	s_movk_i32 s4, 0x80
	v_cmp_eq_u16_sdwa s[12:13], v5, s4 src0_sel:BYTE_0 src1_sel:DWORD
	s_mov_b64 s[4:5], -1
                                        ; implicit-def: $sgpr10
	s_and_saveexec_b64 s[8:9], s[12:13]
; %bb.18918:
	s_mov_b32 s10, 0x7f800001
	s_xor_b64 s[4:5], exec, -1
; %bb.18919:
	s_or_b64 exec, exec, s[8:9]
	s_and_b64 s[4:5], s[4:5], exec
	s_or_saveexec_b64 s[6:7], s[6:7]
	v_mov_b32_e32 v3, s10
	s_xor_b64 exec, exec, s[6:7]
	s_cbranch_execnz .LBB1_18920
; %bb.54757:
	s_getpc_b64 s[14:15]
.Lpost_getpc13042:
	s_add_u32 s14, s14, (.LBB1_4582-.Lpost_getpc13042)&4294967295
	s_addc_u32 s15, s15, (.LBB1_4582-.Lpost_getpc13042)>>32
	s_setpc_b64 s[14:15]
.LBB1_18920:
	v_mov_b32_e32 v3, 0
	v_cmp_ne_u16_sdwa s[8:9], v5, v3 src0_sel:BYTE_0 src1_sel:DWORD
	s_andn2_b64 s[4:5], s[4:5], exec
	s_and_b64 s[8:9], s[8:9], exec
	s_or_b64 s[4:5], s[4:5], s[8:9]
	s_or_b64 exec, exec, s[6:7]
	s_and_saveexec_b64 s[6:7], s[4:5]
	s_cbranch_execz .LBB1_30963
; %bb.54759:
	s_getpc_b64 s[14:15]
.Lpost_getpc13043:
	s_add_u32 s14, s14, (.LBB1_4583-.Lpost_getpc13043)&4294967295
	s_addc_u32 s15, s15, (.LBB1_4583-.Lpost_getpc13043)>>32
	s_setpc_b64 s[14:15]
.LBB1_30963:
	s_getpc_b64 s[14:15]
.Lpost_getpc1145:
	s_add_u32 s14, s14, (.LBB1_4584-.Lpost_getpc1145)&4294967295
	s_addc_u32 s15, s15, (.LBB1_4584-.Lpost_getpc1145)>>32
	s_setpc_b64 s[14:15]
.LBB1_18921:
	s_movk_i32 s4, 0x80
	v_cmp_eq_u16_sdwa s[12:13], v3, s4 src0_sel:BYTE_0 src1_sel:DWORD
	s_mov_b64 s[4:5], -1
                                        ; implicit-def: $sgpr10
	s_and_saveexec_b64 s[8:9], s[12:13]
; %bb.18922:
	s_mov_b32 s10, 0x7f800001
	s_xor_b64 s[4:5], exec, -1
; %bb.18923:
	s_or_b64 exec, exec, s[8:9]
	s_and_b64 s[4:5], s[4:5], exec
	s_or_saveexec_b64 s[6:7], s[6:7]
	v_mov_b32_e32 v2, s10
	s_xor_b64 exec, exec, s[6:7]
	s_cbranch_execnz .LBB1_18924
; %bb.54761:
	s_getpc_b64 s[14:15]
.Lpost_getpc13044:
	s_add_u32 s14, s14, (.LBB1_4586-.Lpost_getpc13044)&4294967295
	s_addc_u32 s15, s15, (.LBB1_4586-.Lpost_getpc13044)>>32
	s_setpc_b64 s[14:15]
.LBB1_18924:
	v_mov_b32_e32 v2, 0
	v_cmp_ne_u16_sdwa s[8:9], v3, v2 src0_sel:BYTE_0 src1_sel:DWORD
	s_andn2_b64 s[4:5], s[4:5], exec
	s_and_b64 s[8:9], s[8:9], exec
	s_or_b64 s[4:5], s[4:5], s[8:9]
	s_or_b64 exec, exec, s[6:7]
	s_and_saveexec_b64 s[6:7], s[4:5]
	s_cbranch_execz .LBB1_30965
; %bb.54763:
	s_getpc_b64 s[14:15]
.Lpost_getpc13045:
	s_add_u32 s14, s14, (.LBB1_4587-.Lpost_getpc13045)&4294967295
	s_addc_u32 s15, s15, (.LBB1_4587-.Lpost_getpc13045)>>32
	s_setpc_b64 s[14:15]
.LBB1_30965:
	s_getpc_b64 s[14:15]
.Lpost_getpc1146:
	s_add_u32 s14, s14, (.LBB1_4588-.Lpost_getpc1146)&4294967295
	s_addc_u32 s15, s15, (.LBB1_4588-.Lpost_getpc1146)>>32
	s_setpc_b64 s[14:15]
.LBB1_18925:
	s_movk_i32 s4, 0x80
	v_cmp_eq_u16_sdwa s[12:13], v3, s4 src0_sel:BYTE_0 src1_sel:DWORD
	s_mov_b64 s[4:5], -1
                                        ; implicit-def: $sgpr10
	s_and_saveexec_b64 s[8:9], s[12:13]
; %bb.18926:
	s_mov_b32 s10, 0x7f800001
	s_xor_b64 s[4:5], exec, -1
; %bb.18927:
	s_or_b64 exec, exec, s[8:9]
	s_and_b64 s[4:5], s[4:5], exec
	s_or_saveexec_b64 s[6:7], s[6:7]
	v_mov_b32_e32 v4, s10
	s_xor_b64 exec, exec, s[6:7]
	s_cbranch_execnz .LBB1_18928
; %bb.54765:
	s_getpc_b64 s[14:15]
.Lpost_getpc13046:
	s_add_u32 s14, s14, (.LBB1_4590-.Lpost_getpc13046)&4294967295
	s_addc_u32 s15, s15, (.LBB1_4590-.Lpost_getpc13046)>>32
	s_setpc_b64 s[14:15]
.LBB1_18928:
	v_mov_b32_e32 v4, 0
	v_cmp_ne_u16_sdwa s[8:9], v3, v4 src0_sel:BYTE_0 src1_sel:DWORD
	s_andn2_b64 s[4:5], s[4:5], exec
	s_and_b64 s[8:9], s[8:9], exec
	s_or_b64 s[4:5], s[4:5], s[8:9]
	s_or_b64 exec, exec, s[6:7]
	s_and_saveexec_b64 s[6:7], s[4:5]
	s_cbranch_execz .LBB1_30967
; %bb.54767:
	s_getpc_b64 s[14:15]
.Lpost_getpc13047:
	s_add_u32 s14, s14, (.LBB1_4591-.Lpost_getpc13047)&4294967295
	s_addc_u32 s15, s15, (.LBB1_4591-.Lpost_getpc13047)>>32
	s_setpc_b64 s[14:15]
.LBB1_30967:
	s_getpc_b64 s[14:15]
.Lpost_getpc1147:
	s_add_u32 s14, s14, (.LBB1_4592-.Lpost_getpc1147)&4294967295
	s_addc_u32 s15, s15, (.LBB1_4592-.Lpost_getpc1147)>>32
	s_setpc_b64 s[14:15]
.LBB1_18929:
	s_movk_i32 s4, 0x80
	v_cmp_eq_u16_e32 vcc, s4, v3
	s_mov_b64 s[4:5], -1
                                        ; implicit-def: $sgpr10
	s_and_saveexec_b64 s[8:9], vcc
; %bb.18930:
	s_mov_b32 s10, 0x7f800001
	s_xor_b64 s[4:5], exec, -1
; %bb.18931:
	s_or_b64 exec, exec, s[8:9]
	s_and_b64 s[4:5], s[4:5], exec
                                        ; implicit-def: $vgpr3
	s_or_saveexec_b64 s[6:7], s[6:7]
	v_mov_b32_e32 v2, s10
	s_xor_b64 exec, exec, s[6:7]
	s_cbranch_execnz .LBB1_18932
; %bb.54769:
	s_getpc_b64 s[14:15]
.Lpost_getpc13048:
	s_add_u32 s14, s14, (.LBB1_4594-.Lpost_getpc13048)&4294967295
	s_addc_u32 s15, s15, (.LBB1_4594-.Lpost_getpc13048)>>32
	s_setpc_b64 s[14:15]
.LBB1_18932:
	v_cmp_ne_u16_e32 vcc, 0, v3
	s_andn2_b64 s[4:5], s[4:5], exec
	s_and_b64 s[8:9], vcc, exec
	v_mov_b32_e32 v2, 0
	s_or_b64 s[4:5], s[4:5], s[8:9]
	s_or_b64 exec, exec, s[6:7]
	s_and_saveexec_b64 s[6:7], s[4:5]
	s_cbranch_execz .LBB1_30969
; %bb.54771:
	s_getpc_b64 s[14:15]
.Lpost_getpc13049:
	s_add_u32 s14, s14, (.LBB1_4595-.Lpost_getpc13049)&4294967295
	s_addc_u32 s15, s15, (.LBB1_4595-.Lpost_getpc13049)>>32
	s_setpc_b64 s[14:15]
.LBB1_30969:
	s_getpc_b64 s[14:15]
.Lpost_getpc1148:
	s_add_u32 s14, s14, (.LBB1_4596-.Lpost_getpc1148)&4294967295
	s_addc_u32 s15, s15, (.LBB1_4596-.Lpost_getpc1148)>>32
	s_setpc_b64 s[14:15]
.LBB1_18933:
	s_movk_i32 s4, 0x80
	v_cmp_eq_u16_e32 vcc, s4, v3
	s_mov_b64 s[4:5], -1
                                        ; implicit-def: $sgpr10
	s_and_saveexec_b64 s[8:9], vcc
; %bb.18934:
	s_mov_b32 s10, 0x7f800001
	s_xor_b64 s[4:5], exec, -1
; %bb.18935:
	s_or_b64 exec, exec, s[8:9]
	s_and_b64 s[4:5], s[4:5], exec
                                        ; implicit-def: $vgpr3
	s_or_saveexec_b64 s[6:7], s[6:7]
	v_mov_b32_e32 v4, s10
	s_xor_b64 exec, exec, s[6:7]
	s_cbranch_execnz .LBB1_18936
; %bb.54773:
	s_getpc_b64 s[14:15]
.Lpost_getpc13050:
	s_add_u32 s14, s14, (.LBB1_4598-.Lpost_getpc13050)&4294967295
	s_addc_u32 s15, s15, (.LBB1_4598-.Lpost_getpc13050)>>32
	s_setpc_b64 s[14:15]
.LBB1_18936:
	v_cmp_ne_u16_e32 vcc, 0, v3
	s_andn2_b64 s[4:5], s[4:5], exec
	s_and_b64 s[8:9], vcc, exec
	v_mov_b32_e32 v4, 0
	s_or_b64 s[4:5], s[4:5], s[8:9]
	s_or_b64 exec, exec, s[6:7]
	s_and_saveexec_b64 s[6:7], s[4:5]
	s_cbranch_execz .LBB1_30971
; %bb.54775:
	s_getpc_b64 s[14:15]
.Lpost_getpc13051:
	s_add_u32 s14, s14, (.LBB1_4599-.Lpost_getpc13051)&4294967295
	s_addc_u32 s15, s15, (.LBB1_4599-.Lpost_getpc13051)>>32
	s_setpc_b64 s[14:15]
.LBB1_30971:
	s_getpc_b64 s[14:15]
.Lpost_getpc1149:
	s_add_u32 s14, s14, (.LBB1_4600-.Lpost_getpc1149)&4294967295
	s_addc_u32 s15, s15, (.LBB1_4600-.Lpost_getpc1149)>>32
	s_setpc_b64 s[14:15]
.LBB1_18937:
	s_movk_i32 s4, 0x80
	v_cmp_eq_u16_sdwa s[12:13], v9, s4 src0_sel:BYTE_3 src1_sel:DWORD
	s_mov_b64 s[4:5], -1
                                        ; implicit-def: $sgpr10
	s_and_saveexec_b64 s[8:9], s[12:13]
; %bb.18938:
	s_mov_b32 s10, 0x7f800001
	s_xor_b64 s[4:5], exec, -1
; %bb.18939:
	s_or_b64 exec, exec, s[8:9]
	s_and_b64 s[4:5], s[4:5], exec
	s_or_saveexec_b64 s[6:7], s[6:7]
	v_mov_b32_e32 v2, s10
	s_xor_b64 exec, exec, s[6:7]
	s_cbranch_execnz .LBB1_18940
; %bb.54777:
	s_getpc_b64 s[14:15]
.Lpost_getpc13052:
	s_add_u32 s14, s14, (.LBB1_4602-.Lpost_getpc13052)&4294967295
	s_addc_u32 s15, s15, (.LBB1_4602-.Lpost_getpc13052)>>32
	s_setpc_b64 s[14:15]
.LBB1_18940:
	v_mov_b32_e32 v2, 0
	v_cmp_ne_u16_sdwa s[8:9], v9, v2 src0_sel:BYTE_3 src1_sel:DWORD
	s_andn2_b64 s[4:5], s[4:5], exec
	s_and_b64 s[8:9], s[8:9], exec
	s_or_b64 s[4:5], s[4:5], s[8:9]
	s_or_b64 exec, exec, s[6:7]
	s_and_saveexec_b64 s[6:7], s[4:5]
	s_cbranch_execz .LBB1_30973
; %bb.54779:
	s_getpc_b64 s[14:15]
.Lpost_getpc13053:
	s_add_u32 s14, s14, (.LBB1_4603-.Lpost_getpc13053)&4294967295
	s_addc_u32 s15, s15, (.LBB1_4603-.Lpost_getpc13053)>>32
	s_setpc_b64 s[14:15]
.LBB1_30973:
	s_getpc_b64 s[14:15]
.Lpost_getpc1150:
	s_add_u32 s14, s14, (.LBB1_4604-.Lpost_getpc1150)&4294967295
	s_addc_u32 s15, s15, (.LBB1_4604-.Lpost_getpc1150)>>32
	s_setpc_b64 s[14:15]
.LBB1_18941:
	s_movk_i32 s4, 0x80
	v_cmp_eq_u16_sdwa s[12:13], v5, s4 src0_sel:BYTE_3 src1_sel:DWORD
	s_mov_b64 s[4:5], -1
                                        ; implicit-def: $sgpr10
	s_and_saveexec_b64 s[8:9], s[12:13]
; %bb.18942:
	s_mov_b32 s10, 0x7f800001
	s_xor_b64 s[4:5], exec, -1
; %bb.18943:
	s_or_b64 exec, exec, s[8:9]
	s_and_b64 s[4:5], s[4:5], exec
	s_or_saveexec_b64 s[6:7], s[6:7]
	v_mov_b32_e32 v3, s10
	s_xor_b64 exec, exec, s[6:7]
	s_cbranch_execnz .LBB1_18944
; %bb.54781:
	s_getpc_b64 s[14:15]
.Lpost_getpc13054:
	s_add_u32 s14, s14, (.LBB1_4606-.Lpost_getpc13054)&4294967295
	s_addc_u32 s15, s15, (.LBB1_4606-.Lpost_getpc13054)>>32
	s_setpc_b64 s[14:15]
.LBB1_18944:
	v_mov_b32_e32 v3, 0
	v_cmp_ne_u16_sdwa s[8:9], v5, v3 src0_sel:BYTE_3 src1_sel:DWORD
	s_andn2_b64 s[4:5], s[4:5], exec
	s_and_b64 s[8:9], s[8:9], exec
	s_or_b64 s[4:5], s[4:5], s[8:9]
	s_or_b64 exec, exec, s[6:7]
	s_and_saveexec_b64 s[6:7], s[4:5]
	s_cbranch_execz .LBB1_30975
; %bb.54783:
	s_getpc_b64 s[14:15]
.Lpost_getpc13055:
	s_add_u32 s14, s14, (.LBB1_4607-.Lpost_getpc13055)&4294967295
	s_addc_u32 s15, s15, (.LBB1_4607-.Lpost_getpc13055)>>32
	s_setpc_b64 s[14:15]
.LBB1_30975:
	s_getpc_b64 s[14:15]
.Lpost_getpc1151:
	s_add_u32 s14, s14, (.LBB1_4608-.Lpost_getpc1151)&4294967295
	s_addc_u32 s15, s15, (.LBB1_4608-.Lpost_getpc1151)>>32
	s_setpc_b64 s[14:15]
.LBB1_18945:
	s_movk_i32 s4, 0x80
	v_cmp_eq_u16_sdwa s[12:13], v6, s4 src0_sel:BYTE_0 src1_sel:DWORD
	s_mov_b64 s[4:5], -1
                                        ; implicit-def: $sgpr10
	s_and_saveexec_b64 s[8:9], s[12:13]
; %bb.18946:
	s_mov_b32 s10, 0x7f800001
	s_xor_b64 s[4:5], exec, -1
; %bb.18947:
	s_or_b64 exec, exec, s[8:9]
	s_and_b64 s[4:5], s[4:5], exec
	s_or_saveexec_b64 s[6:7], s[6:7]
	v_mov_b32_e32 v12, s10
	s_xor_b64 exec, exec, s[6:7]
	s_cbranch_execnz .LBB1_18948
; %bb.54785:
	s_getpc_b64 s[14:15]
.Lpost_getpc13056:
	s_add_u32 s14, s14, (.LBB1_4610-.Lpost_getpc13056)&4294967295
	s_addc_u32 s15, s15, (.LBB1_4610-.Lpost_getpc13056)>>32
	s_setpc_b64 s[14:15]
.LBB1_18948:
	v_mov_b32_e32 v12, 0
	v_cmp_ne_u16_sdwa s[8:9], v6, v12 src0_sel:BYTE_0 src1_sel:DWORD
	s_andn2_b64 s[4:5], s[4:5], exec
	s_and_b64 s[8:9], s[8:9], exec
	s_or_b64 s[4:5], s[4:5], s[8:9]
	s_or_b64 exec, exec, s[6:7]
	s_and_saveexec_b64 s[6:7], s[4:5]
	s_cbranch_execz .LBB1_30977
; %bb.54787:
	s_getpc_b64 s[14:15]
.Lpost_getpc13057:
	s_add_u32 s14, s14, (.LBB1_4611-.Lpost_getpc13057)&4294967295
	s_addc_u32 s15, s15, (.LBB1_4611-.Lpost_getpc13057)>>32
	s_setpc_b64 s[14:15]
.LBB1_30977:
	s_getpc_b64 s[14:15]
.Lpost_getpc1152:
	s_add_u32 s14, s14, (.LBB1_4612-.Lpost_getpc1152)&4294967295
	s_addc_u32 s15, s15, (.LBB1_4612-.Lpost_getpc1152)>>32
	s_setpc_b64 s[14:15]
.LBB1_18949:
	s_movk_i32 s4, 0x80
	v_cmp_eq_u16_sdwa s[12:13], v2, s4 src0_sel:BYTE_0 src1_sel:DWORD
	s_mov_b64 s[4:5], -1
                                        ; implicit-def: $sgpr10
	s_and_saveexec_b64 s[8:9], s[12:13]
; %bb.18950:
	s_mov_b32 s10, 0x7f800001
	s_xor_b64 s[4:5], exec, -1
; %bb.18951:
	s_or_b64 exec, exec, s[8:9]
	s_and_b64 s[4:5], s[4:5], exec
	s_or_saveexec_b64 s[6:7], s[6:7]
	v_mov_b32_e32 v13, s10
	s_xor_b64 exec, exec, s[6:7]
	s_cbranch_execnz .LBB1_18952
; %bb.54789:
	s_getpc_b64 s[14:15]
.Lpost_getpc13058:
	s_add_u32 s14, s14, (.LBB1_4614-.Lpost_getpc13058)&4294967295
	s_addc_u32 s15, s15, (.LBB1_4614-.Lpost_getpc13058)>>32
	s_setpc_b64 s[14:15]
.LBB1_18952:
	v_mov_b32_e32 v13, 0
	v_cmp_ne_u16_sdwa s[8:9], v2, v13 src0_sel:BYTE_0 src1_sel:DWORD
	s_andn2_b64 s[4:5], s[4:5], exec
	s_and_b64 s[8:9], s[8:9], exec
	s_or_b64 s[4:5], s[4:5], s[8:9]
	s_or_b64 exec, exec, s[6:7]
	s_and_saveexec_b64 s[6:7], s[4:5]
	s_cbranch_execz .LBB1_30979
; %bb.54791:
	s_getpc_b64 s[14:15]
.Lpost_getpc13059:
	s_add_u32 s14, s14, (.LBB1_4615-.Lpost_getpc13059)&4294967295
	s_addc_u32 s15, s15, (.LBB1_4615-.Lpost_getpc13059)>>32
	s_setpc_b64 s[14:15]
.LBB1_30979:
	s_getpc_b64 s[14:15]
.Lpost_getpc1153:
	s_add_u32 s14, s14, (.LBB1_4616-.Lpost_getpc1153)&4294967295
	s_addc_u32 s15, s15, (.LBB1_4616-.Lpost_getpc1153)>>32
	s_setpc_b64 s[14:15]
.LBB1_18953:
	s_movk_i32 s4, 0x80
	v_cmp_eq_u16_sdwa s[12:13], v13, s4 src0_sel:BYTE_0 src1_sel:DWORD
	s_mov_b64 s[4:5], -1
                                        ; implicit-def: $sgpr10
	s_and_saveexec_b64 s[8:9], s[12:13]
; %bb.18954:
	s_mov_b32 s10, 0x7f800001
	s_xor_b64 s[4:5], exec, -1
; %bb.18955:
	s_or_b64 exec, exec, s[8:9]
	s_and_b64 s[4:5], s[4:5], exec
	s_or_saveexec_b64 s[6:7], s[6:7]
	v_mov_b32_e32 v12, s10
	s_xor_b64 exec, exec, s[6:7]
	s_cbranch_execnz .LBB1_18956
; %bb.54793:
	s_getpc_b64 s[14:15]
.Lpost_getpc13060:
	s_add_u32 s14, s14, (.LBB1_4618-.Lpost_getpc13060)&4294967295
	s_addc_u32 s15, s15, (.LBB1_4618-.Lpost_getpc13060)>>32
	s_setpc_b64 s[14:15]
.LBB1_18956:
	v_mov_b32_e32 v12, 0
	v_cmp_ne_u16_sdwa s[8:9], v13, v12 src0_sel:BYTE_0 src1_sel:DWORD
	s_andn2_b64 s[4:5], s[4:5], exec
	s_and_b64 s[8:9], s[8:9], exec
	s_or_b64 s[4:5], s[4:5], s[8:9]
	s_or_b64 exec, exec, s[6:7]
	s_and_saveexec_b64 s[6:7], s[4:5]
	s_cbranch_execz .LBB1_30981
; %bb.54795:
	s_getpc_b64 s[14:15]
.Lpost_getpc13061:
	s_add_u32 s14, s14, (.LBB1_4619-.Lpost_getpc13061)&4294967295
	s_addc_u32 s15, s15, (.LBB1_4619-.Lpost_getpc13061)>>32
	s_setpc_b64 s[14:15]
.LBB1_30981:
	s_getpc_b64 s[14:15]
.Lpost_getpc1154:
	s_add_u32 s14, s14, (.LBB1_4620-.Lpost_getpc1154)&4294967295
	s_addc_u32 s15, s15, (.LBB1_4620-.Lpost_getpc1154)>>32
	s_setpc_b64 s[14:15]
.LBB1_18957:
	s_movk_i32 s4, 0x80
	v_cmp_eq_u16_sdwa s[12:13], v13, s4 src0_sel:BYTE_0 src1_sel:DWORD
	s_mov_b64 s[4:5], -1
                                        ; implicit-def: $sgpr10
	s_and_saveexec_b64 s[8:9], s[12:13]
; %bb.18958:
	s_mov_b32 s10, 0x7f800001
	s_xor_b64 s[4:5], exec, -1
; %bb.18959:
	s_or_b64 exec, exec, s[8:9]
	s_and_b64 s[4:5], s[4:5], exec
	s_or_saveexec_b64 s[6:7], s[6:7]
	v_mov_b32_e32 v14, s10
	s_xor_b64 exec, exec, s[6:7]
	s_cbranch_execnz .LBB1_18960
; %bb.54797:
	s_getpc_b64 s[14:15]
.Lpost_getpc13062:
	s_add_u32 s14, s14, (.LBB1_4622-.Lpost_getpc13062)&4294967295
	s_addc_u32 s15, s15, (.LBB1_4622-.Lpost_getpc13062)>>32
	s_setpc_b64 s[14:15]
.LBB1_18960:
	v_mov_b32_e32 v14, 0
	v_cmp_ne_u16_sdwa s[8:9], v13, v14 src0_sel:BYTE_0 src1_sel:DWORD
	s_andn2_b64 s[4:5], s[4:5], exec
	s_and_b64 s[8:9], s[8:9], exec
	s_or_b64 s[4:5], s[4:5], s[8:9]
	s_or_b64 exec, exec, s[6:7]
	s_and_saveexec_b64 s[6:7], s[4:5]
	s_cbranch_execz .LBB1_30983
; %bb.54799:
	s_getpc_b64 s[14:15]
.Lpost_getpc13063:
	s_add_u32 s14, s14, (.LBB1_4623-.Lpost_getpc13063)&4294967295
	s_addc_u32 s15, s15, (.LBB1_4623-.Lpost_getpc13063)>>32
	s_setpc_b64 s[14:15]
.LBB1_30983:
	s_getpc_b64 s[14:15]
.Lpost_getpc1155:
	s_add_u32 s14, s14, (.LBB1_4624-.Lpost_getpc1155)&4294967295
	s_addc_u32 s15, s15, (.LBB1_4624-.Lpost_getpc1155)>>32
	s_setpc_b64 s[14:15]
.LBB1_18961:
	s_movk_i32 s4, 0x80
	v_cmp_eq_u16_e32 vcc, s4, v13
	s_mov_b64 s[4:5], -1
                                        ; implicit-def: $sgpr10
	s_and_saveexec_b64 s[8:9], vcc
; %bb.18962:
	s_mov_b32 s10, 0x7f800001
	s_xor_b64 s[4:5], exec, -1
; %bb.18963:
	s_or_b64 exec, exec, s[8:9]
	s_and_b64 s[4:5], s[4:5], exec
                                        ; implicit-def: $vgpr13
	s_or_saveexec_b64 s[6:7], s[6:7]
	v_mov_b32_e32 v12, s10
	s_xor_b64 exec, exec, s[6:7]
	s_cbranch_execnz .LBB1_18964
; %bb.54801:
	s_getpc_b64 s[14:15]
.Lpost_getpc13064:
	s_add_u32 s14, s14, (.LBB1_4626-.Lpost_getpc13064)&4294967295
	s_addc_u32 s15, s15, (.LBB1_4626-.Lpost_getpc13064)>>32
	s_setpc_b64 s[14:15]
.LBB1_18964:
	v_cmp_ne_u16_e32 vcc, 0, v13
	s_andn2_b64 s[4:5], s[4:5], exec
	s_and_b64 s[8:9], vcc, exec
	v_mov_b32_e32 v12, 0
	s_or_b64 s[4:5], s[4:5], s[8:9]
	s_or_b64 exec, exec, s[6:7]
	s_and_saveexec_b64 s[6:7], s[4:5]
	s_cbranch_execz .LBB1_30985
; %bb.54803:
	s_getpc_b64 s[14:15]
.Lpost_getpc13065:
	s_add_u32 s14, s14, (.LBB1_4627-.Lpost_getpc13065)&4294967295
	s_addc_u32 s15, s15, (.LBB1_4627-.Lpost_getpc13065)>>32
	s_setpc_b64 s[14:15]
.LBB1_30985:
	s_getpc_b64 s[14:15]
.Lpost_getpc1156:
	s_add_u32 s14, s14, (.LBB1_4628-.Lpost_getpc1156)&4294967295
	s_addc_u32 s15, s15, (.LBB1_4628-.Lpost_getpc1156)>>32
	s_setpc_b64 s[14:15]
.LBB1_18965:
	s_movk_i32 s4, 0x80
	v_cmp_eq_u16_e32 vcc, s4, v13
	s_mov_b64 s[4:5], -1
                                        ; implicit-def: $sgpr10
	s_and_saveexec_b64 s[8:9], vcc
; %bb.18966:
	s_mov_b32 s10, 0x7f800001
	s_xor_b64 s[4:5], exec, -1
; %bb.18967:
	s_or_b64 exec, exec, s[8:9]
	s_and_b64 s[4:5], s[4:5], exec
                                        ; implicit-def: $vgpr13
	s_or_saveexec_b64 s[6:7], s[6:7]
	v_mov_b32_e32 v14, s10
	s_xor_b64 exec, exec, s[6:7]
	s_cbranch_execnz .LBB1_18968
; %bb.54805:
	s_getpc_b64 s[14:15]
.Lpost_getpc13066:
	s_add_u32 s14, s14, (.LBB1_4630-.Lpost_getpc13066)&4294967295
	s_addc_u32 s15, s15, (.LBB1_4630-.Lpost_getpc13066)>>32
	s_setpc_b64 s[14:15]
.LBB1_18968:
	v_cmp_ne_u16_e32 vcc, 0, v13
	s_andn2_b64 s[4:5], s[4:5], exec
	s_and_b64 s[8:9], vcc, exec
	v_mov_b32_e32 v14, 0
	s_or_b64 s[4:5], s[4:5], s[8:9]
	s_or_b64 exec, exec, s[6:7]
	s_and_saveexec_b64 s[6:7], s[4:5]
	s_cbranch_execz .LBB1_30987
; %bb.54807:
	s_getpc_b64 s[14:15]
.Lpost_getpc13067:
	s_add_u32 s14, s14, (.LBB1_4631-.Lpost_getpc13067)&4294967295
	s_addc_u32 s15, s15, (.LBB1_4631-.Lpost_getpc13067)>>32
	s_setpc_b64 s[14:15]
.LBB1_30987:
	s_getpc_b64 s[14:15]
.Lpost_getpc1157:
	s_add_u32 s14, s14, (.LBB1_4632-.Lpost_getpc1157)&4294967295
	s_addc_u32 s15, s15, (.LBB1_4632-.Lpost_getpc1157)>>32
	s_setpc_b64 s[14:15]
.LBB1_18969:
	s_movk_i32 s4, 0x80
	v_cmp_eq_u16_sdwa s[12:13], v6, s4 src0_sel:BYTE_3 src1_sel:DWORD
	s_mov_b64 s[4:5], -1
                                        ; implicit-def: $sgpr10
	s_and_saveexec_b64 s[8:9], s[12:13]
; %bb.18970:
	s_mov_b32 s10, 0x7f800001
	s_xor_b64 s[4:5], exec, -1
; %bb.18971:
	s_or_b64 exec, exec, s[8:9]
	s_and_b64 s[4:5], s[4:5], exec
	s_or_saveexec_b64 s[6:7], s[6:7]
	v_mov_b32_e32 v12, s10
	s_xor_b64 exec, exec, s[6:7]
	s_cbranch_execnz .LBB1_18972
; %bb.54809:
	s_getpc_b64 s[14:15]
.Lpost_getpc13068:
	s_add_u32 s14, s14, (.LBB1_4634-.Lpost_getpc13068)&4294967295
	s_addc_u32 s15, s15, (.LBB1_4634-.Lpost_getpc13068)>>32
	s_setpc_b64 s[14:15]
.LBB1_18972:
	v_mov_b32_e32 v12, 0
	v_cmp_ne_u16_sdwa s[8:9], v6, v12 src0_sel:BYTE_3 src1_sel:DWORD
	s_andn2_b64 s[4:5], s[4:5], exec
	s_and_b64 s[8:9], s[8:9], exec
	s_or_b64 s[4:5], s[4:5], s[8:9]
	s_or_b64 exec, exec, s[6:7]
	s_and_saveexec_b64 s[6:7], s[4:5]
	s_cbranch_execz .LBB1_30989
; %bb.54811:
	s_getpc_b64 s[14:15]
.Lpost_getpc13069:
	s_add_u32 s14, s14, (.LBB1_4635-.Lpost_getpc13069)&4294967295
	s_addc_u32 s15, s15, (.LBB1_4635-.Lpost_getpc13069)>>32
	s_setpc_b64 s[14:15]
.LBB1_30989:
	s_getpc_b64 s[14:15]
.Lpost_getpc1158:
	s_add_u32 s14, s14, (.LBB1_4636-.Lpost_getpc1158)&4294967295
	s_addc_u32 s15, s15, (.LBB1_4636-.Lpost_getpc1158)>>32
	s_setpc_b64 s[14:15]
.LBB1_18973:
	s_movk_i32 s4, 0x80
	v_cmp_eq_u16_sdwa s[12:13], v2, s4 src0_sel:BYTE_3 src1_sel:DWORD
	s_mov_b64 s[4:5], -1
                                        ; implicit-def: $sgpr10
	s_and_saveexec_b64 s[8:9], s[12:13]
; %bb.18974:
	s_mov_b32 s10, 0x7f800001
	s_xor_b64 s[4:5], exec, -1
; %bb.18975:
	s_or_b64 exec, exec, s[8:9]
	s_and_b64 s[4:5], s[4:5], exec
	s_or_saveexec_b64 s[6:7], s[6:7]
	v_mov_b32_e32 v6, s10
	s_xor_b64 exec, exec, s[6:7]
	s_cbranch_execnz .LBB1_18976
; %bb.54813:
	s_getpc_b64 s[14:15]
.Lpost_getpc13070:
	s_add_u32 s14, s14, (.LBB1_4638-.Lpost_getpc13070)&4294967295
	s_addc_u32 s15, s15, (.LBB1_4638-.Lpost_getpc13070)>>32
	s_setpc_b64 s[14:15]
.LBB1_18976:
	v_mov_b32_e32 v6, 0
	v_cmp_ne_u16_sdwa s[8:9], v2, v6 src0_sel:BYTE_3 src1_sel:DWORD
	s_andn2_b64 s[4:5], s[4:5], exec
	s_and_b64 s[8:9], s[8:9], exec
	s_or_b64 s[4:5], s[4:5], s[8:9]
	s_or_b64 exec, exec, s[6:7]
	s_and_saveexec_b64 s[6:7], s[4:5]
	s_cbranch_execz .LBB1_30991
; %bb.54815:
	s_getpc_b64 s[14:15]
.Lpost_getpc13071:
	s_add_u32 s14, s14, (.LBB1_4639-.Lpost_getpc13071)&4294967295
	s_addc_u32 s15, s15, (.LBB1_4639-.Lpost_getpc13071)>>32
	s_setpc_b64 s[14:15]
.LBB1_30991:
	s_getpc_b64 s[14:15]
.Lpost_getpc1159:
	s_add_u32 s14, s14, (.LBB1_4640-.Lpost_getpc1159)&4294967295
	s_addc_u32 s15, s15, (.LBB1_4640-.Lpost_getpc1159)>>32
	s_setpc_b64 s[14:15]
.LBB1_18977:
	s_movk_i32 s4, 0x80
	v_cmp_eq_u16_sdwa s[12:13], v7, s4 src0_sel:BYTE_0 src1_sel:DWORD
	s_mov_b64 s[4:5], -1
                                        ; implicit-def: $sgpr10
	s_and_saveexec_b64 s[8:9], s[12:13]
; %bb.18978:
	s_mov_b32 s10, 0x7f800001
	s_xor_b64 s[4:5], exec, -1
; %bb.18979:
	s_or_b64 exec, exec, s[8:9]
	s_and_b64 s[4:5], s[4:5], exec
	s_or_saveexec_b64 s[6:7], s[6:7]
	v_mov_b32_e32 v2, s10
	s_xor_b64 exec, exec, s[6:7]
	s_cbranch_execnz .LBB1_18980
; %bb.54817:
	s_getpc_b64 s[14:15]
.Lpost_getpc13072:
	s_add_u32 s14, s14, (.LBB1_4642-.Lpost_getpc13072)&4294967295
	s_addc_u32 s15, s15, (.LBB1_4642-.Lpost_getpc13072)>>32
	s_setpc_b64 s[14:15]
.LBB1_18980:
	v_mov_b32_e32 v2, 0
	v_cmp_ne_u16_sdwa s[8:9], v7, v2 src0_sel:BYTE_0 src1_sel:DWORD
	s_andn2_b64 s[4:5], s[4:5], exec
	s_and_b64 s[8:9], s[8:9], exec
	s_or_b64 s[4:5], s[4:5], s[8:9]
	s_or_b64 exec, exec, s[6:7]
	s_and_saveexec_b64 s[6:7], s[4:5]
	s_cbranch_execz .LBB1_30993
; %bb.54819:
	s_getpc_b64 s[14:15]
.Lpost_getpc13073:
	s_add_u32 s14, s14, (.LBB1_4643-.Lpost_getpc13073)&4294967295
	s_addc_u32 s15, s15, (.LBB1_4643-.Lpost_getpc13073)>>32
	s_setpc_b64 s[14:15]
.LBB1_30993:
	s_getpc_b64 s[14:15]
.Lpost_getpc1160:
	s_add_u32 s14, s14, (.LBB1_4644-.Lpost_getpc1160)&4294967295
	s_addc_u32 s15, s15, (.LBB1_4644-.Lpost_getpc1160)>>32
	s_setpc_b64 s[14:15]
.LBB1_18981:
	s_movk_i32 s4, 0x80
	v_cmp_eq_u16_sdwa s[12:13], v3, s4 src0_sel:BYTE_0 src1_sel:DWORD
	s_mov_b64 s[4:5], -1
                                        ; implicit-def: $sgpr10
	s_and_saveexec_b64 s[8:9], s[12:13]
; %bb.18982:
	s_mov_b32 s10, 0x7f800001
	s_xor_b64 s[4:5], exec, -1
; %bb.18983:
	s_or_b64 exec, exec, s[8:9]
	s_and_b64 s[4:5], s[4:5], exec
	s_or_saveexec_b64 s[6:7], s[6:7]
	v_mov_b32_e32 v6, s10
	s_xor_b64 exec, exec, s[6:7]
	s_cbranch_execnz .LBB1_18984
; %bb.54821:
	s_getpc_b64 s[14:15]
.Lpost_getpc13074:
	s_add_u32 s14, s14, (.LBB1_4646-.Lpost_getpc13074)&4294967295
	s_addc_u32 s15, s15, (.LBB1_4646-.Lpost_getpc13074)>>32
	s_setpc_b64 s[14:15]
.LBB1_18984:
	v_mov_b32_e32 v6, 0
	v_cmp_ne_u16_sdwa s[8:9], v3, v6 src0_sel:BYTE_0 src1_sel:DWORD
	s_andn2_b64 s[4:5], s[4:5], exec
	s_and_b64 s[8:9], s[8:9], exec
	s_or_b64 s[4:5], s[4:5], s[8:9]
	s_or_b64 exec, exec, s[6:7]
	s_and_saveexec_b64 s[6:7], s[4:5]
	s_cbranch_execz .LBB1_30995
; %bb.54823:
	s_getpc_b64 s[14:15]
.Lpost_getpc13075:
	s_add_u32 s14, s14, (.LBB1_4647-.Lpost_getpc13075)&4294967295
	s_addc_u32 s15, s15, (.LBB1_4647-.Lpost_getpc13075)>>32
	s_setpc_b64 s[14:15]
.LBB1_30995:
	s_getpc_b64 s[14:15]
.Lpost_getpc1161:
	s_add_u32 s14, s14, (.LBB1_4648-.Lpost_getpc1161)&4294967295
	s_addc_u32 s15, s15, (.LBB1_4648-.Lpost_getpc1161)>>32
	s_setpc_b64 s[14:15]
.LBB1_18985:
	s_movk_i32 s4, 0x80
	v_cmp_eq_u16_sdwa s[12:13], v6, s4 src0_sel:BYTE_0 src1_sel:DWORD
	s_mov_b64 s[4:5], -1
                                        ; implicit-def: $sgpr10
	s_and_saveexec_b64 s[8:9], s[12:13]
; %bb.18986:
	s_mov_b32 s10, 0x7f800001
	s_xor_b64 s[4:5], exec, -1
; %bb.18987:
	s_or_b64 exec, exec, s[8:9]
	s_and_b64 s[4:5], s[4:5], exec
	s_or_saveexec_b64 s[6:7], s[6:7]
	v_mov_b32_e32 v2, s10
	s_xor_b64 exec, exec, s[6:7]
	s_cbranch_execnz .LBB1_18988
; %bb.54825:
	s_getpc_b64 s[14:15]
.Lpost_getpc13076:
	s_add_u32 s14, s14, (.LBB1_4650-.Lpost_getpc13076)&4294967295
	s_addc_u32 s15, s15, (.LBB1_4650-.Lpost_getpc13076)>>32
	s_setpc_b64 s[14:15]
.LBB1_18988:
	v_mov_b32_e32 v2, 0
	v_cmp_ne_u16_sdwa s[8:9], v6, v2 src0_sel:BYTE_0 src1_sel:DWORD
	s_andn2_b64 s[4:5], s[4:5], exec
	s_and_b64 s[8:9], s[8:9], exec
	s_or_b64 s[4:5], s[4:5], s[8:9]
	s_or_b64 exec, exec, s[6:7]
	s_and_saveexec_b64 s[6:7], s[4:5]
	s_cbranch_execz .LBB1_30997
; %bb.54827:
	s_getpc_b64 s[14:15]
.Lpost_getpc13077:
	s_add_u32 s14, s14, (.LBB1_4651-.Lpost_getpc13077)&4294967295
	s_addc_u32 s15, s15, (.LBB1_4651-.Lpost_getpc13077)>>32
	s_setpc_b64 s[14:15]
.LBB1_30997:
	s_getpc_b64 s[14:15]
.Lpost_getpc1162:
	s_add_u32 s14, s14, (.LBB1_4652-.Lpost_getpc1162)&4294967295
	s_addc_u32 s15, s15, (.LBB1_4652-.Lpost_getpc1162)>>32
	s_setpc_b64 s[14:15]
.LBB1_18989:
	s_movk_i32 s4, 0x80
	v_cmp_eq_u16_sdwa s[12:13], v6, s4 src0_sel:BYTE_0 src1_sel:DWORD
	s_mov_b64 s[4:5], -1
                                        ; implicit-def: $sgpr10
	s_and_saveexec_b64 s[8:9], s[12:13]
; %bb.18990:
	s_mov_b32 s10, 0x7f800001
	s_xor_b64 s[4:5], exec, -1
; %bb.18991:
	s_or_b64 exec, exec, s[8:9]
	s_and_b64 s[4:5], s[4:5], exec
	s_or_saveexec_b64 s[6:7], s[6:7]
	v_mov_b32_e32 v12, s10
	s_xor_b64 exec, exec, s[6:7]
	s_cbranch_execnz .LBB1_18992
; %bb.54829:
	s_getpc_b64 s[14:15]
.Lpost_getpc13078:
	s_add_u32 s14, s14, (.LBB1_4654-.Lpost_getpc13078)&4294967295
	s_addc_u32 s15, s15, (.LBB1_4654-.Lpost_getpc13078)>>32
	s_setpc_b64 s[14:15]
.LBB1_18992:
	v_mov_b32_e32 v12, 0
	v_cmp_ne_u16_sdwa s[8:9], v6, v12 src0_sel:BYTE_0 src1_sel:DWORD
	s_andn2_b64 s[4:5], s[4:5], exec
	s_and_b64 s[8:9], s[8:9], exec
	s_or_b64 s[4:5], s[4:5], s[8:9]
	s_or_b64 exec, exec, s[6:7]
	s_and_saveexec_b64 s[6:7], s[4:5]
	s_cbranch_execz .LBB1_30999
; %bb.54831:
	s_getpc_b64 s[14:15]
.Lpost_getpc13079:
	s_add_u32 s14, s14, (.LBB1_4655-.Lpost_getpc13079)&4294967295
	s_addc_u32 s15, s15, (.LBB1_4655-.Lpost_getpc13079)>>32
	s_setpc_b64 s[14:15]
.LBB1_30999:
	s_getpc_b64 s[14:15]
.Lpost_getpc1163:
	s_add_u32 s14, s14, (.LBB1_4656-.Lpost_getpc1163)&4294967295
	s_addc_u32 s15, s15, (.LBB1_4656-.Lpost_getpc1163)>>32
	s_setpc_b64 s[14:15]
.LBB1_18993:
	s_movk_i32 s4, 0x80
	v_cmp_eq_u16_e32 vcc, s4, v6
	s_mov_b64 s[4:5], -1
                                        ; implicit-def: $sgpr10
	s_and_saveexec_b64 s[8:9], vcc
; %bb.18994:
	s_mov_b32 s10, 0x7f800001
	s_xor_b64 s[4:5], exec, -1
; %bb.18995:
	s_or_b64 exec, exec, s[8:9]
	s_and_b64 s[4:5], s[4:5], exec
                                        ; implicit-def: $vgpr6
	s_or_saveexec_b64 s[6:7], s[6:7]
	v_mov_b32_e32 v2, s10
	s_xor_b64 exec, exec, s[6:7]
	s_cbranch_execnz .LBB1_18996
; %bb.54833:
	s_getpc_b64 s[14:15]
.Lpost_getpc13080:
	s_add_u32 s14, s14, (.LBB1_4658-.Lpost_getpc13080)&4294967295
	s_addc_u32 s15, s15, (.LBB1_4658-.Lpost_getpc13080)>>32
	s_setpc_b64 s[14:15]
.LBB1_18996:
	v_cmp_ne_u16_e32 vcc, 0, v6
	s_andn2_b64 s[4:5], s[4:5], exec
	s_and_b64 s[8:9], vcc, exec
	v_mov_b32_e32 v2, 0
	s_or_b64 s[4:5], s[4:5], s[8:9]
	s_or_b64 exec, exec, s[6:7]
	s_and_saveexec_b64 s[6:7], s[4:5]
	s_cbranch_execz .LBB1_31001
; %bb.54835:
	s_getpc_b64 s[14:15]
.Lpost_getpc13081:
	s_add_u32 s14, s14, (.LBB1_4659-.Lpost_getpc13081)&4294967295
	s_addc_u32 s15, s15, (.LBB1_4659-.Lpost_getpc13081)>>32
	s_setpc_b64 s[14:15]
.LBB1_31001:
	s_getpc_b64 s[14:15]
.Lpost_getpc1164:
	s_add_u32 s14, s14, (.LBB1_4660-.Lpost_getpc1164)&4294967295
	s_addc_u32 s15, s15, (.LBB1_4660-.Lpost_getpc1164)>>32
	s_setpc_b64 s[14:15]
.LBB1_18997:
	s_movk_i32 s4, 0x80
	v_cmp_eq_u16_e32 vcc, s4, v6
	s_mov_b64 s[4:5], -1
                                        ; implicit-def: $sgpr10
	s_and_saveexec_b64 s[8:9], vcc
; %bb.18998:
	s_mov_b32 s10, 0x7f800001
	s_xor_b64 s[4:5], exec, -1
; %bb.18999:
	s_or_b64 exec, exec, s[8:9]
	s_and_b64 s[4:5], s[4:5], exec
                                        ; implicit-def: $vgpr6
	s_or_saveexec_b64 s[6:7], s[6:7]
	v_mov_b32_e32 v12, s10
	s_xor_b64 exec, exec, s[6:7]
	s_cbranch_execnz .LBB1_19000
; %bb.54837:
	s_getpc_b64 s[14:15]
.Lpost_getpc13082:
	s_add_u32 s14, s14, (.LBB1_4662-.Lpost_getpc13082)&4294967295
	s_addc_u32 s15, s15, (.LBB1_4662-.Lpost_getpc13082)>>32
	s_setpc_b64 s[14:15]
.LBB1_19000:
	v_cmp_ne_u16_e32 vcc, 0, v6
	s_andn2_b64 s[4:5], s[4:5], exec
	s_and_b64 s[8:9], vcc, exec
	v_mov_b32_e32 v12, 0
	s_or_b64 s[4:5], s[4:5], s[8:9]
	s_or_b64 exec, exec, s[6:7]
	s_and_saveexec_b64 s[6:7], s[4:5]
	s_cbranch_execz .LBB1_31003
; %bb.54839:
	s_getpc_b64 s[14:15]
.Lpost_getpc13083:
	s_add_u32 s14, s14, (.LBB1_4663-.Lpost_getpc13083)&4294967295
	s_addc_u32 s15, s15, (.LBB1_4663-.Lpost_getpc13083)>>32
	s_setpc_b64 s[14:15]
.LBB1_31003:
	s_getpc_b64 s[14:15]
.Lpost_getpc1165:
	s_add_u32 s14, s14, (.LBB1_4664-.Lpost_getpc1165)&4294967295
	s_addc_u32 s15, s15, (.LBB1_4664-.Lpost_getpc1165)>>32
	s_setpc_b64 s[14:15]
.LBB1_19001:
	s_movk_i32 s4, 0x80
	v_cmp_eq_u16_sdwa s[12:13], v7, s4 src0_sel:BYTE_3 src1_sel:DWORD
	s_mov_b64 s[4:5], -1
                                        ; implicit-def: $sgpr10
	s_and_saveexec_b64 s[8:9], s[12:13]
; %bb.19002:
	s_mov_b32 s10, 0x7f800001
	s_xor_b64 s[4:5], exec, -1
; %bb.19003:
	s_or_b64 exec, exec, s[8:9]
	s_and_b64 s[4:5], s[4:5], exec
	s_or_saveexec_b64 s[6:7], s[6:7]
	v_mov_b32_e32 v2, s10
	s_xor_b64 exec, exec, s[6:7]
	s_cbranch_execnz .LBB1_19004
; %bb.54841:
	s_getpc_b64 s[14:15]
.Lpost_getpc13084:
	s_add_u32 s14, s14, (.LBB1_4666-.Lpost_getpc13084)&4294967295
	s_addc_u32 s15, s15, (.LBB1_4666-.Lpost_getpc13084)>>32
	s_setpc_b64 s[14:15]
.LBB1_19004:
	v_mov_b32_e32 v2, 0
	v_cmp_ne_u16_sdwa s[8:9], v7, v2 src0_sel:BYTE_3 src1_sel:DWORD
	s_andn2_b64 s[4:5], s[4:5], exec
	s_and_b64 s[8:9], s[8:9], exec
	s_or_b64 s[4:5], s[4:5], s[8:9]
	s_or_b64 exec, exec, s[6:7]
	s_and_saveexec_b64 s[6:7], s[4:5]
	s_cbranch_execz .LBB1_31005
; %bb.54843:
	s_getpc_b64 s[14:15]
.Lpost_getpc13085:
	s_add_u32 s14, s14, (.LBB1_4667-.Lpost_getpc13085)&4294967295
	s_addc_u32 s15, s15, (.LBB1_4667-.Lpost_getpc13085)>>32
	s_setpc_b64 s[14:15]
.LBB1_31005:
	s_getpc_b64 s[14:15]
.Lpost_getpc1166:
	s_add_u32 s14, s14, (.LBB1_4668-.Lpost_getpc1166)&4294967295
	s_addc_u32 s15, s15, (.LBB1_4668-.Lpost_getpc1166)>>32
	s_setpc_b64 s[14:15]
.LBB1_19005:
	s_movk_i32 s4, 0x80
	v_cmp_eq_u16_sdwa s[12:13], v3, s4 src0_sel:BYTE_3 src1_sel:DWORD
	s_mov_b64 s[4:5], -1
                                        ; implicit-def: $sgpr10
	s_and_saveexec_b64 s[8:9], s[12:13]
; %bb.19006:
	s_mov_b32 s10, 0x7f800001
	s_xor_b64 s[4:5], exec, -1
; %bb.19007:
	s_or_b64 exec, exec, s[8:9]
	s_and_b64 s[4:5], s[4:5], exec
	s_or_saveexec_b64 s[6:7], s[6:7]
	v_mov_b32_e32 v6, s10
	s_xor_b64 exec, exec, s[6:7]
	s_cbranch_execnz .LBB1_19008
; %bb.54845:
	s_getpc_b64 s[14:15]
.Lpost_getpc13086:
	s_add_u32 s14, s14, (.LBB1_4670-.Lpost_getpc13086)&4294967295
	s_addc_u32 s15, s15, (.LBB1_4670-.Lpost_getpc13086)>>32
	s_setpc_b64 s[14:15]
.LBB1_19008:
	v_mov_b32_e32 v6, 0
	v_cmp_ne_u16_sdwa s[8:9], v3, v6 src0_sel:BYTE_3 src1_sel:DWORD
	s_andn2_b64 s[4:5], s[4:5], exec
	s_and_b64 s[8:9], s[8:9], exec
	s_or_b64 s[4:5], s[4:5], s[8:9]
	s_or_b64 exec, exec, s[6:7]
	s_and_saveexec_b64 s[6:7], s[4:5]
	s_cbranch_execz .LBB1_31007
; %bb.54847:
	s_getpc_b64 s[14:15]
.Lpost_getpc13087:
	s_add_u32 s14, s14, (.LBB1_4671-.Lpost_getpc13087)&4294967295
	s_addc_u32 s15, s15, (.LBB1_4671-.Lpost_getpc13087)>>32
	s_setpc_b64 s[14:15]
.LBB1_31007:
	s_getpc_b64 s[14:15]
.Lpost_getpc1167:
	s_add_u32 s14, s14, (.LBB1_4672-.Lpost_getpc1167)&4294967295
	s_addc_u32 s15, s15, (.LBB1_4672-.Lpost_getpc1167)>>32
	s_setpc_b64 s[14:15]
.LBB1_19009:
	s_movk_i32 s4, 0x80
	v_cmp_eq_u16_sdwa s[12:13], v8, s4 src0_sel:BYTE_0 src1_sel:DWORD
	s_mov_b64 s[4:5], -1
                                        ; implicit-def: $sgpr10
	s_and_saveexec_b64 s[8:9], s[12:13]
; %bb.19010:
	s_mov_b32 s10, 0x7f800001
	s_xor_b64 s[4:5], exec, -1
; %bb.19011:
	s_or_b64 exec, exec, s[8:9]
	s_and_b64 s[4:5], s[4:5], exec
	s_or_saveexec_b64 s[6:7], s[6:7]
	v_mov_b32_e32 v2, s10
	s_xor_b64 exec, exec, s[6:7]
	s_cbranch_execnz .LBB1_19012
; %bb.54849:
	s_getpc_b64 s[14:15]
.Lpost_getpc13088:
	s_add_u32 s14, s14, (.LBB1_4674-.Lpost_getpc13088)&4294967295
	s_addc_u32 s15, s15, (.LBB1_4674-.Lpost_getpc13088)>>32
	s_setpc_b64 s[14:15]
.LBB1_19012:
	v_mov_b32_e32 v2, 0
	v_cmp_ne_u16_sdwa s[8:9], v8, v2 src0_sel:BYTE_0 src1_sel:DWORD
	s_andn2_b64 s[4:5], s[4:5], exec
	s_and_b64 s[8:9], s[8:9], exec
	s_or_b64 s[4:5], s[4:5], s[8:9]
	s_or_b64 exec, exec, s[6:7]
	s_and_saveexec_b64 s[6:7], s[4:5]
	s_cbranch_execz .LBB1_31009
; %bb.54851:
	s_getpc_b64 s[14:15]
.Lpost_getpc13089:
	s_add_u32 s14, s14, (.LBB1_4675-.Lpost_getpc13089)&4294967295
	s_addc_u32 s15, s15, (.LBB1_4675-.Lpost_getpc13089)>>32
	s_setpc_b64 s[14:15]
.LBB1_31009:
	s_getpc_b64 s[14:15]
.Lpost_getpc1168:
	s_add_u32 s14, s14, (.LBB1_4676-.Lpost_getpc1168)&4294967295
	s_addc_u32 s15, s15, (.LBB1_4676-.Lpost_getpc1168)>>32
	s_setpc_b64 s[14:15]
.LBB1_19013:
	s_movk_i32 s4, 0x80
	v_cmp_eq_u16_sdwa s[12:13], v4, s4 src0_sel:BYTE_0 src1_sel:DWORD
	s_mov_b64 s[4:5], -1
                                        ; implicit-def: $sgpr10
	s_and_saveexec_b64 s[8:9], s[12:13]
; %bb.19014:
	s_mov_b32 s10, 0x7f800001
	s_xor_b64 s[4:5], exec, -1
; %bb.19015:
	s_or_b64 exec, exec, s[8:9]
	s_and_b64 s[4:5], s[4:5], exec
	s_or_saveexec_b64 s[6:7], s[6:7]
	v_mov_b32_e32 v3, s10
	s_xor_b64 exec, exec, s[6:7]
	s_cbranch_execnz .LBB1_19016
; %bb.54853:
	s_getpc_b64 s[14:15]
.Lpost_getpc13090:
	s_add_u32 s14, s14, (.LBB1_4678-.Lpost_getpc13090)&4294967295
	s_addc_u32 s15, s15, (.LBB1_4678-.Lpost_getpc13090)>>32
	s_setpc_b64 s[14:15]
.LBB1_19016:
	v_mov_b32_e32 v3, 0
	v_cmp_ne_u16_sdwa s[8:9], v4, v3 src0_sel:BYTE_0 src1_sel:DWORD
	s_andn2_b64 s[4:5], s[4:5], exec
	s_and_b64 s[8:9], s[8:9], exec
	s_or_b64 s[4:5], s[4:5], s[8:9]
	s_or_b64 exec, exec, s[6:7]
	s_and_saveexec_b64 s[6:7], s[4:5]
	s_cbranch_execz .LBB1_31011
; %bb.54855:
	s_getpc_b64 s[14:15]
.Lpost_getpc13091:
	s_add_u32 s14, s14, (.LBB1_4679-.Lpost_getpc13091)&4294967295
	s_addc_u32 s15, s15, (.LBB1_4679-.Lpost_getpc13091)>>32
	s_setpc_b64 s[14:15]
.LBB1_31011:
	s_getpc_b64 s[14:15]
.Lpost_getpc1169:
	s_add_u32 s14, s14, (.LBB1_4680-.Lpost_getpc1169)&4294967295
	s_addc_u32 s15, s15, (.LBB1_4680-.Lpost_getpc1169)>>32
	s_setpc_b64 s[14:15]
.LBB1_19017:
	s_movk_i32 s4, 0x80
	v_cmp_eq_u16_sdwa s[12:13], v3, s4 src0_sel:BYTE_0 src1_sel:DWORD
	s_mov_b64 s[4:5], -1
                                        ; implicit-def: $sgpr10
	s_and_saveexec_b64 s[8:9], s[12:13]
; %bb.19018:
	s_mov_b32 s10, 0x7f800001
	s_xor_b64 s[4:5], exec, -1
; %bb.19019:
	s_or_b64 exec, exec, s[8:9]
	s_and_b64 s[4:5], s[4:5], exec
	s_or_saveexec_b64 s[6:7], s[6:7]
	v_mov_b32_e32 v2, s10
	s_xor_b64 exec, exec, s[6:7]
	s_cbranch_execnz .LBB1_19020
; %bb.54857:
	s_getpc_b64 s[14:15]
.Lpost_getpc13092:
	s_add_u32 s14, s14, (.LBB1_4682-.Lpost_getpc13092)&4294967295
	s_addc_u32 s15, s15, (.LBB1_4682-.Lpost_getpc13092)>>32
	s_setpc_b64 s[14:15]
.LBB1_19020:
	v_mov_b32_e32 v2, 0
	v_cmp_ne_u16_sdwa s[8:9], v3, v2 src0_sel:BYTE_0 src1_sel:DWORD
	s_andn2_b64 s[4:5], s[4:5], exec
	s_and_b64 s[8:9], s[8:9], exec
	s_or_b64 s[4:5], s[4:5], s[8:9]
	s_or_b64 exec, exec, s[6:7]
	s_and_saveexec_b64 s[6:7], s[4:5]
	s_cbranch_execz .LBB1_31013
; %bb.54859:
	s_getpc_b64 s[14:15]
.Lpost_getpc13093:
	s_add_u32 s14, s14, (.LBB1_4683-.Lpost_getpc13093)&4294967295
	s_addc_u32 s15, s15, (.LBB1_4683-.Lpost_getpc13093)>>32
	s_setpc_b64 s[14:15]
.LBB1_31013:
	s_getpc_b64 s[14:15]
.Lpost_getpc1170:
	s_add_u32 s14, s14, (.LBB1_4684-.Lpost_getpc1170)&4294967295
	s_addc_u32 s15, s15, (.LBB1_4684-.Lpost_getpc1170)>>32
	s_setpc_b64 s[14:15]
.LBB1_19021:
	s_movk_i32 s4, 0x80
	v_cmp_eq_u16_sdwa s[12:13], v3, s4 src0_sel:BYTE_0 src1_sel:DWORD
	s_mov_b64 s[4:5], -1
                                        ; implicit-def: $sgpr10
	s_and_saveexec_b64 s[8:9], s[12:13]
; %bb.19022:
	s_mov_b32 s10, 0x7f800001
	s_xor_b64 s[4:5], exec, -1
; %bb.19023:
	s_or_b64 exec, exec, s[8:9]
	s_and_b64 s[4:5], s[4:5], exec
	s_or_saveexec_b64 s[6:7], s[6:7]
	v_mov_b32_e32 v6, s10
	s_xor_b64 exec, exec, s[6:7]
	s_cbranch_execnz .LBB1_19024
; %bb.54861:
	s_getpc_b64 s[14:15]
.Lpost_getpc13094:
	s_add_u32 s14, s14, (.LBB1_4686-.Lpost_getpc13094)&4294967295
	s_addc_u32 s15, s15, (.LBB1_4686-.Lpost_getpc13094)>>32
	s_setpc_b64 s[14:15]
.LBB1_19024:
	v_mov_b32_e32 v6, 0
	v_cmp_ne_u16_sdwa s[8:9], v3, v6 src0_sel:BYTE_0 src1_sel:DWORD
	s_andn2_b64 s[4:5], s[4:5], exec
	s_and_b64 s[8:9], s[8:9], exec
	s_or_b64 s[4:5], s[4:5], s[8:9]
	s_or_b64 exec, exec, s[6:7]
	s_and_saveexec_b64 s[6:7], s[4:5]
	s_cbranch_execz .LBB1_31015
; %bb.54863:
	s_getpc_b64 s[14:15]
.Lpost_getpc13095:
	s_add_u32 s14, s14, (.LBB1_4687-.Lpost_getpc13095)&4294967295
	s_addc_u32 s15, s15, (.LBB1_4687-.Lpost_getpc13095)>>32
	s_setpc_b64 s[14:15]
.LBB1_31015:
	s_getpc_b64 s[14:15]
.Lpost_getpc1171:
	s_add_u32 s14, s14, (.LBB1_4688-.Lpost_getpc1171)&4294967295
	s_addc_u32 s15, s15, (.LBB1_4688-.Lpost_getpc1171)>>32
	s_setpc_b64 s[14:15]
.LBB1_19025:
	s_movk_i32 s4, 0x80
	v_cmp_eq_u16_e32 vcc, s4, v3
	s_mov_b64 s[4:5], -1
                                        ; implicit-def: $sgpr10
	s_and_saveexec_b64 s[8:9], vcc
; %bb.19026:
	s_mov_b32 s10, 0x7f800001
	s_xor_b64 s[4:5], exec, -1
; %bb.19027:
	s_or_b64 exec, exec, s[8:9]
	s_and_b64 s[4:5], s[4:5], exec
                                        ; implicit-def: $vgpr3
	s_or_saveexec_b64 s[6:7], s[6:7]
	v_mov_b32_e32 v2, s10
	s_xor_b64 exec, exec, s[6:7]
	s_cbranch_execnz .LBB1_19028
; %bb.54865:
	s_getpc_b64 s[14:15]
.Lpost_getpc13096:
	s_add_u32 s14, s14, (.LBB1_4690-.Lpost_getpc13096)&4294967295
	s_addc_u32 s15, s15, (.LBB1_4690-.Lpost_getpc13096)>>32
	s_setpc_b64 s[14:15]
.LBB1_19028:
	v_cmp_ne_u16_e32 vcc, 0, v3
	s_andn2_b64 s[4:5], s[4:5], exec
	s_and_b64 s[8:9], vcc, exec
	v_mov_b32_e32 v2, 0
	s_or_b64 s[4:5], s[4:5], s[8:9]
	s_or_b64 exec, exec, s[6:7]
	s_and_saveexec_b64 s[6:7], s[4:5]
	s_cbranch_execz .LBB1_31017
; %bb.54867:
	s_getpc_b64 s[14:15]
.Lpost_getpc13097:
	s_add_u32 s14, s14, (.LBB1_4691-.Lpost_getpc13097)&4294967295
	s_addc_u32 s15, s15, (.LBB1_4691-.Lpost_getpc13097)>>32
	s_setpc_b64 s[14:15]
.LBB1_31017:
	s_getpc_b64 s[14:15]
.Lpost_getpc1172:
	s_add_u32 s14, s14, (.LBB1_4692-.Lpost_getpc1172)&4294967295
	s_addc_u32 s15, s15, (.LBB1_4692-.Lpost_getpc1172)>>32
	s_setpc_b64 s[14:15]
.LBB1_19029:
	s_movk_i32 s4, 0x80
	v_cmp_eq_u16_e32 vcc, s4, v3
	s_mov_b64 s[4:5], -1
                                        ; implicit-def: $sgpr10
	s_and_saveexec_b64 s[8:9], vcc
; %bb.19030:
	s_mov_b32 s10, 0x7f800001
	s_xor_b64 s[4:5], exec, -1
; %bb.19031:
	s_or_b64 exec, exec, s[8:9]
	s_and_b64 s[4:5], s[4:5], exec
                                        ; implicit-def: $vgpr3
	s_or_saveexec_b64 s[6:7], s[6:7]
	v_mov_b32_e32 v6, s10
	s_xor_b64 exec, exec, s[6:7]
	s_cbranch_execnz .LBB1_19032
; %bb.54869:
	s_getpc_b64 s[14:15]
.Lpost_getpc13098:
	s_add_u32 s14, s14, (.LBB1_4694-.Lpost_getpc13098)&4294967295
	s_addc_u32 s15, s15, (.LBB1_4694-.Lpost_getpc13098)>>32
	s_setpc_b64 s[14:15]
.LBB1_19032:
	v_cmp_ne_u16_e32 vcc, 0, v3
	s_andn2_b64 s[4:5], s[4:5], exec
	s_and_b64 s[8:9], vcc, exec
	v_mov_b32_e32 v6, 0
	s_or_b64 s[4:5], s[4:5], s[8:9]
	s_or_b64 exec, exec, s[6:7]
	s_and_saveexec_b64 s[6:7], s[4:5]
	s_cbranch_execz .LBB1_31019
; %bb.54871:
	s_getpc_b64 s[14:15]
.Lpost_getpc13099:
	s_add_u32 s14, s14, (.LBB1_4695-.Lpost_getpc13099)&4294967295
	s_addc_u32 s15, s15, (.LBB1_4695-.Lpost_getpc13099)>>32
	s_setpc_b64 s[14:15]
.LBB1_31019:
	s_getpc_b64 s[14:15]
.Lpost_getpc1173:
	s_add_u32 s14, s14, (.LBB1_4696-.Lpost_getpc1173)&4294967295
	s_addc_u32 s15, s15, (.LBB1_4696-.Lpost_getpc1173)>>32
	s_setpc_b64 s[14:15]
.LBB1_19033:
	s_movk_i32 s4, 0x80
	v_cmp_eq_u16_sdwa s[12:13], v8, s4 src0_sel:BYTE_3 src1_sel:DWORD
	s_mov_b64 s[4:5], -1
                                        ; implicit-def: $sgpr10
	s_and_saveexec_b64 s[8:9], s[12:13]
; %bb.19034:
	s_mov_b32 s10, 0x7f800001
	s_xor_b64 s[4:5], exec, -1
; %bb.19035:
	s_or_b64 exec, exec, s[8:9]
	s_and_b64 s[4:5], s[4:5], exec
	s_or_saveexec_b64 s[6:7], s[6:7]
	v_mov_b32_e32 v2, s10
	s_xor_b64 exec, exec, s[6:7]
	s_cbranch_execnz .LBB1_19036
; %bb.54873:
	s_getpc_b64 s[14:15]
.Lpost_getpc13100:
	s_add_u32 s14, s14, (.LBB1_4698-.Lpost_getpc13100)&4294967295
	s_addc_u32 s15, s15, (.LBB1_4698-.Lpost_getpc13100)>>32
	s_setpc_b64 s[14:15]
.LBB1_19036:
	v_mov_b32_e32 v2, 0
	v_cmp_ne_u16_sdwa s[8:9], v8, v2 src0_sel:BYTE_3 src1_sel:DWORD
	s_andn2_b64 s[4:5], s[4:5], exec
	s_and_b64 s[8:9], s[8:9], exec
	s_or_b64 s[4:5], s[4:5], s[8:9]
	s_or_b64 exec, exec, s[6:7]
	s_and_saveexec_b64 s[6:7], s[4:5]
	s_cbranch_execz .LBB1_31021
; %bb.54875:
	s_getpc_b64 s[14:15]
.Lpost_getpc13101:
	s_add_u32 s14, s14, (.LBB1_4699-.Lpost_getpc13101)&4294967295
	s_addc_u32 s15, s15, (.LBB1_4699-.Lpost_getpc13101)>>32
	s_setpc_b64 s[14:15]
.LBB1_31021:
	s_getpc_b64 s[14:15]
.Lpost_getpc1174:
	s_add_u32 s14, s14, (.LBB1_4700-.Lpost_getpc1174)&4294967295
	s_addc_u32 s15, s15, (.LBB1_4700-.Lpost_getpc1174)>>32
	s_setpc_b64 s[14:15]
.LBB1_19037:
	s_movk_i32 s4, 0x80
	v_cmp_eq_u16_sdwa s[12:13], v4, s4 src0_sel:BYTE_3 src1_sel:DWORD
	s_mov_b64 s[4:5], -1
                                        ; implicit-def: $sgpr10
	s_and_saveexec_b64 s[8:9], s[12:13]
; %bb.19038:
	s_mov_b32 s10, 0x7f800001
	s_xor_b64 s[4:5], exec, -1
; %bb.19039:
	s_or_b64 exec, exec, s[8:9]
	s_and_b64 s[4:5], s[4:5], exec
	s_or_saveexec_b64 s[6:7], s[6:7]
	v_mov_b32_e32 v3, s10
	s_xor_b64 exec, exec, s[6:7]
	s_cbranch_execnz .LBB1_19040
; %bb.54877:
	s_getpc_b64 s[14:15]
.Lpost_getpc13102:
	s_add_u32 s14, s14, (.LBB1_4702-.Lpost_getpc13102)&4294967295
	s_addc_u32 s15, s15, (.LBB1_4702-.Lpost_getpc13102)>>32
	s_setpc_b64 s[14:15]
.LBB1_19040:
	v_mov_b32_e32 v3, 0
	v_cmp_ne_u16_sdwa s[8:9], v4, v3 src0_sel:BYTE_3 src1_sel:DWORD
	s_andn2_b64 s[4:5], s[4:5], exec
	s_and_b64 s[8:9], s[8:9], exec
	s_or_b64 s[4:5], s[4:5], s[8:9]
	s_or_b64 exec, exec, s[6:7]
	s_and_saveexec_b64 s[6:7], s[4:5]
	s_cbranch_execz .LBB1_31023
; %bb.54879:
	s_getpc_b64 s[14:15]
.Lpost_getpc13103:
	s_add_u32 s14, s14, (.LBB1_4703-.Lpost_getpc13103)&4294967295
	s_addc_u32 s15, s15, (.LBB1_4703-.Lpost_getpc13103)>>32
	s_setpc_b64 s[14:15]
.LBB1_31023:
	s_getpc_b64 s[14:15]
.Lpost_getpc1175:
	s_add_u32 s14, s14, (.LBB1_4704-.Lpost_getpc1175)&4294967295
	s_addc_u32 s15, s15, (.LBB1_4704-.Lpost_getpc1175)>>32
	s_setpc_b64 s[14:15]
.LBB1_19041:
	s_movk_i32 s4, 0x80
	v_cmp_eq_u16_sdwa s[12:13], v9, s4 src0_sel:BYTE_0 src1_sel:DWORD
	s_mov_b64 s[4:5], -1
                                        ; implicit-def: $sgpr10
	s_and_saveexec_b64 s[8:9], s[12:13]
; %bb.19042:
	s_mov_b32 s10, 0x7f800001
	s_xor_b64 s[4:5], exec, -1
; %bb.19043:
	s_or_b64 exec, exec, s[8:9]
	s_and_b64 s[4:5], s[4:5], exec
	s_or_saveexec_b64 s[6:7], s[6:7]
	v_mov_b32_e32 v2, s10
	s_xor_b64 exec, exec, s[6:7]
	s_cbranch_execnz .LBB1_19044
; %bb.54881:
	s_getpc_b64 s[14:15]
.Lpost_getpc13104:
	s_add_u32 s14, s14, (.LBB1_4706-.Lpost_getpc13104)&4294967295
	s_addc_u32 s15, s15, (.LBB1_4706-.Lpost_getpc13104)>>32
	s_setpc_b64 s[14:15]
.LBB1_19044:
	v_mov_b32_e32 v2, 0
	v_cmp_ne_u16_sdwa s[8:9], v9, v2 src0_sel:BYTE_0 src1_sel:DWORD
	s_andn2_b64 s[4:5], s[4:5], exec
	s_and_b64 s[8:9], s[8:9], exec
	s_or_b64 s[4:5], s[4:5], s[8:9]
	s_or_b64 exec, exec, s[6:7]
	s_and_saveexec_b64 s[6:7], s[4:5]
	s_cbranch_execz .LBB1_31025
; %bb.54883:
	s_getpc_b64 s[14:15]
.Lpost_getpc13105:
	s_add_u32 s14, s14, (.LBB1_4707-.Lpost_getpc13105)&4294967295
	s_addc_u32 s15, s15, (.LBB1_4707-.Lpost_getpc13105)>>32
	s_setpc_b64 s[14:15]
.LBB1_31025:
	s_getpc_b64 s[14:15]
.Lpost_getpc1176:
	s_add_u32 s14, s14, (.LBB1_4708-.Lpost_getpc1176)&4294967295
	s_addc_u32 s15, s15, (.LBB1_4708-.Lpost_getpc1176)>>32
	s_setpc_b64 s[14:15]
.LBB1_19045:
	s_movk_i32 s4, 0x80
	v_cmp_eq_u16_sdwa s[12:13], v5, s4 src0_sel:BYTE_0 src1_sel:DWORD
	s_mov_b64 s[4:5], -1
                                        ; implicit-def: $sgpr10
	s_and_saveexec_b64 s[8:9], s[12:13]
; %bb.19046:
	s_mov_b32 s10, 0x7f800001
	s_xor_b64 s[4:5], exec, -1
; %bb.19047:
	s_or_b64 exec, exec, s[8:9]
	s_and_b64 s[4:5], s[4:5], exec
	s_or_saveexec_b64 s[6:7], s[6:7]
	v_mov_b32_e32 v3, s10
	s_xor_b64 exec, exec, s[6:7]
	s_cbranch_execnz .LBB1_19048
; %bb.54885:
	s_getpc_b64 s[14:15]
.Lpost_getpc13106:
	s_add_u32 s14, s14, (.LBB1_4710-.Lpost_getpc13106)&4294967295
	s_addc_u32 s15, s15, (.LBB1_4710-.Lpost_getpc13106)>>32
	s_setpc_b64 s[14:15]
.LBB1_19048:
	v_mov_b32_e32 v3, 0
	v_cmp_ne_u16_sdwa s[8:9], v5, v3 src0_sel:BYTE_0 src1_sel:DWORD
	s_andn2_b64 s[4:5], s[4:5], exec
	s_and_b64 s[8:9], s[8:9], exec
	s_or_b64 s[4:5], s[4:5], s[8:9]
	s_or_b64 exec, exec, s[6:7]
	s_and_saveexec_b64 s[6:7], s[4:5]
	s_cbranch_execz .LBB1_31027
; %bb.54887:
	s_getpc_b64 s[14:15]
.Lpost_getpc13107:
	s_add_u32 s14, s14, (.LBB1_4711-.Lpost_getpc13107)&4294967295
	s_addc_u32 s15, s15, (.LBB1_4711-.Lpost_getpc13107)>>32
	s_setpc_b64 s[14:15]
.LBB1_31027:
	s_getpc_b64 s[14:15]
.Lpost_getpc1177:
	s_add_u32 s14, s14, (.LBB1_4712-.Lpost_getpc1177)&4294967295
	s_addc_u32 s15, s15, (.LBB1_4712-.Lpost_getpc1177)>>32
	s_setpc_b64 s[14:15]
.LBB1_19049:
	s_movk_i32 s4, 0x80
	v_cmp_eq_u16_sdwa s[12:13], v3, s4 src0_sel:BYTE_0 src1_sel:DWORD
	s_mov_b64 s[4:5], -1
                                        ; implicit-def: $sgpr10
	s_and_saveexec_b64 s[8:9], s[12:13]
; %bb.19050:
	s_mov_b32 s10, 0x7f800001
	s_xor_b64 s[4:5], exec, -1
; %bb.19051:
	s_or_b64 exec, exec, s[8:9]
	s_and_b64 s[4:5], s[4:5], exec
	s_or_saveexec_b64 s[6:7], s[6:7]
	v_mov_b32_e32 v2, s10
	s_xor_b64 exec, exec, s[6:7]
	s_cbranch_execnz .LBB1_19052
; %bb.54889:
	s_getpc_b64 s[14:15]
.Lpost_getpc13108:
	s_add_u32 s14, s14, (.LBB1_4714-.Lpost_getpc13108)&4294967295
	s_addc_u32 s15, s15, (.LBB1_4714-.Lpost_getpc13108)>>32
	s_setpc_b64 s[14:15]
.LBB1_19052:
	v_mov_b32_e32 v2, 0
	v_cmp_ne_u16_sdwa s[8:9], v3, v2 src0_sel:BYTE_0 src1_sel:DWORD
	s_andn2_b64 s[4:5], s[4:5], exec
	s_and_b64 s[8:9], s[8:9], exec
	s_or_b64 s[4:5], s[4:5], s[8:9]
	s_or_b64 exec, exec, s[6:7]
	s_and_saveexec_b64 s[6:7], s[4:5]
	s_cbranch_execz .LBB1_31029
; %bb.54891:
	s_getpc_b64 s[14:15]
.Lpost_getpc13109:
	s_add_u32 s14, s14, (.LBB1_4715-.Lpost_getpc13109)&4294967295
	s_addc_u32 s15, s15, (.LBB1_4715-.Lpost_getpc13109)>>32
	s_setpc_b64 s[14:15]
.LBB1_31029:
	s_getpc_b64 s[14:15]
.Lpost_getpc1178:
	s_add_u32 s14, s14, (.LBB1_4716-.Lpost_getpc1178)&4294967295
	s_addc_u32 s15, s15, (.LBB1_4716-.Lpost_getpc1178)>>32
	s_setpc_b64 s[14:15]
.LBB1_19053:
	s_movk_i32 s4, 0x80
	v_cmp_eq_u16_sdwa s[12:13], v3, s4 src0_sel:BYTE_0 src1_sel:DWORD
	s_mov_b64 s[4:5], -1
                                        ; implicit-def: $sgpr10
	s_and_saveexec_b64 s[8:9], s[12:13]
; %bb.19054:
	s_mov_b32 s10, 0x7f800001
	s_xor_b64 s[4:5], exec, -1
; %bb.19055:
	s_or_b64 exec, exec, s[8:9]
	s_and_b64 s[4:5], s[4:5], exec
	s_or_saveexec_b64 s[6:7], s[6:7]
	v_mov_b32_e32 v4, s10
	s_xor_b64 exec, exec, s[6:7]
	s_cbranch_execnz .LBB1_19056
; %bb.54893:
	s_getpc_b64 s[14:15]
.Lpost_getpc13110:
	s_add_u32 s14, s14, (.LBB1_4718-.Lpost_getpc13110)&4294967295
	s_addc_u32 s15, s15, (.LBB1_4718-.Lpost_getpc13110)>>32
	s_setpc_b64 s[14:15]
.LBB1_19056:
	v_mov_b32_e32 v4, 0
	v_cmp_ne_u16_sdwa s[8:9], v3, v4 src0_sel:BYTE_0 src1_sel:DWORD
	s_andn2_b64 s[4:5], s[4:5], exec
	s_and_b64 s[8:9], s[8:9], exec
	s_or_b64 s[4:5], s[4:5], s[8:9]
	s_or_b64 exec, exec, s[6:7]
	s_and_saveexec_b64 s[6:7], s[4:5]
	s_cbranch_execz .LBB1_31031
; %bb.54895:
	s_getpc_b64 s[14:15]
.Lpost_getpc13111:
	s_add_u32 s14, s14, (.LBB1_4719-.Lpost_getpc13111)&4294967295
	s_addc_u32 s15, s15, (.LBB1_4719-.Lpost_getpc13111)>>32
	s_setpc_b64 s[14:15]
.LBB1_31031:
	s_getpc_b64 s[14:15]
.Lpost_getpc1179:
	s_add_u32 s14, s14, (.LBB1_4720-.Lpost_getpc1179)&4294967295
	s_addc_u32 s15, s15, (.LBB1_4720-.Lpost_getpc1179)>>32
	s_setpc_b64 s[14:15]
.LBB1_19057:
	s_movk_i32 s4, 0x80
	v_cmp_eq_u16_e32 vcc, s4, v3
	s_mov_b64 s[4:5], -1
                                        ; implicit-def: $sgpr10
	s_and_saveexec_b64 s[8:9], vcc
; %bb.19058:
	s_mov_b32 s10, 0x7f800001
	s_xor_b64 s[4:5], exec, -1
; %bb.19059:
	s_or_b64 exec, exec, s[8:9]
	s_and_b64 s[4:5], s[4:5], exec
                                        ; implicit-def: $vgpr3
	s_or_saveexec_b64 s[6:7], s[6:7]
	v_mov_b32_e32 v2, s10
	s_xor_b64 exec, exec, s[6:7]
	s_cbranch_execnz .LBB1_19060
; %bb.54897:
	s_getpc_b64 s[14:15]
.Lpost_getpc13112:
	s_add_u32 s14, s14, (.LBB1_4722-.Lpost_getpc13112)&4294967295
	s_addc_u32 s15, s15, (.LBB1_4722-.Lpost_getpc13112)>>32
	s_setpc_b64 s[14:15]
.LBB1_19060:
	v_cmp_ne_u16_e32 vcc, 0, v3
	s_andn2_b64 s[4:5], s[4:5], exec
	s_and_b64 s[8:9], vcc, exec
	v_mov_b32_e32 v2, 0
	s_or_b64 s[4:5], s[4:5], s[8:9]
	s_or_b64 exec, exec, s[6:7]
	s_and_saveexec_b64 s[6:7], s[4:5]
	s_cbranch_execz .LBB1_31033
; %bb.54899:
	s_getpc_b64 s[14:15]
.Lpost_getpc13113:
	s_add_u32 s14, s14, (.LBB1_4723-.Lpost_getpc13113)&4294967295
	s_addc_u32 s15, s15, (.LBB1_4723-.Lpost_getpc13113)>>32
	s_setpc_b64 s[14:15]
.LBB1_31033:
	s_getpc_b64 s[14:15]
.Lpost_getpc1180:
	s_add_u32 s14, s14, (.LBB1_4724-.Lpost_getpc1180)&4294967295
	s_addc_u32 s15, s15, (.LBB1_4724-.Lpost_getpc1180)>>32
	s_setpc_b64 s[14:15]
.LBB1_19061:
	s_movk_i32 s4, 0x80
	v_cmp_eq_u16_e32 vcc, s4, v3
	s_mov_b64 s[4:5], -1
                                        ; implicit-def: $sgpr10
	s_and_saveexec_b64 s[8:9], vcc
; %bb.19062:
	s_mov_b32 s10, 0x7f800001
	s_xor_b64 s[4:5], exec, -1
; %bb.19063:
	s_or_b64 exec, exec, s[8:9]
	s_and_b64 s[4:5], s[4:5], exec
                                        ; implicit-def: $vgpr3
	s_or_saveexec_b64 s[6:7], s[6:7]
	v_mov_b32_e32 v4, s10
	s_xor_b64 exec, exec, s[6:7]
	s_cbranch_execnz .LBB1_19064
; %bb.54901:
	s_getpc_b64 s[14:15]
.Lpost_getpc13114:
	s_add_u32 s14, s14, (.LBB1_4726-.Lpost_getpc13114)&4294967295
	s_addc_u32 s15, s15, (.LBB1_4726-.Lpost_getpc13114)>>32
	s_setpc_b64 s[14:15]
.LBB1_19064:
	v_cmp_ne_u16_e32 vcc, 0, v3
	s_andn2_b64 s[4:5], s[4:5], exec
	s_and_b64 s[8:9], vcc, exec
	v_mov_b32_e32 v4, 0
	s_or_b64 s[4:5], s[4:5], s[8:9]
	s_or_b64 exec, exec, s[6:7]
	s_and_saveexec_b64 s[6:7], s[4:5]
	s_cbranch_execz .LBB1_31035
; %bb.54903:
	s_getpc_b64 s[14:15]
.Lpost_getpc13115:
	s_add_u32 s14, s14, (.LBB1_4727-.Lpost_getpc13115)&4294967295
	s_addc_u32 s15, s15, (.LBB1_4727-.Lpost_getpc13115)>>32
	s_setpc_b64 s[14:15]
.LBB1_31035:
	s_getpc_b64 s[14:15]
.Lpost_getpc1181:
	s_add_u32 s14, s14, (.LBB1_4728-.Lpost_getpc1181)&4294967295
	s_addc_u32 s15, s15, (.LBB1_4728-.Lpost_getpc1181)>>32
	s_setpc_b64 s[14:15]
.LBB1_19065:
	s_movk_i32 s4, 0x80
	v_cmp_eq_u16_sdwa s[12:13], v9, s4 src0_sel:BYTE_3 src1_sel:DWORD
	s_mov_b64 s[4:5], -1
                                        ; implicit-def: $sgpr10
	s_and_saveexec_b64 s[8:9], s[12:13]
; %bb.19066:
	s_mov_b32 s10, 0x7f800001
	s_xor_b64 s[4:5], exec, -1
; %bb.19067:
	s_or_b64 exec, exec, s[8:9]
	s_and_b64 s[4:5], s[4:5], exec
	s_or_saveexec_b64 s[6:7], s[6:7]
	v_mov_b32_e32 v2, s10
	s_xor_b64 exec, exec, s[6:7]
	s_cbranch_execnz .LBB1_19068
; %bb.54905:
	s_getpc_b64 s[14:15]
.Lpost_getpc13116:
	s_add_u32 s14, s14, (.LBB1_4730-.Lpost_getpc13116)&4294967295
	s_addc_u32 s15, s15, (.LBB1_4730-.Lpost_getpc13116)>>32
	s_setpc_b64 s[14:15]
.LBB1_19068:
	v_mov_b32_e32 v2, 0
	v_cmp_ne_u16_sdwa s[8:9], v9, v2 src0_sel:BYTE_3 src1_sel:DWORD
	s_andn2_b64 s[4:5], s[4:5], exec
	s_and_b64 s[8:9], s[8:9], exec
	s_or_b64 s[4:5], s[4:5], s[8:9]
	s_or_b64 exec, exec, s[6:7]
	s_and_saveexec_b64 s[6:7], s[4:5]
	s_cbranch_execz .LBB1_31037
; %bb.54907:
	s_getpc_b64 s[14:15]
.Lpost_getpc13117:
	s_add_u32 s14, s14, (.LBB1_4731-.Lpost_getpc13117)&4294967295
	s_addc_u32 s15, s15, (.LBB1_4731-.Lpost_getpc13117)>>32
	s_setpc_b64 s[14:15]
.LBB1_31037:
	s_getpc_b64 s[14:15]
.Lpost_getpc1182:
	s_add_u32 s14, s14, (.LBB1_4732-.Lpost_getpc1182)&4294967295
	s_addc_u32 s15, s15, (.LBB1_4732-.Lpost_getpc1182)>>32
	s_setpc_b64 s[14:15]
.LBB1_19069:
	s_movk_i32 s4, 0x80
	v_cmp_eq_u16_sdwa s[12:13], v5, s4 src0_sel:BYTE_3 src1_sel:DWORD
	s_mov_b64 s[4:5], -1
                                        ; implicit-def: $sgpr10
	s_and_saveexec_b64 s[8:9], s[12:13]
; %bb.19070:
	s_mov_b32 s10, 0x7f800001
	s_xor_b64 s[4:5], exec, -1
; %bb.19071:
	s_or_b64 exec, exec, s[8:9]
	s_and_b64 s[4:5], s[4:5], exec
	s_or_saveexec_b64 s[6:7], s[6:7]
	v_mov_b32_e32 v3, s10
	s_xor_b64 exec, exec, s[6:7]
	s_cbranch_execnz .LBB1_19072
; %bb.54909:
	s_getpc_b64 s[14:15]
.Lpost_getpc13118:
	s_add_u32 s14, s14, (.LBB1_4734-.Lpost_getpc13118)&4294967295
	s_addc_u32 s15, s15, (.LBB1_4734-.Lpost_getpc13118)>>32
	s_setpc_b64 s[14:15]
.LBB1_19072:
	v_mov_b32_e32 v3, 0
	v_cmp_ne_u16_sdwa s[8:9], v5, v3 src0_sel:BYTE_3 src1_sel:DWORD
	s_andn2_b64 s[4:5], s[4:5], exec
	s_and_b64 s[8:9], s[8:9], exec
	s_or_b64 s[4:5], s[4:5], s[8:9]
	s_or_b64 exec, exec, s[6:7]
	s_and_saveexec_b64 s[6:7], s[4:5]
	s_cbranch_execz .LBB1_31039
; %bb.54911:
	s_getpc_b64 s[14:15]
.Lpost_getpc13119:
	s_add_u32 s14, s14, (.LBB1_4735-.Lpost_getpc13119)&4294967295
	s_addc_u32 s15, s15, (.LBB1_4735-.Lpost_getpc13119)>>32
	s_setpc_b64 s[14:15]
.LBB1_31039:
	s_getpc_b64 s[14:15]
.Lpost_getpc1183:
	s_add_u32 s14, s14, (.LBB1_4736-.Lpost_getpc1183)&4294967295
	s_addc_u32 s15, s15, (.LBB1_4736-.Lpost_getpc1183)>>32
	s_setpc_b64 s[14:15]
.LBB1_19073:
	s_movk_i32 s4, 0x80
	v_cmp_eq_u16_sdwa s[12:13], v6, s4 src0_sel:BYTE_0 src1_sel:DWORD
	s_mov_b64 s[4:5], -1
                                        ; implicit-def: $sgpr10
	s_and_saveexec_b64 s[8:9], s[12:13]
; %bb.19074:
	s_mov_b32 s10, 0x7f800001
	s_xor_b64 s[4:5], exec, -1
; %bb.19075:
	s_or_b64 exec, exec, s[8:9]
	s_and_b64 s[4:5], s[4:5], exec
	s_or_saveexec_b64 s[6:7], s[6:7]
	v_mov_b32_e32 v12, s10
	s_xor_b64 exec, exec, s[6:7]
	s_cbranch_execnz .LBB1_19076
; %bb.54913:
	s_getpc_b64 s[14:15]
.Lpost_getpc13120:
	s_add_u32 s14, s14, (.LBB1_4738-.Lpost_getpc13120)&4294967295
	s_addc_u32 s15, s15, (.LBB1_4738-.Lpost_getpc13120)>>32
	s_setpc_b64 s[14:15]
.LBB1_19076:
	v_mov_b32_e32 v12, 0
	v_cmp_ne_u16_sdwa s[8:9], v6, v12 src0_sel:BYTE_0 src1_sel:DWORD
	s_andn2_b64 s[4:5], s[4:5], exec
	s_and_b64 s[8:9], s[8:9], exec
	s_or_b64 s[4:5], s[4:5], s[8:9]
	s_or_b64 exec, exec, s[6:7]
	s_and_saveexec_b64 s[6:7], s[4:5]
	s_cbranch_execz .LBB1_31041
; %bb.54915:
	s_getpc_b64 s[14:15]
.Lpost_getpc13121:
	s_add_u32 s14, s14, (.LBB1_4739-.Lpost_getpc13121)&4294967295
	s_addc_u32 s15, s15, (.LBB1_4739-.Lpost_getpc13121)>>32
	s_setpc_b64 s[14:15]
.LBB1_31041:
	s_getpc_b64 s[14:15]
.Lpost_getpc1184:
	s_add_u32 s14, s14, (.LBB1_4740-.Lpost_getpc1184)&4294967295
	s_addc_u32 s15, s15, (.LBB1_4740-.Lpost_getpc1184)>>32
	s_setpc_b64 s[14:15]
.LBB1_19077:
	s_movk_i32 s4, 0x80
	v_cmp_eq_u16_sdwa s[12:13], v2, s4 src0_sel:BYTE_0 src1_sel:DWORD
	s_mov_b64 s[4:5], -1
                                        ; implicit-def: $sgpr10
	s_and_saveexec_b64 s[8:9], s[12:13]
; %bb.19078:
	s_mov_b32 s10, 0x7f800001
	s_xor_b64 s[4:5], exec, -1
; %bb.19079:
	s_or_b64 exec, exec, s[8:9]
	s_and_b64 s[4:5], s[4:5], exec
	s_or_saveexec_b64 s[6:7], s[6:7]
	v_mov_b32_e32 v13, s10
	s_xor_b64 exec, exec, s[6:7]
	s_cbranch_execnz .LBB1_19080
; %bb.54917:
	s_getpc_b64 s[14:15]
.Lpost_getpc13122:
	s_add_u32 s14, s14, (.LBB1_4742-.Lpost_getpc13122)&4294967295
	s_addc_u32 s15, s15, (.LBB1_4742-.Lpost_getpc13122)>>32
	s_setpc_b64 s[14:15]
.LBB1_19080:
	v_mov_b32_e32 v13, 0
	v_cmp_ne_u16_sdwa s[8:9], v2, v13 src0_sel:BYTE_0 src1_sel:DWORD
	s_andn2_b64 s[4:5], s[4:5], exec
	s_and_b64 s[8:9], s[8:9], exec
	s_or_b64 s[4:5], s[4:5], s[8:9]
	s_or_b64 exec, exec, s[6:7]
	s_and_saveexec_b64 s[6:7], s[4:5]
	s_cbranch_execz .LBB1_31043
; %bb.54919:
	s_getpc_b64 s[14:15]
.Lpost_getpc13123:
	s_add_u32 s14, s14, (.LBB1_4743-.Lpost_getpc13123)&4294967295
	s_addc_u32 s15, s15, (.LBB1_4743-.Lpost_getpc13123)>>32
	s_setpc_b64 s[14:15]
.LBB1_31043:
	s_getpc_b64 s[14:15]
.Lpost_getpc1185:
	s_add_u32 s14, s14, (.LBB1_4744-.Lpost_getpc1185)&4294967295
	s_addc_u32 s15, s15, (.LBB1_4744-.Lpost_getpc1185)>>32
	s_setpc_b64 s[14:15]
.LBB1_19081:
	s_movk_i32 s4, 0x80
	v_cmp_eq_u16_sdwa s[12:13], v13, s4 src0_sel:BYTE_0 src1_sel:DWORD
	s_mov_b64 s[4:5], -1
                                        ; implicit-def: $sgpr10
	s_and_saveexec_b64 s[8:9], s[12:13]
; %bb.19082:
	s_mov_b32 s10, 0x7f800001
	s_xor_b64 s[4:5], exec, -1
; %bb.19083:
	s_or_b64 exec, exec, s[8:9]
	s_and_b64 s[4:5], s[4:5], exec
	s_or_saveexec_b64 s[6:7], s[6:7]
	v_mov_b32_e32 v12, s10
	s_xor_b64 exec, exec, s[6:7]
	s_cbranch_execnz .LBB1_19084
; %bb.54921:
	s_getpc_b64 s[14:15]
.Lpost_getpc13124:
	s_add_u32 s14, s14, (.LBB1_4746-.Lpost_getpc13124)&4294967295
	s_addc_u32 s15, s15, (.LBB1_4746-.Lpost_getpc13124)>>32
	s_setpc_b64 s[14:15]
.LBB1_19084:
	v_mov_b32_e32 v12, 0
	v_cmp_ne_u16_sdwa s[8:9], v13, v12 src0_sel:BYTE_0 src1_sel:DWORD
	s_andn2_b64 s[4:5], s[4:5], exec
	s_and_b64 s[8:9], s[8:9], exec
	s_or_b64 s[4:5], s[4:5], s[8:9]
	s_or_b64 exec, exec, s[6:7]
	s_and_saveexec_b64 s[6:7], s[4:5]
	s_cbranch_execz .LBB1_31045
; %bb.54923:
	s_getpc_b64 s[14:15]
.Lpost_getpc13125:
	s_add_u32 s14, s14, (.LBB1_4747-.Lpost_getpc13125)&4294967295
	s_addc_u32 s15, s15, (.LBB1_4747-.Lpost_getpc13125)>>32
	s_setpc_b64 s[14:15]
.LBB1_31045:
	s_getpc_b64 s[14:15]
.Lpost_getpc1186:
	s_add_u32 s14, s14, (.LBB1_4748-.Lpost_getpc1186)&4294967295
	s_addc_u32 s15, s15, (.LBB1_4748-.Lpost_getpc1186)>>32
	s_setpc_b64 s[14:15]
.LBB1_19085:
	s_movk_i32 s4, 0x80
	v_cmp_eq_u16_sdwa s[12:13], v13, s4 src0_sel:BYTE_0 src1_sel:DWORD
	s_mov_b64 s[4:5], -1
                                        ; implicit-def: $sgpr10
	s_and_saveexec_b64 s[8:9], s[12:13]
; %bb.19086:
	s_mov_b32 s10, 0x7f800001
	s_xor_b64 s[4:5], exec, -1
; %bb.19087:
	s_or_b64 exec, exec, s[8:9]
	s_and_b64 s[4:5], s[4:5], exec
	s_or_saveexec_b64 s[6:7], s[6:7]
	v_mov_b32_e32 v14, s10
	s_xor_b64 exec, exec, s[6:7]
	s_cbranch_execnz .LBB1_19088
; %bb.54925:
	s_getpc_b64 s[14:15]
.Lpost_getpc13126:
	s_add_u32 s14, s14, (.LBB1_4750-.Lpost_getpc13126)&4294967295
	s_addc_u32 s15, s15, (.LBB1_4750-.Lpost_getpc13126)>>32
	s_setpc_b64 s[14:15]
.LBB1_19088:
	v_mov_b32_e32 v14, 0
	v_cmp_ne_u16_sdwa s[8:9], v13, v14 src0_sel:BYTE_0 src1_sel:DWORD
	s_andn2_b64 s[4:5], s[4:5], exec
	s_and_b64 s[8:9], s[8:9], exec
	s_or_b64 s[4:5], s[4:5], s[8:9]
	s_or_b64 exec, exec, s[6:7]
	s_and_saveexec_b64 s[6:7], s[4:5]
	s_cbranch_execz .LBB1_31047
; %bb.54927:
	s_getpc_b64 s[14:15]
.Lpost_getpc13127:
	s_add_u32 s14, s14, (.LBB1_4751-.Lpost_getpc13127)&4294967295
	s_addc_u32 s15, s15, (.LBB1_4751-.Lpost_getpc13127)>>32
	s_setpc_b64 s[14:15]
.LBB1_31047:
	s_getpc_b64 s[14:15]
.Lpost_getpc1187:
	s_add_u32 s14, s14, (.LBB1_4752-.Lpost_getpc1187)&4294967295
	s_addc_u32 s15, s15, (.LBB1_4752-.Lpost_getpc1187)>>32
	s_setpc_b64 s[14:15]
.LBB1_19089:
	s_movk_i32 s4, 0x80
	v_cmp_eq_u16_e32 vcc, s4, v13
	s_mov_b64 s[4:5], -1
                                        ; implicit-def: $sgpr10
	s_and_saveexec_b64 s[8:9], vcc
; %bb.19090:
	s_mov_b32 s10, 0x7f800001
	s_xor_b64 s[4:5], exec, -1
; %bb.19091:
	s_or_b64 exec, exec, s[8:9]
	s_and_b64 s[4:5], s[4:5], exec
                                        ; implicit-def: $vgpr13
	s_or_saveexec_b64 s[6:7], s[6:7]
	v_mov_b32_e32 v12, s10
	s_xor_b64 exec, exec, s[6:7]
	s_cbranch_execnz .LBB1_19092
; %bb.54929:
	s_getpc_b64 s[14:15]
.Lpost_getpc13128:
	s_add_u32 s14, s14, (.LBB1_4754-.Lpost_getpc13128)&4294967295
	s_addc_u32 s15, s15, (.LBB1_4754-.Lpost_getpc13128)>>32
	s_setpc_b64 s[14:15]
.LBB1_19092:
	v_cmp_ne_u16_e32 vcc, 0, v13
	s_andn2_b64 s[4:5], s[4:5], exec
	s_and_b64 s[8:9], vcc, exec
	v_mov_b32_e32 v12, 0
	s_or_b64 s[4:5], s[4:5], s[8:9]
	s_or_b64 exec, exec, s[6:7]
	s_and_saveexec_b64 s[6:7], s[4:5]
	s_cbranch_execz .LBB1_31049
; %bb.54931:
	s_getpc_b64 s[14:15]
.Lpost_getpc13129:
	s_add_u32 s14, s14, (.LBB1_4755-.Lpost_getpc13129)&4294967295
	s_addc_u32 s15, s15, (.LBB1_4755-.Lpost_getpc13129)>>32
	s_setpc_b64 s[14:15]
.LBB1_31049:
	s_getpc_b64 s[14:15]
.Lpost_getpc1188:
	s_add_u32 s14, s14, (.LBB1_4756-.Lpost_getpc1188)&4294967295
	s_addc_u32 s15, s15, (.LBB1_4756-.Lpost_getpc1188)>>32
	s_setpc_b64 s[14:15]
.LBB1_19093:
	s_movk_i32 s4, 0x80
	v_cmp_eq_u16_e32 vcc, s4, v13
	s_mov_b64 s[4:5], -1
                                        ; implicit-def: $sgpr10
	s_and_saveexec_b64 s[8:9], vcc
; %bb.19094:
	s_mov_b32 s10, 0x7f800001
	s_xor_b64 s[4:5], exec, -1
; %bb.19095:
	s_or_b64 exec, exec, s[8:9]
	s_and_b64 s[4:5], s[4:5], exec
                                        ; implicit-def: $vgpr13
	s_or_saveexec_b64 s[6:7], s[6:7]
	v_mov_b32_e32 v14, s10
	s_xor_b64 exec, exec, s[6:7]
	s_cbranch_execnz .LBB1_19096
; %bb.54933:
	s_getpc_b64 s[14:15]
.Lpost_getpc13130:
	s_add_u32 s14, s14, (.LBB1_4758-.Lpost_getpc13130)&4294967295
	s_addc_u32 s15, s15, (.LBB1_4758-.Lpost_getpc13130)>>32
	s_setpc_b64 s[14:15]
.LBB1_19096:
	v_cmp_ne_u16_e32 vcc, 0, v13
	s_andn2_b64 s[4:5], s[4:5], exec
	s_and_b64 s[8:9], vcc, exec
	v_mov_b32_e32 v14, 0
	s_or_b64 s[4:5], s[4:5], s[8:9]
	s_or_b64 exec, exec, s[6:7]
	s_and_saveexec_b64 s[6:7], s[4:5]
	s_cbranch_execz .LBB1_31051
; %bb.54935:
	s_getpc_b64 s[14:15]
.Lpost_getpc13131:
	s_add_u32 s14, s14, (.LBB1_4759-.Lpost_getpc13131)&4294967295
	s_addc_u32 s15, s15, (.LBB1_4759-.Lpost_getpc13131)>>32
	s_setpc_b64 s[14:15]
.LBB1_31051:
	s_getpc_b64 s[14:15]
.Lpost_getpc1189:
	s_add_u32 s14, s14, (.LBB1_4760-.Lpost_getpc1189)&4294967295
	s_addc_u32 s15, s15, (.LBB1_4760-.Lpost_getpc1189)>>32
	s_setpc_b64 s[14:15]
.LBB1_19097:
	s_movk_i32 s4, 0x80
	v_cmp_eq_u16_sdwa s[12:13], v6, s4 src0_sel:BYTE_3 src1_sel:DWORD
	s_mov_b64 s[4:5], -1
                                        ; implicit-def: $sgpr10
	s_and_saveexec_b64 s[8:9], s[12:13]
; %bb.19098:
	s_mov_b32 s10, 0x7f800001
	s_xor_b64 s[4:5], exec, -1
; %bb.19099:
	s_or_b64 exec, exec, s[8:9]
	s_and_b64 s[4:5], s[4:5], exec
	s_or_saveexec_b64 s[6:7], s[6:7]
	v_mov_b32_e32 v12, s10
	s_xor_b64 exec, exec, s[6:7]
	s_cbranch_execnz .LBB1_19100
; %bb.54937:
	s_getpc_b64 s[14:15]
.Lpost_getpc13132:
	s_add_u32 s14, s14, (.LBB1_4762-.Lpost_getpc13132)&4294967295
	s_addc_u32 s15, s15, (.LBB1_4762-.Lpost_getpc13132)>>32
	s_setpc_b64 s[14:15]
.LBB1_19100:
	v_mov_b32_e32 v12, 0
	v_cmp_ne_u16_sdwa s[8:9], v6, v12 src0_sel:BYTE_3 src1_sel:DWORD
	s_andn2_b64 s[4:5], s[4:5], exec
	s_and_b64 s[8:9], s[8:9], exec
	s_or_b64 s[4:5], s[4:5], s[8:9]
	s_or_b64 exec, exec, s[6:7]
	s_and_saveexec_b64 s[6:7], s[4:5]
	s_cbranch_execz .LBB1_31053
; %bb.54939:
	s_getpc_b64 s[14:15]
.Lpost_getpc13133:
	s_add_u32 s14, s14, (.LBB1_4763-.Lpost_getpc13133)&4294967295
	s_addc_u32 s15, s15, (.LBB1_4763-.Lpost_getpc13133)>>32
	s_setpc_b64 s[14:15]
.LBB1_31053:
	s_getpc_b64 s[14:15]
.Lpost_getpc1190:
	s_add_u32 s14, s14, (.LBB1_4764-.Lpost_getpc1190)&4294967295
	s_addc_u32 s15, s15, (.LBB1_4764-.Lpost_getpc1190)>>32
	s_setpc_b64 s[14:15]
.LBB1_19101:
	s_movk_i32 s4, 0x80
	v_cmp_eq_u16_sdwa s[12:13], v2, s4 src0_sel:BYTE_3 src1_sel:DWORD
	s_mov_b64 s[4:5], -1
                                        ; implicit-def: $sgpr10
	s_and_saveexec_b64 s[8:9], s[12:13]
; %bb.19102:
	s_mov_b32 s10, 0x7f800001
	s_xor_b64 s[4:5], exec, -1
; %bb.19103:
	s_or_b64 exec, exec, s[8:9]
	s_and_b64 s[4:5], s[4:5], exec
	s_or_saveexec_b64 s[6:7], s[6:7]
	v_mov_b32_e32 v6, s10
	s_xor_b64 exec, exec, s[6:7]
	s_cbranch_execnz .LBB1_19104
; %bb.54941:
	s_getpc_b64 s[14:15]
.Lpost_getpc13134:
	s_add_u32 s14, s14, (.LBB1_4766-.Lpost_getpc13134)&4294967295
	s_addc_u32 s15, s15, (.LBB1_4766-.Lpost_getpc13134)>>32
	s_setpc_b64 s[14:15]
.LBB1_19104:
	v_mov_b32_e32 v6, 0
	v_cmp_ne_u16_sdwa s[8:9], v2, v6 src0_sel:BYTE_3 src1_sel:DWORD
	s_andn2_b64 s[4:5], s[4:5], exec
	s_and_b64 s[8:9], s[8:9], exec
	s_or_b64 s[4:5], s[4:5], s[8:9]
	s_or_b64 exec, exec, s[6:7]
	s_and_saveexec_b64 s[6:7], s[4:5]
	s_cbranch_execz .LBB1_31055
; %bb.54943:
	s_getpc_b64 s[14:15]
.Lpost_getpc13135:
	s_add_u32 s14, s14, (.LBB1_4767-.Lpost_getpc13135)&4294967295
	s_addc_u32 s15, s15, (.LBB1_4767-.Lpost_getpc13135)>>32
	s_setpc_b64 s[14:15]
.LBB1_31055:
	s_getpc_b64 s[14:15]
.Lpost_getpc1191:
	s_add_u32 s14, s14, (.LBB1_4768-.Lpost_getpc1191)&4294967295
	s_addc_u32 s15, s15, (.LBB1_4768-.Lpost_getpc1191)>>32
	s_setpc_b64 s[14:15]
.LBB1_19105:
	s_movk_i32 s4, 0x80
	v_cmp_eq_u16_sdwa s[12:13], v7, s4 src0_sel:BYTE_0 src1_sel:DWORD
	s_mov_b64 s[4:5], -1
                                        ; implicit-def: $sgpr10
	s_and_saveexec_b64 s[8:9], s[12:13]
; %bb.19106:
	s_mov_b32 s10, 0x7f800001
	s_xor_b64 s[4:5], exec, -1
; %bb.19107:
	s_or_b64 exec, exec, s[8:9]
	s_and_b64 s[4:5], s[4:5], exec
	s_or_saveexec_b64 s[6:7], s[6:7]
	v_mov_b32_e32 v2, s10
	s_xor_b64 exec, exec, s[6:7]
	s_cbranch_execnz .LBB1_19108
; %bb.54945:
	s_getpc_b64 s[14:15]
.Lpost_getpc13136:
	s_add_u32 s14, s14, (.LBB1_4770-.Lpost_getpc13136)&4294967295
	s_addc_u32 s15, s15, (.LBB1_4770-.Lpost_getpc13136)>>32
	s_setpc_b64 s[14:15]
.LBB1_19108:
	v_mov_b32_e32 v2, 0
	v_cmp_ne_u16_sdwa s[8:9], v7, v2 src0_sel:BYTE_0 src1_sel:DWORD
	s_andn2_b64 s[4:5], s[4:5], exec
	s_and_b64 s[8:9], s[8:9], exec
	s_or_b64 s[4:5], s[4:5], s[8:9]
	s_or_b64 exec, exec, s[6:7]
	s_and_saveexec_b64 s[6:7], s[4:5]
	s_cbranch_execz .LBB1_31057
; %bb.54947:
	s_getpc_b64 s[14:15]
.Lpost_getpc13137:
	s_add_u32 s14, s14, (.LBB1_4771-.Lpost_getpc13137)&4294967295
	s_addc_u32 s15, s15, (.LBB1_4771-.Lpost_getpc13137)>>32
	s_setpc_b64 s[14:15]
.LBB1_31057:
	s_getpc_b64 s[14:15]
.Lpost_getpc1192:
	s_add_u32 s14, s14, (.LBB1_4772-.Lpost_getpc1192)&4294967295
	s_addc_u32 s15, s15, (.LBB1_4772-.Lpost_getpc1192)>>32
	s_setpc_b64 s[14:15]
.LBB1_19109:
	s_movk_i32 s4, 0x80
	v_cmp_eq_u16_sdwa s[12:13], v3, s4 src0_sel:BYTE_0 src1_sel:DWORD
	s_mov_b64 s[4:5], -1
                                        ; implicit-def: $sgpr10
	s_and_saveexec_b64 s[8:9], s[12:13]
; %bb.19110:
	s_mov_b32 s10, 0x7f800001
	s_xor_b64 s[4:5], exec, -1
; %bb.19111:
	s_or_b64 exec, exec, s[8:9]
	s_and_b64 s[4:5], s[4:5], exec
	s_or_saveexec_b64 s[6:7], s[6:7]
	v_mov_b32_e32 v6, s10
	s_xor_b64 exec, exec, s[6:7]
	s_cbranch_execnz .LBB1_19112
; %bb.54949:
	s_getpc_b64 s[14:15]
.Lpost_getpc13138:
	s_add_u32 s14, s14, (.LBB1_4774-.Lpost_getpc13138)&4294967295
	s_addc_u32 s15, s15, (.LBB1_4774-.Lpost_getpc13138)>>32
	s_setpc_b64 s[14:15]
.LBB1_19112:
	v_mov_b32_e32 v6, 0
	v_cmp_ne_u16_sdwa s[8:9], v3, v6 src0_sel:BYTE_0 src1_sel:DWORD
	s_andn2_b64 s[4:5], s[4:5], exec
	s_and_b64 s[8:9], s[8:9], exec
	s_or_b64 s[4:5], s[4:5], s[8:9]
	s_or_b64 exec, exec, s[6:7]
	s_and_saveexec_b64 s[6:7], s[4:5]
	s_cbranch_execz .LBB1_31059
; %bb.54951:
	s_getpc_b64 s[14:15]
.Lpost_getpc13139:
	s_add_u32 s14, s14, (.LBB1_4775-.Lpost_getpc13139)&4294967295
	s_addc_u32 s15, s15, (.LBB1_4775-.Lpost_getpc13139)>>32
	s_setpc_b64 s[14:15]
.LBB1_31059:
	s_getpc_b64 s[14:15]
.Lpost_getpc1193:
	s_add_u32 s14, s14, (.LBB1_4776-.Lpost_getpc1193)&4294967295
	s_addc_u32 s15, s15, (.LBB1_4776-.Lpost_getpc1193)>>32
	s_setpc_b64 s[14:15]
.LBB1_19113:
	s_movk_i32 s4, 0x80
	v_cmp_eq_u16_sdwa s[12:13], v6, s4 src0_sel:BYTE_0 src1_sel:DWORD
	s_mov_b64 s[4:5], -1
                                        ; implicit-def: $sgpr10
	s_and_saveexec_b64 s[8:9], s[12:13]
; %bb.19114:
	s_mov_b32 s10, 0x7f800001
	s_xor_b64 s[4:5], exec, -1
; %bb.19115:
	s_or_b64 exec, exec, s[8:9]
	s_and_b64 s[4:5], s[4:5], exec
	s_or_saveexec_b64 s[6:7], s[6:7]
	v_mov_b32_e32 v2, s10
	s_xor_b64 exec, exec, s[6:7]
	s_cbranch_execnz .LBB1_19116
; %bb.54953:
	s_getpc_b64 s[14:15]
.Lpost_getpc13140:
	s_add_u32 s14, s14, (.LBB1_4778-.Lpost_getpc13140)&4294967295
	s_addc_u32 s15, s15, (.LBB1_4778-.Lpost_getpc13140)>>32
	s_setpc_b64 s[14:15]
.LBB1_19116:
	v_mov_b32_e32 v2, 0
	v_cmp_ne_u16_sdwa s[8:9], v6, v2 src0_sel:BYTE_0 src1_sel:DWORD
	s_andn2_b64 s[4:5], s[4:5], exec
	s_and_b64 s[8:9], s[8:9], exec
	s_or_b64 s[4:5], s[4:5], s[8:9]
	s_or_b64 exec, exec, s[6:7]
	s_and_saveexec_b64 s[6:7], s[4:5]
	s_cbranch_execz .LBB1_31061
; %bb.54955:
	s_getpc_b64 s[14:15]
.Lpost_getpc13141:
	s_add_u32 s14, s14, (.LBB1_4779-.Lpost_getpc13141)&4294967295
	s_addc_u32 s15, s15, (.LBB1_4779-.Lpost_getpc13141)>>32
	s_setpc_b64 s[14:15]
.LBB1_31061:
	s_getpc_b64 s[14:15]
.Lpost_getpc1194:
	s_add_u32 s14, s14, (.LBB1_4780-.Lpost_getpc1194)&4294967295
	s_addc_u32 s15, s15, (.LBB1_4780-.Lpost_getpc1194)>>32
	s_setpc_b64 s[14:15]
.LBB1_19117:
	s_movk_i32 s4, 0x80
	v_cmp_eq_u16_sdwa s[12:13], v6, s4 src0_sel:BYTE_0 src1_sel:DWORD
	s_mov_b64 s[4:5], -1
                                        ; implicit-def: $sgpr10
	s_and_saveexec_b64 s[8:9], s[12:13]
; %bb.19118:
	s_mov_b32 s10, 0x7f800001
	s_xor_b64 s[4:5], exec, -1
; %bb.19119:
	s_or_b64 exec, exec, s[8:9]
	s_and_b64 s[4:5], s[4:5], exec
	s_or_saveexec_b64 s[6:7], s[6:7]
	v_mov_b32_e32 v12, s10
	s_xor_b64 exec, exec, s[6:7]
	s_cbranch_execnz .LBB1_19120
; %bb.54957:
	s_getpc_b64 s[14:15]
.Lpost_getpc13142:
	s_add_u32 s14, s14, (.LBB1_4782-.Lpost_getpc13142)&4294967295
	s_addc_u32 s15, s15, (.LBB1_4782-.Lpost_getpc13142)>>32
	s_setpc_b64 s[14:15]
.LBB1_19120:
	v_mov_b32_e32 v12, 0
	v_cmp_ne_u16_sdwa s[8:9], v6, v12 src0_sel:BYTE_0 src1_sel:DWORD
	s_andn2_b64 s[4:5], s[4:5], exec
	s_and_b64 s[8:9], s[8:9], exec
	s_or_b64 s[4:5], s[4:5], s[8:9]
	s_or_b64 exec, exec, s[6:7]
	s_and_saveexec_b64 s[6:7], s[4:5]
	s_cbranch_execz .LBB1_31063
; %bb.54959:
	s_getpc_b64 s[14:15]
.Lpost_getpc13143:
	s_add_u32 s14, s14, (.LBB1_4783-.Lpost_getpc13143)&4294967295
	s_addc_u32 s15, s15, (.LBB1_4783-.Lpost_getpc13143)>>32
	s_setpc_b64 s[14:15]
.LBB1_31063:
	s_getpc_b64 s[14:15]
.Lpost_getpc1195:
	s_add_u32 s14, s14, (.LBB1_4784-.Lpost_getpc1195)&4294967295
	s_addc_u32 s15, s15, (.LBB1_4784-.Lpost_getpc1195)>>32
	s_setpc_b64 s[14:15]
.LBB1_19121:
	s_movk_i32 s4, 0x80
	v_cmp_eq_u16_e32 vcc, s4, v6
	s_mov_b64 s[4:5], -1
                                        ; implicit-def: $sgpr10
	s_and_saveexec_b64 s[8:9], vcc
; %bb.19122:
	s_mov_b32 s10, 0x7f800001
	s_xor_b64 s[4:5], exec, -1
; %bb.19123:
	s_or_b64 exec, exec, s[8:9]
	s_and_b64 s[4:5], s[4:5], exec
                                        ; implicit-def: $vgpr6
	s_or_saveexec_b64 s[6:7], s[6:7]
	v_mov_b32_e32 v2, s10
	s_xor_b64 exec, exec, s[6:7]
	s_cbranch_execnz .LBB1_19124
; %bb.54961:
	s_getpc_b64 s[14:15]
.Lpost_getpc13144:
	s_add_u32 s14, s14, (.LBB1_4786-.Lpost_getpc13144)&4294967295
	s_addc_u32 s15, s15, (.LBB1_4786-.Lpost_getpc13144)>>32
	s_setpc_b64 s[14:15]
.LBB1_19124:
	v_cmp_ne_u16_e32 vcc, 0, v6
	s_andn2_b64 s[4:5], s[4:5], exec
	s_and_b64 s[8:9], vcc, exec
	v_mov_b32_e32 v2, 0
	s_or_b64 s[4:5], s[4:5], s[8:9]
	s_or_b64 exec, exec, s[6:7]
	s_and_saveexec_b64 s[6:7], s[4:5]
	s_cbranch_execz .LBB1_31065
; %bb.54963:
	s_getpc_b64 s[14:15]
.Lpost_getpc13145:
	s_add_u32 s14, s14, (.LBB1_4787-.Lpost_getpc13145)&4294967295
	s_addc_u32 s15, s15, (.LBB1_4787-.Lpost_getpc13145)>>32
	s_setpc_b64 s[14:15]
.LBB1_31065:
	s_getpc_b64 s[14:15]
.Lpost_getpc1196:
	s_add_u32 s14, s14, (.LBB1_4788-.Lpost_getpc1196)&4294967295
	s_addc_u32 s15, s15, (.LBB1_4788-.Lpost_getpc1196)>>32
	s_setpc_b64 s[14:15]
.LBB1_19125:
	s_movk_i32 s4, 0x80
	v_cmp_eq_u16_e32 vcc, s4, v6
	s_mov_b64 s[4:5], -1
                                        ; implicit-def: $sgpr10
	s_and_saveexec_b64 s[8:9], vcc
; %bb.19126:
	s_mov_b32 s10, 0x7f800001
	s_xor_b64 s[4:5], exec, -1
; %bb.19127:
	s_or_b64 exec, exec, s[8:9]
	s_and_b64 s[4:5], s[4:5], exec
                                        ; implicit-def: $vgpr6
	s_or_saveexec_b64 s[6:7], s[6:7]
	v_mov_b32_e32 v12, s10
	s_xor_b64 exec, exec, s[6:7]
	s_cbranch_execnz .LBB1_19128
; %bb.54965:
	s_getpc_b64 s[14:15]
.Lpost_getpc13146:
	s_add_u32 s14, s14, (.LBB1_4790-.Lpost_getpc13146)&4294967295
	s_addc_u32 s15, s15, (.LBB1_4790-.Lpost_getpc13146)>>32
	s_setpc_b64 s[14:15]
.LBB1_19128:
	v_cmp_ne_u16_e32 vcc, 0, v6
	s_andn2_b64 s[4:5], s[4:5], exec
	s_and_b64 s[8:9], vcc, exec
	v_mov_b32_e32 v12, 0
	s_or_b64 s[4:5], s[4:5], s[8:9]
	s_or_b64 exec, exec, s[6:7]
	s_and_saveexec_b64 s[6:7], s[4:5]
	s_cbranch_execz .LBB1_31067
; %bb.54967:
	s_getpc_b64 s[14:15]
.Lpost_getpc13147:
	s_add_u32 s14, s14, (.LBB1_4791-.Lpost_getpc13147)&4294967295
	s_addc_u32 s15, s15, (.LBB1_4791-.Lpost_getpc13147)>>32
	s_setpc_b64 s[14:15]
.LBB1_31067:
	s_getpc_b64 s[14:15]
.Lpost_getpc1197:
	s_add_u32 s14, s14, (.LBB1_4792-.Lpost_getpc1197)&4294967295
	s_addc_u32 s15, s15, (.LBB1_4792-.Lpost_getpc1197)>>32
	s_setpc_b64 s[14:15]
.LBB1_19129:
	s_movk_i32 s4, 0x80
	v_cmp_eq_u16_sdwa s[12:13], v7, s4 src0_sel:BYTE_3 src1_sel:DWORD
	s_mov_b64 s[4:5], -1
                                        ; implicit-def: $sgpr10
	s_and_saveexec_b64 s[8:9], s[12:13]
; %bb.19130:
	s_mov_b32 s10, 0x7f800001
	s_xor_b64 s[4:5], exec, -1
; %bb.19131:
	s_or_b64 exec, exec, s[8:9]
	s_and_b64 s[4:5], s[4:5], exec
	s_or_saveexec_b64 s[6:7], s[6:7]
	v_mov_b32_e32 v2, s10
	s_xor_b64 exec, exec, s[6:7]
	s_cbranch_execnz .LBB1_19132
; %bb.54969:
	s_getpc_b64 s[14:15]
.Lpost_getpc13148:
	s_add_u32 s14, s14, (.LBB1_4794-.Lpost_getpc13148)&4294967295
	s_addc_u32 s15, s15, (.LBB1_4794-.Lpost_getpc13148)>>32
	s_setpc_b64 s[14:15]
.LBB1_19132:
	v_mov_b32_e32 v2, 0
	v_cmp_ne_u16_sdwa s[8:9], v7, v2 src0_sel:BYTE_3 src1_sel:DWORD
	s_andn2_b64 s[4:5], s[4:5], exec
	s_and_b64 s[8:9], s[8:9], exec
	s_or_b64 s[4:5], s[4:5], s[8:9]
	s_or_b64 exec, exec, s[6:7]
	s_and_saveexec_b64 s[6:7], s[4:5]
	s_cbranch_execz .LBB1_31069
; %bb.54971:
	s_getpc_b64 s[14:15]
.Lpost_getpc13149:
	s_add_u32 s14, s14, (.LBB1_4795-.Lpost_getpc13149)&4294967295
	s_addc_u32 s15, s15, (.LBB1_4795-.Lpost_getpc13149)>>32
	s_setpc_b64 s[14:15]
.LBB1_31069:
	s_getpc_b64 s[14:15]
.Lpost_getpc1198:
	s_add_u32 s14, s14, (.LBB1_4796-.Lpost_getpc1198)&4294967295
	s_addc_u32 s15, s15, (.LBB1_4796-.Lpost_getpc1198)>>32
	s_setpc_b64 s[14:15]
.LBB1_19133:
	s_movk_i32 s4, 0x80
	v_cmp_eq_u16_sdwa s[12:13], v3, s4 src0_sel:BYTE_3 src1_sel:DWORD
	s_mov_b64 s[4:5], -1
                                        ; implicit-def: $sgpr10
	s_and_saveexec_b64 s[8:9], s[12:13]
; %bb.19134:
	s_mov_b32 s10, 0x7f800001
	s_xor_b64 s[4:5], exec, -1
; %bb.19135:
	s_or_b64 exec, exec, s[8:9]
	s_and_b64 s[4:5], s[4:5], exec
	s_or_saveexec_b64 s[6:7], s[6:7]
	v_mov_b32_e32 v6, s10
	s_xor_b64 exec, exec, s[6:7]
	s_cbranch_execnz .LBB1_19136
; %bb.54973:
	s_getpc_b64 s[14:15]
.Lpost_getpc13150:
	s_add_u32 s14, s14, (.LBB1_4798-.Lpost_getpc13150)&4294967295
	s_addc_u32 s15, s15, (.LBB1_4798-.Lpost_getpc13150)>>32
	s_setpc_b64 s[14:15]
.LBB1_19136:
	v_mov_b32_e32 v6, 0
	v_cmp_ne_u16_sdwa s[8:9], v3, v6 src0_sel:BYTE_3 src1_sel:DWORD
	s_andn2_b64 s[4:5], s[4:5], exec
	s_and_b64 s[8:9], s[8:9], exec
	s_or_b64 s[4:5], s[4:5], s[8:9]
	s_or_b64 exec, exec, s[6:7]
	s_and_saveexec_b64 s[6:7], s[4:5]
	s_cbranch_execz .LBB1_31071
; %bb.54975:
	s_getpc_b64 s[14:15]
.Lpost_getpc13151:
	s_add_u32 s14, s14, (.LBB1_4799-.Lpost_getpc13151)&4294967295
	s_addc_u32 s15, s15, (.LBB1_4799-.Lpost_getpc13151)>>32
	s_setpc_b64 s[14:15]
.LBB1_31071:
	s_getpc_b64 s[14:15]
.Lpost_getpc1199:
	s_add_u32 s14, s14, (.LBB1_4800-.Lpost_getpc1199)&4294967295
	s_addc_u32 s15, s15, (.LBB1_4800-.Lpost_getpc1199)>>32
	s_setpc_b64 s[14:15]
.LBB1_19137:
	s_movk_i32 s4, 0x80
	v_cmp_eq_u16_sdwa s[12:13], v8, s4 src0_sel:BYTE_0 src1_sel:DWORD
	s_mov_b64 s[4:5], -1
                                        ; implicit-def: $sgpr10
	s_and_saveexec_b64 s[8:9], s[12:13]
; %bb.19138:
	s_mov_b32 s10, 0x7f800001
	s_xor_b64 s[4:5], exec, -1
; %bb.19139:
	s_or_b64 exec, exec, s[8:9]
	s_and_b64 s[4:5], s[4:5], exec
	s_or_saveexec_b64 s[6:7], s[6:7]
	v_mov_b32_e32 v2, s10
	s_xor_b64 exec, exec, s[6:7]
	s_cbranch_execnz .LBB1_19140
; %bb.54977:
	s_getpc_b64 s[14:15]
.Lpost_getpc13152:
	s_add_u32 s14, s14, (.LBB1_4802-.Lpost_getpc13152)&4294967295
	s_addc_u32 s15, s15, (.LBB1_4802-.Lpost_getpc13152)>>32
	s_setpc_b64 s[14:15]
.LBB1_19140:
	v_mov_b32_e32 v2, 0
	v_cmp_ne_u16_sdwa s[8:9], v8, v2 src0_sel:BYTE_0 src1_sel:DWORD
	s_andn2_b64 s[4:5], s[4:5], exec
	s_and_b64 s[8:9], s[8:9], exec
	s_or_b64 s[4:5], s[4:5], s[8:9]
	s_or_b64 exec, exec, s[6:7]
	s_and_saveexec_b64 s[6:7], s[4:5]
	s_cbranch_execz .LBB1_31073
; %bb.54979:
	s_getpc_b64 s[14:15]
.Lpost_getpc13153:
	s_add_u32 s14, s14, (.LBB1_4803-.Lpost_getpc13153)&4294967295
	s_addc_u32 s15, s15, (.LBB1_4803-.Lpost_getpc13153)>>32
	s_setpc_b64 s[14:15]
.LBB1_31073:
	s_getpc_b64 s[14:15]
.Lpost_getpc1200:
	s_add_u32 s14, s14, (.LBB1_4804-.Lpost_getpc1200)&4294967295
	s_addc_u32 s15, s15, (.LBB1_4804-.Lpost_getpc1200)>>32
	s_setpc_b64 s[14:15]
.LBB1_19141:
	s_movk_i32 s4, 0x80
	v_cmp_eq_u16_sdwa s[12:13], v4, s4 src0_sel:BYTE_0 src1_sel:DWORD
	s_mov_b64 s[4:5], -1
                                        ; implicit-def: $sgpr10
	s_and_saveexec_b64 s[8:9], s[12:13]
; %bb.19142:
	s_mov_b32 s10, 0x7f800001
	s_xor_b64 s[4:5], exec, -1
; %bb.19143:
	s_or_b64 exec, exec, s[8:9]
	s_and_b64 s[4:5], s[4:5], exec
	s_or_saveexec_b64 s[6:7], s[6:7]
	v_mov_b32_e32 v3, s10
	s_xor_b64 exec, exec, s[6:7]
	s_cbranch_execnz .LBB1_19144
; %bb.54981:
	s_getpc_b64 s[14:15]
.Lpost_getpc13154:
	s_add_u32 s14, s14, (.LBB1_4806-.Lpost_getpc13154)&4294967295
	s_addc_u32 s15, s15, (.LBB1_4806-.Lpost_getpc13154)>>32
	s_setpc_b64 s[14:15]
.LBB1_19144:
	v_mov_b32_e32 v3, 0
	v_cmp_ne_u16_sdwa s[8:9], v4, v3 src0_sel:BYTE_0 src1_sel:DWORD
	s_andn2_b64 s[4:5], s[4:5], exec
	s_and_b64 s[8:9], s[8:9], exec
	s_or_b64 s[4:5], s[4:5], s[8:9]
	s_or_b64 exec, exec, s[6:7]
	s_and_saveexec_b64 s[6:7], s[4:5]
	s_cbranch_execz .LBB1_31075
; %bb.54983:
	s_getpc_b64 s[14:15]
.Lpost_getpc13155:
	s_add_u32 s14, s14, (.LBB1_4807-.Lpost_getpc13155)&4294967295
	s_addc_u32 s15, s15, (.LBB1_4807-.Lpost_getpc13155)>>32
	s_setpc_b64 s[14:15]
.LBB1_31075:
	s_getpc_b64 s[14:15]
.Lpost_getpc1201:
	s_add_u32 s14, s14, (.LBB1_4808-.Lpost_getpc1201)&4294967295
	s_addc_u32 s15, s15, (.LBB1_4808-.Lpost_getpc1201)>>32
	s_setpc_b64 s[14:15]
.LBB1_19145:
	s_movk_i32 s4, 0x80
	v_cmp_eq_u16_sdwa s[12:13], v3, s4 src0_sel:BYTE_0 src1_sel:DWORD
	s_mov_b64 s[4:5], -1
                                        ; implicit-def: $sgpr10
	s_and_saveexec_b64 s[8:9], s[12:13]
; %bb.19146:
	s_mov_b32 s10, 0x7f800001
	s_xor_b64 s[4:5], exec, -1
; %bb.19147:
	s_or_b64 exec, exec, s[8:9]
	s_and_b64 s[4:5], s[4:5], exec
	s_or_saveexec_b64 s[6:7], s[6:7]
	v_mov_b32_e32 v2, s10
	s_xor_b64 exec, exec, s[6:7]
	s_cbranch_execnz .LBB1_19148
; %bb.54985:
	s_getpc_b64 s[14:15]
.Lpost_getpc13156:
	s_add_u32 s14, s14, (.LBB1_4810-.Lpost_getpc13156)&4294967295
	s_addc_u32 s15, s15, (.LBB1_4810-.Lpost_getpc13156)>>32
	s_setpc_b64 s[14:15]
.LBB1_19148:
	v_mov_b32_e32 v2, 0
	v_cmp_ne_u16_sdwa s[8:9], v3, v2 src0_sel:BYTE_0 src1_sel:DWORD
	s_andn2_b64 s[4:5], s[4:5], exec
	s_and_b64 s[8:9], s[8:9], exec
	s_or_b64 s[4:5], s[4:5], s[8:9]
	s_or_b64 exec, exec, s[6:7]
	s_and_saveexec_b64 s[6:7], s[4:5]
	s_cbranch_execz .LBB1_31077
; %bb.54987:
	s_getpc_b64 s[14:15]
.Lpost_getpc13157:
	s_add_u32 s14, s14, (.LBB1_4811-.Lpost_getpc13157)&4294967295
	s_addc_u32 s15, s15, (.LBB1_4811-.Lpost_getpc13157)>>32
	s_setpc_b64 s[14:15]
.LBB1_31077:
	s_getpc_b64 s[14:15]
.Lpost_getpc1202:
	s_add_u32 s14, s14, (.LBB1_4812-.Lpost_getpc1202)&4294967295
	s_addc_u32 s15, s15, (.LBB1_4812-.Lpost_getpc1202)>>32
	s_setpc_b64 s[14:15]
.LBB1_19149:
	s_movk_i32 s4, 0x80
	v_cmp_eq_u16_sdwa s[12:13], v3, s4 src0_sel:BYTE_0 src1_sel:DWORD
	s_mov_b64 s[4:5], -1
                                        ; implicit-def: $sgpr10
	s_and_saveexec_b64 s[8:9], s[12:13]
; %bb.19150:
	s_mov_b32 s10, 0x7f800001
	s_xor_b64 s[4:5], exec, -1
; %bb.19151:
	s_or_b64 exec, exec, s[8:9]
	s_and_b64 s[4:5], s[4:5], exec
	s_or_saveexec_b64 s[6:7], s[6:7]
	v_mov_b32_e32 v6, s10
	s_xor_b64 exec, exec, s[6:7]
	s_cbranch_execnz .LBB1_19152
; %bb.54989:
	s_getpc_b64 s[14:15]
.Lpost_getpc13158:
	s_add_u32 s14, s14, (.LBB1_4814-.Lpost_getpc13158)&4294967295
	s_addc_u32 s15, s15, (.LBB1_4814-.Lpost_getpc13158)>>32
	s_setpc_b64 s[14:15]
.LBB1_19152:
	v_mov_b32_e32 v6, 0
	v_cmp_ne_u16_sdwa s[8:9], v3, v6 src0_sel:BYTE_0 src1_sel:DWORD
	s_andn2_b64 s[4:5], s[4:5], exec
	s_and_b64 s[8:9], s[8:9], exec
	s_or_b64 s[4:5], s[4:5], s[8:9]
	s_or_b64 exec, exec, s[6:7]
	s_and_saveexec_b64 s[6:7], s[4:5]
	s_cbranch_execz .LBB1_31079
; %bb.54991:
	s_getpc_b64 s[14:15]
.Lpost_getpc13159:
	s_add_u32 s14, s14, (.LBB1_4815-.Lpost_getpc13159)&4294967295
	s_addc_u32 s15, s15, (.LBB1_4815-.Lpost_getpc13159)>>32
	s_setpc_b64 s[14:15]
.LBB1_31079:
	s_getpc_b64 s[14:15]
.Lpost_getpc1203:
	s_add_u32 s14, s14, (.LBB1_4816-.Lpost_getpc1203)&4294967295
	s_addc_u32 s15, s15, (.LBB1_4816-.Lpost_getpc1203)>>32
	s_setpc_b64 s[14:15]
.LBB1_19153:
	s_movk_i32 s4, 0x80
	v_cmp_eq_u16_e32 vcc, s4, v3
	s_mov_b64 s[4:5], -1
                                        ; implicit-def: $sgpr10
	s_and_saveexec_b64 s[8:9], vcc
; %bb.19154:
	s_mov_b32 s10, 0x7f800001
	s_xor_b64 s[4:5], exec, -1
; %bb.19155:
	s_or_b64 exec, exec, s[8:9]
	s_and_b64 s[4:5], s[4:5], exec
                                        ; implicit-def: $vgpr3
	s_or_saveexec_b64 s[6:7], s[6:7]
	v_mov_b32_e32 v2, s10
	s_xor_b64 exec, exec, s[6:7]
	s_cbranch_execnz .LBB1_19156
; %bb.54993:
	s_getpc_b64 s[14:15]
.Lpost_getpc13160:
	s_add_u32 s14, s14, (.LBB1_4818-.Lpost_getpc13160)&4294967295
	s_addc_u32 s15, s15, (.LBB1_4818-.Lpost_getpc13160)>>32
	s_setpc_b64 s[14:15]
.LBB1_19156:
	v_cmp_ne_u16_e32 vcc, 0, v3
	s_andn2_b64 s[4:5], s[4:5], exec
	s_and_b64 s[8:9], vcc, exec
	v_mov_b32_e32 v2, 0
	s_or_b64 s[4:5], s[4:5], s[8:9]
	s_or_b64 exec, exec, s[6:7]
	s_and_saveexec_b64 s[6:7], s[4:5]
	s_cbranch_execz .LBB1_31081
; %bb.54995:
	s_getpc_b64 s[14:15]
.Lpost_getpc13161:
	s_add_u32 s14, s14, (.LBB1_4819-.Lpost_getpc13161)&4294967295
	s_addc_u32 s15, s15, (.LBB1_4819-.Lpost_getpc13161)>>32
	s_setpc_b64 s[14:15]
.LBB1_31081:
	s_getpc_b64 s[14:15]
.Lpost_getpc1204:
	s_add_u32 s14, s14, (.LBB1_4820-.Lpost_getpc1204)&4294967295
	s_addc_u32 s15, s15, (.LBB1_4820-.Lpost_getpc1204)>>32
	s_setpc_b64 s[14:15]
.LBB1_19157:
	s_movk_i32 s4, 0x80
	v_cmp_eq_u16_e32 vcc, s4, v3
	s_mov_b64 s[4:5], -1
                                        ; implicit-def: $sgpr10
	s_and_saveexec_b64 s[8:9], vcc
; %bb.19158:
	s_mov_b32 s10, 0x7f800001
	s_xor_b64 s[4:5], exec, -1
; %bb.19159:
	s_or_b64 exec, exec, s[8:9]
	s_and_b64 s[4:5], s[4:5], exec
                                        ; implicit-def: $vgpr3
	s_or_saveexec_b64 s[6:7], s[6:7]
	v_mov_b32_e32 v6, s10
	s_xor_b64 exec, exec, s[6:7]
	s_cbranch_execnz .LBB1_19160
; %bb.54997:
	s_getpc_b64 s[14:15]
.Lpost_getpc13162:
	s_add_u32 s14, s14, (.LBB1_4822-.Lpost_getpc13162)&4294967295
	s_addc_u32 s15, s15, (.LBB1_4822-.Lpost_getpc13162)>>32
	s_setpc_b64 s[14:15]
.LBB1_19160:
	v_cmp_ne_u16_e32 vcc, 0, v3
	s_andn2_b64 s[4:5], s[4:5], exec
	s_and_b64 s[8:9], vcc, exec
	v_mov_b32_e32 v6, 0
	s_or_b64 s[4:5], s[4:5], s[8:9]
	s_or_b64 exec, exec, s[6:7]
	s_and_saveexec_b64 s[6:7], s[4:5]
	s_cbranch_execz .LBB1_31083
; %bb.54999:
	s_getpc_b64 s[14:15]
.Lpost_getpc13163:
	s_add_u32 s14, s14, (.LBB1_4823-.Lpost_getpc13163)&4294967295
	s_addc_u32 s15, s15, (.LBB1_4823-.Lpost_getpc13163)>>32
	s_setpc_b64 s[14:15]
.LBB1_31083:
	s_getpc_b64 s[14:15]
.Lpost_getpc1205:
	s_add_u32 s14, s14, (.LBB1_4824-.Lpost_getpc1205)&4294967295
	s_addc_u32 s15, s15, (.LBB1_4824-.Lpost_getpc1205)>>32
	s_setpc_b64 s[14:15]
.LBB1_19161:
	s_movk_i32 s4, 0x80
	v_cmp_eq_u16_sdwa s[12:13], v8, s4 src0_sel:BYTE_3 src1_sel:DWORD
	s_mov_b64 s[4:5], -1
                                        ; implicit-def: $sgpr10
	s_and_saveexec_b64 s[8:9], s[12:13]
; %bb.19162:
	s_mov_b32 s10, 0x7f800001
	s_xor_b64 s[4:5], exec, -1
; %bb.19163:
	s_or_b64 exec, exec, s[8:9]
	s_and_b64 s[4:5], s[4:5], exec
	s_or_saveexec_b64 s[6:7], s[6:7]
	v_mov_b32_e32 v2, s10
	s_xor_b64 exec, exec, s[6:7]
	s_cbranch_execnz .LBB1_19164
; %bb.55001:
	s_getpc_b64 s[14:15]
.Lpost_getpc13164:
	s_add_u32 s14, s14, (.LBB1_4826-.Lpost_getpc13164)&4294967295
	s_addc_u32 s15, s15, (.LBB1_4826-.Lpost_getpc13164)>>32
	s_setpc_b64 s[14:15]
.LBB1_19164:
	v_mov_b32_e32 v2, 0
	v_cmp_ne_u16_sdwa s[8:9], v8, v2 src0_sel:BYTE_3 src1_sel:DWORD
	s_andn2_b64 s[4:5], s[4:5], exec
	s_and_b64 s[8:9], s[8:9], exec
	s_or_b64 s[4:5], s[4:5], s[8:9]
	s_or_b64 exec, exec, s[6:7]
	s_and_saveexec_b64 s[6:7], s[4:5]
	s_cbranch_execz .LBB1_31085
; %bb.55003:
	s_getpc_b64 s[14:15]
.Lpost_getpc13165:
	s_add_u32 s14, s14, (.LBB1_4827-.Lpost_getpc13165)&4294967295
	s_addc_u32 s15, s15, (.LBB1_4827-.Lpost_getpc13165)>>32
	s_setpc_b64 s[14:15]
.LBB1_31085:
	s_getpc_b64 s[14:15]
.Lpost_getpc1206:
	s_add_u32 s14, s14, (.LBB1_4828-.Lpost_getpc1206)&4294967295
	s_addc_u32 s15, s15, (.LBB1_4828-.Lpost_getpc1206)>>32
	s_setpc_b64 s[14:15]
.LBB1_19165:
	s_movk_i32 s4, 0x80
	v_cmp_eq_u16_sdwa s[12:13], v4, s4 src0_sel:BYTE_3 src1_sel:DWORD
	s_mov_b64 s[4:5], -1
                                        ; implicit-def: $sgpr10
	s_and_saveexec_b64 s[8:9], s[12:13]
; %bb.19166:
	s_mov_b32 s10, 0x7f800001
	s_xor_b64 s[4:5], exec, -1
; %bb.19167:
	s_or_b64 exec, exec, s[8:9]
	s_and_b64 s[4:5], s[4:5], exec
	s_or_saveexec_b64 s[6:7], s[6:7]
	v_mov_b32_e32 v3, s10
	s_xor_b64 exec, exec, s[6:7]
	s_cbranch_execnz .LBB1_19168
; %bb.55005:
	s_getpc_b64 s[14:15]
.Lpost_getpc13166:
	s_add_u32 s14, s14, (.LBB1_4830-.Lpost_getpc13166)&4294967295
	s_addc_u32 s15, s15, (.LBB1_4830-.Lpost_getpc13166)>>32
	s_setpc_b64 s[14:15]
.LBB1_19168:
	v_mov_b32_e32 v3, 0
	v_cmp_ne_u16_sdwa s[8:9], v4, v3 src0_sel:BYTE_3 src1_sel:DWORD
	s_andn2_b64 s[4:5], s[4:5], exec
	s_and_b64 s[8:9], s[8:9], exec
	s_or_b64 s[4:5], s[4:5], s[8:9]
	s_or_b64 exec, exec, s[6:7]
	s_and_saveexec_b64 s[6:7], s[4:5]
	s_cbranch_execz .LBB1_31087
; %bb.55007:
	s_getpc_b64 s[14:15]
.Lpost_getpc13167:
	s_add_u32 s14, s14, (.LBB1_4831-.Lpost_getpc13167)&4294967295
	s_addc_u32 s15, s15, (.LBB1_4831-.Lpost_getpc13167)>>32
	s_setpc_b64 s[14:15]
.LBB1_31087:
	s_getpc_b64 s[14:15]
.Lpost_getpc1207:
	s_add_u32 s14, s14, (.LBB1_4832-.Lpost_getpc1207)&4294967295
	s_addc_u32 s15, s15, (.LBB1_4832-.Lpost_getpc1207)>>32
	s_setpc_b64 s[14:15]
.LBB1_19169:
	s_movk_i32 s4, 0x80
	v_cmp_eq_u16_sdwa s[12:13], v9, s4 src0_sel:BYTE_0 src1_sel:DWORD
	s_mov_b64 s[4:5], -1
                                        ; implicit-def: $sgpr10
	s_and_saveexec_b64 s[8:9], s[12:13]
; %bb.19170:
	s_mov_b32 s10, 0x7f800001
	s_xor_b64 s[4:5], exec, -1
; %bb.19171:
	s_or_b64 exec, exec, s[8:9]
	s_and_b64 s[4:5], s[4:5], exec
	s_or_saveexec_b64 s[6:7], s[6:7]
	v_mov_b32_e32 v2, s10
	s_xor_b64 exec, exec, s[6:7]
	s_cbranch_execnz .LBB1_19172
; %bb.55009:
	s_getpc_b64 s[14:15]
.Lpost_getpc13168:
	s_add_u32 s14, s14, (.LBB1_4834-.Lpost_getpc13168)&4294967295
	s_addc_u32 s15, s15, (.LBB1_4834-.Lpost_getpc13168)>>32
	s_setpc_b64 s[14:15]
.LBB1_19172:
	v_mov_b32_e32 v2, 0
	v_cmp_ne_u16_sdwa s[8:9], v9, v2 src0_sel:BYTE_0 src1_sel:DWORD
	s_andn2_b64 s[4:5], s[4:5], exec
	s_and_b64 s[8:9], s[8:9], exec
	s_or_b64 s[4:5], s[4:5], s[8:9]
	s_or_b64 exec, exec, s[6:7]
	s_and_saveexec_b64 s[6:7], s[4:5]
	s_cbranch_execz .LBB1_31089
; %bb.55011:
	s_getpc_b64 s[14:15]
.Lpost_getpc13169:
	s_add_u32 s14, s14, (.LBB1_4835-.Lpost_getpc13169)&4294967295
	s_addc_u32 s15, s15, (.LBB1_4835-.Lpost_getpc13169)>>32
	s_setpc_b64 s[14:15]
.LBB1_31089:
	s_getpc_b64 s[14:15]
.Lpost_getpc1208:
	s_add_u32 s14, s14, (.LBB1_4836-.Lpost_getpc1208)&4294967295
	s_addc_u32 s15, s15, (.LBB1_4836-.Lpost_getpc1208)>>32
	s_setpc_b64 s[14:15]
.LBB1_19173:
	s_movk_i32 s4, 0x80
	v_cmp_eq_u16_sdwa s[12:13], v5, s4 src0_sel:BYTE_0 src1_sel:DWORD
	s_mov_b64 s[4:5], -1
                                        ; implicit-def: $sgpr10
	s_and_saveexec_b64 s[8:9], s[12:13]
; %bb.19174:
	s_mov_b32 s10, 0x7f800001
	s_xor_b64 s[4:5], exec, -1
; %bb.19175:
	s_or_b64 exec, exec, s[8:9]
	s_and_b64 s[4:5], s[4:5], exec
	s_or_saveexec_b64 s[6:7], s[6:7]
	v_mov_b32_e32 v3, s10
	s_xor_b64 exec, exec, s[6:7]
	s_cbranch_execnz .LBB1_19176
; %bb.55013:
	s_getpc_b64 s[14:15]
.Lpost_getpc13170:
	s_add_u32 s14, s14, (.LBB1_4838-.Lpost_getpc13170)&4294967295
	s_addc_u32 s15, s15, (.LBB1_4838-.Lpost_getpc13170)>>32
	s_setpc_b64 s[14:15]
.LBB1_19176:
	v_mov_b32_e32 v3, 0
	v_cmp_ne_u16_sdwa s[8:9], v5, v3 src0_sel:BYTE_0 src1_sel:DWORD
	s_andn2_b64 s[4:5], s[4:5], exec
	s_and_b64 s[8:9], s[8:9], exec
	s_or_b64 s[4:5], s[4:5], s[8:9]
	s_or_b64 exec, exec, s[6:7]
	s_and_saveexec_b64 s[6:7], s[4:5]
	s_cbranch_execz .LBB1_31091
; %bb.55015:
	s_getpc_b64 s[14:15]
.Lpost_getpc13171:
	s_add_u32 s14, s14, (.LBB1_4839-.Lpost_getpc13171)&4294967295
	s_addc_u32 s15, s15, (.LBB1_4839-.Lpost_getpc13171)>>32
	s_setpc_b64 s[14:15]
.LBB1_31091:
	s_getpc_b64 s[14:15]
.Lpost_getpc1209:
	s_add_u32 s14, s14, (.LBB1_4840-.Lpost_getpc1209)&4294967295
	s_addc_u32 s15, s15, (.LBB1_4840-.Lpost_getpc1209)>>32
	s_setpc_b64 s[14:15]
.LBB1_19177:
	s_movk_i32 s4, 0x80
	v_cmp_eq_u16_sdwa s[12:13], v3, s4 src0_sel:BYTE_0 src1_sel:DWORD
	s_mov_b64 s[4:5], -1
                                        ; implicit-def: $sgpr10
	s_and_saveexec_b64 s[8:9], s[12:13]
; %bb.19178:
	s_mov_b32 s10, 0x7f800001
	s_xor_b64 s[4:5], exec, -1
; %bb.19179:
	s_or_b64 exec, exec, s[8:9]
	s_and_b64 s[4:5], s[4:5], exec
	s_or_saveexec_b64 s[6:7], s[6:7]
	v_mov_b32_e32 v2, s10
	s_xor_b64 exec, exec, s[6:7]
	s_cbranch_execnz .LBB1_19180
; %bb.55017:
	s_getpc_b64 s[14:15]
.Lpost_getpc13172:
	s_add_u32 s14, s14, (.LBB1_4842-.Lpost_getpc13172)&4294967295
	s_addc_u32 s15, s15, (.LBB1_4842-.Lpost_getpc13172)>>32
	s_setpc_b64 s[14:15]
.LBB1_19180:
	v_mov_b32_e32 v2, 0
	v_cmp_ne_u16_sdwa s[8:9], v3, v2 src0_sel:BYTE_0 src1_sel:DWORD
	s_andn2_b64 s[4:5], s[4:5], exec
	s_and_b64 s[8:9], s[8:9], exec
	s_or_b64 s[4:5], s[4:5], s[8:9]
	s_or_b64 exec, exec, s[6:7]
	s_and_saveexec_b64 s[6:7], s[4:5]
	s_cbranch_execz .LBB1_31093
; %bb.55019:
	s_getpc_b64 s[14:15]
.Lpost_getpc13173:
	s_add_u32 s14, s14, (.LBB1_4843-.Lpost_getpc13173)&4294967295
	s_addc_u32 s15, s15, (.LBB1_4843-.Lpost_getpc13173)>>32
	s_setpc_b64 s[14:15]
.LBB1_31093:
	s_getpc_b64 s[14:15]
.Lpost_getpc1210:
	s_add_u32 s14, s14, (.LBB1_4844-.Lpost_getpc1210)&4294967295
	s_addc_u32 s15, s15, (.LBB1_4844-.Lpost_getpc1210)>>32
	s_setpc_b64 s[14:15]
.LBB1_19181:
	s_movk_i32 s4, 0x80
	v_cmp_eq_u16_sdwa s[12:13], v3, s4 src0_sel:BYTE_0 src1_sel:DWORD
	s_mov_b64 s[4:5], -1
                                        ; implicit-def: $sgpr10
	s_and_saveexec_b64 s[8:9], s[12:13]
; %bb.19182:
	s_mov_b32 s10, 0x7f800001
	s_xor_b64 s[4:5], exec, -1
; %bb.19183:
	s_or_b64 exec, exec, s[8:9]
	s_and_b64 s[4:5], s[4:5], exec
	s_or_saveexec_b64 s[6:7], s[6:7]
	v_mov_b32_e32 v4, s10
	s_xor_b64 exec, exec, s[6:7]
	s_cbranch_execnz .LBB1_19184
; %bb.55021:
	s_getpc_b64 s[14:15]
.Lpost_getpc13174:
	s_add_u32 s14, s14, (.LBB1_4846-.Lpost_getpc13174)&4294967295
	s_addc_u32 s15, s15, (.LBB1_4846-.Lpost_getpc13174)>>32
	s_setpc_b64 s[14:15]
.LBB1_19184:
	v_mov_b32_e32 v4, 0
	v_cmp_ne_u16_sdwa s[8:9], v3, v4 src0_sel:BYTE_0 src1_sel:DWORD
	s_andn2_b64 s[4:5], s[4:5], exec
	s_and_b64 s[8:9], s[8:9], exec
	s_or_b64 s[4:5], s[4:5], s[8:9]
	s_or_b64 exec, exec, s[6:7]
	s_and_saveexec_b64 s[6:7], s[4:5]
	s_cbranch_execz .LBB1_31095
; %bb.55023:
	s_getpc_b64 s[14:15]
.Lpost_getpc13175:
	s_add_u32 s14, s14, (.LBB1_4847-.Lpost_getpc13175)&4294967295
	s_addc_u32 s15, s15, (.LBB1_4847-.Lpost_getpc13175)>>32
	s_setpc_b64 s[14:15]
.LBB1_31095:
	s_getpc_b64 s[14:15]
.Lpost_getpc1211:
	s_add_u32 s14, s14, (.LBB1_4848-.Lpost_getpc1211)&4294967295
	s_addc_u32 s15, s15, (.LBB1_4848-.Lpost_getpc1211)>>32
	s_setpc_b64 s[14:15]
.LBB1_19185:
	s_movk_i32 s4, 0x80
	v_cmp_eq_u16_e32 vcc, s4, v3
	s_mov_b64 s[4:5], -1
                                        ; implicit-def: $sgpr10
	s_and_saveexec_b64 s[8:9], vcc
; %bb.19186:
	s_mov_b32 s10, 0x7f800001
	s_xor_b64 s[4:5], exec, -1
; %bb.19187:
	s_or_b64 exec, exec, s[8:9]
	s_and_b64 s[4:5], s[4:5], exec
                                        ; implicit-def: $vgpr3
	s_or_saveexec_b64 s[6:7], s[6:7]
	v_mov_b32_e32 v2, s10
	s_xor_b64 exec, exec, s[6:7]
	s_cbranch_execnz .LBB1_19188
; %bb.55025:
	s_getpc_b64 s[14:15]
.Lpost_getpc13176:
	s_add_u32 s14, s14, (.LBB1_4850-.Lpost_getpc13176)&4294967295
	s_addc_u32 s15, s15, (.LBB1_4850-.Lpost_getpc13176)>>32
	s_setpc_b64 s[14:15]
.LBB1_19188:
	v_cmp_ne_u16_e32 vcc, 0, v3
	s_andn2_b64 s[4:5], s[4:5], exec
	s_and_b64 s[8:9], vcc, exec
	v_mov_b32_e32 v2, 0
	s_or_b64 s[4:5], s[4:5], s[8:9]
	s_or_b64 exec, exec, s[6:7]
	s_and_saveexec_b64 s[6:7], s[4:5]
	s_cbranch_execz .LBB1_31097
; %bb.55027:
	s_getpc_b64 s[14:15]
.Lpost_getpc13177:
	s_add_u32 s14, s14, (.LBB1_4851-.Lpost_getpc13177)&4294967295
	s_addc_u32 s15, s15, (.LBB1_4851-.Lpost_getpc13177)>>32
	s_setpc_b64 s[14:15]
.LBB1_31097:
	s_getpc_b64 s[14:15]
.Lpost_getpc1212:
	s_add_u32 s14, s14, (.LBB1_4852-.Lpost_getpc1212)&4294967295
	s_addc_u32 s15, s15, (.LBB1_4852-.Lpost_getpc1212)>>32
	s_setpc_b64 s[14:15]
.LBB1_19189:
	s_movk_i32 s4, 0x80
	v_cmp_eq_u16_e32 vcc, s4, v3
	s_mov_b64 s[4:5], -1
                                        ; implicit-def: $sgpr10
	s_and_saveexec_b64 s[8:9], vcc
; %bb.19190:
	s_mov_b32 s10, 0x7f800001
	s_xor_b64 s[4:5], exec, -1
; %bb.19191:
	s_or_b64 exec, exec, s[8:9]
	s_and_b64 s[4:5], s[4:5], exec
                                        ; implicit-def: $vgpr3
	s_or_saveexec_b64 s[6:7], s[6:7]
	v_mov_b32_e32 v4, s10
	s_xor_b64 exec, exec, s[6:7]
	s_cbranch_execnz .LBB1_19192
; %bb.55029:
	s_getpc_b64 s[14:15]
.Lpost_getpc13178:
	s_add_u32 s14, s14, (.LBB1_4854-.Lpost_getpc13178)&4294967295
	s_addc_u32 s15, s15, (.LBB1_4854-.Lpost_getpc13178)>>32
	s_setpc_b64 s[14:15]
.LBB1_19192:
	v_cmp_ne_u16_e32 vcc, 0, v3
	s_andn2_b64 s[4:5], s[4:5], exec
	s_and_b64 s[8:9], vcc, exec
	v_mov_b32_e32 v4, 0
	s_or_b64 s[4:5], s[4:5], s[8:9]
	s_or_b64 exec, exec, s[6:7]
	s_and_saveexec_b64 s[6:7], s[4:5]
	s_cbranch_execz .LBB1_31099
; %bb.55031:
	s_getpc_b64 s[14:15]
.Lpost_getpc13179:
	s_add_u32 s14, s14, (.LBB1_4855-.Lpost_getpc13179)&4294967295
	s_addc_u32 s15, s15, (.LBB1_4855-.Lpost_getpc13179)>>32
	s_setpc_b64 s[14:15]
.LBB1_31099:
	s_getpc_b64 s[14:15]
.Lpost_getpc1213:
	s_add_u32 s14, s14, (.LBB1_4856-.Lpost_getpc1213)&4294967295
	s_addc_u32 s15, s15, (.LBB1_4856-.Lpost_getpc1213)>>32
	s_setpc_b64 s[14:15]
.LBB1_19193:
	s_movk_i32 s4, 0x80
	v_cmp_eq_u16_sdwa s[12:13], v9, s4 src0_sel:BYTE_3 src1_sel:DWORD
	s_mov_b64 s[4:5], -1
                                        ; implicit-def: $sgpr10
	s_and_saveexec_b64 s[8:9], s[12:13]
; %bb.19194:
	s_mov_b32 s10, 0x7f800001
	s_xor_b64 s[4:5], exec, -1
; %bb.19195:
	s_or_b64 exec, exec, s[8:9]
	s_and_b64 s[4:5], s[4:5], exec
	s_or_saveexec_b64 s[6:7], s[6:7]
	v_mov_b32_e32 v2, s10
	s_xor_b64 exec, exec, s[6:7]
	s_cbranch_execnz .LBB1_19196
; %bb.55033:
	s_getpc_b64 s[14:15]
.Lpost_getpc13180:
	s_add_u32 s14, s14, (.LBB1_4858-.Lpost_getpc13180)&4294967295
	s_addc_u32 s15, s15, (.LBB1_4858-.Lpost_getpc13180)>>32
	s_setpc_b64 s[14:15]
.LBB1_19196:
	v_mov_b32_e32 v2, 0
	v_cmp_ne_u16_sdwa s[8:9], v9, v2 src0_sel:BYTE_3 src1_sel:DWORD
	s_andn2_b64 s[4:5], s[4:5], exec
	s_and_b64 s[8:9], s[8:9], exec
	s_or_b64 s[4:5], s[4:5], s[8:9]
	s_or_b64 exec, exec, s[6:7]
	s_and_saveexec_b64 s[6:7], s[4:5]
	s_cbranch_execz .LBB1_31101
; %bb.55035:
	s_getpc_b64 s[14:15]
.Lpost_getpc13181:
	s_add_u32 s14, s14, (.LBB1_4859-.Lpost_getpc13181)&4294967295
	s_addc_u32 s15, s15, (.LBB1_4859-.Lpost_getpc13181)>>32
	s_setpc_b64 s[14:15]
.LBB1_31101:
	s_getpc_b64 s[14:15]
.Lpost_getpc1214:
	s_add_u32 s14, s14, (.LBB1_4860-.Lpost_getpc1214)&4294967295
	s_addc_u32 s15, s15, (.LBB1_4860-.Lpost_getpc1214)>>32
	s_setpc_b64 s[14:15]
.LBB1_19197:
	s_movk_i32 s4, 0x80
	v_cmp_eq_u16_sdwa s[12:13], v5, s4 src0_sel:BYTE_3 src1_sel:DWORD
	s_mov_b64 s[4:5], -1
                                        ; implicit-def: $sgpr10
	s_and_saveexec_b64 s[8:9], s[12:13]
; %bb.19198:
	s_mov_b32 s10, 0x7f800001
	s_xor_b64 s[4:5], exec, -1
; %bb.19199:
	s_or_b64 exec, exec, s[8:9]
	s_and_b64 s[4:5], s[4:5], exec
	s_or_saveexec_b64 s[6:7], s[6:7]
	v_mov_b32_e32 v3, s10
	s_xor_b64 exec, exec, s[6:7]
	s_cbranch_execnz .LBB1_19200
; %bb.55037:
	s_getpc_b64 s[14:15]
.Lpost_getpc13182:
	s_add_u32 s14, s14, (.LBB1_4862-.Lpost_getpc13182)&4294967295
	s_addc_u32 s15, s15, (.LBB1_4862-.Lpost_getpc13182)>>32
	s_setpc_b64 s[14:15]
.LBB1_19200:
	v_mov_b32_e32 v3, 0
	v_cmp_ne_u16_sdwa s[8:9], v5, v3 src0_sel:BYTE_3 src1_sel:DWORD
	s_andn2_b64 s[4:5], s[4:5], exec
	s_and_b64 s[8:9], s[8:9], exec
	s_or_b64 s[4:5], s[4:5], s[8:9]
	s_or_b64 exec, exec, s[6:7]
	s_and_saveexec_b64 s[6:7], s[4:5]
	s_cbranch_execz .LBB1_31103
; %bb.55039:
	s_getpc_b64 s[14:15]
.Lpost_getpc13183:
	s_add_u32 s14, s14, (.LBB1_4863-.Lpost_getpc13183)&4294967295
	s_addc_u32 s15, s15, (.LBB1_4863-.Lpost_getpc13183)>>32
	s_setpc_b64 s[14:15]
.LBB1_31103:
	s_getpc_b64 s[14:15]
.Lpost_getpc1215:
	s_add_u32 s14, s14, (.LBB1_4864-.Lpost_getpc1215)&4294967295
	s_addc_u32 s15, s15, (.LBB1_4864-.Lpost_getpc1215)>>32
	s_setpc_b64 s[14:15]
.LBB1_19201:
	s_movk_i32 s4, 0x80
	v_cmp_eq_u16_sdwa s[12:13], v6, s4 src0_sel:BYTE_0 src1_sel:DWORD
	s_mov_b64 s[4:5], -1
                                        ; implicit-def: $sgpr10
	s_and_saveexec_b64 s[8:9], s[12:13]
; %bb.19202:
	s_mov_b32 s10, 0x7f800001
	s_xor_b64 s[4:5], exec, -1
; %bb.19203:
	s_or_b64 exec, exec, s[8:9]
	s_and_b64 s[4:5], s[4:5], exec
	s_or_saveexec_b64 s[6:7], s[6:7]
	v_mov_b32_e32 v12, s10
	s_xor_b64 exec, exec, s[6:7]
	s_cbranch_execnz .LBB1_19204
; %bb.55041:
	s_getpc_b64 s[14:15]
.Lpost_getpc13184:
	s_add_u32 s14, s14, (.LBB1_4866-.Lpost_getpc13184)&4294967295
	s_addc_u32 s15, s15, (.LBB1_4866-.Lpost_getpc13184)>>32
	s_setpc_b64 s[14:15]
.LBB1_19204:
	v_mov_b32_e32 v12, 0
	v_cmp_ne_u16_sdwa s[8:9], v6, v12 src0_sel:BYTE_0 src1_sel:DWORD
	s_andn2_b64 s[4:5], s[4:5], exec
	s_and_b64 s[8:9], s[8:9], exec
	s_or_b64 s[4:5], s[4:5], s[8:9]
	s_or_b64 exec, exec, s[6:7]
	s_and_saveexec_b64 s[6:7], s[4:5]
	s_cbranch_execz .LBB1_31105
; %bb.55043:
	s_getpc_b64 s[14:15]
.Lpost_getpc13185:
	s_add_u32 s14, s14, (.LBB1_4867-.Lpost_getpc13185)&4294967295
	s_addc_u32 s15, s15, (.LBB1_4867-.Lpost_getpc13185)>>32
	s_setpc_b64 s[14:15]
.LBB1_31105:
	s_getpc_b64 s[14:15]
.Lpost_getpc1216:
	s_add_u32 s14, s14, (.LBB1_4868-.Lpost_getpc1216)&4294967295
	s_addc_u32 s15, s15, (.LBB1_4868-.Lpost_getpc1216)>>32
	s_setpc_b64 s[14:15]
.LBB1_19205:
	s_movk_i32 s4, 0x80
	v_cmp_eq_u16_sdwa s[12:13], v2, s4 src0_sel:BYTE_0 src1_sel:DWORD
	s_mov_b64 s[4:5], -1
                                        ; implicit-def: $sgpr10
	s_and_saveexec_b64 s[8:9], s[12:13]
; %bb.19206:
	s_mov_b32 s10, 0x7f800001
	s_xor_b64 s[4:5], exec, -1
; %bb.19207:
	s_or_b64 exec, exec, s[8:9]
	s_and_b64 s[4:5], s[4:5], exec
	s_or_saveexec_b64 s[6:7], s[6:7]
	v_mov_b32_e32 v13, s10
	s_xor_b64 exec, exec, s[6:7]
	s_cbranch_execnz .LBB1_19208
; %bb.55045:
	s_getpc_b64 s[14:15]
.Lpost_getpc13186:
	s_add_u32 s14, s14, (.LBB1_4870-.Lpost_getpc13186)&4294967295
	s_addc_u32 s15, s15, (.LBB1_4870-.Lpost_getpc13186)>>32
	s_setpc_b64 s[14:15]
.LBB1_19208:
	v_mov_b32_e32 v13, 0
	v_cmp_ne_u16_sdwa s[8:9], v2, v13 src0_sel:BYTE_0 src1_sel:DWORD
	s_andn2_b64 s[4:5], s[4:5], exec
	s_and_b64 s[8:9], s[8:9], exec
	s_or_b64 s[4:5], s[4:5], s[8:9]
	s_or_b64 exec, exec, s[6:7]
	s_and_saveexec_b64 s[6:7], s[4:5]
	s_cbranch_execz .LBB1_31107
; %bb.55047:
	s_getpc_b64 s[14:15]
.Lpost_getpc13187:
	s_add_u32 s14, s14, (.LBB1_4871-.Lpost_getpc13187)&4294967295
	s_addc_u32 s15, s15, (.LBB1_4871-.Lpost_getpc13187)>>32
	s_setpc_b64 s[14:15]
.LBB1_31107:
	s_getpc_b64 s[14:15]
.Lpost_getpc1217:
	s_add_u32 s14, s14, (.LBB1_4872-.Lpost_getpc1217)&4294967295
	s_addc_u32 s15, s15, (.LBB1_4872-.Lpost_getpc1217)>>32
	s_setpc_b64 s[14:15]
.LBB1_19209:
	s_movk_i32 s4, 0x80
	v_cmp_eq_u16_sdwa s[12:13], v13, s4 src0_sel:BYTE_0 src1_sel:DWORD
	s_mov_b64 s[4:5], -1
                                        ; implicit-def: $sgpr10
	s_and_saveexec_b64 s[8:9], s[12:13]
; %bb.19210:
	s_mov_b32 s10, 0x7f800001
	s_xor_b64 s[4:5], exec, -1
; %bb.19211:
	s_or_b64 exec, exec, s[8:9]
	s_and_b64 s[4:5], s[4:5], exec
	s_or_saveexec_b64 s[6:7], s[6:7]
	v_mov_b32_e32 v12, s10
	s_xor_b64 exec, exec, s[6:7]
	s_cbranch_execnz .LBB1_19212
; %bb.55049:
	s_getpc_b64 s[14:15]
.Lpost_getpc13188:
	s_add_u32 s14, s14, (.LBB1_4874-.Lpost_getpc13188)&4294967295
	s_addc_u32 s15, s15, (.LBB1_4874-.Lpost_getpc13188)>>32
	s_setpc_b64 s[14:15]
.LBB1_19212:
	v_mov_b32_e32 v12, 0
	v_cmp_ne_u16_sdwa s[8:9], v13, v12 src0_sel:BYTE_0 src1_sel:DWORD
	s_andn2_b64 s[4:5], s[4:5], exec
	s_and_b64 s[8:9], s[8:9], exec
	s_or_b64 s[4:5], s[4:5], s[8:9]
	s_or_b64 exec, exec, s[6:7]
	s_and_saveexec_b64 s[6:7], s[4:5]
	s_cbranch_execz .LBB1_31109
; %bb.55051:
	s_getpc_b64 s[14:15]
.Lpost_getpc13189:
	s_add_u32 s14, s14, (.LBB1_4875-.Lpost_getpc13189)&4294967295
	s_addc_u32 s15, s15, (.LBB1_4875-.Lpost_getpc13189)>>32
	s_setpc_b64 s[14:15]
.LBB1_31109:
	s_getpc_b64 s[14:15]
.Lpost_getpc1218:
	s_add_u32 s14, s14, (.LBB1_4876-.Lpost_getpc1218)&4294967295
	s_addc_u32 s15, s15, (.LBB1_4876-.Lpost_getpc1218)>>32
	s_setpc_b64 s[14:15]
.LBB1_19213:
	s_movk_i32 s4, 0x80
	v_cmp_eq_u16_sdwa s[12:13], v13, s4 src0_sel:BYTE_0 src1_sel:DWORD
	s_mov_b64 s[4:5], -1
                                        ; implicit-def: $sgpr10
	s_and_saveexec_b64 s[8:9], s[12:13]
; %bb.19214:
	s_mov_b32 s10, 0x7f800001
	s_xor_b64 s[4:5], exec, -1
; %bb.19215:
	s_or_b64 exec, exec, s[8:9]
	s_and_b64 s[4:5], s[4:5], exec
	s_or_saveexec_b64 s[6:7], s[6:7]
	v_mov_b32_e32 v14, s10
	s_xor_b64 exec, exec, s[6:7]
	s_cbranch_execnz .LBB1_19216
; %bb.55053:
	s_getpc_b64 s[14:15]
.Lpost_getpc13190:
	s_add_u32 s14, s14, (.LBB1_4878-.Lpost_getpc13190)&4294967295
	s_addc_u32 s15, s15, (.LBB1_4878-.Lpost_getpc13190)>>32
	s_setpc_b64 s[14:15]
.LBB1_19216:
	v_mov_b32_e32 v14, 0
	v_cmp_ne_u16_sdwa s[8:9], v13, v14 src0_sel:BYTE_0 src1_sel:DWORD
	s_andn2_b64 s[4:5], s[4:5], exec
	s_and_b64 s[8:9], s[8:9], exec
	s_or_b64 s[4:5], s[4:5], s[8:9]
	s_or_b64 exec, exec, s[6:7]
	s_and_saveexec_b64 s[6:7], s[4:5]
	s_cbranch_execz .LBB1_31111
; %bb.55055:
	s_getpc_b64 s[14:15]
.Lpost_getpc13191:
	s_add_u32 s14, s14, (.LBB1_4879-.Lpost_getpc13191)&4294967295
	s_addc_u32 s15, s15, (.LBB1_4879-.Lpost_getpc13191)>>32
	s_setpc_b64 s[14:15]
.LBB1_31111:
	s_getpc_b64 s[14:15]
.Lpost_getpc1219:
	s_add_u32 s14, s14, (.LBB1_4880-.Lpost_getpc1219)&4294967295
	s_addc_u32 s15, s15, (.LBB1_4880-.Lpost_getpc1219)>>32
	s_setpc_b64 s[14:15]
.LBB1_19217:
	s_movk_i32 s4, 0x80
	v_cmp_eq_u16_e32 vcc, s4, v13
	s_mov_b64 s[4:5], -1
                                        ; implicit-def: $sgpr10
	s_and_saveexec_b64 s[8:9], vcc
; %bb.19218:
	s_mov_b32 s10, 0x7f800001
	s_xor_b64 s[4:5], exec, -1
; %bb.19219:
	s_or_b64 exec, exec, s[8:9]
	s_and_b64 s[4:5], s[4:5], exec
                                        ; implicit-def: $vgpr13
	s_or_saveexec_b64 s[6:7], s[6:7]
	v_mov_b32_e32 v12, s10
	s_xor_b64 exec, exec, s[6:7]
	s_cbranch_execnz .LBB1_19220
; %bb.55057:
	s_getpc_b64 s[14:15]
.Lpost_getpc13192:
	s_add_u32 s14, s14, (.LBB1_4882-.Lpost_getpc13192)&4294967295
	s_addc_u32 s15, s15, (.LBB1_4882-.Lpost_getpc13192)>>32
	s_setpc_b64 s[14:15]
.LBB1_19220:
	v_cmp_ne_u16_e32 vcc, 0, v13
	s_andn2_b64 s[4:5], s[4:5], exec
	s_and_b64 s[8:9], vcc, exec
	v_mov_b32_e32 v12, 0
	s_or_b64 s[4:5], s[4:5], s[8:9]
	s_or_b64 exec, exec, s[6:7]
	s_and_saveexec_b64 s[6:7], s[4:5]
	s_cbranch_execz .LBB1_31113
; %bb.55059:
	s_getpc_b64 s[14:15]
.Lpost_getpc13193:
	s_add_u32 s14, s14, (.LBB1_4883-.Lpost_getpc13193)&4294967295
	s_addc_u32 s15, s15, (.LBB1_4883-.Lpost_getpc13193)>>32
	s_setpc_b64 s[14:15]
.LBB1_31113:
	s_getpc_b64 s[14:15]
.Lpost_getpc1220:
	s_add_u32 s14, s14, (.LBB1_4884-.Lpost_getpc1220)&4294967295
	s_addc_u32 s15, s15, (.LBB1_4884-.Lpost_getpc1220)>>32
	s_setpc_b64 s[14:15]
.LBB1_19221:
	s_movk_i32 s4, 0x80
	v_cmp_eq_u16_e32 vcc, s4, v13
	s_mov_b64 s[4:5], -1
                                        ; implicit-def: $sgpr10
	s_and_saveexec_b64 s[8:9], vcc
; %bb.19222:
	s_mov_b32 s10, 0x7f800001
	s_xor_b64 s[4:5], exec, -1
; %bb.19223:
	s_or_b64 exec, exec, s[8:9]
	s_and_b64 s[4:5], s[4:5], exec
                                        ; implicit-def: $vgpr13
	s_or_saveexec_b64 s[6:7], s[6:7]
	v_mov_b32_e32 v14, s10
	s_xor_b64 exec, exec, s[6:7]
	s_cbranch_execnz .LBB1_19224
; %bb.55061:
	s_getpc_b64 s[14:15]
.Lpost_getpc13194:
	s_add_u32 s14, s14, (.LBB1_4886-.Lpost_getpc13194)&4294967295
	s_addc_u32 s15, s15, (.LBB1_4886-.Lpost_getpc13194)>>32
	s_setpc_b64 s[14:15]
.LBB1_19224:
	v_cmp_ne_u16_e32 vcc, 0, v13
	s_andn2_b64 s[4:5], s[4:5], exec
	s_and_b64 s[8:9], vcc, exec
	v_mov_b32_e32 v14, 0
	s_or_b64 s[4:5], s[4:5], s[8:9]
	s_or_b64 exec, exec, s[6:7]
	s_and_saveexec_b64 s[6:7], s[4:5]
	s_cbranch_execz .LBB1_31115
; %bb.55063:
	s_getpc_b64 s[14:15]
.Lpost_getpc13195:
	s_add_u32 s14, s14, (.LBB1_4887-.Lpost_getpc13195)&4294967295
	s_addc_u32 s15, s15, (.LBB1_4887-.Lpost_getpc13195)>>32
	s_setpc_b64 s[14:15]
.LBB1_31115:
	s_getpc_b64 s[14:15]
.Lpost_getpc1221:
	s_add_u32 s14, s14, (.LBB1_4888-.Lpost_getpc1221)&4294967295
	s_addc_u32 s15, s15, (.LBB1_4888-.Lpost_getpc1221)>>32
	s_setpc_b64 s[14:15]
.LBB1_19225:
	s_movk_i32 s4, 0x80
	v_cmp_eq_u16_sdwa s[12:13], v6, s4 src0_sel:BYTE_3 src1_sel:DWORD
	s_mov_b64 s[4:5], -1
                                        ; implicit-def: $sgpr10
	s_and_saveexec_b64 s[8:9], s[12:13]
; %bb.19226:
	s_mov_b32 s10, 0x7f800001
	s_xor_b64 s[4:5], exec, -1
; %bb.19227:
	s_or_b64 exec, exec, s[8:9]
	s_and_b64 s[4:5], s[4:5], exec
	s_or_saveexec_b64 s[6:7], s[6:7]
	v_mov_b32_e32 v12, s10
	s_xor_b64 exec, exec, s[6:7]
	s_cbranch_execnz .LBB1_19228
; %bb.55065:
	s_getpc_b64 s[14:15]
.Lpost_getpc13196:
	s_add_u32 s14, s14, (.LBB1_4890-.Lpost_getpc13196)&4294967295
	s_addc_u32 s15, s15, (.LBB1_4890-.Lpost_getpc13196)>>32
	s_setpc_b64 s[14:15]
.LBB1_19228:
	v_mov_b32_e32 v12, 0
	v_cmp_ne_u16_sdwa s[8:9], v6, v12 src0_sel:BYTE_3 src1_sel:DWORD
	s_andn2_b64 s[4:5], s[4:5], exec
	s_and_b64 s[8:9], s[8:9], exec
	s_or_b64 s[4:5], s[4:5], s[8:9]
	s_or_b64 exec, exec, s[6:7]
	s_and_saveexec_b64 s[6:7], s[4:5]
	s_cbranch_execz .LBB1_31117
; %bb.55067:
	s_getpc_b64 s[14:15]
.Lpost_getpc13197:
	s_add_u32 s14, s14, (.LBB1_4891-.Lpost_getpc13197)&4294967295
	s_addc_u32 s15, s15, (.LBB1_4891-.Lpost_getpc13197)>>32
	s_setpc_b64 s[14:15]
.LBB1_31117:
	s_getpc_b64 s[14:15]
.Lpost_getpc1222:
	s_add_u32 s14, s14, (.LBB1_4892-.Lpost_getpc1222)&4294967295
	s_addc_u32 s15, s15, (.LBB1_4892-.Lpost_getpc1222)>>32
	s_setpc_b64 s[14:15]
.LBB1_19229:
	s_movk_i32 s4, 0x80
	v_cmp_eq_u16_sdwa s[12:13], v2, s4 src0_sel:BYTE_3 src1_sel:DWORD
	s_mov_b64 s[4:5], -1
                                        ; implicit-def: $sgpr10
	s_and_saveexec_b64 s[8:9], s[12:13]
; %bb.19230:
	s_mov_b32 s10, 0x7f800001
	s_xor_b64 s[4:5], exec, -1
; %bb.19231:
	s_or_b64 exec, exec, s[8:9]
	s_and_b64 s[4:5], s[4:5], exec
	s_or_saveexec_b64 s[6:7], s[6:7]
	v_mov_b32_e32 v6, s10
	s_xor_b64 exec, exec, s[6:7]
	s_cbranch_execnz .LBB1_19232
; %bb.55069:
	s_getpc_b64 s[14:15]
.Lpost_getpc13198:
	s_add_u32 s14, s14, (.LBB1_4894-.Lpost_getpc13198)&4294967295
	s_addc_u32 s15, s15, (.LBB1_4894-.Lpost_getpc13198)>>32
	s_setpc_b64 s[14:15]
.LBB1_19232:
	v_mov_b32_e32 v6, 0
	v_cmp_ne_u16_sdwa s[8:9], v2, v6 src0_sel:BYTE_3 src1_sel:DWORD
	s_andn2_b64 s[4:5], s[4:5], exec
	s_and_b64 s[8:9], s[8:9], exec
	s_or_b64 s[4:5], s[4:5], s[8:9]
	s_or_b64 exec, exec, s[6:7]
	s_and_saveexec_b64 s[6:7], s[4:5]
	s_cbranch_execz .LBB1_31119
; %bb.55071:
	s_getpc_b64 s[14:15]
.Lpost_getpc13199:
	s_add_u32 s14, s14, (.LBB1_4895-.Lpost_getpc13199)&4294967295
	s_addc_u32 s15, s15, (.LBB1_4895-.Lpost_getpc13199)>>32
	s_setpc_b64 s[14:15]
.LBB1_31119:
	s_getpc_b64 s[14:15]
.Lpost_getpc1223:
	s_add_u32 s14, s14, (.LBB1_4896-.Lpost_getpc1223)&4294967295
	s_addc_u32 s15, s15, (.LBB1_4896-.Lpost_getpc1223)>>32
	s_setpc_b64 s[14:15]
.LBB1_19233:
	s_movk_i32 s4, 0x80
	v_cmp_eq_u16_sdwa s[12:13], v7, s4 src0_sel:BYTE_0 src1_sel:DWORD
	s_mov_b64 s[4:5], -1
                                        ; implicit-def: $sgpr10
	s_and_saveexec_b64 s[8:9], s[12:13]
; %bb.19234:
	s_mov_b32 s10, 0x7f800001
	s_xor_b64 s[4:5], exec, -1
; %bb.19235:
	s_or_b64 exec, exec, s[8:9]
	s_and_b64 s[4:5], s[4:5], exec
	s_or_saveexec_b64 s[6:7], s[6:7]
	v_mov_b32_e32 v2, s10
	s_xor_b64 exec, exec, s[6:7]
	s_cbranch_execnz .LBB1_19236
; %bb.55073:
	s_getpc_b64 s[14:15]
.Lpost_getpc13200:
	s_add_u32 s14, s14, (.LBB1_4898-.Lpost_getpc13200)&4294967295
	s_addc_u32 s15, s15, (.LBB1_4898-.Lpost_getpc13200)>>32
	s_setpc_b64 s[14:15]
.LBB1_19236:
	v_mov_b32_e32 v2, 0
	v_cmp_ne_u16_sdwa s[8:9], v7, v2 src0_sel:BYTE_0 src1_sel:DWORD
	s_andn2_b64 s[4:5], s[4:5], exec
	s_and_b64 s[8:9], s[8:9], exec
	s_or_b64 s[4:5], s[4:5], s[8:9]
	s_or_b64 exec, exec, s[6:7]
	s_and_saveexec_b64 s[6:7], s[4:5]
	s_cbranch_execz .LBB1_31121
; %bb.55075:
	s_getpc_b64 s[14:15]
.Lpost_getpc13201:
	s_add_u32 s14, s14, (.LBB1_4899-.Lpost_getpc13201)&4294967295
	s_addc_u32 s15, s15, (.LBB1_4899-.Lpost_getpc13201)>>32
	s_setpc_b64 s[14:15]
.LBB1_31121:
	s_getpc_b64 s[14:15]
.Lpost_getpc1224:
	s_add_u32 s14, s14, (.LBB1_4900-.Lpost_getpc1224)&4294967295
	s_addc_u32 s15, s15, (.LBB1_4900-.Lpost_getpc1224)>>32
	s_setpc_b64 s[14:15]
.LBB1_19237:
	s_movk_i32 s4, 0x80
	v_cmp_eq_u16_sdwa s[12:13], v3, s4 src0_sel:BYTE_0 src1_sel:DWORD
	s_mov_b64 s[4:5], -1
                                        ; implicit-def: $sgpr10
	s_and_saveexec_b64 s[8:9], s[12:13]
; %bb.19238:
	s_mov_b32 s10, 0x7f800001
	s_xor_b64 s[4:5], exec, -1
; %bb.19239:
	s_or_b64 exec, exec, s[8:9]
	s_and_b64 s[4:5], s[4:5], exec
	s_or_saveexec_b64 s[6:7], s[6:7]
	v_mov_b32_e32 v6, s10
	s_xor_b64 exec, exec, s[6:7]
	s_cbranch_execnz .LBB1_19240
; %bb.55077:
	s_getpc_b64 s[14:15]
.Lpost_getpc13202:
	s_add_u32 s14, s14, (.LBB1_4902-.Lpost_getpc13202)&4294967295
	s_addc_u32 s15, s15, (.LBB1_4902-.Lpost_getpc13202)>>32
	s_setpc_b64 s[14:15]
.LBB1_19240:
	v_mov_b32_e32 v6, 0
	v_cmp_ne_u16_sdwa s[8:9], v3, v6 src0_sel:BYTE_0 src1_sel:DWORD
	s_andn2_b64 s[4:5], s[4:5], exec
	s_and_b64 s[8:9], s[8:9], exec
	s_or_b64 s[4:5], s[4:5], s[8:9]
	s_or_b64 exec, exec, s[6:7]
	s_and_saveexec_b64 s[6:7], s[4:5]
	s_cbranch_execz .LBB1_31123
; %bb.55079:
	s_getpc_b64 s[14:15]
.Lpost_getpc13203:
	s_add_u32 s14, s14, (.LBB1_4903-.Lpost_getpc13203)&4294967295
	s_addc_u32 s15, s15, (.LBB1_4903-.Lpost_getpc13203)>>32
	s_setpc_b64 s[14:15]
.LBB1_31123:
	s_getpc_b64 s[14:15]
.Lpost_getpc1225:
	s_add_u32 s14, s14, (.LBB1_4904-.Lpost_getpc1225)&4294967295
	s_addc_u32 s15, s15, (.LBB1_4904-.Lpost_getpc1225)>>32
	s_setpc_b64 s[14:15]
.LBB1_19241:
	s_movk_i32 s4, 0x80
	v_cmp_eq_u16_sdwa s[12:13], v6, s4 src0_sel:BYTE_0 src1_sel:DWORD
	s_mov_b64 s[4:5], -1
                                        ; implicit-def: $sgpr10
	s_and_saveexec_b64 s[8:9], s[12:13]
; %bb.19242:
	s_mov_b32 s10, 0x7f800001
	s_xor_b64 s[4:5], exec, -1
; %bb.19243:
	s_or_b64 exec, exec, s[8:9]
	s_and_b64 s[4:5], s[4:5], exec
	s_or_saveexec_b64 s[6:7], s[6:7]
	v_mov_b32_e32 v2, s10
	s_xor_b64 exec, exec, s[6:7]
	s_cbranch_execnz .LBB1_19244
; %bb.55081:
	s_getpc_b64 s[14:15]
.Lpost_getpc13204:
	s_add_u32 s14, s14, (.LBB1_4906-.Lpost_getpc13204)&4294967295
	s_addc_u32 s15, s15, (.LBB1_4906-.Lpost_getpc13204)>>32
	s_setpc_b64 s[14:15]
.LBB1_19244:
	v_mov_b32_e32 v2, 0
	v_cmp_ne_u16_sdwa s[8:9], v6, v2 src0_sel:BYTE_0 src1_sel:DWORD
	s_andn2_b64 s[4:5], s[4:5], exec
	s_and_b64 s[8:9], s[8:9], exec
	s_or_b64 s[4:5], s[4:5], s[8:9]
	s_or_b64 exec, exec, s[6:7]
	s_and_saveexec_b64 s[6:7], s[4:5]
	s_cbranch_execz .LBB1_31125
; %bb.55083:
	s_getpc_b64 s[14:15]
.Lpost_getpc13205:
	s_add_u32 s14, s14, (.LBB1_4907-.Lpost_getpc13205)&4294967295
	s_addc_u32 s15, s15, (.LBB1_4907-.Lpost_getpc13205)>>32
	s_setpc_b64 s[14:15]
.LBB1_31125:
	s_getpc_b64 s[14:15]
.Lpost_getpc1226:
	s_add_u32 s14, s14, (.LBB1_4908-.Lpost_getpc1226)&4294967295
	s_addc_u32 s15, s15, (.LBB1_4908-.Lpost_getpc1226)>>32
	s_setpc_b64 s[14:15]
.LBB1_19245:
	s_movk_i32 s4, 0x80
	v_cmp_eq_u16_sdwa s[12:13], v6, s4 src0_sel:BYTE_0 src1_sel:DWORD
	s_mov_b64 s[4:5], -1
                                        ; implicit-def: $sgpr10
	s_and_saveexec_b64 s[8:9], s[12:13]
; %bb.19246:
	s_mov_b32 s10, 0x7f800001
	s_xor_b64 s[4:5], exec, -1
; %bb.19247:
	s_or_b64 exec, exec, s[8:9]
	s_and_b64 s[4:5], s[4:5], exec
	s_or_saveexec_b64 s[6:7], s[6:7]
	v_mov_b32_e32 v12, s10
	s_xor_b64 exec, exec, s[6:7]
	s_cbranch_execnz .LBB1_19248
; %bb.55085:
	s_getpc_b64 s[14:15]
.Lpost_getpc13206:
	s_add_u32 s14, s14, (.LBB1_4910-.Lpost_getpc13206)&4294967295
	s_addc_u32 s15, s15, (.LBB1_4910-.Lpost_getpc13206)>>32
	s_setpc_b64 s[14:15]
.LBB1_19248:
	v_mov_b32_e32 v12, 0
	v_cmp_ne_u16_sdwa s[8:9], v6, v12 src0_sel:BYTE_0 src1_sel:DWORD
	s_andn2_b64 s[4:5], s[4:5], exec
	s_and_b64 s[8:9], s[8:9], exec
	s_or_b64 s[4:5], s[4:5], s[8:9]
	s_or_b64 exec, exec, s[6:7]
	s_and_saveexec_b64 s[6:7], s[4:5]
	s_cbranch_execz .LBB1_31127
; %bb.55087:
	s_getpc_b64 s[14:15]
.Lpost_getpc13207:
	s_add_u32 s14, s14, (.LBB1_4911-.Lpost_getpc13207)&4294967295
	s_addc_u32 s15, s15, (.LBB1_4911-.Lpost_getpc13207)>>32
	s_setpc_b64 s[14:15]
.LBB1_31127:
	s_getpc_b64 s[14:15]
.Lpost_getpc1227:
	s_add_u32 s14, s14, (.LBB1_4912-.Lpost_getpc1227)&4294967295
	s_addc_u32 s15, s15, (.LBB1_4912-.Lpost_getpc1227)>>32
	s_setpc_b64 s[14:15]
.LBB1_19249:
	s_movk_i32 s4, 0x80
	v_cmp_eq_u16_e32 vcc, s4, v6
	s_mov_b64 s[4:5], -1
                                        ; implicit-def: $sgpr10
	s_and_saveexec_b64 s[8:9], vcc
; %bb.19250:
	s_mov_b32 s10, 0x7f800001
	s_xor_b64 s[4:5], exec, -1
; %bb.19251:
	s_or_b64 exec, exec, s[8:9]
	s_and_b64 s[4:5], s[4:5], exec
                                        ; implicit-def: $vgpr6
	s_or_saveexec_b64 s[6:7], s[6:7]
	v_mov_b32_e32 v2, s10
	s_xor_b64 exec, exec, s[6:7]
	s_cbranch_execnz .LBB1_19252
; %bb.55089:
	s_getpc_b64 s[14:15]
.Lpost_getpc13208:
	s_add_u32 s14, s14, (.LBB1_4914-.Lpost_getpc13208)&4294967295
	s_addc_u32 s15, s15, (.LBB1_4914-.Lpost_getpc13208)>>32
	s_setpc_b64 s[14:15]
.LBB1_19252:
	v_cmp_ne_u16_e32 vcc, 0, v6
	s_andn2_b64 s[4:5], s[4:5], exec
	s_and_b64 s[8:9], vcc, exec
	v_mov_b32_e32 v2, 0
	s_or_b64 s[4:5], s[4:5], s[8:9]
	s_or_b64 exec, exec, s[6:7]
	s_and_saveexec_b64 s[6:7], s[4:5]
	s_cbranch_execz .LBB1_31129
; %bb.55091:
	s_getpc_b64 s[14:15]
.Lpost_getpc13209:
	s_add_u32 s14, s14, (.LBB1_4915-.Lpost_getpc13209)&4294967295
	s_addc_u32 s15, s15, (.LBB1_4915-.Lpost_getpc13209)>>32
	s_setpc_b64 s[14:15]
.LBB1_31129:
	s_getpc_b64 s[14:15]
.Lpost_getpc1228:
	s_add_u32 s14, s14, (.LBB1_4916-.Lpost_getpc1228)&4294967295
	s_addc_u32 s15, s15, (.LBB1_4916-.Lpost_getpc1228)>>32
	s_setpc_b64 s[14:15]
.LBB1_19253:
	s_movk_i32 s4, 0x80
	v_cmp_eq_u16_e32 vcc, s4, v6
	s_mov_b64 s[4:5], -1
                                        ; implicit-def: $sgpr10
	s_and_saveexec_b64 s[8:9], vcc
; %bb.19254:
	s_mov_b32 s10, 0x7f800001
	s_xor_b64 s[4:5], exec, -1
; %bb.19255:
	s_or_b64 exec, exec, s[8:9]
	s_and_b64 s[4:5], s[4:5], exec
                                        ; implicit-def: $vgpr6
	s_or_saveexec_b64 s[6:7], s[6:7]
	v_mov_b32_e32 v12, s10
	s_xor_b64 exec, exec, s[6:7]
	s_cbranch_execnz .LBB1_19256
; %bb.55093:
	s_getpc_b64 s[14:15]
.Lpost_getpc13210:
	s_add_u32 s14, s14, (.LBB1_4918-.Lpost_getpc13210)&4294967295
	s_addc_u32 s15, s15, (.LBB1_4918-.Lpost_getpc13210)>>32
	s_setpc_b64 s[14:15]
.LBB1_19256:
	v_cmp_ne_u16_e32 vcc, 0, v6
	s_andn2_b64 s[4:5], s[4:5], exec
	s_and_b64 s[8:9], vcc, exec
	v_mov_b32_e32 v12, 0
	s_or_b64 s[4:5], s[4:5], s[8:9]
	s_or_b64 exec, exec, s[6:7]
	s_and_saveexec_b64 s[6:7], s[4:5]
	s_cbranch_execz .LBB1_31131
; %bb.55095:
	s_getpc_b64 s[14:15]
.Lpost_getpc13211:
	s_add_u32 s14, s14, (.LBB1_4919-.Lpost_getpc13211)&4294967295
	s_addc_u32 s15, s15, (.LBB1_4919-.Lpost_getpc13211)>>32
	s_setpc_b64 s[14:15]
.LBB1_31131:
	s_getpc_b64 s[14:15]
.Lpost_getpc1229:
	s_add_u32 s14, s14, (.LBB1_4920-.Lpost_getpc1229)&4294967295
	s_addc_u32 s15, s15, (.LBB1_4920-.Lpost_getpc1229)>>32
	s_setpc_b64 s[14:15]
.LBB1_19257:
	s_movk_i32 s4, 0x80
	v_cmp_eq_u16_sdwa s[12:13], v7, s4 src0_sel:BYTE_3 src1_sel:DWORD
	s_mov_b64 s[4:5], -1
                                        ; implicit-def: $sgpr10
	s_and_saveexec_b64 s[8:9], s[12:13]
; %bb.19258:
	s_mov_b32 s10, 0x7f800001
	s_xor_b64 s[4:5], exec, -1
; %bb.19259:
	s_or_b64 exec, exec, s[8:9]
	s_and_b64 s[4:5], s[4:5], exec
	s_or_saveexec_b64 s[6:7], s[6:7]
	v_mov_b32_e32 v2, s10
	s_xor_b64 exec, exec, s[6:7]
	s_cbranch_execnz .LBB1_19260
; %bb.55097:
	s_getpc_b64 s[14:15]
.Lpost_getpc13212:
	s_add_u32 s14, s14, (.LBB1_4922-.Lpost_getpc13212)&4294967295
	s_addc_u32 s15, s15, (.LBB1_4922-.Lpost_getpc13212)>>32
	s_setpc_b64 s[14:15]
.LBB1_19260:
	v_mov_b32_e32 v2, 0
	v_cmp_ne_u16_sdwa s[8:9], v7, v2 src0_sel:BYTE_3 src1_sel:DWORD
	s_andn2_b64 s[4:5], s[4:5], exec
	s_and_b64 s[8:9], s[8:9], exec
	s_or_b64 s[4:5], s[4:5], s[8:9]
	s_or_b64 exec, exec, s[6:7]
	s_and_saveexec_b64 s[6:7], s[4:5]
	s_cbranch_execz .LBB1_31133
; %bb.55099:
	s_getpc_b64 s[14:15]
.Lpost_getpc13213:
	s_add_u32 s14, s14, (.LBB1_4923-.Lpost_getpc13213)&4294967295
	s_addc_u32 s15, s15, (.LBB1_4923-.Lpost_getpc13213)>>32
	s_setpc_b64 s[14:15]
.LBB1_31133:
	s_getpc_b64 s[14:15]
.Lpost_getpc1230:
	s_add_u32 s14, s14, (.LBB1_4924-.Lpost_getpc1230)&4294967295
	s_addc_u32 s15, s15, (.LBB1_4924-.Lpost_getpc1230)>>32
	s_setpc_b64 s[14:15]
.LBB1_19261:
	s_movk_i32 s4, 0x80
	v_cmp_eq_u16_sdwa s[12:13], v3, s4 src0_sel:BYTE_3 src1_sel:DWORD
	s_mov_b64 s[4:5], -1
                                        ; implicit-def: $sgpr10
	s_and_saveexec_b64 s[8:9], s[12:13]
; %bb.19262:
	s_mov_b32 s10, 0x7f800001
	s_xor_b64 s[4:5], exec, -1
; %bb.19263:
	s_or_b64 exec, exec, s[8:9]
	s_and_b64 s[4:5], s[4:5], exec
	s_or_saveexec_b64 s[6:7], s[6:7]
	v_mov_b32_e32 v6, s10
	s_xor_b64 exec, exec, s[6:7]
	s_cbranch_execnz .LBB1_19264
; %bb.55101:
	s_getpc_b64 s[14:15]
.Lpost_getpc13214:
	s_add_u32 s14, s14, (.LBB1_4926-.Lpost_getpc13214)&4294967295
	s_addc_u32 s15, s15, (.LBB1_4926-.Lpost_getpc13214)>>32
	s_setpc_b64 s[14:15]
.LBB1_19264:
	v_mov_b32_e32 v6, 0
	v_cmp_ne_u16_sdwa s[8:9], v3, v6 src0_sel:BYTE_3 src1_sel:DWORD
	s_andn2_b64 s[4:5], s[4:5], exec
	s_and_b64 s[8:9], s[8:9], exec
	s_or_b64 s[4:5], s[4:5], s[8:9]
	s_or_b64 exec, exec, s[6:7]
	s_and_saveexec_b64 s[6:7], s[4:5]
	s_cbranch_execz .LBB1_31135
; %bb.55103:
	s_getpc_b64 s[14:15]
.Lpost_getpc13215:
	s_add_u32 s14, s14, (.LBB1_4927-.Lpost_getpc13215)&4294967295
	s_addc_u32 s15, s15, (.LBB1_4927-.Lpost_getpc13215)>>32
	s_setpc_b64 s[14:15]
.LBB1_31135:
	s_getpc_b64 s[14:15]
.Lpost_getpc1231:
	s_add_u32 s14, s14, (.LBB1_4928-.Lpost_getpc1231)&4294967295
	s_addc_u32 s15, s15, (.LBB1_4928-.Lpost_getpc1231)>>32
	s_setpc_b64 s[14:15]
.LBB1_19265:
	s_movk_i32 s4, 0x80
	v_cmp_eq_u16_sdwa s[12:13], v8, s4 src0_sel:BYTE_0 src1_sel:DWORD
	s_mov_b64 s[4:5], -1
                                        ; implicit-def: $sgpr10
	s_and_saveexec_b64 s[8:9], s[12:13]
; %bb.19266:
	s_mov_b32 s10, 0x7f800001
	s_xor_b64 s[4:5], exec, -1
; %bb.19267:
	s_or_b64 exec, exec, s[8:9]
	s_and_b64 s[4:5], s[4:5], exec
	s_or_saveexec_b64 s[6:7], s[6:7]
	v_mov_b32_e32 v2, s10
	s_xor_b64 exec, exec, s[6:7]
	s_cbranch_execnz .LBB1_19268
; %bb.55105:
	s_getpc_b64 s[14:15]
.Lpost_getpc13216:
	s_add_u32 s14, s14, (.LBB1_4930-.Lpost_getpc13216)&4294967295
	s_addc_u32 s15, s15, (.LBB1_4930-.Lpost_getpc13216)>>32
	s_setpc_b64 s[14:15]
.LBB1_19268:
	v_mov_b32_e32 v2, 0
	v_cmp_ne_u16_sdwa s[8:9], v8, v2 src0_sel:BYTE_0 src1_sel:DWORD
	s_andn2_b64 s[4:5], s[4:5], exec
	s_and_b64 s[8:9], s[8:9], exec
	s_or_b64 s[4:5], s[4:5], s[8:9]
	s_or_b64 exec, exec, s[6:7]
	s_and_saveexec_b64 s[6:7], s[4:5]
	s_cbranch_execz .LBB1_31137
; %bb.55107:
	s_getpc_b64 s[14:15]
.Lpost_getpc13217:
	s_add_u32 s14, s14, (.LBB1_4931-.Lpost_getpc13217)&4294967295
	s_addc_u32 s15, s15, (.LBB1_4931-.Lpost_getpc13217)>>32
	s_setpc_b64 s[14:15]
.LBB1_31137:
	s_getpc_b64 s[14:15]
.Lpost_getpc1232:
	s_add_u32 s14, s14, (.LBB1_4932-.Lpost_getpc1232)&4294967295
	s_addc_u32 s15, s15, (.LBB1_4932-.Lpost_getpc1232)>>32
	s_setpc_b64 s[14:15]
.LBB1_19269:
	s_movk_i32 s4, 0x80
	v_cmp_eq_u16_sdwa s[12:13], v4, s4 src0_sel:BYTE_0 src1_sel:DWORD
	s_mov_b64 s[4:5], -1
                                        ; implicit-def: $sgpr10
	s_and_saveexec_b64 s[8:9], s[12:13]
; %bb.19270:
	s_mov_b32 s10, 0x7f800001
	s_xor_b64 s[4:5], exec, -1
; %bb.19271:
	s_or_b64 exec, exec, s[8:9]
	s_and_b64 s[4:5], s[4:5], exec
	s_or_saveexec_b64 s[6:7], s[6:7]
	v_mov_b32_e32 v3, s10
	s_xor_b64 exec, exec, s[6:7]
	s_cbranch_execnz .LBB1_19272
; %bb.55109:
	s_getpc_b64 s[14:15]
.Lpost_getpc13218:
	s_add_u32 s14, s14, (.LBB1_4934-.Lpost_getpc13218)&4294967295
	s_addc_u32 s15, s15, (.LBB1_4934-.Lpost_getpc13218)>>32
	s_setpc_b64 s[14:15]
.LBB1_19272:
	v_mov_b32_e32 v3, 0
	v_cmp_ne_u16_sdwa s[8:9], v4, v3 src0_sel:BYTE_0 src1_sel:DWORD
	s_andn2_b64 s[4:5], s[4:5], exec
	s_and_b64 s[8:9], s[8:9], exec
	s_or_b64 s[4:5], s[4:5], s[8:9]
	s_or_b64 exec, exec, s[6:7]
	s_and_saveexec_b64 s[6:7], s[4:5]
	s_cbranch_execz .LBB1_31139
; %bb.55111:
	s_getpc_b64 s[14:15]
.Lpost_getpc13219:
	s_add_u32 s14, s14, (.LBB1_4935-.Lpost_getpc13219)&4294967295
	s_addc_u32 s15, s15, (.LBB1_4935-.Lpost_getpc13219)>>32
	s_setpc_b64 s[14:15]
.LBB1_31139:
	s_getpc_b64 s[14:15]
.Lpost_getpc1233:
	s_add_u32 s14, s14, (.LBB1_4936-.Lpost_getpc1233)&4294967295
	s_addc_u32 s15, s15, (.LBB1_4936-.Lpost_getpc1233)>>32
	s_setpc_b64 s[14:15]
.LBB1_19273:
	s_movk_i32 s4, 0x80
	v_cmp_eq_u16_sdwa s[12:13], v3, s4 src0_sel:BYTE_0 src1_sel:DWORD
	s_mov_b64 s[4:5], -1
                                        ; implicit-def: $sgpr10
	s_and_saveexec_b64 s[8:9], s[12:13]
; %bb.19274:
	s_mov_b32 s10, 0x7f800001
	s_xor_b64 s[4:5], exec, -1
; %bb.19275:
	s_or_b64 exec, exec, s[8:9]
	s_and_b64 s[4:5], s[4:5], exec
	s_or_saveexec_b64 s[6:7], s[6:7]
	v_mov_b32_e32 v2, s10
	s_xor_b64 exec, exec, s[6:7]
	s_cbranch_execnz .LBB1_19276
; %bb.55113:
	s_getpc_b64 s[14:15]
.Lpost_getpc13220:
	s_add_u32 s14, s14, (.LBB1_4938-.Lpost_getpc13220)&4294967295
	s_addc_u32 s15, s15, (.LBB1_4938-.Lpost_getpc13220)>>32
	s_setpc_b64 s[14:15]
.LBB1_19276:
	v_mov_b32_e32 v2, 0
	v_cmp_ne_u16_sdwa s[8:9], v3, v2 src0_sel:BYTE_0 src1_sel:DWORD
	s_andn2_b64 s[4:5], s[4:5], exec
	s_and_b64 s[8:9], s[8:9], exec
	s_or_b64 s[4:5], s[4:5], s[8:9]
	s_or_b64 exec, exec, s[6:7]
	s_and_saveexec_b64 s[6:7], s[4:5]
	s_cbranch_execz .LBB1_31141
; %bb.55115:
	s_getpc_b64 s[14:15]
.Lpost_getpc13221:
	s_add_u32 s14, s14, (.LBB1_4939-.Lpost_getpc13221)&4294967295
	s_addc_u32 s15, s15, (.LBB1_4939-.Lpost_getpc13221)>>32
	s_setpc_b64 s[14:15]
.LBB1_31141:
	s_getpc_b64 s[14:15]
.Lpost_getpc1234:
	s_add_u32 s14, s14, (.LBB1_4940-.Lpost_getpc1234)&4294967295
	s_addc_u32 s15, s15, (.LBB1_4940-.Lpost_getpc1234)>>32
	s_setpc_b64 s[14:15]
.LBB1_19277:
	s_movk_i32 s4, 0x80
	v_cmp_eq_u16_sdwa s[12:13], v3, s4 src0_sel:BYTE_0 src1_sel:DWORD
	s_mov_b64 s[4:5], -1
                                        ; implicit-def: $sgpr10
	s_and_saveexec_b64 s[8:9], s[12:13]
; %bb.19278:
	s_mov_b32 s10, 0x7f800001
	s_xor_b64 s[4:5], exec, -1
; %bb.19279:
	s_or_b64 exec, exec, s[8:9]
	s_and_b64 s[4:5], s[4:5], exec
	s_or_saveexec_b64 s[6:7], s[6:7]
	v_mov_b32_e32 v6, s10
	s_xor_b64 exec, exec, s[6:7]
	s_cbranch_execnz .LBB1_19280
; %bb.55117:
	s_getpc_b64 s[14:15]
.Lpost_getpc13222:
	s_add_u32 s14, s14, (.LBB1_4942-.Lpost_getpc13222)&4294967295
	s_addc_u32 s15, s15, (.LBB1_4942-.Lpost_getpc13222)>>32
	s_setpc_b64 s[14:15]
.LBB1_19280:
	v_mov_b32_e32 v6, 0
	v_cmp_ne_u16_sdwa s[8:9], v3, v6 src0_sel:BYTE_0 src1_sel:DWORD
	s_andn2_b64 s[4:5], s[4:5], exec
	s_and_b64 s[8:9], s[8:9], exec
	s_or_b64 s[4:5], s[4:5], s[8:9]
	s_or_b64 exec, exec, s[6:7]
	s_and_saveexec_b64 s[6:7], s[4:5]
	s_cbranch_execz .LBB1_31143
; %bb.55119:
	s_getpc_b64 s[14:15]
.Lpost_getpc13223:
	s_add_u32 s14, s14, (.LBB1_4943-.Lpost_getpc13223)&4294967295
	s_addc_u32 s15, s15, (.LBB1_4943-.Lpost_getpc13223)>>32
	s_setpc_b64 s[14:15]
.LBB1_31143:
	s_getpc_b64 s[14:15]
.Lpost_getpc1235:
	s_add_u32 s14, s14, (.LBB1_4944-.Lpost_getpc1235)&4294967295
	s_addc_u32 s15, s15, (.LBB1_4944-.Lpost_getpc1235)>>32
	s_setpc_b64 s[14:15]
.LBB1_19281:
	s_movk_i32 s4, 0x80
	v_cmp_eq_u16_e32 vcc, s4, v3
	s_mov_b64 s[4:5], -1
                                        ; implicit-def: $sgpr10
	s_and_saveexec_b64 s[8:9], vcc
; %bb.19282:
	s_mov_b32 s10, 0x7f800001
	s_xor_b64 s[4:5], exec, -1
; %bb.19283:
	s_or_b64 exec, exec, s[8:9]
	s_and_b64 s[4:5], s[4:5], exec
                                        ; implicit-def: $vgpr3
	s_or_saveexec_b64 s[6:7], s[6:7]
	v_mov_b32_e32 v2, s10
	s_xor_b64 exec, exec, s[6:7]
	s_cbranch_execnz .LBB1_19284
; %bb.55121:
	s_getpc_b64 s[14:15]
.Lpost_getpc13224:
	s_add_u32 s14, s14, (.LBB1_4946-.Lpost_getpc13224)&4294967295
	s_addc_u32 s15, s15, (.LBB1_4946-.Lpost_getpc13224)>>32
	s_setpc_b64 s[14:15]
.LBB1_19284:
	v_cmp_ne_u16_e32 vcc, 0, v3
	s_andn2_b64 s[4:5], s[4:5], exec
	s_and_b64 s[8:9], vcc, exec
	v_mov_b32_e32 v2, 0
	s_or_b64 s[4:5], s[4:5], s[8:9]
	s_or_b64 exec, exec, s[6:7]
	s_and_saveexec_b64 s[6:7], s[4:5]
	s_cbranch_execz .LBB1_31145
; %bb.55123:
	s_getpc_b64 s[14:15]
.Lpost_getpc13225:
	s_add_u32 s14, s14, (.LBB1_4947-.Lpost_getpc13225)&4294967295
	s_addc_u32 s15, s15, (.LBB1_4947-.Lpost_getpc13225)>>32
	s_setpc_b64 s[14:15]
.LBB1_31145:
	s_getpc_b64 s[14:15]
.Lpost_getpc1236:
	s_add_u32 s14, s14, (.LBB1_4948-.Lpost_getpc1236)&4294967295
	s_addc_u32 s15, s15, (.LBB1_4948-.Lpost_getpc1236)>>32
	s_setpc_b64 s[14:15]
.LBB1_19285:
	s_movk_i32 s4, 0x80
	v_cmp_eq_u16_e32 vcc, s4, v3
	s_mov_b64 s[4:5], -1
                                        ; implicit-def: $sgpr10
	s_and_saveexec_b64 s[8:9], vcc
; %bb.19286:
	s_mov_b32 s10, 0x7f800001
	s_xor_b64 s[4:5], exec, -1
; %bb.19287:
	s_or_b64 exec, exec, s[8:9]
	s_and_b64 s[4:5], s[4:5], exec
                                        ; implicit-def: $vgpr3
	s_or_saveexec_b64 s[6:7], s[6:7]
	v_mov_b32_e32 v6, s10
	s_xor_b64 exec, exec, s[6:7]
	s_cbranch_execnz .LBB1_19288
; %bb.55125:
	s_getpc_b64 s[14:15]
.Lpost_getpc13226:
	s_add_u32 s14, s14, (.LBB1_4950-.Lpost_getpc13226)&4294967295
	s_addc_u32 s15, s15, (.LBB1_4950-.Lpost_getpc13226)>>32
	s_setpc_b64 s[14:15]
.LBB1_19288:
	v_cmp_ne_u16_e32 vcc, 0, v3
	s_andn2_b64 s[4:5], s[4:5], exec
	s_and_b64 s[8:9], vcc, exec
	v_mov_b32_e32 v6, 0
	s_or_b64 s[4:5], s[4:5], s[8:9]
	s_or_b64 exec, exec, s[6:7]
	s_and_saveexec_b64 s[6:7], s[4:5]
	s_cbranch_execz .LBB1_31147
; %bb.55127:
	s_getpc_b64 s[14:15]
.Lpost_getpc13227:
	s_add_u32 s14, s14, (.LBB1_4951-.Lpost_getpc13227)&4294967295
	s_addc_u32 s15, s15, (.LBB1_4951-.Lpost_getpc13227)>>32
	s_setpc_b64 s[14:15]
.LBB1_31147:
	s_getpc_b64 s[14:15]
.Lpost_getpc1237:
	s_add_u32 s14, s14, (.LBB1_4952-.Lpost_getpc1237)&4294967295
	s_addc_u32 s15, s15, (.LBB1_4952-.Lpost_getpc1237)>>32
	s_setpc_b64 s[14:15]
.LBB1_19289:
	s_movk_i32 s4, 0x80
	v_cmp_eq_u16_sdwa s[12:13], v8, s4 src0_sel:BYTE_3 src1_sel:DWORD
	s_mov_b64 s[4:5], -1
                                        ; implicit-def: $sgpr10
	s_and_saveexec_b64 s[8:9], s[12:13]
; %bb.19290:
	s_mov_b32 s10, 0x7f800001
	s_xor_b64 s[4:5], exec, -1
; %bb.19291:
	s_or_b64 exec, exec, s[8:9]
	s_and_b64 s[4:5], s[4:5], exec
	s_or_saveexec_b64 s[6:7], s[6:7]
	v_mov_b32_e32 v2, s10
	s_xor_b64 exec, exec, s[6:7]
	s_cbranch_execnz .LBB1_19292
; %bb.55129:
	s_getpc_b64 s[14:15]
.Lpost_getpc13228:
	s_add_u32 s14, s14, (.LBB1_4954-.Lpost_getpc13228)&4294967295
	s_addc_u32 s15, s15, (.LBB1_4954-.Lpost_getpc13228)>>32
	s_setpc_b64 s[14:15]
.LBB1_19292:
	v_mov_b32_e32 v2, 0
	v_cmp_ne_u16_sdwa s[8:9], v8, v2 src0_sel:BYTE_3 src1_sel:DWORD
	s_andn2_b64 s[4:5], s[4:5], exec
	s_and_b64 s[8:9], s[8:9], exec
	s_or_b64 s[4:5], s[4:5], s[8:9]
	s_or_b64 exec, exec, s[6:7]
	s_and_saveexec_b64 s[6:7], s[4:5]
	s_cbranch_execz .LBB1_31149
; %bb.55131:
	s_getpc_b64 s[14:15]
.Lpost_getpc13229:
	s_add_u32 s14, s14, (.LBB1_4955-.Lpost_getpc13229)&4294967295
	s_addc_u32 s15, s15, (.LBB1_4955-.Lpost_getpc13229)>>32
	s_setpc_b64 s[14:15]
.LBB1_31149:
	s_getpc_b64 s[14:15]
.Lpost_getpc1238:
	s_add_u32 s14, s14, (.LBB1_4956-.Lpost_getpc1238)&4294967295
	s_addc_u32 s15, s15, (.LBB1_4956-.Lpost_getpc1238)>>32
	s_setpc_b64 s[14:15]
.LBB1_19293:
	s_movk_i32 s4, 0x80
	v_cmp_eq_u16_sdwa s[12:13], v4, s4 src0_sel:BYTE_3 src1_sel:DWORD
	s_mov_b64 s[4:5], -1
                                        ; implicit-def: $sgpr10
	s_and_saveexec_b64 s[8:9], s[12:13]
; %bb.19294:
	s_mov_b32 s10, 0x7f800001
	s_xor_b64 s[4:5], exec, -1
; %bb.19295:
	s_or_b64 exec, exec, s[8:9]
	s_and_b64 s[4:5], s[4:5], exec
	s_or_saveexec_b64 s[6:7], s[6:7]
	v_mov_b32_e32 v3, s10
	s_xor_b64 exec, exec, s[6:7]
	s_cbranch_execnz .LBB1_19296
; %bb.55133:
	s_getpc_b64 s[14:15]
.Lpost_getpc13230:
	s_add_u32 s14, s14, (.LBB1_4958-.Lpost_getpc13230)&4294967295
	s_addc_u32 s15, s15, (.LBB1_4958-.Lpost_getpc13230)>>32
	s_setpc_b64 s[14:15]
.LBB1_19296:
	v_mov_b32_e32 v3, 0
	v_cmp_ne_u16_sdwa s[8:9], v4, v3 src0_sel:BYTE_3 src1_sel:DWORD
	s_andn2_b64 s[4:5], s[4:5], exec
	s_and_b64 s[8:9], s[8:9], exec
	s_or_b64 s[4:5], s[4:5], s[8:9]
	s_or_b64 exec, exec, s[6:7]
	s_and_saveexec_b64 s[6:7], s[4:5]
	s_cbranch_execz .LBB1_31151
; %bb.55135:
	s_getpc_b64 s[14:15]
.Lpost_getpc13231:
	s_add_u32 s14, s14, (.LBB1_4959-.Lpost_getpc13231)&4294967295
	s_addc_u32 s15, s15, (.LBB1_4959-.Lpost_getpc13231)>>32
	s_setpc_b64 s[14:15]
.LBB1_31151:
	s_getpc_b64 s[14:15]
.Lpost_getpc1239:
	s_add_u32 s14, s14, (.LBB1_4960-.Lpost_getpc1239)&4294967295
	s_addc_u32 s15, s15, (.LBB1_4960-.Lpost_getpc1239)>>32
	s_setpc_b64 s[14:15]
.LBB1_19297:
	s_movk_i32 s4, 0x80
	v_cmp_eq_u16_sdwa s[12:13], v9, s4 src0_sel:BYTE_0 src1_sel:DWORD
	s_mov_b64 s[4:5], -1
                                        ; implicit-def: $sgpr10
	s_and_saveexec_b64 s[8:9], s[12:13]
; %bb.19298:
	s_mov_b32 s10, 0x7f800001
	s_xor_b64 s[4:5], exec, -1
; %bb.19299:
	s_or_b64 exec, exec, s[8:9]
	s_and_b64 s[4:5], s[4:5], exec
	s_or_saveexec_b64 s[6:7], s[6:7]
	v_mov_b32_e32 v2, s10
	s_xor_b64 exec, exec, s[6:7]
	s_cbranch_execnz .LBB1_19300
; %bb.55137:
	s_getpc_b64 s[14:15]
.Lpost_getpc13232:
	s_add_u32 s14, s14, (.LBB1_4962-.Lpost_getpc13232)&4294967295
	s_addc_u32 s15, s15, (.LBB1_4962-.Lpost_getpc13232)>>32
	s_setpc_b64 s[14:15]
.LBB1_19300:
	v_mov_b32_e32 v2, 0
	v_cmp_ne_u16_sdwa s[8:9], v9, v2 src0_sel:BYTE_0 src1_sel:DWORD
	s_andn2_b64 s[4:5], s[4:5], exec
	s_and_b64 s[8:9], s[8:9], exec
	s_or_b64 s[4:5], s[4:5], s[8:9]
	s_or_b64 exec, exec, s[6:7]
	s_and_saveexec_b64 s[6:7], s[4:5]
	s_cbranch_execz .LBB1_31153
; %bb.55139:
	s_getpc_b64 s[14:15]
.Lpost_getpc13233:
	s_add_u32 s14, s14, (.LBB1_4963-.Lpost_getpc13233)&4294967295
	s_addc_u32 s15, s15, (.LBB1_4963-.Lpost_getpc13233)>>32
	s_setpc_b64 s[14:15]
.LBB1_31153:
	s_getpc_b64 s[14:15]
.Lpost_getpc1240:
	s_add_u32 s14, s14, (.LBB1_4964-.Lpost_getpc1240)&4294967295
	s_addc_u32 s15, s15, (.LBB1_4964-.Lpost_getpc1240)>>32
	s_setpc_b64 s[14:15]
.LBB1_19301:
	s_movk_i32 s4, 0x80
	v_cmp_eq_u16_sdwa s[12:13], v5, s4 src0_sel:BYTE_0 src1_sel:DWORD
	s_mov_b64 s[4:5], -1
                                        ; implicit-def: $sgpr10
	s_and_saveexec_b64 s[8:9], s[12:13]
; %bb.19302:
	s_mov_b32 s10, 0x7f800001
	s_xor_b64 s[4:5], exec, -1
; %bb.19303:
	s_or_b64 exec, exec, s[8:9]
	s_and_b64 s[4:5], s[4:5], exec
	s_or_saveexec_b64 s[6:7], s[6:7]
	v_mov_b32_e32 v3, s10
	s_xor_b64 exec, exec, s[6:7]
	s_cbranch_execnz .LBB1_19304
; %bb.55141:
	s_getpc_b64 s[14:15]
.Lpost_getpc13234:
	s_add_u32 s14, s14, (.LBB1_4966-.Lpost_getpc13234)&4294967295
	s_addc_u32 s15, s15, (.LBB1_4966-.Lpost_getpc13234)>>32
	s_setpc_b64 s[14:15]
.LBB1_19304:
	v_mov_b32_e32 v3, 0
	v_cmp_ne_u16_sdwa s[8:9], v5, v3 src0_sel:BYTE_0 src1_sel:DWORD
	s_andn2_b64 s[4:5], s[4:5], exec
	s_and_b64 s[8:9], s[8:9], exec
	s_or_b64 s[4:5], s[4:5], s[8:9]
	s_or_b64 exec, exec, s[6:7]
	s_and_saveexec_b64 s[6:7], s[4:5]
	s_cbranch_execz .LBB1_31155
; %bb.55143:
	s_getpc_b64 s[14:15]
.Lpost_getpc13235:
	s_add_u32 s14, s14, (.LBB1_4967-.Lpost_getpc13235)&4294967295
	s_addc_u32 s15, s15, (.LBB1_4967-.Lpost_getpc13235)>>32
	s_setpc_b64 s[14:15]
.LBB1_31155:
	s_getpc_b64 s[14:15]
.Lpost_getpc1241:
	s_add_u32 s14, s14, (.LBB1_4968-.Lpost_getpc1241)&4294967295
	s_addc_u32 s15, s15, (.LBB1_4968-.Lpost_getpc1241)>>32
	s_setpc_b64 s[14:15]
.LBB1_19305:
	s_movk_i32 s4, 0x80
	v_cmp_eq_u16_sdwa s[12:13], v3, s4 src0_sel:BYTE_0 src1_sel:DWORD
	s_mov_b64 s[4:5], -1
                                        ; implicit-def: $sgpr10
	s_and_saveexec_b64 s[8:9], s[12:13]
; %bb.19306:
	s_mov_b32 s10, 0x7f800001
	s_xor_b64 s[4:5], exec, -1
; %bb.19307:
	s_or_b64 exec, exec, s[8:9]
	s_and_b64 s[4:5], s[4:5], exec
	s_or_saveexec_b64 s[6:7], s[6:7]
	v_mov_b32_e32 v2, s10
	s_xor_b64 exec, exec, s[6:7]
	s_cbranch_execnz .LBB1_19308
; %bb.55145:
	s_getpc_b64 s[14:15]
.Lpost_getpc13236:
	s_add_u32 s14, s14, (.LBB1_4970-.Lpost_getpc13236)&4294967295
	s_addc_u32 s15, s15, (.LBB1_4970-.Lpost_getpc13236)>>32
	s_setpc_b64 s[14:15]
.LBB1_19308:
	v_mov_b32_e32 v2, 0
	v_cmp_ne_u16_sdwa s[8:9], v3, v2 src0_sel:BYTE_0 src1_sel:DWORD
	s_andn2_b64 s[4:5], s[4:5], exec
	s_and_b64 s[8:9], s[8:9], exec
	s_or_b64 s[4:5], s[4:5], s[8:9]
	s_or_b64 exec, exec, s[6:7]
	s_and_saveexec_b64 s[6:7], s[4:5]
	s_cbranch_execz .LBB1_31157
; %bb.55147:
	s_getpc_b64 s[14:15]
.Lpost_getpc13237:
	s_add_u32 s14, s14, (.LBB1_4971-.Lpost_getpc13237)&4294967295
	s_addc_u32 s15, s15, (.LBB1_4971-.Lpost_getpc13237)>>32
	s_setpc_b64 s[14:15]
.LBB1_31157:
	s_getpc_b64 s[14:15]
.Lpost_getpc1242:
	s_add_u32 s14, s14, (.LBB1_4972-.Lpost_getpc1242)&4294967295
	s_addc_u32 s15, s15, (.LBB1_4972-.Lpost_getpc1242)>>32
	s_setpc_b64 s[14:15]
.LBB1_19309:
	s_movk_i32 s4, 0x80
	v_cmp_eq_u16_sdwa s[12:13], v3, s4 src0_sel:BYTE_0 src1_sel:DWORD
	s_mov_b64 s[4:5], -1
                                        ; implicit-def: $sgpr10
	s_and_saveexec_b64 s[8:9], s[12:13]
; %bb.19310:
	s_mov_b32 s10, 0x7f800001
	s_xor_b64 s[4:5], exec, -1
; %bb.19311:
	s_or_b64 exec, exec, s[8:9]
	s_and_b64 s[4:5], s[4:5], exec
	s_or_saveexec_b64 s[6:7], s[6:7]
	v_mov_b32_e32 v4, s10
	s_xor_b64 exec, exec, s[6:7]
	s_cbranch_execnz .LBB1_19312
; %bb.55149:
	s_getpc_b64 s[14:15]
.Lpost_getpc13238:
	s_add_u32 s14, s14, (.LBB1_4974-.Lpost_getpc13238)&4294967295
	s_addc_u32 s15, s15, (.LBB1_4974-.Lpost_getpc13238)>>32
	s_setpc_b64 s[14:15]
.LBB1_19312:
	v_mov_b32_e32 v4, 0
	v_cmp_ne_u16_sdwa s[8:9], v3, v4 src0_sel:BYTE_0 src1_sel:DWORD
	s_andn2_b64 s[4:5], s[4:5], exec
	s_and_b64 s[8:9], s[8:9], exec
	s_or_b64 s[4:5], s[4:5], s[8:9]
	s_or_b64 exec, exec, s[6:7]
	s_and_saveexec_b64 s[6:7], s[4:5]
	s_cbranch_execz .LBB1_31159
; %bb.55151:
	s_getpc_b64 s[14:15]
.Lpost_getpc13239:
	s_add_u32 s14, s14, (.LBB1_4975-.Lpost_getpc13239)&4294967295
	s_addc_u32 s15, s15, (.LBB1_4975-.Lpost_getpc13239)>>32
	s_setpc_b64 s[14:15]
.LBB1_31159:
	s_getpc_b64 s[14:15]
.Lpost_getpc1243:
	s_add_u32 s14, s14, (.LBB1_4976-.Lpost_getpc1243)&4294967295
	s_addc_u32 s15, s15, (.LBB1_4976-.Lpost_getpc1243)>>32
	s_setpc_b64 s[14:15]
.LBB1_19313:
	s_movk_i32 s4, 0x80
	v_cmp_eq_u16_e32 vcc, s4, v3
	s_mov_b64 s[4:5], -1
                                        ; implicit-def: $sgpr10
	s_and_saveexec_b64 s[8:9], vcc
; %bb.19314:
	s_mov_b32 s10, 0x7f800001
	s_xor_b64 s[4:5], exec, -1
; %bb.19315:
	s_or_b64 exec, exec, s[8:9]
	s_and_b64 s[4:5], s[4:5], exec
                                        ; implicit-def: $vgpr3
	s_or_saveexec_b64 s[6:7], s[6:7]
	v_mov_b32_e32 v2, s10
	s_xor_b64 exec, exec, s[6:7]
	s_cbranch_execnz .LBB1_19316
; %bb.55153:
	s_getpc_b64 s[14:15]
.Lpost_getpc13240:
	s_add_u32 s14, s14, (.LBB1_4978-.Lpost_getpc13240)&4294967295
	s_addc_u32 s15, s15, (.LBB1_4978-.Lpost_getpc13240)>>32
	s_setpc_b64 s[14:15]
.LBB1_19316:
	v_cmp_ne_u16_e32 vcc, 0, v3
	s_andn2_b64 s[4:5], s[4:5], exec
	s_and_b64 s[8:9], vcc, exec
	v_mov_b32_e32 v2, 0
	s_or_b64 s[4:5], s[4:5], s[8:9]
	s_or_b64 exec, exec, s[6:7]
	s_and_saveexec_b64 s[6:7], s[4:5]
	s_cbranch_execz .LBB1_31161
; %bb.55155:
	s_getpc_b64 s[14:15]
.Lpost_getpc13241:
	s_add_u32 s14, s14, (.LBB1_4979-.Lpost_getpc13241)&4294967295
	s_addc_u32 s15, s15, (.LBB1_4979-.Lpost_getpc13241)>>32
	s_setpc_b64 s[14:15]
.LBB1_31161:
	s_getpc_b64 s[14:15]
.Lpost_getpc1244:
	s_add_u32 s14, s14, (.LBB1_4980-.Lpost_getpc1244)&4294967295
	s_addc_u32 s15, s15, (.LBB1_4980-.Lpost_getpc1244)>>32
	s_setpc_b64 s[14:15]
.LBB1_19317:
	s_movk_i32 s4, 0x80
	v_cmp_eq_u16_e32 vcc, s4, v3
	s_mov_b64 s[4:5], -1
                                        ; implicit-def: $sgpr10
	s_and_saveexec_b64 s[8:9], vcc
; %bb.19318:
	s_mov_b32 s10, 0x7f800001
	s_xor_b64 s[4:5], exec, -1
; %bb.19319:
	s_or_b64 exec, exec, s[8:9]
	s_and_b64 s[4:5], s[4:5], exec
                                        ; implicit-def: $vgpr3
	s_or_saveexec_b64 s[6:7], s[6:7]
	v_mov_b32_e32 v4, s10
	s_xor_b64 exec, exec, s[6:7]
	s_cbranch_execnz .LBB1_19320
; %bb.55157:
	s_getpc_b64 s[14:15]
.Lpost_getpc13242:
	s_add_u32 s14, s14, (.LBB1_4982-.Lpost_getpc13242)&4294967295
	s_addc_u32 s15, s15, (.LBB1_4982-.Lpost_getpc13242)>>32
	s_setpc_b64 s[14:15]
.LBB1_19320:
	v_cmp_ne_u16_e32 vcc, 0, v3
	s_andn2_b64 s[4:5], s[4:5], exec
	s_and_b64 s[8:9], vcc, exec
	v_mov_b32_e32 v4, 0
	s_or_b64 s[4:5], s[4:5], s[8:9]
	s_or_b64 exec, exec, s[6:7]
	s_and_saveexec_b64 s[6:7], s[4:5]
	s_cbranch_execz .LBB1_31163
; %bb.55159:
	s_getpc_b64 s[14:15]
.Lpost_getpc13243:
	s_add_u32 s14, s14, (.LBB1_4983-.Lpost_getpc13243)&4294967295
	s_addc_u32 s15, s15, (.LBB1_4983-.Lpost_getpc13243)>>32
	s_setpc_b64 s[14:15]
.LBB1_31163:
	s_getpc_b64 s[14:15]
.Lpost_getpc1245:
	s_add_u32 s14, s14, (.LBB1_4984-.Lpost_getpc1245)&4294967295
	s_addc_u32 s15, s15, (.LBB1_4984-.Lpost_getpc1245)>>32
	s_setpc_b64 s[14:15]
.LBB1_19321:
	s_movk_i32 s4, 0x80
	v_cmp_eq_u16_sdwa s[12:13], v9, s4 src0_sel:BYTE_3 src1_sel:DWORD
	s_mov_b64 s[4:5], -1
                                        ; implicit-def: $sgpr10
	s_and_saveexec_b64 s[8:9], s[12:13]
; %bb.19322:
	s_mov_b32 s10, 0x7f800001
	s_xor_b64 s[4:5], exec, -1
; %bb.19323:
	s_or_b64 exec, exec, s[8:9]
	s_and_b64 s[4:5], s[4:5], exec
	s_or_saveexec_b64 s[6:7], s[6:7]
	v_mov_b32_e32 v2, s10
	s_xor_b64 exec, exec, s[6:7]
	s_cbranch_execnz .LBB1_19324
; %bb.55161:
	s_getpc_b64 s[14:15]
.Lpost_getpc13244:
	s_add_u32 s14, s14, (.LBB1_4986-.Lpost_getpc13244)&4294967295
	s_addc_u32 s15, s15, (.LBB1_4986-.Lpost_getpc13244)>>32
	s_setpc_b64 s[14:15]
.LBB1_19324:
	v_mov_b32_e32 v2, 0
	v_cmp_ne_u16_sdwa s[8:9], v9, v2 src0_sel:BYTE_3 src1_sel:DWORD
	s_andn2_b64 s[4:5], s[4:5], exec
	s_and_b64 s[8:9], s[8:9], exec
	s_or_b64 s[4:5], s[4:5], s[8:9]
	s_or_b64 exec, exec, s[6:7]
	s_and_saveexec_b64 s[6:7], s[4:5]
	s_cbranch_execz .LBB1_31165
; %bb.55163:
	s_getpc_b64 s[14:15]
.Lpost_getpc13245:
	s_add_u32 s14, s14, (.LBB1_4987-.Lpost_getpc13245)&4294967295
	s_addc_u32 s15, s15, (.LBB1_4987-.Lpost_getpc13245)>>32
	s_setpc_b64 s[14:15]
.LBB1_31165:
	s_getpc_b64 s[14:15]
.Lpost_getpc1246:
	s_add_u32 s14, s14, (.LBB1_4988-.Lpost_getpc1246)&4294967295
	s_addc_u32 s15, s15, (.LBB1_4988-.Lpost_getpc1246)>>32
	s_setpc_b64 s[14:15]
.LBB1_19325:
	s_movk_i32 s4, 0x80
	v_cmp_eq_u16_sdwa s[12:13], v5, s4 src0_sel:BYTE_3 src1_sel:DWORD
	s_mov_b64 s[4:5], -1
                                        ; implicit-def: $sgpr10
	s_and_saveexec_b64 s[8:9], s[12:13]
; %bb.19326:
	s_mov_b32 s10, 0x7f800001
	s_xor_b64 s[4:5], exec, -1
; %bb.19327:
	s_or_b64 exec, exec, s[8:9]
	s_and_b64 s[4:5], s[4:5], exec
	s_or_saveexec_b64 s[6:7], s[6:7]
	v_mov_b32_e32 v3, s10
	s_xor_b64 exec, exec, s[6:7]
	s_cbranch_execnz .LBB1_19328
; %bb.55165:
	s_getpc_b64 s[14:15]
.Lpost_getpc13246:
	s_add_u32 s14, s14, (.LBB1_4990-.Lpost_getpc13246)&4294967295
	s_addc_u32 s15, s15, (.LBB1_4990-.Lpost_getpc13246)>>32
	s_setpc_b64 s[14:15]
.LBB1_19328:
	v_mov_b32_e32 v3, 0
	v_cmp_ne_u16_sdwa s[8:9], v5, v3 src0_sel:BYTE_3 src1_sel:DWORD
	s_andn2_b64 s[4:5], s[4:5], exec
	s_and_b64 s[8:9], s[8:9], exec
	s_or_b64 s[4:5], s[4:5], s[8:9]
	s_or_b64 exec, exec, s[6:7]
	s_and_saveexec_b64 s[6:7], s[4:5]
	s_cbranch_execz .LBB1_31167
; %bb.55167:
	s_getpc_b64 s[14:15]
.Lpost_getpc13247:
	s_add_u32 s14, s14, (.LBB1_4991-.Lpost_getpc13247)&4294967295
	s_addc_u32 s15, s15, (.LBB1_4991-.Lpost_getpc13247)>>32
	s_setpc_b64 s[14:15]
.LBB1_31167:
	s_getpc_b64 s[14:15]
.Lpost_getpc1247:
	s_add_u32 s14, s14, (.LBB1_4992-.Lpost_getpc1247)&4294967295
	s_addc_u32 s15, s15, (.LBB1_4992-.Lpost_getpc1247)>>32
	s_setpc_b64 s[14:15]
.LBB1_19329:
	s_movk_i32 s4, 0x80
	v_cmp_eq_u16_sdwa s[12:13], v6, s4 src0_sel:BYTE_0 src1_sel:DWORD
	s_mov_b64 s[4:5], -1
                                        ; implicit-def: $sgpr10
	s_and_saveexec_b64 s[8:9], s[12:13]
; %bb.19330:
	s_mov_b32 s10, 0x7f800001
	s_xor_b64 s[4:5], exec, -1
; %bb.19331:
	s_or_b64 exec, exec, s[8:9]
	s_and_b64 s[4:5], s[4:5], exec
	s_or_saveexec_b64 s[6:7], s[6:7]
	v_mov_b32_e32 v12, s10
	s_xor_b64 exec, exec, s[6:7]
	s_cbranch_execnz .LBB1_19332
; %bb.55169:
	s_getpc_b64 s[14:15]
.Lpost_getpc13248:
	s_add_u32 s14, s14, (.LBB1_4994-.Lpost_getpc13248)&4294967295
	s_addc_u32 s15, s15, (.LBB1_4994-.Lpost_getpc13248)>>32
	s_setpc_b64 s[14:15]
.LBB1_19332:
	v_mov_b32_e32 v12, 0
	v_cmp_ne_u16_sdwa s[8:9], v6, v12 src0_sel:BYTE_0 src1_sel:DWORD
	s_andn2_b64 s[4:5], s[4:5], exec
	s_and_b64 s[8:9], s[8:9], exec
	s_or_b64 s[4:5], s[4:5], s[8:9]
	s_or_b64 exec, exec, s[6:7]
	s_and_saveexec_b64 s[6:7], s[4:5]
	s_cbranch_execz .LBB1_31169
; %bb.55171:
	s_getpc_b64 s[14:15]
.Lpost_getpc13249:
	s_add_u32 s14, s14, (.LBB1_4995-.Lpost_getpc13249)&4294967295
	s_addc_u32 s15, s15, (.LBB1_4995-.Lpost_getpc13249)>>32
	s_setpc_b64 s[14:15]
.LBB1_31169:
	s_getpc_b64 s[14:15]
.Lpost_getpc1248:
	s_add_u32 s14, s14, (.LBB1_4996-.Lpost_getpc1248)&4294967295
	s_addc_u32 s15, s15, (.LBB1_4996-.Lpost_getpc1248)>>32
	s_setpc_b64 s[14:15]
.LBB1_19333:
	s_movk_i32 s4, 0x80
	v_cmp_eq_u16_sdwa s[12:13], v2, s4 src0_sel:BYTE_0 src1_sel:DWORD
	s_mov_b64 s[4:5], -1
                                        ; implicit-def: $sgpr10
	s_and_saveexec_b64 s[8:9], s[12:13]
; %bb.19334:
	s_mov_b32 s10, 0x7f800001
	s_xor_b64 s[4:5], exec, -1
; %bb.19335:
	s_or_b64 exec, exec, s[8:9]
	s_and_b64 s[4:5], s[4:5], exec
	s_or_saveexec_b64 s[6:7], s[6:7]
	v_mov_b32_e32 v13, s10
	s_xor_b64 exec, exec, s[6:7]
	s_cbranch_execnz .LBB1_19336
; %bb.55173:
	s_getpc_b64 s[14:15]
.Lpost_getpc13250:
	s_add_u32 s14, s14, (.LBB1_4998-.Lpost_getpc13250)&4294967295
	s_addc_u32 s15, s15, (.LBB1_4998-.Lpost_getpc13250)>>32
	s_setpc_b64 s[14:15]
.LBB1_19336:
	v_mov_b32_e32 v13, 0
	v_cmp_ne_u16_sdwa s[8:9], v2, v13 src0_sel:BYTE_0 src1_sel:DWORD
	s_andn2_b64 s[4:5], s[4:5], exec
	s_and_b64 s[8:9], s[8:9], exec
	s_or_b64 s[4:5], s[4:5], s[8:9]
	s_or_b64 exec, exec, s[6:7]
	s_and_saveexec_b64 s[6:7], s[4:5]
	s_cbranch_execz .LBB1_31171
; %bb.55175:
	s_getpc_b64 s[14:15]
.Lpost_getpc13251:
	s_add_u32 s14, s14, (.LBB1_4999-.Lpost_getpc13251)&4294967295
	s_addc_u32 s15, s15, (.LBB1_4999-.Lpost_getpc13251)>>32
	s_setpc_b64 s[14:15]
.LBB1_31171:
	s_getpc_b64 s[14:15]
.Lpost_getpc1249:
	s_add_u32 s14, s14, (.LBB1_5000-.Lpost_getpc1249)&4294967295
	s_addc_u32 s15, s15, (.LBB1_5000-.Lpost_getpc1249)>>32
	s_setpc_b64 s[14:15]
.LBB1_19337:
	s_movk_i32 s4, 0x80
	v_cmp_eq_u16_sdwa s[12:13], v13, s4 src0_sel:BYTE_0 src1_sel:DWORD
	s_mov_b64 s[4:5], -1
                                        ; implicit-def: $sgpr10
	s_and_saveexec_b64 s[8:9], s[12:13]
; %bb.19338:
	s_mov_b32 s10, 0x7f800001
	s_xor_b64 s[4:5], exec, -1
; %bb.19339:
	s_or_b64 exec, exec, s[8:9]
	s_and_b64 s[4:5], s[4:5], exec
	s_or_saveexec_b64 s[6:7], s[6:7]
	v_mov_b32_e32 v12, s10
	s_xor_b64 exec, exec, s[6:7]
	s_cbranch_execnz .LBB1_19340
; %bb.55177:
	s_getpc_b64 s[14:15]
.Lpost_getpc13252:
	s_add_u32 s14, s14, (.LBB1_5002-.Lpost_getpc13252)&4294967295
	s_addc_u32 s15, s15, (.LBB1_5002-.Lpost_getpc13252)>>32
	s_setpc_b64 s[14:15]
.LBB1_19340:
	v_mov_b32_e32 v12, 0
	v_cmp_ne_u16_sdwa s[8:9], v13, v12 src0_sel:BYTE_0 src1_sel:DWORD
	s_andn2_b64 s[4:5], s[4:5], exec
	s_and_b64 s[8:9], s[8:9], exec
	s_or_b64 s[4:5], s[4:5], s[8:9]
	s_or_b64 exec, exec, s[6:7]
	s_and_saveexec_b64 s[6:7], s[4:5]
	s_cbranch_execz .LBB1_31173
; %bb.55179:
	s_getpc_b64 s[14:15]
.Lpost_getpc13253:
	s_add_u32 s14, s14, (.LBB1_5003-.Lpost_getpc13253)&4294967295
	s_addc_u32 s15, s15, (.LBB1_5003-.Lpost_getpc13253)>>32
	s_setpc_b64 s[14:15]
.LBB1_31173:
	s_getpc_b64 s[14:15]
.Lpost_getpc1250:
	s_add_u32 s14, s14, (.LBB1_5004-.Lpost_getpc1250)&4294967295
	s_addc_u32 s15, s15, (.LBB1_5004-.Lpost_getpc1250)>>32
	s_setpc_b64 s[14:15]
.LBB1_19341:
	s_movk_i32 s4, 0x80
	v_cmp_eq_u16_sdwa s[12:13], v13, s4 src0_sel:BYTE_0 src1_sel:DWORD
	s_mov_b64 s[4:5], -1
                                        ; implicit-def: $sgpr10
	s_and_saveexec_b64 s[8:9], s[12:13]
; %bb.19342:
	s_mov_b32 s10, 0x7f800001
	s_xor_b64 s[4:5], exec, -1
; %bb.19343:
	s_or_b64 exec, exec, s[8:9]
	s_and_b64 s[4:5], s[4:5], exec
	s_or_saveexec_b64 s[6:7], s[6:7]
	v_mov_b32_e32 v14, s10
	s_xor_b64 exec, exec, s[6:7]
	s_cbranch_execnz .LBB1_19344
; %bb.55181:
	s_getpc_b64 s[14:15]
.Lpost_getpc13254:
	s_add_u32 s14, s14, (.LBB1_5006-.Lpost_getpc13254)&4294967295
	s_addc_u32 s15, s15, (.LBB1_5006-.Lpost_getpc13254)>>32
	s_setpc_b64 s[14:15]
.LBB1_19344:
	v_mov_b32_e32 v14, 0
	v_cmp_ne_u16_sdwa s[8:9], v13, v14 src0_sel:BYTE_0 src1_sel:DWORD
	s_andn2_b64 s[4:5], s[4:5], exec
	s_and_b64 s[8:9], s[8:9], exec
	s_or_b64 s[4:5], s[4:5], s[8:9]
	s_or_b64 exec, exec, s[6:7]
	s_and_saveexec_b64 s[6:7], s[4:5]
	s_cbranch_execz .LBB1_31175
; %bb.55183:
	s_getpc_b64 s[14:15]
.Lpost_getpc13255:
	s_add_u32 s14, s14, (.LBB1_5007-.Lpost_getpc13255)&4294967295
	s_addc_u32 s15, s15, (.LBB1_5007-.Lpost_getpc13255)>>32
	s_setpc_b64 s[14:15]
.LBB1_31175:
	s_getpc_b64 s[14:15]
.Lpost_getpc1251:
	s_add_u32 s14, s14, (.LBB1_5008-.Lpost_getpc1251)&4294967295
	s_addc_u32 s15, s15, (.LBB1_5008-.Lpost_getpc1251)>>32
	s_setpc_b64 s[14:15]
.LBB1_19345:
	s_movk_i32 s4, 0x80
	v_cmp_eq_u16_e32 vcc, s4, v13
	s_mov_b64 s[4:5], -1
                                        ; implicit-def: $sgpr10
	s_and_saveexec_b64 s[8:9], vcc
; %bb.19346:
	s_mov_b32 s10, 0x7f800001
	s_xor_b64 s[4:5], exec, -1
; %bb.19347:
	s_or_b64 exec, exec, s[8:9]
	s_and_b64 s[4:5], s[4:5], exec
                                        ; implicit-def: $vgpr13
	s_or_saveexec_b64 s[6:7], s[6:7]
	v_mov_b32_e32 v12, s10
	s_xor_b64 exec, exec, s[6:7]
	s_cbranch_execnz .LBB1_19348
; %bb.55185:
	s_getpc_b64 s[14:15]
.Lpost_getpc13256:
	s_add_u32 s14, s14, (.LBB1_5010-.Lpost_getpc13256)&4294967295
	s_addc_u32 s15, s15, (.LBB1_5010-.Lpost_getpc13256)>>32
	s_setpc_b64 s[14:15]
.LBB1_19348:
	v_cmp_ne_u16_e32 vcc, 0, v13
	s_andn2_b64 s[4:5], s[4:5], exec
	s_and_b64 s[8:9], vcc, exec
	v_mov_b32_e32 v12, 0
	s_or_b64 s[4:5], s[4:5], s[8:9]
	s_or_b64 exec, exec, s[6:7]
	s_and_saveexec_b64 s[6:7], s[4:5]
	s_cbranch_execz .LBB1_31177
; %bb.55187:
	s_getpc_b64 s[14:15]
.Lpost_getpc13257:
	s_add_u32 s14, s14, (.LBB1_5011-.Lpost_getpc13257)&4294967295
	s_addc_u32 s15, s15, (.LBB1_5011-.Lpost_getpc13257)>>32
	s_setpc_b64 s[14:15]
.LBB1_31177:
	s_getpc_b64 s[14:15]
.Lpost_getpc1252:
	s_add_u32 s14, s14, (.LBB1_5012-.Lpost_getpc1252)&4294967295
	s_addc_u32 s15, s15, (.LBB1_5012-.Lpost_getpc1252)>>32
	s_setpc_b64 s[14:15]
.LBB1_19349:
	s_movk_i32 s4, 0x80
	v_cmp_eq_u16_e32 vcc, s4, v13
	s_mov_b64 s[4:5], -1
                                        ; implicit-def: $sgpr10
	s_and_saveexec_b64 s[8:9], vcc
; %bb.19350:
	s_mov_b32 s10, 0x7f800001
	s_xor_b64 s[4:5], exec, -1
; %bb.19351:
	s_or_b64 exec, exec, s[8:9]
	s_and_b64 s[4:5], s[4:5], exec
                                        ; implicit-def: $vgpr13
	s_or_saveexec_b64 s[6:7], s[6:7]
	v_mov_b32_e32 v14, s10
	s_xor_b64 exec, exec, s[6:7]
	s_cbranch_execnz .LBB1_19352
; %bb.55189:
	s_getpc_b64 s[14:15]
.Lpost_getpc13258:
	s_add_u32 s14, s14, (.LBB1_5014-.Lpost_getpc13258)&4294967295
	s_addc_u32 s15, s15, (.LBB1_5014-.Lpost_getpc13258)>>32
	s_setpc_b64 s[14:15]
.LBB1_19352:
	v_cmp_ne_u16_e32 vcc, 0, v13
	s_andn2_b64 s[4:5], s[4:5], exec
	s_and_b64 s[8:9], vcc, exec
	v_mov_b32_e32 v14, 0
	s_or_b64 s[4:5], s[4:5], s[8:9]
	s_or_b64 exec, exec, s[6:7]
	s_and_saveexec_b64 s[6:7], s[4:5]
	s_cbranch_execz .LBB1_31179
; %bb.55191:
	s_getpc_b64 s[14:15]
.Lpost_getpc13259:
	s_add_u32 s14, s14, (.LBB1_5015-.Lpost_getpc13259)&4294967295
	s_addc_u32 s15, s15, (.LBB1_5015-.Lpost_getpc13259)>>32
	s_setpc_b64 s[14:15]
.LBB1_31179:
	s_getpc_b64 s[14:15]
.Lpost_getpc1253:
	s_add_u32 s14, s14, (.LBB1_5016-.Lpost_getpc1253)&4294967295
	s_addc_u32 s15, s15, (.LBB1_5016-.Lpost_getpc1253)>>32
	s_setpc_b64 s[14:15]
.LBB1_19353:
	s_movk_i32 s4, 0x80
	v_cmp_eq_u16_sdwa s[12:13], v6, s4 src0_sel:BYTE_3 src1_sel:DWORD
	s_mov_b64 s[4:5], -1
                                        ; implicit-def: $sgpr10
	s_and_saveexec_b64 s[8:9], s[12:13]
; %bb.19354:
	s_mov_b32 s10, 0x7f800001
	s_xor_b64 s[4:5], exec, -1
; %bb.19355:
	s_or_b64 exec, exec, s[8:9]
	s_and_b64 s[4:5], s[4:5], exec
	s_or_saveexec_b64 s[6:7], s[6:7]
	v_mov_b32_e32 v12, s10
	s_xor_b64 exec, exec, s[6:7]
	s_cbranch_execnz .LBB1_19356
; %bb.55193:
	s_getpc_b64 s[14:15]
.Lpost_getpc13260:
	s_add_u32 s14, s14, (.LBB1_5018-.Lpost_getpc13260)&4294967295
	s_addc_u32 s15, s15, (.LBB1_5018-.Lpost_getpc13260)>>32
	s_setpc_b64 s[14:15]
.LBB1_19356:
	v_mov_b32_e32 v12, 0
	v_cmp_ne_u16_sdwa s[8:9], v6, v12 src0_sel:BYTE_3 src1_sel:DWORD
	s_andn2_b64 s[4:5], s[4:5], exec
	s_and_b64 s[8:9], s[8:9], exec
	s_or_b64 s[4:5], s[4:5], s[8:9]
	s_or_b64 exec, exec, s[6:7]
	s_and_saveexec_b64 s[6:7], s[4:5]
	s_cbranch_execz .LBB1_31181
; %bb.55195:
	s_getpc_b64 s[14:15]
.Lpost_getpc13261:
	s_add_u32 s14, s14, (.LBB1_5019-.Lpost_getpc13261)&4294967295
	s_addc_u32 s15, s15, (.LBB1_5019-.Lpost_getpc13261)>>32
	s_setpc_b64 s[14:15]
.LBB1_31181:
	s_getpc_b64 s[14:15]
.Lpost_getpc1254:
	s_add_u32 s14, s14, (.LBB1_5020-.Lpost_getpc1254)&4294967295
	s_addc_u32 s15, s15, (.LBB1_5020-.Lpost_getpc1254)>>32
	s_setpc_b64 s[14:15]
.LBB1_19357:
	s_movk_i32 s4, 0x80
	v_cmp_eq_u16_sdwa s[12:13], v2, s4 src0_sel:BYTE_3 src1_sel:DWORD
	s_mov_b64 s[4:5], -1
                                        ; implicit-def: $sgpr10
	s_and_saveexec_b64 s[8:9], s[12:13]
; %bb.19358:
	s_mov_b32 s10, 0x7f800001
	s_xor_b64 s[4:5], exec, -1
; %bb.19359:
	s_or_b64 exec, exec, s[8:9]
	s_and_b64 s[4:5], s[4:5], exec
	s_or_saveexec_b64 s[6:7], s[6:7]
	v_mov_b32_e32 v6, s10
	s_xor_b64 exec, exec, s[6:7]
	s_cbranch_execnz .LBB1_19360
; %bb.55197:
	s_getpc_b64 s[14:15]
.Lpost_getpc13262:
	s_add_u32 s14, s14, (.LBB1_5022-.Lpost_getpc13262)&4294967295
	s_addc_u32 s15, s15, (.LBB1_5022-.Lpost_getpc13262)>>32
	s_setpc_b64 s[14:15]
.LBB1_19360:
	v_mov_b32_e32 v6, 0
	v_cmp_ne_u16_sdwa s[8:9], v2, v6 src0_sel:BYTE_3 src1_sel:DWORD
	s_andn2_b64 s[4:5], s[4:5], exec
	s_and_b64 s[8:9], s[8:9], exec
	s_or_b64 s[4:5], s[4:5], s[8:9]
	s_or_b64 exec, exec, s[6:7]
	s_and_saveexec_b64 s[6:7], s[4:5]
	s_cbranch_execz .LBB1_31183
; %bb.55199:
	s_getpc_b64 s[14:15]
.Lpost_getpc13263:
	s_add_u32 s14, s14, (.LBB1_5023-.Lpost_getpc13263)&4294967295
	s_addc_u32 s15, s15, (.LBB1_5023-.Lpost_getpc13263)>>32
	s_setpc_b64 s[14:15]
.LBB1_31183:
	s_getpc_b64 s[14:15]
.Lpost_getpc1255:
	s_add_u32 s14, s14, (.LBB1_5024-.Lpost_getpc1255)&4294967295
	s_addc_u32 s15, s15, (.LBB1_5024-.Lpost_getpc1255)>>32
	s_setpc_b64 s[14:15]
.LBB1_19361:
	s_movk_i32 s4, 0x80
	v_cmp_eq_u16_sdwa s[12:13], v7, s4 src0_sel:BYTE_0 src1_sel:DWORD
	s_mov_b64 s[4:5], -1
                                        ; implicit-def: $sgpr10
	s_and_saveexec_b64 s[8:9], s[12:13]
; %bb.19362:
	s_mov_b32 s10, 0x7f800001
	s_xor_b64 s[4:5], exec, -1
; %bb.19363:
	s_or_b64 exec, exec, s[8:9]
	s_and_b64 s[4:5], s[4:5], exec
	s_or_saveexec_b64 s[6:7], s[6:7]
	v_mov_b32_e32 v2, s10
	s_xor_b64 exec, exec, s[6:7]
	s_cbranch_execnz .LBB1_19364
; %bb.55201:
	s_getpc_b64 s[14:15]
.Lpost_getpc13264:
	s_add_u32 s14, s14, (.LBB1_5026-.Lpost_getpc13264)&4294967295
	s_addc_u32 s15, s15, (.LBB1_5026-.Lpost_getpc13264)>>32
	s_setpc_b64 s[14:15]
.LBB1_19364:
	v_mov_b32_e32 v2, 0
	v_cmp_ne_u16_sdwa s[8:9], v7, v2 src0_sel:BYTE_0 src1_sel:DWORD
	s_andn2_b64 s[4:5], s[4:5], exec
	s_and_b64 s[8:9], s[8:9], exec
	s_or_b64 s[4:5], s[4:5], s[8:9]
	s_or_b64 exec, exec, s[6:7]
	s_and_saveexec_b64 s[6:7], s[4:5]
	s_cbranch_execz .LBB1_31185
; %bb.55203:
	s_getpc_b64 s[14:15]
.Lpost_getpc13265:
	s_add_u32 s14, s14, (.LBB1_5027-.Lpost_getpc13265)&4294967295
	s_addc_u32 s15, s15, (.LBB1_5027-.Lpost_getpc13265)>>32
	s_setpc_b64 s[14:15]
.LBB1_31185:
	s_getpc_b64 s[14:15]
.Lpost_getpc1256:
	s_add_u32 s14, s14, (.LBB1_5028-.Lpost_getpc1256)&4294967295
	s_addc_u32 s15, s15, (.LBB1_5028-.Lpost_getpc1256)>>32
	s_setpc_b64 s[14:15]
.LBB1_19365:
	s_movk_i32 s4, 0x80
	v_cmp_eq_u16_sdwa s[12:13], v3, s4 src0_sel:BYTE_0 src1_sel:DWORD
	s_mov_b64 s[4:5], -1
                                        ; implicit-def: $sgpr10
	s_and_saveexec_b64 s[8:9], s[12:13]
; %bb.19366:
	s_mov_b32 s10, 0x7f800001
	s_xor_b64 s[4:5], exec, -1
; %bb.19367:
	s_or_b64 exec, exec, s[8:9]
	s_and_b64 s[4:5], s[4:5], exec
	s_or_saveexec_b64 s[6:7], s[6:7]
	v_mov_b32_e32 v6, s10
	s_xor_b64 exec, exec, s[6:7]
	s_cbranch_execnz .LBB1_19368
; %bb.55205:
	s_getpc_b64 s[14:15]
.Lpost_getpc13266:
	s_add_u32 s14, s14, (.LBB1_5030-.Lpost_getpc13266)&4294967295
	s_addc_u32 s15, s15, (.LBB1_5030-.Lpost_getpc13266)>>32
	s_setpc_b64 s[14:15]
.LBB1_19368:
	v_mov_b32_e32 v6, 0
	v_cmp_ne_u16_sdwa s[8:9], v3, v6 src0_sel:BYTE_0 src1_sel:DWORD
	s_andn2_b64 s[4:5], s[4:5], exec
	s_and_b64 s[8:9], s[8:9], exec
	s_or_b64 s[4:5], s[4:5], s[8:9]
	s_or_b64 exec, exec, s[6:7]
	s_and_saveexec_b64 s[6:7], s[4:5]
	s_cbranch_execz .LBB1_31187
; %bb.55207:
	s_getpc_b64 s[14:15]
.Lpost_getpc13267:
	s_add_u32 s14, s14, (.LBB1_5031-.Lpost_getpc13267)&4294967295
	s_addc_u32 s15, s15, (.LBB1_5031-.Lpost_getpc13267)>>32
	s_setpc_b64 s[14:15]
.LBB1_31187:
	s_getpc_b64 s[14:15]
.Lpost_getpc1257:
	s_add_u32 s14, s14, (.LBB1_5032-.Lpost_getpc1257)&4294967295
	s_addc_u32 s15, s15, (.LBB1_5032-.Lpost_getpc1257)>>32
	s_setpc_b64 s[14:15]
.LBB1_19369:
	s_movk_i32 s4, 0x80
	v_cmp_eq_u16_sdwa s[12:13], v6, s4 src0_sel:BYTE_0 src1_sel:DWORD
	s_mov_b64 s[4:5], -1
                                        ; implicit-def: $sgpr10
	s_and_saveexec_b64 s[8:9], s[12:13]
; %bb.19370:
	s_mov_b32 s10, 0x7f800001
	s_xor_b64 s[4:5], exec, -1
; %bb.19371:
	s_or_b64 exec, exec, s[8:9]
	s_and_b64 s[4:5], s[4:5], exec
	s_or_saveexec_b64 s[6:7], s[6:7]
	v_mov_b32_e32 v2, s10
	s_xor_b64 exec, exec, s[6:7]
	s_cbranch_execnz .LBB1_19372
; %bb.55209:
	s_getpc_b64 s[14:15]
.Lpost_getpc13268:
	s_add_u32 s14, s14, (.LBB1_5034-.Lpost_getpc13268)&4294967295
	s_addc_u32 s15, s15, (.LBB1_5034-.Lpost_getpc13268)>>32
	s_setpc_b64 s[14:15]
.LBB1_19372:
	v_mov_b32_e32 v2, 0
	v_cmp_ne_u16_sdwa s[8:9], v6, v2 src0_sel:BYTE_0 src1_sel:DWORD
	s_andn2_b64 s[4:5], s[4:5], exec
	s_and_b64 s[8:9], s[8:9], exec
	s_or_b64 s[4:5], s[4:5], s[8:9]
	s_or_b64 exec, exec, s[6:7]
	s_and_saveexec_b64 s[6:7], s[4:5]
	s_cbranch_execz .LBB1_31189
; %bb.55211:
	s_getpc_b64 s[14:15]
.Lpost_getpc13269:
	s_add_u32 s14, s14, (.LBB1_5035-.Lpost_getpc13269)&4294967295
	s_addc_u32 s15, s15, (.LBB1_5035-.Lpost_getpc13269)>>32
	s_setpc_b64 s[14:15]
.LBB1_31189:
	s_getpc_b64 s[14:15]
.Lpost_getpc1258:
	s_add_u32 s14, s14, (.LBB1_5036-.Lpost_getpc1258)&4294967295
	s_addc_u32 s15, s15, (.LBB1_5036-.Lpost_getpc1258)>>32
	s_setpc_b64 s[14:15]
.LBB1_19373:
	s_movk_i32 s4, 0x80
	v_cmp_eq_u16_sdwa s[12:13], v6, s4 src0_sel:BYTE_0 src1_sel:DWORD
	s_mov_b64 s[4:5], -1
                                        ; implicit-def: $sgpr10
	s_and_saveexec_b64 s[8:9], s[12:13]
; %bb.19374:
	s_mov_b32 s10, 0x7f800001
	s_xor_b64 s[4:5], exec, -1
; %bb.19375:
	s_or_b64 exec, exec, s[8:9]
	s_and_b64 s[4:5], s[4:5], exec
	s_or_saveexec_b64 s[6:7], s[6:7]
	v_mov_b32_e32 v12, s10
	s_xor_b64 exec, exec, s[6:7]
	s_cbranch_execnz .LBB1_19376
; %bb.55213:
	s_getpc_b64 s[14:15]
.Lpost_getpc13270:
	s_add_u32 s14, s14, (.LBB1_5038-.Lpost_getpc13270)&4294967295
	s_addc_u32 s15, s15, (.LBB1_5038-.Lpost_getpc13270)>>32
	s_setpc_b64 s[14:15]
.LBB1_19376:
	v_mov_b32_e32 v12, 0
	v_cmp_ne_u16_sdwa s[8:9], v6, v12 src0_sel:BYTE_0 src1_sel:DWORD
	s_andn2_b64 s[4:5], s[4:5], exec
	s_and_b64 s[8:9], s[8:9], exec
	s_or_b64 s[4:5], s[4:5], s[8:9]
	s_or_b64 exec, exec, s[6:7]
	s_and_saveexec_b64 s[6:7], s[4:5]
	s_cbranch_execz .LBB1_31191
; %bb.55215:
	s_getpc_b64 s[14:15]
.Lpost_getpc13271:
	s_add_u32 s14, s14, (.LBB1_5039-.Lpost_getpc13271)&4294967295
	s_addc_u32 s15, s15, (.LBB1_5039-.Lpost_getpc13271)>>32
	s_setpc_b64 s[14:15]
.LBB1_31191:
	s_getpc_b64 s[14:15]
.Lpost_getpc1259:
	s_add_u32 s14, s14, (.LBB1_5040-.Lpost_getpc1259)&4294967295
	s_addc_u32 s15, s15, (.LBB1_5040-.Lpost_getpc1259)>>32
	s_setpc_b64 s[14:15]
.LBB1_19377:
	s_movk_i32 s4, 0x80
	v_cmp_eq_u16_e32 vcc, s4, v6
	s_mov_b64 s[4:5], -1
                                        ; implicit-def: $sgpr10
	s_and_saveexec_b64 s[8:9], vcc
; %bb.19378:
	s_mov_b32 s10, 0x7f800001
	s_xor_b64 s[4:5], exec, -1
; %bb.19379:
	s_or_b64 exec, exec, s[8:9]
	s_and_b64 s[4:5], s[4:5], exec
                                        ; implicit-def: $vgpr6
	s_or_saveexec_b64 s[6:7], s[6:7]
	v_mov_b32_e32 v2, s10
	s_xor_b64 exec, exec, s[6:7]
	s_cbranch_execnz .LBB1_19380
; %bb.55217:
	s_getpc_b64 s[14:15]
.Lpost_getpc13272:
	s_add_u32 s14, s14, (.LBB1_5042-.Lpost_getpc13272)&4294967295
	s_addc_u32 s15, s15, (.LBB1_5042-.Lpost_getpc13272)>>32
	s_setpc_b64 s[14:15]
.LBB1_19380:
	v_cmp_ne_u16_e32 vcc, 0, v6
	s_andn2_b64 s[4:5], s[4:5], exec
	s_and_b64 s[8:9], vcc, exec
	v_mov_b32_e32 v2, 0
	s_or_b64 s[4:5], s[4:5], s[8:9]
	s_or_b64 exec, exec, s[6:7]
	s_and_saveexec_b64 s[6:7], s[4:5]
	s_cbranch_execz .LBB1_31193
; %bb.55219:
	s_getpc_b64 s[14:15]
.Lpost_getpc13273:
	s_add_u32 s14, s14, (.LBB1_5043-.Lpost_getpc13273)&4294967295
	s_addc_u32 s15, s15, (.LBB1_5043-.Lpost_getpc13273)>>32
	s_setpc_b64 s[14:15]
.LBB1_31193:
	s_getpc_b64 s[14:15]
.Lpost_getpc1260:
	s_add_u32 s14, s14, (.LBB1_5044-.Lpost_getpc1260)&4294967295
	s_addc_u32 s15, s15, (.LBB1_5044-.Lpost_getpc1260)>>32
	s_setpc_b64 s[14:15]
.LBB1_19381:
	s_movk_i32 s4, 0x80
	v_cmp_eq_u16_e32 vcc, s4, v6
	s_mov_b64 s[4:5], -1
                                        ; implicit-def: $sgpr10
	s_and_saveexec_b64 s[8:9], vcc
; %bb.19382:
	s_mov_b32 s10, 0x7f800001
	s_xor_b64 s[4:5], exec, -1
; %bb.19383:
	s_or_b64 exec, exec, s[8:9]
	s_and_b64 s[4:5], s[4:5], exec
                                        ; implicit-def: $vgpr6
	s_or_saveexec_b64 s[6:7], s[6:7]
	v_mov_b32_e32 v12, s10
	s_xor_b64 exec, exec, s[6:7]
	s_cbranch_execnz .LBB1_19384
; %bb.55221:
	s_getpc_b64 s[14:15]
.Lpost_getpc13274:
	s_add_u32 s14, s14, (.LBB1_5046-.Lpost_getpc13274)&4294967295
	s_addc_u32 s15, s15, (.LBB1_5046-.Lpost_getpc13274)>>32
	s_setpc_b64 s[14:15]
.LBB1_19384:
	v_cmp_ne_u16_e32 vcc, 0, v6
	s_andn2_b64 s[4:5], s[4:5], exec
	s_and_b64 s[8:9], vcc, exec
	v_mov_b32_e32 v12, 0
	s_or_b64 s[4:5], s[4:5], s[8:9]
	s_or_b64 exec, exec, s[6:7]
	s_and_saveexec_b64 s[6:7], s[4:5]
	s_cbranch_execz .LBB1_31195
; %bb.55223:
	s_getpc_b64 s[14:15]
.Lpost_getpc13275:
	s_add_u32 s14, s14, (.LBB1_5047-.Lpost_getpc13275)&4294967295
	s_addc_u32 s15, s15, (.LBB1_5047-.Lpost_getpc13275)>>32
	s_setpc_b64 s[14:15]
.LBB1_31195:
	s_getpc_b64 s[14:15]
.Lpost_getpc1261:
	s_add_u32 s14, s14, (.LBB1_5048-.Lpost_getpc1261)&4294967295
	s_addc_u32 s15, s15, (.LBB1_5048-.Lpost_getpc1261)>>32
	s_setpc_b64 s[14:15]
.LBB1_19385:
	s_movk_i32 s4, 0x80
	v_cmp_eq_u16_sdwa s[12:13], v7, s4 src0_sel:BYTE_3 src1_sel:DWORD
	s_mov_b64 s[4:5], -1
                                        ; implicit-def: $sgpr10
	s_and_saveexec_b64 s[8:9], s[12:13]
; %bb.19386:
	s_mov_b32 s10, 0x7f800001
	s_xor_b64 s[4:5], exec, -1
; %bb.19387:
	s_or_b64 exec, exec, s[8:9]
	s_and_b64 s[4:5], s[4:5], exec
	s_or_saveexec_b64 s[6:7], s[6:7]
	v_mov_b32_e32 v2, s10
	s_xor_b64 exec, exec, s[6:7]
	s_cbranch_execnz .LBB1_19388
; %bb.55225:
	s_getpc_b64 s[14:15]
.Lpost_getpc13276:
	s_add_u32 s14, s14, (.LBB1_5050-.Lpost_getpc13276)&4294967295
	s_addc_u32 s15, s15, (.LBB1_5050-.Lpost_getpc13276)>>32
	s_setpc_b64 s[14:15]
.LBB1_19388:
	v_mov_b32_e32 v2, 0
	v_cmp_ne_u16_sdwa s[8:9], v7, v2 src0_sel:BYTE_3 src1_sel:DWORD
	s_andn2_b64 s[4:5], s[4:5], exec
	s_and_b64 s[8:9], s[8:9], exec
	s_or_b64 s[4:5], s[4:5], s[8:9]
	s_or_b64 exec, exec, s[6:7]
	s_and_saveexec_b64 s[6:7], s[4:5]
	s_cbranch_execz .LBB1_31197
; %bb.55227:
	s_getpc_b64 s[14:15]
.Lpost_getpc13277:
	s_add_u32 s14, s14, (.LBB1_5051-.Lpost_getpc13277)&4294967295
	s_addc_u32 s15, s15, (.LBB1_5051-.Lpost_getpc13277)>>32
	s_setpc_b64 s[14:15]
.LBB1_31197:
	s_getpc_b64 s[14:15]
.Lpost_getpc1262:
	s_add_u32 s14, s14, (.LBB1_5052-.Lpost_getpc1262)&4294967295
	s_addc_u32 s15, s15, (.LBB1_5052-.Lpost_getpc1262)>>32
	s_setpc_b64 s[14:15]
.LBB1_19389:
	s_movk_i32 s4, 0x80
	v_cmp_eq_u16_sdwa s[12:13], v3, s4 src0_sel:BYTE_3 src1_sel:DWORD
	s_mov_b64 s[4:5], -1
                                        ; implicit-def: $sgpr10
	s_and_saveexec_b64 s[8:9], s[12:13]
; %bb.19390:
	s_mov_b32 s10, 0x7f800001
	s_xor_b64 s[4:5], exec, -1
; %bb.19391:
	s_or_b64 exec, exec, s[8:9]
	s_and_b64 s[4:5], s[4:5], exec
	s_or_saveexec_b64 s[6:7], s[6:7]
	v_mov_b32_e32 v6, s10
	s_xor_b64 exec, exec, s[6:7]
	s_cbranch_execnz .LBB1_19392
; %bb.55229:
	s_getpc_b64 s[14:15]
.Lpost_getpc13278:
	s_add_u32 s14, s14, (.LBB1_5054-.Lpost_getpc13278)&4294967295
	s_addc_u32 s15, s15, (.LBB1_5054-.Lpost_getpc13278)>>32
	s_setpc_b64 s[14:15]
.LBB1_19392:
	v_mov_b32_e32 v6, 0
	v_cmp_ne_u16_sdwa s[8:9], v3, v6 src0_sel:BYTE_3 src1_sel:DWORD
	s_andn2_b64 s[4:5], s[4:5], exec
	s_and_b64 s[8:9], s[8:9], exec
	s_or_b64 s[4:5], s[4:5], s[8:9]
	s_or_b64 exec, exec, s[6:7]
	s_and_saveexec_b64 s[6:7], s[4:5]
	s_cbranch_execz .LBB1_31199
; %bb.55231:
	s_getpc_b64 s[14:15]
.Lpost_getpc13279:
	s_add_u32 s14, s14, (.LBB1_5055-.Lpost_getpc13279)&4294967295
	s_addc_u32 s15, s15, (.LBB1_5055-.Lpost_getpc13279)>>32
	s_setpc_b64 s[14:15]
.LBB1_31199:
	s_getpc_b64 s[14:15]
.Lpost_getpc1263:
	s_add_u32 s14, s14, (.LBB1_5056-.Lpost_getpc1263)&4294967295
	s_addc_u32 s15, s15, (.LBB1_5056-.Lpost_getpc1263)>>32
	s_setpc_b64 s[14:15]
.LBB1_19393:
	s_movk_i32 s4, 0x80
	v_cmp_eq_u16_sdwa s[12:13], v8, s4 src0_sel:BYTE_0 src1_sel:DWORD
	s_mov_b64 s[4:5], -1
                                        ; implicit-def: $sgpr10
	s_and_saveexec_b64 s[8:9], s[12:13]
; %bb.19394:
	s_mov_b32 s10, 0x7f800001
	s_xor_b64 s[4:5], exec, -1
; %bb.19395:
	s_or_b64 exec, exec, s[8:9]
	s_and_b64 s[4:5], s[4:5], exec
	s_or_saveexec_b64 s[6:7], s[6:7]
	v_mov_b32_e32 v2, s10
	s_xor_b64 exec, exec, s[6:7]
	s_cbranch_execnz .LBB1_19396
; %bb.55233:
	s_getpc_b64 s[14:15]
.Lpost_getpc13280:
	s_add_u32 s14, s14, (.LBB1_5058-.Lpost_getpc13280)&4294967295
	s_addc_u32 s15, s15, (.LBB1_5058-.Lpost_getpc13280)>>32
	s_setpc_b64 s[14:15]
.LBB1_19396:
	v_mov_b32_e32 v2, 0
	v_cmp_ne_u16_sdwa s[8:9], v8, v2 src0_sel:BYTE_0 src1_sel:DWORD
	s_andn2_b64 s[4:5], s[4:5], exec
	s_and_b64 s[8:9], s[8:9], exec
	s_or_b64 s[4:5], s[4:5], s[8:9]
	s_or_b64 exec, exec, s[6:7]
	s_and_saveexec_b64 s[6:7], s[4:5]
	s_cbranch_execz .LBB1_31201
; %bb.55235:
	s_getpc_b64 s[14:15]
.Lpost_getpc13281:
	s_add_u32 s14, s14, (.LBB1_5059-.Lpost_getpc13281)&4294967295
	s_addc_u32 s15, s15, (.LBB1_5059-.Lpost_getpc13281)>>32
	s_setpc_b64 s[14:15]
.LBB1_31201:
	s_getpc_b64 s[14:15]
.Lpost_getpc1264:
	s_add_u32 s14, s14, (.LBB1_5060-.Lpost_getpc1264)&4294967295
	s_addc_u32 s15, s15, (.LBB1_5060-.Lpost_getpc1264)>>32
	s_setpc_b64 s[14:15]
.LBB1_19397:
	s_movk_i32 s4, 0x80
	v_cmp_eq_u16_sdwa s[12:13], v4, s4 src0_sel:BYTE_0 src1_sel:DWORD
	s_mov_b64 s[4:5], -1
                                        ; implicit-def: $sgpr10
	s_and_saveexec_b64 s[8:9], s[12:13]
; %bb.19398:
	s_mov_b32 s10, 0x7f800001
	s_xor_b64 s[4:5], exec, -1
; %bb.19399:
	s_or_b64 exec, exec, s[8:9]
	s_and_b64 s[4:5], s[4:5], exec
	s_or_saveexec_b64 s[6:7], s[6:7]
	v_mov_b32_e32 v3, s10
	s_xor_b64 exec, exec, s[6:7]
	s_cbranch_execnz .LBB1_19400
; %bb.55237:
	s_getpc_b64 s[14:15]
.Lpost_getpc13282:
	s_add_u32 s14, s14, (.LBB1_5062-.Lpost_getpc13282)&4294967295
	s_addc_u32 s15, s15, (.LBB1_5062-.Lpost_getpc13282)>>32
	s_setpc_b64 s[14:15]
.LBB1_19400:
	v_mov_b32_e32 v3, 0
	v_cmp_ne_u16_sdwa s[8:9], v4, v3 src0_sel:BYTE_0 src1_sel:DWORD
	s_andn2_b64 s[4:5], s[4:5], exec
	s_and_b64 s[8:9], s[8:9], exec
	s_or_b64 s[4:5], s[4:5], s[8:9]
	s_or_b64 exec, exec, s[6:7]
	s_and_saveexec_b64 s[6:7], s[4:5]
	s_cbranch_execz .LBB1_31203
; %bb.55239:
	s_getpc_b64 s[14:15]
.Lpost_getpc13283:
	s_add_u32 s14, s14, (.LBB1_5063-.Lpost_getpc13283)&4294967295
	s_addc_u32 s15, s15, (.LBB1_5063-.Lpost_getpc13283)>>32
	s_setpc_b64 s[14:15]
.LBB1_31203:
	s_getpc_b64 s[14:15]
.Lpost_getpc1265:
	s_add_u32 s14, s14, (.LBB1_5064-.Lpost_getpc1265)&4294967295
	s_addc_u32 s15, s15, (.LBB1_5064-.Lpost_getpc1265)>>32
	s_setpc_b64 s[14:15]
.LBB1_19401:
	s_movk_i32 s4, 0x80
	v_cmp_eq_u16_sdwa s[12:13], v3, s4 src0_sel:BYTE_0 src1_sel:DWORD
	s_mov_b64 s[4:5], -1
                                        ; implicit-def: $sgpr10
	s_and_saveexec_b64 s[8:9], s[12:13]
; %bb.19402:
	s_mov_b32 s10, 0x7f800001
	s_xor_b64 s[4:5], exec, -1
; %bb.19403:
	s_or_b64 exec, exec, s[8:9]
	s_and_b64 s[4:5], s[4:5], exec
	s_or_saveexec_b64 s[6:7], s[6:7]
	v_mov_b32_e32 v2, s10
	s_xor_b64 exec, exec, s[6:7]
	s_cbranch_execnz .LBB1_19404
; %bb.55241:
	s_getpc_b64 s[14:15]
.Lpost_getpc13284:
	s_add_u32 s14, s14, (.LBB1_5066-.Lpost_getpc13284)&4294967295
	s_addc_u32 s15, s15, (.LBB1_5066-.Lpost_getpc13284)>>32
	s_setpc_b64 s[14:15]
.LBB1_19404:
	v_mov_b32_e32 v2, 0
	v_cmp_ne_u16_sdwa s[8:9], v3, v2 src0_sel:BYTE_0 src1_sel:DWORD
	s_andn2_b64 s[4:5], s[4:5], exec
	s_and_b64 s[8:9], s[8:9], exec
	s_or_b64 s[4:5], s[4:5], s[8:9]
	s_or_b64 exec, exec, s[6:7]
	s_and_saveexec_b64 s[6:7], s[4:5]
	s_cbranch_execz .LBB1_31205
; %bb.55243:
	s_getpc_b64 s[14:15]
.Lpost_getpc13285:
	s_add_u32 s14, s14, (.LBB1_5067-.Lpost_getpc13285)&4294967295
	s_addc_u32 s15, s15, (.LBB1_5067-.Lpost_getpc13285)>>32
	s_setpc_b64 s[14:15]
.LBB1_31205:
	s_getpc_b64 s[14:15]
.Lpost_getpc1266:
	s_add_u32 s14, s14, (.LBB1_5068-.Lpost_getpc1266)&4294967295
	s_addc_u32 s15, s15, (.LBB1_5068-.Lpost_getpc1266)>>32
	s_setpc_b64 s[14:15]
.LBB1_19405:
	s_movk_i32 s4, 0x80
	v_cmp_eq_u16_sdwa s[12:13], v3, s4 src0_sel:BYTE_0 src1_sel:DWORD
	s_mov_b64 s[4:5], -1
                                        ; implicit-def: $sgpr10
	s_and_saveexec_b64 s[8:9], s[12:13]
; %bb.19406:
	s_mov_b32 s10, 0x7f800001
	s_xor_b64 s[4:5], exec, -1
; %bb.19407:
	s_or_b64 exec, exec, s[8:9]
	s_and_b64 s[4:5], s[4:5], exec
	s_or_saveexec_b64 s[6:7], s[6:7]
	v_mov_b32_e32 v6, s10
	s_xor_b64 exec, exec, s[6:7]
	s_cbranch_execnz .LBB1_19408
; %bb.55245:
	s_getpc_b64 s[14:15]
.Lpost_getpc13286:
	s_add_u32 s14, s14, (.LBB1_5070-.Lpost_getpc13286)&4294967295
	s_addc_u32 s15, s15, (.LBB1_5070-.Lpost_getpc13286)>>32
	s_setpc_b64 s[14:15]
.LBB1_19408:
	v_mov_b32_e32 v6, 0
	v_cmp_ne_u16_sdwa s[8:9], v3, v6 src0_sel:BYTE_0 src1_sel:DWORD
	s_andn2_b64 s[4:5], s[4:5], exec
	s_and_b64 s[8:9], s[8:9], exec
	s_or_b64 s[4:5], s[4:5], s[8:9]
	s_or_b64 exec, exec, s[6:7]
	s_and_saveexec_b64 s[6:7], s[4:5]
	s_cbranch_execz .LBB1_31207
; %bb.55247:
	s_getpc_b64 s[14:15]
.Lpost_getpc13287:
	s_add_u32 s14, s14, (.LBB1_5071-.Lpost_getpc13287)&4294967295
	s_addc_u32 s15, s15, (.LBB1_5071-.Lpost_getpc13287)>>32
	s_setpc_b64 s[14:15]
.LBB1_31207:
	s_getpc_b64 s[14:15]
.Lpost_getpc1267:
	s_add_u32 s14, s14, (.LBB1_5072-.Lpost_getpc1267)&4294967295
	s_addc_u32 s15, s15, (.LBB1_5072-.Lpost_getpc1267)>>32
	s_setpc_b64 s[14:15]
.LBB1_19409:
	s_movk_i32 s4, 0x80
	v_cmp_eq_u16_e32 vcc, s4, v3
	s_mov_b64 s[4:5], -1
                                        ; implicit-def: $sgpr10
	s_and_saveexec_b64 s[8:9], vcc
; %bb.19410:
	s_mov_b32 s10, 0x7f800001
	s_xor_b64 s[4:5], exec, -1
; %bb.19411:
	s_or_b64 exec, exec, s[8:9]
	s_and_b64 s[4:5], s[4:5], exec
                                        ; implicit-def: $vgpr3
	s_or_saveexec_b64 s[6:7], s[6:7]
	v_mov_b32_e32 v2, s10
	s_xor_b64 exec, exec, s[6:7]
	s_cbranch_execnz .LBB1_19412
; %bb.55249:
	s_getpc_b64 s[14:15]
.Lpost_getpc13288:
	s_add_u32 s14, s14, (.LBB1_5074-.Lpost_getpc13288)&4294967295
	s_addc_u32 s15, s15, (.LBB1_5074-.Lpost_getpc13288)>>32
	s_setpc_b64 s[14:15]
.LBB1_19412:
	v_cmp_ne_u16_e32 vcc, 0, v3
	s_andn2_b64 s[4:5], s[4:5], exec
	s_and_b64 s[8:9], vcc, exec
	v_mov_b32_e32 v2, 0
	s_or_b64 s[4:5], s[4:5], s[8:9]
	s_or_b64 exec, exec, s[6:7]
	s_and_saveexec_b64 s[6:7], s[4:5]
	s_cbranch_execz .LBB1_31209
; %bb.55251:
	s_getpc_b64 s[14:15]
.Lpost_getpc13289:
	s_add_u32 s14, s14, (.LBB1_5075-.Lpost_getpc13289)&4294967295
	s_addc_u32 s15, s15, (.LBB1_5075-.Lpost_getpc13289)>>32
	s_setpc_b64 s[14:15]
.LBB1_31209:
	s_getpc_b64 s[14:15]
.Lpost_getpc1268:
	s_add_u32 s14, s14, (.LBB1_5076-.Lpost_getpc1268)&4294967295
	s_addc_u32 s15, s15, (.LBB1_5076-.Lpost_getpc1268)>>32
	s_setpc_b64 s[14:15]
.LBB1_19413:
	s_movk_i32 s4, 0x80
	v_cmp_eq_u16_e32 vcc, s4, v3
	s_mov_b64 s[4:5], -1
                                        ; implicit-def: $sgpr10
	s_and_saveexec_b64 s[8:9], vcc
; %bb.19414:
	s_mov_b32 s10, 0x7f800001
	s_xor_b64 s[4:5], exec, -1
; %bb.19415:
	s_or_b64 exec, exec, s[8:9]
	s_and_b64 s[4:5], s[4:5], exec
                                        ; implicit-def: $vgpr3
	s_or_saveexec_b64 s[6:7], s[6:7]
	v_mov_b32_e32 v6, s10
	s_xor_b64 exec, exec, s[6:7]
	s_cbranch_execnz .LBB1_19416
; %bb.55253:
	s_getpc_b64 s[14:15]
.Lpost_getpc13290:
	s_add_u32 s14, s14, (.LBB1_5078-.Lpost_getpc13290)&4294967295
	s_addc_u32 s15, s15, (.LBB1_5078-.Lpost_getpc13290)>>32
	s_setpc_b64 s[14:15]
.LBB1_19416:
	v_cmp_ne_u16_e32 vcc, 0, v3
	s_andn2_b64 s[4:5], s[4:5], exec
	s_and_b64 s[8:9], vcc, exec
	v_mov_b32_e32 v6, 0
	s_or_b64 s[4:5], s[4:5], s[8:9]
	s_or_b64 exec, exec, s[6:7]
	s_and_saveexec_b64 s[6:7], s[4:5]
	s_cbranch_execz .LBB1_31211
; %bb.55255:
	s_getpc_b64 s[14:15]
.Lpost_getpc13291:
	s_add_u32 s14, s14, (.LBB1_5079-.Lpost_getpc13291)&4294967295
	s_addc_u32 s15, s15, (.LBB1_5079-.Lpost_getpc13291)>>32
	s_setpc_b64 s[14:15]
.LBB1_31211:
	s_getpc_b64 s[14:15]
.Lpost_getpc1269:
	s_add_u32 s14, s14, (.LBB1_5080-.Lpost_getpc1269)&4294967295
	s_addc_u32 s15, s15, (.LBB1_5080-.Lpost_getpc1269)>>32
	s_setpc_b64 s[14:15]
.LBB1_19417:
	s_movk_i32 s4, 0x80
	v_cmp_eq_u16_sdwa s[12:13], v8, s4 src0_sel:BYTE_3 src1_sel:DWORD
	s_mov_b64 s[4:5], -1
                                        ; implicit-def: $sgpr10
	s_and_saveexec_b64 s[8:9], s[12:13]
; %bb.19418:
	s_mov_b32 s10, 0x7f800001
	s_xor_b64 s[4:5], exec, -1
; %bb.19419:
	s_or_b64 exec, exec, s[8:9]
	s_and_b64 s[4:5], s[4:5], exec
	s_or_saveexec_b64 s[6:7], s[6:7]
	v_mov_b32_e32 v2, s10
	s_xor_b64 exec, exec, s[6:7]
	s_cbranch_execnz .LBB1_19420
; %bb.55257:
	s_getpc_b64 s[14:15]
.Lpost_getpc13292:
	s_add_u32 s14, s14, (.LBB1_5082-.Lpost_getpc13292)&4294967295
	s_addc_u32 s15, s15, (.LBB1_5082-.Lpost_getpc13292)>>32
	s_setpc_b64 s[14:15]
.LBB1_19420:
	v_mov_b32_e32 v2, 0
	v_cmp_ne_u16_sdwa s[8:9], v8, v2 src0_sel:BYTE_3 src1_sel:DWORD
	s_andn2_b64 s[4:5], s[4:5], exec
	s_and_b64 s[8:9], s[8:9], exec
	s_or_b64 s[4:5], s[4:5], s[8:9]
	s_or_b64 exec, exec, s[6:7]
	s_and_saveexec_b64 s[6:7], s[4:5]
	s_cbranch_execz .LBB1_31213
; %bb.55259:
	s_getpc_b64 s[14:15]
.Lpost_getpc13293:
	s_add_u32 s14, s14, (.LBB1_5083-.Lpost_getpc13293)&4294967295
	s_addc_u32 s15, s15, (.LBB1_5083-.Lpost_getpc13293)>>32
	s_setpc_b64 s[14:15]
.LBB1_31213:
	s_getpc_b64 s[14:15]
.Lpost_getpc1270:
	s_add_u32 s14, s14, (.LBB1_5084-.Lpost_getpc1270)&4294967295
	s_addc_u32 s15, s15, (.LBB1_5084-.Lpost_getpc1270)>>32
	s_setpc_b64 s[14:15]
.LBB1_19421:
	s_movk_i32 s4, 0x80
	v_cmp_eq_u16_sdwa s[12:13], v4, s4 src0_sel:BYTE_3 src1_sel:DWORD
	s_mov_b64 s[4:5], -1
                                        ; implicit-def: $sgpr10
	s_and_saveexec_b64 s[8:9], s[12:13]
; %bb.19422:
	s_mov_b32 s10, 0x7f800001
	s_xor_b64 s[4:5], exec, -1
; %bb.19423:
	s_or_b64 exec, exec, s[8:9]
	s_and_b64 s[4:5], s[4:5], exec
	s_or_saveexec_b64 s[6:7], s[6:7]
	v_mov_b32_e32 v3, s10
	s_xor_b64 exec, exec, s[6:7]
	s_cbranch_execnz .LBB1_19424
; %bb.55261:
	s_getpc_b64 s[14:15]
.Lpost_getpc13294:
	s_add_u32 s14, s14, (.LBB1_5086-.Lpost_getpc13294)&4294967295
	s_addc_u32 s15, s15, (.LBB1_5086-.Lpost_getpc13294)>>32
	s_setpc_b64 s[14:15]
.LBB1_19424:
	v_mov_b32_e32 v3, 0
	v_cmp_ne_u16_sdwa s[8:9], v4, v3 src0_sel:BYTE_3 src1_sel:DWORD
	s_andn2_b64 s[4:5], s[4:5], exec
	s_and_b64 s[8:9], s[8:9], exec
	s_or_b64 s[4:5], s[4:5], s[8:9]
	s_or_b64 exec, exec, s[6:7]
	s_and_saveexec_b64 s[6:7], s[4:5]
	s_cbranch_execz .LBB1_31215
; %bb.55263:
	s_getpc_b64 s[14:15]
.Lpost_getpc13295:
	s_add_u32 s14, s14, (.LBB1_5087-.Lpost_getpc13295)&4294967295
	s_addc_u32 s15, s15, (.LBB1_5087-.Lpost_getpc13295)>>32
	s_setpc_b64 s[14:15]
.LBB1_31215:
	s_getpc_b64 s[14:15]
.Lpost_getpc1271:
	s_add_u32 s14, s14, (.LBB1_5088-.Lpost_getpc1271)&4294967295
	s_addc_u32 s15, s15, (.LBB1_5088-.Lpost_getpc1271)>>32
	s_setpc_b64 s[14:15]
.LBB1_19425:
	s_movk_i32 s4, 0x80
	v_cmp_eq_u16_sdwa s[12:13], v9, s4 src0_sel:BYTE_0 src1_sel:DWORD
	s_mov_b64 s[4:5], -1
                                        ; implicit-def: $sgpr10
	s_and_saveexec_b64 s[8:9], s[12:13]
; %bb.19426:
	s_mov_b32 s10, 0x7f800001
	s_xor_b64 s[4:5], exec, -1
; %bb.19427:
	s_or_b64 exec, exec, s[8:9]
	s_and_b64 s[4:5], s[4:5], exec
	s_or_saveexec_b64 s[6:7], s[6:7]
	v_mov_b32_e32 v2, s10
	s_xor_b64 exec, exec, s[6:7]
	s_cbranch_execnz .LBB1_19428
; %bb.55265:
	s_getpc_b64 s[14:15]
.Lpost_getpc13296:
	s_add_u32 s14, s14, (.LBB1_5090-.Lpost_getpc13296)&4294967295
	s_addc_u32 s15, s15, (.LBB1_5090-.Lpost_getpc13296)>>32
	s_setpc_b64 s[14:15]
.LBB1_19428:
	v_mov_b32_e32 v2, 0
	v_cmp_ne_u16_sdwa s[8:9], v9, v2 src0_sel:BYTE_0 src1_sel:DWORD
	s_andn2_b64 s[4:5], s[4:5], exec
	s_and_b64 s[8:9], s[8:9], exec
	s_or_b64 s[4:5], s[4:5], s[8:9]
	s_or_b64 exec, exec, s[6:7]
	s_and_saveexec_b64 s[6:7], s[4:5]
	s_cbranch_execz .LBB1_31217
; %bb.55267:
	s_getpc_b64 s[14:15]
.Lpost_getpc13297:
	s_add_u32 s14, s14, (.LBB1_5091-.Lpost_getpc13297)&4294967295
	s_addc_u32 s15, s15, (.LBB1_5091-.Lpost_getpc13297)>>32
	s_setpc_b64 s[14:15]
.LBB1_31217:
	s_getpc_b64 s[14:15]
.Lpost_getpc1272:
	s_add_u32 s14, s14, (.LBB1_5092-.Lpost_getpc1272)&4294967295
	s_addc_u32 s15, s15, (.LBB1_5092-.Lpost_getpc1272)>>32
	s_setpc_b64 s[14:15]
.LBB1_19429:
	s_movk_i32 s4, 0x80
	v_cmp_eq_u16_sdwa s[12:13], v5, s4 src0_sel:BYTE_0 src1_sel:DWORD
	s_mov_b64 s[4:5], -1
                                        ; implicit-def: $sgpr10
	s_and_saveexec_b64 s[8:9], s[12:13]
; %bb.19430:
	s_mov_b32 s10, 0x7f800001
	s_xor_b64 s[4:5], exec, -1
; %bb.19431:
	s_or_b64 exec, exec, s[8:9]
	s_and_b64 s[4:5], s[4:5], exec
	s_or_saveexec_b64 s[6:7], s[6:7]
	v_mov_b32_e32 v3, s10
	s_xor_b64 exec, exec, s[6:7]
	s_cbranch_execnz .LBB1_19432
; %bb.55269:
	s_getpc_b64 s[14:15]
.Lpost_getpc13298:
	s_add_u32 s14, s14, (.LBB1_5094-.Lpost_getpc13298)&4294967295
	s_addc_u32 s15, s15, (.LBB1_5094-.Lpost_getpc13298)>>32
	s_setpc_b64 s[14:15]
.LBB1_19432:
	v_mov_b32_e32 v3, 0
	v_cmp_ne_u16_sdwa s[8:9], v5, v3 src0_sel:BYTE_0 src1_sel:DWORD
	s_andn2_b64 s[4:5], s[4:5], exec
	s_and_b64 s[8:9], s[8:9], exec
	s_or_b64 s[4:5], s[4:5], s[8:9]
	s_or_b64 exec, exec, s[6:7]
	s_and_saveexec_b64 s[6:7], s[4:5]
	s_cbranch_execz .LBB1_31219
; %bb.55271:
	s_getpc_b64 s[14:15]
.Lpost_getpc13299:
	s_add_u32 s14, s14, (.LBB1_5095-.Lpost_getpc13299)&4294967295
	s_addc_u32 s15, s15, (.LBB1_5095-.Lpost_getpc13299)>>32
	s_setpc_b64 s[14:15]
.LBB1_31219:
	s_getpc_b64 s[14:15]
.Lpost_getpc1273:
	s_add_u32 s14, s14, (.LBB1_5096-.Lpost_getpc1273)&4294967295
	s_addc_u32 s15, s15, (.LBB1_5096-.Lpost_getpc1273)>>32
	s_setpc_b64 s[14:15]
.LBB1_19433:
	s_movk_i32 s4, 0x80
	v_cmp_eq_u16_sdwa s[12:13], v3, s4 src0_sel:BYTE_0 src1_sel:DWORD
	s_mov_b64 s[4:5], -1
                                        ; implicit-def: $sgpr10
	s_and_saveexec_b64 s[8:9], s[12:13]
; %bb.19434:
	s_mov_b32 s10, 0x7f800001
	s_xor_b64 s[4:5], exec, -1
; %bb.19435:
	s_or_b64 exec, exec, s[8:9]
	s_and_b64 s[4:5], s[4:5], exec
	s_or_saveexec_b64 s[6:7], s[6:7]
	v_mov_b32_e32 v2, s10
	s_xor_b64 exec, exec, s[6:7]
	s_cbranch_execnz .LBB1_19436
; %bb.55273:
	s_getpc_b64 s[14:15]
.Lpost_getpc13300:
	s_add_u32 s14, s14, (.LBB1_5098-.Lpost_getpc13300)&4294967295
	s_addc_u32 s15, s15, (.LBB1_5098-.Lpost_getpc13300)>>32
	s_setpc_b64 s[14:15]
.LBB1_19436:
	v_mov_b32_e32 v2, 0
	v_cmp_ne_u16_sdwa s[8:9], v3, v2 src0_sel:BYTE_0 src1_sel:DWORD
	s_andn2_b64 s[4:5], s[4:5], exec
	s_and_b64 s[8:9], s[8:9], exec
	s_or_b64 s[4:5], s[4:5], s[8:9]
	s_or_b64 exec, exec, s[6:7]
	s_and_saveexec_b64 s[6:7], s[4:5]
	s_cbranch_execz .LBB1_31221
; %bb.55275:
	s_getpc_b64 s[14:15]
.Lpost_getpc13301:
	s_add_u32 s14, s14, (.LBB1_5099-.Lpost_getpc13301)&4294967295
	s_addc_u32 s15, s15, (.LBB1_5099-.Lpost_getpc13301)>>32
	s_setpc_b64 s[14:15]
.LBB1_31221:
	s_getpc_b64 s[14:15]
.Lpost_getpc1274:
	s_add_u32 s14, s14, (.LBB1_5100-.Lpost_getpc1274)&4294967295
	s_addc_u32 s15, s15, (.LBB1_5100-.Lpost_getpc1274)>>32
	s_setpc_b64 s[14:15]
.LBB1_19437:
	s_movk_i32 s4, 0x80
	v_cmp_eq_u16_sdwa s[12:13], v3, s4 src0_sel:BYTE_0 src1_sel:DWORD
	s_mov_b64 s[4:5], -1
                                        ; implicit-def: $sgpr10
	s_and_saveexec_b64 s[8:9], s[12:13]
; %bb.19438:
	s_mov_b32 s10, 0x7f800001
	s_xor_b64 s[4:5], exec, -1
; %bb.19439:
	s_or_b64 exec, exec, s[8:9]
	s_and_b64 s[4:5], s[4:5], exec
	s_or_saveexec_b64 s[6:7], s[6:7]
	v_mov_b32_e32 v4, s10
	s_xor_b64 exec, exec, s[6:7]
	s_cbranch_execnz .LBB1_19440
; %bb.55277:
	s_getpc_b64 s[14:15]
.Lpost_getpc13302:
	s_add_u32 s14, s14, (.LBB1_5102-.Lpost_getpc13302)&4294967295
	s_addc_u32 s15, s15, (.LBB1_5102-.Lpost_getpc13302)>>32
	s_setpc_b64 s[14:15]
.LBB1_19440:
	v_mov_b32_e32 v4, 0
	v_cmp_ne_u16_sdwa s[8:9], v3, v4 src0_sel:BYTE_0 src1_sel:DWORD
	s_andn2_b64 s[4:5], s[4:5], exec
	s_and_b64 s[8:9], s[8:9], exec
	s_or_b64 s[4:5], s[4:5], s[8:9]
	s_or_b64 exec, exec, s[6:7]
	s_and_saveexec_b64 s[6:7], s[4:5]
	s_cbranch_execz .LBB1_31223
; %bb.55279:
	s_getpc_b64 s[14:15]
.Lpost_getpc13303:
	s_add_u32 s14, s14, (.LBB1_5103-.Lpost_getpc13303)&4294967295
	s_addc_u32 s15, s15, (.LBB1_5103-.Lpost_getpc13303)>>32
	s_setpc_b64 s[14:15]
.LBB1_31223:
	s_getpc_b64 s[14:15]
.Lpost_getpc1275:
	s_add_u32 s14, s14, (.LBB1_5104-.Lpost_getpc1275)&4294967295
	s_addc_u32 s15, s15, (.LBB1_5104-.Lpost_getpc1275)>>32
	s_setpc_b64 s[14:15]
.LBB1_19441:
	s_movk_i32 s4, 0x80
	v_cmp_eq_u16_e32 vcc, s4, v3
	s_mov_b64 s[4:5], -1
                                        ; implicit-def: $sgpr10
	s_and_saveexec_b64 s[8:9], vcc
; %bb.19442:
	s_mov_b32 s10, 0x7f800001
	s_xor_b64 s[4:5], exec, -1
; %bb.19443:
	s_or_b64 exec, exec, s[8:9]
	s_and_b64 s[4:5], s[4:5], exec
                                        ; implicit-def: $vgpr3
	s_or_saveexec_b64 s[6:7], s[6:7]
	v_mov_b32_e32 v2, s10
	s_xor_b64 exec, exec, s[6:7]
	s_cbranch_execnz .LBB1_19444
; %bb.55281:
	s_getpc_b64 s[14:15]
.Lpost_getpc13304:
	s_add_u32 s14, s14, (.LBB1_5106-.Lpost_getpc13304)&4294967295
	s_addc_u32 s15, s15, (.LBB1_5106-.Lpost_getpc13304)>>32
	s_setpc_b64 s[14:15]
.LBB1_19444:
	v_cmp_ne_u16_e32 vcc, 0, v3
	s_andn2_b64 s[4:5], s[4:5], exec
	s_and_b64 s[8:9], vcc, exec
	v_mov_b32_e32 v2, 0
	s_or_b64 s[4:5], s[4:5], s[8:9]
	s_or_b64 exec, exec, s[6:7]
	s_and_saveexec_b64 s[6:7], s[4:5]
	s_cbranch_execz .LBB1_31225
; %bb.55283:
	s_getpc_b64 s[14:15]
.Lpost_getpc13305:
	s_add_u32 s14, s14, (.LBB1_5107-.Lpost_getpc13305)&4294967295
	s_addc_u32 s15, s15, (.LBB1_5107-.Lpost_getpc13305)>>32
	s_setpc_b64 s[14:15]
.LBB1_31225:
	s_getpc_b64 s[14:15]
.Lpost_getpc1276:
	s_add_u32 s14, s14, (.LBB1_5108-.Lpost_getpc1276)&4294967295
	s_addc_u32 s15, s15, (.LBB1_5108-.Lpost_getpc1276)>>32
	s_setpc_b64 s[14:15]
.LBB1_19445:
	s_movk_i32 s4, 0x80
	v_cmp_eq_u16_e32 vcc, s4, v3
	s_mov_b64 s[4:5], -1
                                        ; implicit-def: $sgpr10
	s_and_saveexec_b64 s[8:9], vcc
; %bb.19446:
	s_mov_b32 s10, 0x7f800001
	s_xor_b64 s[4:5], exec, -1
; %bb.19447:
	s_or_b64 exec, exec, s[8:9]
	s_and_b64 s[4:5], s[4:5], exec
                                        ; implicit-def: $vgpr3
	s_or_saveexec_b64 s[6:7], s[6:7]
	v_mov_b32_e32 v4, s10
	s_xor_b64 exec, exec, s[6:7]
	s_cbranch_execnz .LBB1_19448
; %bb.55285:
	s_getpc_b64 s[14:15]
.Lpost_getpc13306:
	s_add_u32 s14, s14, (.LBB1_5110-.Lpost_getpc13306)&4294967295
	s_addc_u32 s15, s15, (.LBB1_5110-.Lpost_getpc13306)>>32
	s_setpc_b64 s[14:15]
.LBB1_19448:
	v_cmp_ne_u16_e32 vcc, 0, v3
	s_andn2_b64 s[4:5], s[4:5], exec
	s_and_b64 s[8:9], vcc, exec
	v_mov_b32_e32 v4, 0
	s_or_b64 s[4:5], s[4:5], s[8:9]
	s_or_b64 exec, exec, s[6:7]
	s_and_saveexec_b64 s[6:7], s[4:5]
	s_cbranch_execz .LBB1_31227
; %bb.55287:
	s_getpc_b64 s[14:15]
.Lpost_getpc13307:
	s_add_u32 s14, s14, (.LBB1_5111-.Lpost_getpc13307)&4294967295
	s_addc_u32 s15, s15, (.LBB1_5111-.Lpost_getpc13307)>>32
	s_setpc_b64 s[14:15]
.LBB1_31227:
	s_getpc_b64 s[14:15]
.Lpost_getpc1277:
	s_add_u32 s14, s14, (.LBB1_5112-.Lpost_getpc1277)&4294967295
	s_addc_u32 s15, s15, (.LBB1_5112-.Lpost_getpc1277)>>32
	s_setpc_b64 s[14:15]
.LBB1_19449:
	s_movk_i32 s4, 0x80
	v_cmp_eq_u16_sdwa s[12:13], v9, s4 src0_sel:BYTE_3 src1_sel:DWORD
	s_mov_b64 s[4:5], -1
                                        ; implicit-def: $sgpr10
	s_and_saveexec_b64 s[8:9], s[12:13]
; %bb.19450:
	s_mov_b32 s10, 0x7f800001
	s_xor_b64 s[4:5], exec, -1
; %bb.19451:
	s_or_b64 exec, exec, s[8:9]
	s_and_b64 s[4:5], s[4:5], exec
	s_or_saveexec_b64 s[6:7], s[6:7]
	v_mov_b32_e32 v2, s10
	s_xor_b64 exec, exec, s[6:7]
	s_cbranch_execnz .LBB1_19452
; %bb.55289:
	s_getpc_b64 s[14:15]
.Lpost_getpc13308:
	s_add_u32 s14, s14, (.LBB1_5114-.Lpost_getpc13308)&4294967295
	s_addc_u32 s15, s15, (.LBB1_5114-.Lpost_getpc13308)>>32
	s_setpc_b64 s[14:15]
.LBB1_19452:
	v_mov_b32_e32 v2, 0
	v_cmp_ne_u16_sdwa s[8:9], v9, v2 src0_sel:BYTE_3 src1_sel:DWORD
	s_andn2_b64 s[4:5], s[4:5], exec
	s_and_b64 s[8:9], s[8:9], exec
	s_or_b64 s[4:5], s[4:5], s[8:9]
	s_or_b64 exec, exec, s[6:7]
	s_and_saveexec_b64 s[6:7], s[4:5]
	s_cbranch_execz .LBB1_31229
; %bb.55291:
	s_getpc_b64 s[14:15]
.Lpost_getpc13309:
	s_add_u32 s14, s14, (.LBB1_5115-.Lpost_getpc13309)&4294967295
	s_addc_u32 s15, s15, (.LBB1_5115-.Lpost_getpc13309)>>32
	s_setpc_b64 s[14:15]
.LBB1_31229:
	s_getpc_b64 s[14:15]
.Lpost_getpc1278:
	s_add_u32 s14, s14, (.LBB1_5116-.Lpost_getpc1278)&4294967295
	s_addc_u32 s15, s15, (.LBB1_5116-.Lpost_getpc1278)>>32
	s_setpc_b64 s[14:15]
.LBB1_19453:
	s_movk_i32 s4, 0x80
	v_cmp_eq_u16_sdwa s[12:13], v5, s4 src0_sel:BYTE_3 src1_sel:DWORD
	s_mov_b64 s[4:5], -1
                                        ; implicit-def: $sgpr10
	s_and_saveexec_b64 s[8:9], s[12:13]
; %bb.19454:
	s_mov_b32 s10, 0x7f800001
	s_xor_b64 s[4:5], exec, -1
; %bb.19455:
	s_or_b64 exec, exec, s[8:9]
	s_and_b64 s[4:5], s[4:5], exec
	s_or_saveexec_b64 s[6:7], s[6:7]
	v_mov_b32_e32 v3, s10
	s_xor_b64 exec, exec, s[6:7]
	s_cbranch_execnz .LBB1_19456
; %bb.55293:
	s_getpc_b64 s[14:15]
.Lpost_getpc13310:
	s_add_u32 s14, s14, (.LBB1_5118-.Lpost_getpc13310)&4294967295
	s_addc_u32 s15, s15, (.LBB1_5118-.Lpost_getpc13310)>>32
	s_setpc_b64 s[14:15]
.LBB1_19456:
	v_mov_b32_e32 v3, 0
	v_cmp_ne_u16_sdwa s[8:9], v5, v3 src0_sel:BYTE_3 src1_sel:DWORD
	s_andn2_b64 s[4:5], s[4:5], exec
	s_and_b64 s[8:9], s[8:9], exec
	s_or_b64 s[4:5], s[4:5], s[8:9]
	s_or_b64 exec, exec, s[6:7]
	s_and_saveexec_b64 s[6:7], s[4:5]
	s_cbranch_execz .LBB1_31231
; %bb.55295:
	s_getpc_b64 s[14:15]
.Lpost_getpc13311:
	s_add_u32 s14, s14, (.LBB1_5119-.Lpost_getpc13311)&4294967295
	s_addc_u32 s15, s15, (.LBB1_5119-.Lpost_getpc13311)>>32
	s_setpc_b64 s[14:15]
.LBB1_31231:
	s_getpc_b64 s[14:15]
.Lpost_getpc1279:
	s_add_u32 s14, s14, (.LBB1_5120-.Lpost_getpc1279)&4294967295
	s_addc_u32 s15, s15, (.LBB1_5120-.Lpost_getpc1279)>>32
	s_setpc_b64 s[14:15]
.LBB1_19457:
	s_movk_i32 s4, 0x80
	v_cmp_eq_u16_sdwa s[12:13], v6, s4 src0_sel:BYTE_0 src1_sel:DWORD
	s_mov_b64 s[4:5], -1
                                        ; implicit-def: $sgpr10
	s_and_saveexec_b64 s[8:9], s[12:13]
; %bb.19458:
	s_mov_b32 s10, 0x7f800001
	s_xor_b64 s[4:5], exec, -1
; %bb.19459:
	s_or_b64 exec, exec, s[8:9]
	s_and_b64 s[4:5], s[4:5], exec
	s_or_saveexec_b64 s[6:7], s[6:7]
	v_mov_b32_e32 v12, s10
	s_xor_b64 exec, exec, s[6:7]
	s_cbranch_execnz .LBB1_19460
; %bb.55297:
	s_getpc_b64 s[14:15]
.Lpost_getpc13312:
	s_add_u32 s14, s14, (.LBB1_5122-.Lpost_getpc13312)&4294967295
	s_addc_u32 s15, s15, (.LBB1_5122-.Lpost_getpc13312)>>32
	s_setpc_b64 s[14:15]
.LBB1_19460:
	v_mov_b32_e32 v12, 0
	v_cmp_ne_u16_sdwa s[8:9], v6, v12 src0_sel:BYTE_0 src1_sel:DWORD
	s_andn2_b64 s[4:5], s[4:5], exec
	s_and_b64 s[8:9], s[8:9], exec
	s_or_b64 s[4:5], s[4:5], s[8:9]
	s_or_b64 exec, exec, s[6:7]
	s_and_saveexec_b64 s[6:7], s[4:5]
	s_cbranch_execz .LBB1_31233
; %bb.55299:
	s_getpc_b64 s[14:15]
.Lpost_getpc13313:
	s_add_u32 s14, s14, (.LBB1_5123-.Lpost_getpc13313)&4294967295
	s_addc_u32 s15, s15, (.LBB1_5123-.Lpost_getpc13313)>>32
	s_setpc_b64 s[14:15]
.LBB1_31233:
	s_getpc_b64 s[14:15]
.Lpost_getpc1280:
	s_add_u32 s14, s14, (.LBB1_5124-.Lpost_getpc1280)&4294967295
	s_addc_u32 s15, s15, (.LBB1_5124-.Lpost_getpc1280)>>32
	s_setpc_b64 s[14:15]
.LBB1_19461:
	s_movk_i32 s4, 0x80
	v_cmp_eq_u16_sdwa s[12:13], v2, s4 src0_sel:BYTE_0 src1_sel:DWORD
	s_mov_b64 s[4:5], -1
                                        ; implicit-def: $sgpr10
	s_and_saveexec_b64 s[8:9], s[12:13]
; %bb.19462:
	s_mov_b32 s10, 0x7f800001
	s_xor_b64 s[4:5], exec, -1
; %bb.19463:
	s_or_b64 exec, exec, s[8:9]
	s_and_b64 s[4:5], s[4:5], exec
	s_or_saveexec_b64 s[6:7], s[6:7]
	v_mov_b32_e32 v13, s10
	s_xor_b64 exec, exec, s[6:7]
	s_cbranch_execnz .LBB1_19464
; %bb.55301:
	s_getpc_b64 s[14:15]
.Lpost_getpc13314:
	s_add_u32 s14, s14, (.LBB1_5126-.Lpost_getpc13314)&4294967295
	s_addc_u32 s15, s15, (.LBB1_5126-.Lpost_getpc13314)>>32
	s_setpc_b64 s[14:15]
.LBB1_19464:
	v_mov_b32_e32 v13, 0
	v_cmp_ne_u16_sdwa s[8:9], v2, v13 src0_sel:BYTE_0 src1_sel:DWORD
	s_andn2_b64 s[4:5], s[4:5], exec
	s_and_b64 s[8:9], s[8:9], exec
	s_or_b64 s[4:5], s[4:5], s[8:9]
	s_or_b64 exec, exec, s[6:7]
	s_and_saveexec_b64 s[6:7], s[4:5]
	s_cbranch_execz .LBB1_31235
; %bb.55303:
	s_getpc_b64 s[14:15]
.Lpost_getpc13315:
	s_add_u32 s14, s14, (.LBB1_5127-.Lpost_getpc13315)&4294967295
	s_addc_u32 s15, s15, (.LBB1_5127-.Lpost_getpc13315)>>32
	s_setpc_b64 s[14:15]
.LBB1_31235:
	s_getpc_b64 s[14:15]
.Lpost_getpc1281:
	s_add_u32 s14, s14, (.LBB1_5128-.Lpost_getpc1281)&4294967295
	s_addc_u32 s15, s15, (.LBB1_5128-.Lpost_getpc1281)>>32
	s_setpc_b64 s[14:15]
.LBB1_19465:
	s_movk_i32 s4, 0x80
	v_cmp_eq_u16_sdwa s[12:13], v13, s4 src0_sel:BYTE_0 src1_sel:DWORD
	s_mov_b64 s[4:5], -1
                                        ; implicit-def: $sgpr10
	s_and_saveexec_b64 s[8:9], s[12:13]
; %bb.19466:
	s_mov_b32 s10, 0x7f800001
	s_xor_b64 s[4:5], exec, -1
; %bb.19467:
	s_or_b64 exec, exec, s[8:9]
	s_and_b64 s[4:5], s[4:5], exec
	s_or_saveexec_b64 s[6:7], s[6:7]
	v_mov_b32_e32 v12, s10
	s_xor_b64 exec, exec, s[6:7]
	s_cbranch_execnz .LBB1_19468
; %bb.55305:
	s_getpc_b64 s[14:15]
.Lpost_getpc13316:
	s_add_u32 s14, s14, (.LBB1_5130-.Lpost_getpc13316)&4294967295
	s_addc_u32 s15, s15, (.LBB1_5130-.Lpost_getpc13316)>>32
	s_setpc_b64 s[14:15]
.LBB1_19468:
	v_mov_b32_e32 v12, 0
	v_cmp_ne_u16_sdwa s[8:9], v13, v12 src0_sel:BYTE_0 src1_sel:DWORD
	s_andn2_b64 s[4:5], s[4:5], exec
	s_and_b64 s[8:9], s[8:9], exec
	s_or_b64 s[4:5], s[4:5], s[8:9]
	s_or_b64 exec, exec, s[6:7]
	s_and_saveexec_b64 s[6:7], s[4:5]
	s_cbranch_execz .LBB1_31237
; %bb.55307:
	s_getpc_b64 s[14:15]
.Lpost_getpc13317:
	s_add_u32 s14, s14, (.LBB1_5131-.Lpost_getpc13317)&4294967295
	s_addc_u32 s15, s15, (.LBB1_5131-.Lpost_getpc13317)>>32
	s_setpc_b64 s[14:15]
.LBB1_31237:
	s_getpc_b64 s[14:15]
.Lpost_getpc1282:
	s_add_u32 s14, s14, (.LBB1_5132-.Lpost_getpc1282)&4294967295
	s_addc_u32 s15, s15, (.LBB1_5132-.Lpost_getpc1282)>>32
	s_setpc_b64 s[14:15]
.LBB1_19469:
	s_movk_i32 s4, 0x80
	v_cmp_eq_u16_sdwa s[12:13], v13, s4 src0_sel:BYTE_0 src1_sel:DWORD
	s_mov_b64 s[4:5], -1
                                        ; implicit-def: $sgpr10
	s_and_saveexec_b64 s[8:9], s[12:13]
; %bb.19470:
	s_mov_b32 s10, 0x7f800001
	s_xor_b64 s[4:5], exec, -1
; %bb.19471:
	s_or_b64 exec, exec, s[8:9]
	s_and_b64 s[4:5], s[4:5], exec
	s_or_saveexec_b64 s[6:7], s[6:7]
	v_mov_b32_e32 v14, s10
	s_xor_b64 exec, exec, s[6:7]
	s_cbranch_execnz .LBB1_19472
; %bb.55309:
	s_getpc_b64 s[14:15]
.Lpost_getpc13318:
	s_add_u32 s14, s14, (.LBB1_5134-.Lpost_getpc13318)&4294967295
	s_addc_u32 s15, s15, (.LBB1_5134-.Lpost_getpc13318)>>32
	s_setpc_b64 s[14:15]
.LBB1_19472:
	v_mov_b32_e32 v14, 0
	v_cmp_ne_u16_sdwa s[8:9], v13, v14 src0_sel:BYTE_0 src1_sel:DWORD
	s_andn2_b64 s[4:5], s[4:5], exec
	s_and_b64 s[8:9], s[8:9], exec
	s_or_b64 s[4:5], s[4:5], s[8:9]
	s_or_b64 exec, exec, s[6:7]
	s_and_saveexec_b64 s[6:7], s[4:5]
	s_cbranch_execz .LBB1_31239
; %bb.55311:
	s_getpc_b64 s[14:15]
.Lpost_getpc13319:
	s_add_u32 s14, s14, (.LBB1_5135-.Lpost_getpc13319)&4294967295
	s_addc_u32 s15, s15, (.LBB1_5135-.Lpost_getpc13319)>>32
	s_setpc_b64 s[14:15]
.LBB1_31239:
	s_getpc_b64 s[14:15]
.Lpost_getpc1283:
	s_add_u32 s14, s14, (.LBB1_5136-.Lpost_getpc1283)&4294967295
	s_addc_u32 s15, s15, (.LBB1_5136-.Lpost_getpc1283)>>32
	s_setpc_b64 s[14:15]
.LBB1_19473:
	s_movk_i32 s4, 0x80
	v_cmp_eq_u16_e32 vcc, s4, v13
	s_mov_b64 s[4:5], -1
                                        ; implicit-def: $sgpr10
	s_and_saveexec_b64 s[8:9], vcc
; %bb.19474:
	s_mov_b32 s10, 0x7f800001
	s_xor_b64 s[4:5], exec, -1
; %bb.19475:
	s_or_b64 exec, exec, s[8:9]
	s_and_b64 s[4:5], s[4:5], exec
                                        ; implicit-def: $vgpr13
	s_or_saveexec_b64 s[6:7], s[6:7]
	v_mov_b32_e32 v12, s10
	s_xor_b64 exec, exec, s[6:7]
	s_cbranch_execnz .LBB1_19476
; %bb.55313:
	s_getpc_b64 s[14:15]
.Lpost_getpc13320:
	s_add_u32 s14, s14, (.LBB1_5138-.Lpost_getpc13320)&4294967295
	s_addc_u32 s15, s15, (.LBB1_5138-.Lpost_getpc13320)>>32
	s_setpc_b64 s[14:15]
.LBB1_19476:
	v_cmp_ne_u16_e32 vcc, 0, v13
	s_andn2_b64 s[4:5], s[4:5], exec
	s_and_b64 s[8:9], vcc, exec
	v_mov_b32_e32 v12, 0
	s_or_b64 s[4:5], s[4:5], s[8:9]
	s_or_b64 exec, exec, s[6:7]
	s_and_saveexec_b64 s[6:7], s[4:5]
	s_cbranch_execz .LBB1_31241
; %bb.55315:
	s_getpc_b64 s[14:15]
.Lpost_getpc13321:
	s_add_u32 s14, s14, (.LBB1_5139-.Lpost_getpc13321)&4294967295
	s_addc_u32 s15, s15, (.LBB1_5139-.Lpost_getpc13321)>>32
	s_setpc_b64 s[14:15]
.LBB1_31241:
	s_getpc_b64 s[14:15]
.Lpost_getpc1284:
	s_add_u32 s14, s14, (.LBB1_5140-.Lpost_getpc1284)&4294967295
	s_addc_u32 s15, s15, (.LBB1_5140-.Lpost_getpc1284)>>32
	s_setpc_b64 s[14:15]
.LBB1_19477:
	s_movk_i32 s4, 0x80
	v_cmp_eq_u16_e32 vcc, s4, v13
	s_mov_b64 s[4:5], -1
                                        ; implicit-def: $sgpr10
	s_and_saveexec_b64 s[8:9], vcc
; %bb.19478:
	s_mov_b32 s10, 0x7f800001
	s_xor_b64 s[4:5], exec, -1
; %bb.19479:
	s_or_b64 exec, exec, s[8:9]
	s_and_b64 s[4:5], s[4:5], exec
                                        ; implicit-def: $vgpr13
	s_or_saveexec_b64 s[6:7], s[6:7]
	v_mov_b32_e32 v14, s10
	s_xor_b64 exec, exec, s[6:7]
	s_cbranch_execnz .LBB1_19480
; %bb.55317:
	s_getpc_b64 s[14:15]
.Lpost_getpc13322:
	s_add_u32 s14, s14, (.LBB1_5142-.Lpost_getpc13322)&4294967295
	s_addc_u32 s15, s15, (.LBB1_5142-.Lpost_getpc13322)>>32
	s_setpc_b64 s[14:15]
.LBB1_19480:
	v_cmp_ne_u16_e32 vcc, 0, v13
	s_andn2_b64 s[4:5], s[4:5], exec
	s_and_b64 s[8:9], vcc, exec
	v_mov_b32_e32 v14, 0
	s_or_b64 s[4:5], s[4:5], s[8:9]
	s_or_b64 exec, exec, s[6:7]
	s_and_saveexec_b64 s[6:7], s[4:5]
	s_cbranch_execz .LBB1_31243
; %bb.55319:
	s_getpc_b64 s[14:15]
.Lpost_getpc13323:
	s_add_u32 s14, s14, (.LBB1_5143-.Lpost_getpc13323)&4294967295
	s_addc_u32 s15, s15, (.LBB1_5143-.Lpost_getpc13323)>>32
	s_setpc_b64 s[14:15]
.LBB1_31243:
	s_getpc_b64 s[14:15]
.Lpost_getpc1285:
	s_add_u32 s14, s14, (.LBB1_5144-.Lpost_getpc1285)&4294967295
	s_addc_u32 s15, s15, (.LBB1_5144-.Lpost_getpc1285)>>32
	s_setpc_b64 s[14:15]
.LBB1_19481:
	s_movk_i32 s4, 0x80
	v_cmp_eq_u16_sdwa s[12:13], v6, s4 src0_sel:BYTE_3 src1_sel:DWORD
	s_mov_b64 s[4:5], -1
                                        ; implicit-def: $sgpr10
	s_and_saveexec_b64 s[8:9], s[12:13]
; %bb.19482:
	s_mov_b32 s10, 0x7f800001
	s_xor_b64 s[4:5], exec, -1
; %bb.19483:
	s_or_b64 exec, exec, s[8:9]
	s_and_b64 s[4:5], s[4:5], exec
	s_or_saveexec_b64 s[6:7], s[6:7]
	v_mov_b32_e32 v12, s10
	s_xor_b64 exec, exec, s[6:7]
	s_cbranch_execnz .LBB1_19484
; %bb.55321:
	s_getpc_b64 s[14:15]
.Lpost_getpc13324:
	s_add_u32 s14, s14, (.LBB1_5146-.Lpost_getpc13324)&4294967295
	s_addc_u32 s15, s15, (.LBB1_5146-.Lpost_getpc13324)>>32
	s_setpc_b64 s[14:15]
.LBB1_19484:
	v_mov_b32_e32 v12, 0
	v_cmp_ne_u16_sdwa s[8:9], v6, v12 src0_sel:BYTE_3 src1_sel:DWORD
	s_andn2_b64 s[4:5], s[4:5], exec
	s_and_b64 s[8:9], s[8:9], exec
	s_or_b64 s[4:5], s[4:5], s[8:9]
	s_or_b64 exec, exec, s[6:7]
	s_and_saveexec_b64 s[6:7], s[4:5]
	s_cbranch_execz .LBB1_31245
; %bb.55323:
	s_getpc_b64 s[14:15]
.Lpost_getpc13325:
	s_add_u32 s14, s14, (.LBB1_5147-.Lpost_getpc13325)&4294967295
	s_addc_u32 s15, s15, (.LBB1_5147-.Lpost_getpc13325)>>32
	s_setpc_b64 s[14:15]
.LBB1_31245:
	s_getpc_b64 s[14:15]
.Lpost_getpc1286:
	s_add_u32 s14, s14, (.LBB1_5148-.Lpost_getpc1286)&4294967295
	s_addc_u32 s15, s15, (.LBB1_5148-.Lpost_getpc1286)>>32
	s_setpc_b64 s[14:15]
.LBB1_19485:
	s_movk_i32 s4, 0x80
	v_cmp_eq_u16_sdwa s[12:13], v2, s4 src0_sel:BYTE_3 src1_sel:DWORD
	s_mov_b64 s[4:5], -1
                                        ; implicit-def: $sgpr10
	s_and_saveexec_b64 s[8:9], s[12:13]
; %bb.19486:
	s_mov_b32 s10, 0x7f800001
	s_xor_b64 s[4:5], exec, -1
; %bb.19487:
	s_or_b64 exec, exec, s[8:9]
	s_and_b64 s[4:5], s[4:5], exec
	s_or_saveexec_b64 s[6:7], s[6:7]
	v_mov_b32_e32 v6, s10
	s_xor_b64 exec, exec, s[6:7]
	s_cbranch_execnz .LBB1_19488
; %bb.55325:
	s_getpc_b64 s[14:15]
.Lpost_getpc13326:
	s_add_u32 s14, s14, (.LBB1_5150-.Lpost_getpc13326)&4294967295
	s_addc_u32 s15, s15, (.LBB1_5150-.Lpost_getpc13326)>>32
	s_setpc_b64 s[14:15]
.LBB1_19488:
	v_mov_b32_e32 v6, 0
	v_cmp_ne_u16_sdwa s[8:9], v2, v6 src0_sel:BYTE_3 src1_sel:DWORD
	s_andn2_b64 s[4:5], s[4:5], exec
	s_and_b64 s[8:9], s[8:9], exec
	s_or_b64 s[4:5], s[4:5], s[8:9]
	s_or_b64 exec, exec, s[6:7]
	s_and_saveexec_b64 s[6:7], s[4:5]
	s_cbranch_execz .LBB1_31247
; %bb.55327:
	s_getpc_b64 s[14:15]
.Lpost_getpc13327:
	s_add_u32 s14, s14, (.LBB1_5151-.Lpost_getpc13327)&4294967295
	s_addc_u32 s15, s15, (.LBB1_5151-.Lpost_getpc13327)>>32
	s_setpc_b64 s[14:15]
.LBB1_31247:
	s_getpc_b64 s[14:15]
.Lpost_getpc1287:
	s_add_u32 s14, s14, (.LBB1_5152-.Lpost_getpc1287)&4294967295
	s_addc_u32 s15, s15, (.LBB1_5152-.Lpost_getpc1287)>>32
	s_setpc_b64 s[14:15]
.LBB1_19489:
	s_movk_i32 s4, 0x80
	v_cmp_eq_u16_sdwa s[12:13], v7, s4 src0_sel:BYTE_0 src1_sel:DWORD
	s_mov_b64 s[4:5], -1
                                        ; implicit-def: $sgpr10
	s_and_saveexec_b64 s[8:9], s[12:13]
; %bb.19490:
	s_mov_b32 s10, 0x7f800001
	s_xor_b64 s[4:5], exec, -1
; %bb.19491:
	s_or_b64 exec, exec, s[8:9]
	s_and_b64 s[4:5], s[4:5], exec
	s_or_saveexec_b64 s[6:7], s[6:7]
	v_mov_b32_e32 v2, s10
	s_xor_b64 exec, exec, s[6:7]
	s_cbranch_execnz .LBB1_19492
; %bb.55329:
	s_getpc_b64 s[14:15]
.Lpost_getpc13328:
	s_add_u32 s14, s14, (.LBB1_5154-.Lpost_getpc13328)&4294967295
	s_addc_u32 s15, s15, (.LBB1_5154-.Lpost_getpc13328)>>32
	s_setpc_b64 s[14:15]
.LBB1_19492:
	v_mov_b32_e32 v2, 0
	v_cmp_ne_u16_sdwa s[8:9], v7, v2 src0_sel:BYTE_0 src1_sel:DWORD
	s_andn2_b64 s[4:5], s[4:5], exec
	s_and_b64 s[8:9], s[8:9], exec
	s_or_b64 s[4:5], s[4:5], s[8:9]
	s_or_b64 exec, exec, s[6:7]
	s_and_saveexec_b64 s[6:7], s[4:5]
	s_cbranch_execz .LBB1_31249
; %bb.55331:
	s_getpc_b64 s[14:15]
.Lpost_getpc13329:
	s_add_u32 s14, s14, (.LBB1_5155-.Lpost_getpc13329)&4294967295
	s_addc_u32 s15, s15, (.LBB1_5155-.Lpost_getpc13329)>>32
	s_setpc_b64 s[14:15]
.LBB1_31249:
	s_getpc_b64 s[14:15]
.Lpost_getpc1288:
	s_add_u32 s14, s14, (.LBB1_5156-.Lpost_getpc1288)&4294967295
	s_addc_u32 s15, s15, (.LBB1_5156-.Lpost_getpc1288)>>32
	s_setpc_b64 s[14:15]
.LBB1_19493:
	s_movk_i32 s4, 0x80
	v_cmp_eq_u16_sdwa s[12:13], v3, s4 src0_sel:BYTE_0 src1_sel:DWORD
	s_mov_b64 s[4:5], -1
                                        ; implicit-def: $sgpr10
	s_and_saveexec_b64 s[8:9], s[12:13]
; %bb.19494:
	s_mov_b32 s10, 0x7f800001
	s_xor_b64 s[4:5], exec, -1
; %bb.19495:
	s_or_b64 exec, exec, s[8:9]
	s_and_b64 s[4:5], s[4:5], exec
	s_or_saveexec_b64 s[6:7], s[6:7]
	v_mov_b32_e32 v6, s10
	s_xor_b64 exec, exec, s[6:7]
	s_cbranch_execnz .LBB1_19496
; %bb.55333:
	s_getpc_b64 s[14:15]
.Lpost_getpc13330:
	s_add_u32 s14, s14, (.LBB1_5158-.Lpost_getpc13330)&4294967295
	s_addc_u32 s15, s15, (.LBB1_5158-.Lpost_getpc13330)>>32
	s_setpc_b64 s[14:15]
.LBB1_19496:
	v_mov_b32_e32 v6, 0
	v_cmp_ne_u16_sdwa s[8:9], v3, v6 src0_sel:BYTE_0 src1_sel:DWORD
	s_andn2_b64 s[4:5], s[4:5], exec
	s_and_b64 s[8:9], s[8:9], exec
	s_or_b64 s[4:5], s[4:5], s[8:9]
	s_or_b64 exec, exec, s[6:7]
	s_and_saveexec_b64 s[6:7], s[4:5]
	s_cbranch_execz .LBB1_31251
; %bb.55335:
	s_getpc_b64 s[14:15]
.Lpost_getpc13331:
	s_add_u32 s14, s14, (.LBB1_5159-.Lpost_getpc13331)&4294967295
	s_addc_u32 s15, s15, (.LBB1_5159-.Lpost_getpc13331)>>32
	s_setpc_b64 s[14:15]
.LBB1_31251:
	s_getpc_b64 s[14:15]
.Lpost_getpc1289:
	s_add_u32 s14, s14, (.LBB1_5160-.Lpost_getpc1289)&4294967295
	s_addc_u32 s15, s15, (.LBB1_5160-.Lpost_getpc1289)>>32
	s_setpc_b64 s[14:15]
.LBB1_19497:
	s_movk_i32 s4, 0x80
	v_cmp_eq_u16_sdwa s[12:13], v6, s4 src0_sel:BYTE_0 src1_sel:DWORD
	s_mov_b64 s[4:5], -1
                                        ; implicit-def: $sgpr10
	s_and_saveexec_b64 s[8:9], s[12:13]
; %bb.19498:
	s_mov_b32 s10, 0x7f800001
	s_xor_b64 s[4:5], exec, -1
; %bb.19499:
	s_or_b64 exec, exec, s[8:9]
	s_and_b64 s[4:5], s[4:5], exec
	s_or_saveexec_b64 s[6:7], s[6:7]
	v_mov_b32_e32 v2, s10
	s_xor_b64 exec, exec, s[6:7]
	s_cbranch_execnz .LBB1_19500
; %bb.55337:
	s_getpc_b64 s[14:15]
.Lpost_getpc13332:
	s_add_u32 s14, s14, (.LBB1_5162-.Lpost_getpc13332)&4294967295
	s_addc_u32 s15, s15, (.LBB1_5162-.Lpost_getpc13332)>>32
	s_setpc_b64 s[14:15]
.LBB1_19500:
	v_mov_b32_e32 v2, 0
	v_cmp_ne_u16_sdwa s[8:9], v6, v2 src0_sel:BYTE_0 src1_sel:DWORD
	s_andn2_b64 s[4:5], s[4:5], exec
	s_and_b64 s[8:9], s[8:9], exec
	s_or_b64 s[4:5], s[4:5], s[8:9]
	s_or_b64 exec, exec, s[6:7]
	s_and_saveexec_b64 s[6:7], s[4:5]
	s_cbranch_execz .LBB1_31253
; %bb.55339:
	s_getpc_b64 s[14:15]
.Lpost_getpc13333:
	s_add_u32 s14, s14, (.LBB1_5163-.Lpost_getpc13333)&4294967295
	s_addc_u32 s15, s15, (.LBB1_5163-.Lpost_getpc13333)>>32
	s_setpc_b64 s[14:15]
.LBB1_31253:
	s_getpc_b64 s[14:15]
.Lpost_getpc1290:
	s_add_u32 s14, s14, (.LBB1_5164-.Lpost_getpc1290)&4294967295
	s_addc_u32 s15, s15, (.LBB1_5164-.Lpost_getpc1290)>>32
	s_setpc_b64 s[14:15]
.LBB1_19501:
	s_movk_i32 s4, 0x80
	v_cmp_eq_u16_sdwa s[12:13], v6, s4 src0_sel:BYTE_0 src1_sel:DWORD
	s_mov_b64 s[4:5], -1
                                        ; implicit-def: $sgpr10
	s_and_saveexec_b64 s[8:9], s[12:13]
; %bb.19502:
	s_mov_b32 s10, 0x7f800001
	s_xor_b64 s[4:5], exec, -1
; %bb.19503:
	s_or_b64 exec, exec, s[8:9]
	s_and_b64 s[4:5], s[4:5], exec
	s_or_saveexec_b64 s[6:7], s[6:7]
	v_mov_b32_e32 v12, s10
	s_xor_b64 exec, exec, s[6:7]
	s_cbranch_execnz .LBB1_19504
; %bb.55341:
	s_getpc_b64 s[14:15]
.Lpost_getpc13334:
	s_add_u32 s14, s14, (.LBB1_5166-.Lpost_getpc13334)&4294967295
	s_addc_u32 s15, s15, (.LBB1_5166-.Lpost_getpc13334)>>32
	s_setpc_b64 s[14:15]
.LBB1_19504:
	v_mov_b32_e32 v12, 0
	v_cmp_ne_u16_sdwa s[8:9], v6, v12 src0_sel:BYTE_0 src1_sel:DWORD
	s_andn2_b64 s[4:5], s[4:5], exec
	s_and_b64 s[8:9], s[8:9], exec
	s_or_b64 s[4:5], s[4:5], s[8:9]
	s_or_b64 exec, exec, s[6:7]
	s_and_saveexec_b64 s[6:7], s[4:5]
	s_cbranch_execz .LBB1_31255
; %bb.55343:
	s_getpc_b64 s[14:15]
.Lpost_getpc13335:
	s_add_u32 s14, s14, (.LBB1_5167-.Lpost_getpc13335)&4294967295
	s_addc_u32 s15, s15, (.LBB1_5167-.Lpost_getpc13335)>>32
	s_setpc_b64 s[14:15]
.LBB1_31255:
	s_getpc_b64 s[14:15]
.Lpost_getpc1291:
	s_add_u32 s14, s14, (.LBB1_5168-.Lpost_getpc1291)&4294967295
	s_addc_u32 s15, s15, (.LBB1_5168-.Lpost_getpc1291)>>32
	s_setpc_b64 s[14:15]
.LBB1_19505:
	s_movk_i32 s4, 0x80
	v_cmp_eq_u16_e32 vcc, s4, v6
	s_mov_b64 s[4:5], -1
                                        ; implicit-def: $sgpr10
	s_and_saveexec_b64 s[8:9], vcc
; %bb.19506:
	s_mov_b32 s10, 0x7f800001
	s_xor_b64 s[4:5], exec, -1
; %bb.19507:
	s_or_b64 exec, exec, s[8:9]
	s_and_b64 s[4:5], s[4:5], exec
                                        ; implicit-def: $vgpr6
	s_or_saveexec_b64 s[6:7], s[6:7]
	v_mov_b32_e32 v2, s10
	s_xor_b64 exec, exec, s[6:7]
	s_cbranch_execnz .LBB1_19508
; %bb.55345:
	s_getpc_b64 s[14:15]
.Lpost_getpc13336:
	s_add_u32 s14, s14, (.LBB1_5170-.Lpost_getpc13336)&4294967295
	s_addc_u32 s15, s15, (.LBB1_5170-.Lpost_getpc13336)>>32
	s_setpc_b64 s[14:15]
.LBB1_19508:
	v_cmp_ne_u16_e32 vcc, 0, v6
	s_andn2_b64 s[4:5], s[4:5], exec
	s_and_b64 s[8:9], vcc, exec
	v_mov_b32_e32 v2, 0
	s_or_b64 s[4:5], s[4:5], s[8:9]
	s_or_b64 exec, exec, s[6:7]
	s_and_saveexec_b64 s[6:7], s[4:5]
	s_cbranch_execz .LBB1_31257
; %bb.55347:
	s_getpc_b64 s[14:15]
.Lpost_getpc13337:
	s_add_u32 s14, s14, (.LBB1_5171-.Lpost_getpc13337)&4294967295
	s_addc_u32 s15, s15, (.LBB1_5171-.Lpost_getpc13337)>>32
	s_setpc_b64 s[14:15]
.LBB1_31257:
	s_getpc_b64 s[14:15]
.Lpost_getpc1292:
	s_add_u32 s14, s14, (.LBB1_5172-.Lpost_getpc1292)&4294967295
	s_addc_u32 s15, s15, (.LBB1_5172-.Lpost_getpc1292)>>32
	s_setpc_b64 s[14:15]
.LBB1_19509:
	s_movk_i32 s4, 0x80
	v_cmp_eq_u16_e32 vcc, s4, v6
	s_mov_b64 s[4:5], -1
                                        ; implicit-def: $sgpr10
	s_and_saveexec_b64 s[8:9], vcc
; %bb.19510:
	s_mov_b32 s10, 0x7f800001
	s_xor_b64 s[4:5], exec, -1
; %bb.19511:
	s_or_b64 exec, exec, s[8:9]
	s_and_b64 s[4:5], s[4:5], exec
                                        ; implicit-def: $vgpr6
	s_or_saveexec_b64 s[6:7], s[6:7]
	v_mov_b32_e32 v12, s10
	s_xor_b64 exec, exec, s[6:7]
	s_cbranch_execnz .LBB1_19512
; %bb.55349:
	s_getpc_b64 s[14:15]
.Lpost_getpc13338:
	s_add_u32 s14, s14, (.LBB1_5174-.Lpost_getpc13338)&4294967295
	s_addc_u32 s15, s15, (.LBB1_5174-.Lpost_getpc13338)>>32
	s_setpc_b64 s[14:15]
.LBB1_19512:
	v_cmp_ne_u16_e32 vcc, 0, v6
	s_andn2_b64 s[4:5], s[4:5], exec
	s_and_b64 s[8:9], vcc, exec
	v_mov_b32_e32 v12, 0
	s_or_b64 s[4:5], s[4:5], s[8:9]
	s_or_b64 exec, exec, s[6:7]
	s_and_saveexec_b64 s[6:7], s[4:5]
	s_cbranch_execz .LBB1_31259
; %bb.55351:
	s_getpc_b64 s[14:15]
.Lpost_getpc13339:
	s_add_u32 s14, s14, (.LBB1_5175-.Lpost_getpc13339)&4294967295
	s_addc_u32 s15, s15, (.LBB1_5175-.Lpost_getpc13339)>>32
	s_setpc_b64 s[14:15]
.LBB1_31259:
	s_getpc_b64 s[14:15]
.Lpost_getpc1293:
	s_add_u32 s14, s14, (.LBB1_5176-.Lpost_getpc1293)&4294967295
	s_addc_u32 s15, s15, (.LBB1_5176-.Lpost_getpc1293)>>32
	s_setpc_b64 s[14:15]
.LBB1_19513:
	s_movk_i32 s4, 0x80
	v_cmp_eq_u16_sdwa s[12:13], v7, s4 src0_sel:BYTE_3 src1_sel:DWORD
	s_mov_b64 s[4:5], -1
                                        ; implicit-def: $sgpr10
	s_and_saveexec_b64 s[8:9], s[12:13]
; %bb.19514:
	s_mov_b32 s10, 0x7f800001
	s_xor_b64 s[4:5], exec, -1
; %bb.19515:
	s_or_b64 exec, exec, s[8:9]
	s_and_b64 s[4:5], s[4:5], exec
	s_or_saveexec_b64 s[6:7], s[6:7]
	v_mov_b32_e32 v2, s10
	s_xor_b64 exec, exec, s[6:7]
	s_cbranch_execnz .LBB1_19516
; %bb.55353:
	s_getpc_b64 s[14:15]
.Lpost_getpc13340:
	s_add_u32 s14, s14, (.LBB1_5178-.Lpost_getpc13340)&4294967295
	s_addc_u32 s15, s15, (.LBB1_5178-.Lpost_getpc13340)>>32
	s_setpc_b64 s[14:15]
.LBB1_19516:
	v_mov_b32_e32 v2, 0
	v_cmp_ne_u16_sdwa s[8:9], v7, v2 src0_sel:BYTE_3 src1_sel:DWORD
	s_andn2_b64 s[4:5], s[4:5], exec
	s_and_b64 s[8:9], s[8:9], exec
	s_or_b64 s[4:5], s[4:5], s[8:9]
	s_or_b64 exec, exec, s[6:7]
	s_and_saveexec_b64 s[6:7], s[4:5]
	s_cbranch_execz .LBB1_31261
; %bb.55355:
	s_getpc_b64 s[14:15]
.Lpost_getpc13341:
	s_add_u32 s14, s14, (.LBB1_5179-.Lpost_getpc13341)&4294967295
	s_addc_u32 s15, s15, (.LBB1_5179-.Lpost_getpc13341)>>32
	s_setpc_b64 s[14:15]
.LBB1_31261:
	s_getpc_b64 s[14:15]
.Lpost_getpc1294:
	s_add_u32 s14, s14, (.LBB1_5180-.Lpost_getpc1294)&4294967295
	s_addc_u32 s15, s15, (.LBB1_5180-.Lpost_getpc1294)>>32
	s_setpc_b64 s[14:15]
.LBB1_19517:
	s_movk_i32 s4, 0x80
	v_cmp_eq_u16_sdwa s[12:13], v3, s4 src0_sel:BYTE_3 src1_sel:DWORD
	s_mov_b64 s[4:5], -1
                                        ; implicit-def: $sgpr10
	s_and_saveexec_b64 s[8:9], s[12:13]
; %bb.19518:
	s_mov_b32 s10, 0x7f800001
	s_xor_b64 s[4:5], exec, -1
; %bb.19519:
	s_or_b64 exec, exec, s[8:9]
	s_and_b64 s[4:5], s[4:5], exec
	s_or_saveexec_b64 s[6:7], s[6:7]
	v_mov_b32_e32 v6, s10
	s_xor_b64 exec, exec, s[6:7]
	s_cbranch_execnz .LBB1_19520
; %bb.55357:
	s_getpc_b64 s[14:15]
.Lpost_getpc13342:
	s_add_u32 s14, s14, (.LBB1_5182-.Lpost_getpc13342)&4294967295
	s_addc_u32 s15, s15, (.LBB1_5182-.Lpost_getpc13342)>>32
	s_setpc_b64 s[14:15]
.LBB1_19520:
	v_mov_b32_e32 v6, 0
	v_cmp_ne_u16_sdwa s[8:9], v3, v6 src0_sel:BYTE_3 src1_sel:DWORD
	s_andn2_b64 s[4:5], s[4:5], exec
	s_and_b64 s[8:9], s[8:9], exec
	s_or_b64 s[4:5], s[4:5], s[8:9]
	s_or_b64 exec, exec, s[6:7]
	s_and_saveexec_b64 s[6:7], s[4:5]
	s_cbranch_execz .LBB1_31263
; %bb.55359:
	s_getpc_b64 s[14:15]
.Lpost_getpc13343:
	s_add_u32 s14, s14, (.LBB1_5183-.Lpost_getpc13343)&4294967295
	s_addc_u32 s15, s15, (.LBB1_5183-.Lpost_getpc13343)>>32
	s_setpc_b64 s[14:15]
.LBB1_31263:
	s_getpc_b64 s[14:15]
.Lpost_getpc1295:
	s_add_u32 s14, s14, (.LBB1_5184-.Lpost_getpc1295)&4294967295
	s_addc_u32 s15, s15, (.LBB1_5184-.Lpost_getpc1295)>>32
	s_setpc_b64 s[14:15]
.LBB1_19521:
	s_movk_i32 s4, 0x80
	v_cmp_eq_u16_sdwa s[12:13], v8, s4 src0_sel:BYTE_0 src1_sel:DWORD
	s_mov_b64 s[4:5], -1
                                        ; implicit-def: $sgpr10
	s_and_saveexec_b64 s[8:9], s[12:13]
; %bb.19522:
	s_mov_b32 s10, 0x7f800001
	s_xor_b64 s[4:5], exec, -1
; %bb.19523:
	s_or_b64 exec, exec, s[8:9]
	s_and_b64 s[4:5], s[4:5], exec
	s_or_saveexec_b64 s[6:7], s[6:7]
	v_mov_b32_e32 v2, s10
	s_xor_b64 exec, exec, s[6:7]
	s_cbranch_execnz .LBB1_19524
; %bb.55361:
	s_getpc_b64 s[14:15]
.Lpost_getpc13344:
	s_add_u32 s14, s14, (.LBB1_5186-.Lpost_getpc13344)&4294967295
	s_addc_u32 s15, s15, (.LBB1_5186-.Lpost_getpc13344)>>32
	s_setpc_b64 s[14:15]
.LBB1_19524:
	v_mov_b32_e32 v2, 0
	v_cmp_ne_u16_sdwa s[8:9], v8, v2 src0_sel:BYTE_0 src1_sel:DWORD
	s_andn2_b64 s[4:5], s[4:5], exec
	s_and_b64 s[8:9], s[8:9], exec
	s_or_b64 s[4:5], s[4:5], s[8:9]
	s_or_b64 exec, exec, s[6:7]
	s_and_saveexec_b64 s[6:7], s[4:5]
	s_cbranch_execz .LBB1_31265
; %bb.55363:
	s_getpc_b64 s[14:15]
.Lpost_getpc13345:
	s_add_u32 s14, s14, (.LBB1_5187-.Lpost_getpc13345)&4294967295
	s_addc_u32 s15, s15, (.LBB1_5187-.Lpost_getpc13345)>>32
	s_setpc_b64 s[14:15]
.LBB1_31265:
	s_getpc_b64 s[14:15]
.Lpost_getpc1296:
	s_add_u32 s14, s14, (.LBB1_5188-.Lpost_getpc1296)&4294967295
	s_addc_u32 s15, s15, (.LBB1_5188-.Lpost_getpc1296)>>32
	s_setpc_b64 s[14:15]
.LBB1_19525:
	s_movk_i32 s4, 0x80
	v_cmp_eq_u16_sdwa s[12:13], v4, s4 src0_sel:BYTE_0 src1_sel:DWORD
	s_mov_b64 s[4:5], -1
                                        ; implicit-def: $sgpr10
	s_and_saveexec_b64 s[8:9], s[12:13]
; %bb.19526:
	s_mov_b32 s10, 0x7f800001
	s_xor_b64 s[4:5], exec, -1
; %bb.19527:
	s_or_b64 exec, exec, s[8:9]
	s_and_b64 s[4:5], s[4:5], exec
	s_or_saveexec_b64 s[6:7], s[6:7]
	v_mov_b32_e32 v3, s10
	s_xor_b64 exec, exec, s[6:7]
	s_cbranch_execnz .LBB1_19528
; %bb.55365:
	s_getpc_b64 s[14:15]
.Lpost_getpc13346:
	s_add_u32 s14, s14, (.LBB1_5190-.Lpost_getpc13346)&4294967295
	s_addc_u32 s15, s15, (.LBB1_5190-.Lpost_getpc13346)>>32
	s_setpc_b64 s[14:15]
.LBB1_19528:
	v_mov_b32_e32 v3, 0
	v_cmp_ne_u16_sdwa s[8:9], v4, v3 src0_sel:BYTE_0 src1_sel:DWORD
	s_andn2_b64 s[4:5], s[4:5], exec
	s_and_b64 s[8:9], s[8:9], exec
	s_or_b64 s[4:5], s[4:5], s[8:9]
	s_or_b64 exec, exec, s[6:7]
	s_and_saveexec_b64 s[6:7], s[4:5]
	s_cbranch_execz .LBB1_31267
; %bb.55367:
	s_getpc_b64 s[14:15]
.Lpost_getpc13347:
	s_add_u32 s14, s14, (.LBB1_5191-.Lpost_getpc13347)&4294967295
	s_addc_u32 s15, s15, (.LBB1_5191-.Lpost_getpc13347)>>32
	s_setpc_b64 s[14:15]
.LBB1_31267:
	s_getpc_b64 s[14:15]
.Lpost_getpc1297:
	s_add_u32 s14, s14, (.LBB1_5192-.Lpost_getpc1297)&4294967295
	s_addc_u32 s15, s15, (.LBB1_5192-.Lpost_getpc1297)>>32
	s_setpc_b64 s[14:15]
.LBB1_19529:
	s_movk_i32 s4, 0x80
	v_cmp_eq_u16_sdwa s[12:13], v3, s4 src0_sel:BYTE_0 src1_sel:DWORD
	s_mov_b64 s[4:5], -1
                                        ; implicit-def: $sgpr10
	s_and_saveexec_b64 s[8:9], s[12:13]
; %bb.19530:
	s_mov_b32 s10, 0x7f800001
	s_xor_b64 s[4:5], exec, -1
; %bb.19531:
	s_or_b64 exec, exec, s[8:9]
	s_and_b64 s[4:5], s[4:5], exec
	s_or_saveexec_b64 s[6:7], s[6:7]
	v_mov_b32_e32 v2, s10
	s_xor_b64 exec, exec, s[6:7]
	s_cbranch_execnz .LBB1_19532
; %bb.55369:
	s_getpc_b64 s[14:15]
.Lpost_getpc13348:
	s_add_u32 s14, s14, (.LBB1_5194-.Lpost_getpc13348)&4294967295
	s_addc_u32 s15, s15, (.LBB1_5194-.Lpost_getpc13348)>>32
	s_setpc_b64 s[14:15]
.LBB1_19532:
	v_mov_b32_e32 v2, 0
	v_cmp_ne_u16_sdwa s[8:9], v3, v2 src0_sel:BYTE_0 src1_sel:DWORD
	s_andn2_b64 s[4:5], s[4:5], exec
	s_and_b64 s[8:9], s[8:9], exec
	s_or_b64 s[4:5], s[4:5], s[8:9]
	s_or_b64 exec, exec, s[6:7]
	s_and_saveexec_b64 s[6:7], s[4:5]
	s_cbranch_execz .LBB1_31269
; %bb.55371:
	s_getpc_b64 s[14:15]
.Lpost_getpc13349:
	s_add_u32 s14, s14, (.LBB1_5195-.Lpost_getpc13349)&4294967295
	s_addc_u32 s15, s15, (.LBB1_5195-.Lpost_getpc13349)>>32
	s_setpc_b64 s[14:15]
.LBB1_31269:
	s_getpc_b64 s[14:15]
.Lpost_getpc1298:
	s_add_u32 s14, s14, (.LBB1_5196-.Lpost_getpc1298)&4294967295
	s_addc_u32 s15, s15, (.LBB1_5196-.Lpost_getpc1298)>>32
	s_setpc_b64 s[14:15]
.LBB1_19533:
	s_movk_i32 s4, 0x80
	v_cmp_eq_u16_sdwa s[12:13], v3, s4 src0_sel:BYTE_0 src1_sel:DWORD
	s_mov_b64 s[4:5], -1
                                        ; implicit-def: $sgpr10
	s_and_saveexec_b64 s[8:9], s[12:13]
; %bb.19534:
	s_mov_b32 s10, 0x7f800001
	s_xor_b64 s[4:5], exec, -1
; %bb.19535:
	s_or_b64 exec, exec, s[8:9]
	s_and_b64 s[4:5], s[4:5], exec
	s_or_saveexec_b64 s[6:7], s[6:7]
	v_mov_b32_e32 v6, s10
	s_xor_b64 exec, exec, s[6:7]
	s_cbranch_execnz .LBB1_19536
; %bb.55373:
	s_getpc_b64 s[14:15]
.Lpost_getpc13350:
	s_add_u32 s14, s14, (.LBB1_5198-.Lpost_getpc13350)&4294967295
	s_addc_u32 s15, s15, (.LBB1_5198-.Lpost_getpc13350)>>32
	s_setpc_b64 s[14:15]
.LBB1_19536:
	v_mov_b32_e32 v6, 0
	v_cmp_ne_u16_sdwa s[8:9], v3, v6 src0_sel:BYTE_0 src1_sel:DWORD
	s_andn2_b64 s[4:5], s[4:5], exec
	s_and_b64 s[8:9], s[8:9], exec
	s_or_b64 s[4:5], s[4:5], s[8:9]
	s_or_b64 exec, exec, s[6:7]
	s_and_saveexec_b64 s[6:7], s[4:5]
	s_cbranch_execz .LBB1_31271
; %bb.55375:
	s_getpc_b64 s[14:15]
.Lpost_getpc13351:
	s_add_u32 s14, s14, (.LBB1_5199-.Lpost_getpc13351)&4294967295
	s_addc_u32 s15, s15, (.LBB1_5199-.Lpost_getpc13351)>>32
	s_setpc_b64 s[14:15]
.LBB1_31271:
	s_getpc_b64 s[14:15]
.Lpost_getpc1299:
	s_add_u32 s14, s14, (.LBB1_5200-.Lpost_getpc1299)&4294967295
	s_addc_u32 s15, s15, (.LBB1_5200-.Lpost_getpc1299)>>32
	s_setpc_b64 s[14:15]
.LBB1_19537:
	s_movk_i32 s4, 0x80
	v_cmp_eq_u16_e32 vcc, s4, v3
	s_mov_b64 s[4:5], -1
                                        ; implicit-def: $sgpr10
	s_and_saveexec_b64 s[8:9], vcc
; %bb.19538:
	s_mov_b32 s10, 0x7f800001
	s_xor_b64 s[4:5], exec, -1
; %bb.19539:
	s_or_b64 exec, exec, s[8:9]
	s_and_b64 s[4:5], s[4:5], exec
                                        ; implicit-def: $vgpr3
	s_or_saveexec_b64 s[6:7], s[6:7]
	v_mov_b32_e32 v2, s10
	s_xor_b64 exec, exec, s[6:7]
	s_cbranch_execnz .LBB1_19540
; %bb.55377:
	s_getpc_b64 s[14:15]
.Lpost_getpc13352:
	s_add_u32 s14, s14, (.LBB1_5202-.Lpost_getpc13352)&4294967295
	s_addc_u32 s15, s15, (.LBB1_5202-.Lpost_getpc13352)>>32
	s_setpc_b64 s[14:15]
.LBB1_19540:
	v_cmp_ne_u16_e32 vcc, 0, v3
	s_andn2_b64 s[4:5], s[4:5], exec
	s_and_b64 s[8:9], vcc, exec
	v_mov_b32_e32 v2, 0
	s_or_b64 s[4:5], s[4:5], s[8:9]
	s_or_b64 exec, exec, s[6:7]
	s_and_saveexec_b64 s[6:7], s[4:5]
	s_cbranch_execz .LBB1_31273
; %bb.55379:
	s_getpc_b64 s[14:15]
.Lpost_getpc13353:
	s_add_u32 s14, s14, (.LBB1_5203-.Lpost_getpc13353)&4294967295
	s_addc_u32 s15, s15, (.LBB1_5203-.Lpost_getpc13353)>>32
	s_setpc_b64 s[14:15]
.LBB1_31273:
	s_getpc_b64 s[14:15]
.Lpost_getpc1300:
	s_add_u32 s14, s14, (.LBB1_5204-.Lpost_getpc1300)&4294967295
	s_addc_u32 s15, s15, (.LBB1_5204-.Lpost_getpc1300)>>32
	s_setpc_b64 s[14:15]
.LBB1_19541:
	s_movk_i32 s4, 0x80
	v_cmp_eq_u16_e32 vcc, s4, v3
	s_mov_b64 s[4:5], -1
                                        ; implicit-def: $sgpr10
	s_and_saveexec_b64 s[8:9], vcc
; %bb.19542:
	s_mov_b32 s10, 0x7f800001
	s_xor_b64 s[4:5], exec, -1
; %bb.19543:
	s_or_b64 exec, exec, s[8:9]
	s_and_b64 s[4:5], s[4:5], exec
                                        ; implicit-def: $vgpr3
	s_or_saveexec_b64 s[6:7], s[6:7]
	v_mov_b32_e32 v6, s10
	s_xor_b64 exec, exec, s[6:7]
	s_cbranch_execnz .LBB1_19544
; %bb.55381:
	s_getpc_b64 s[14:15]
.Lpost_getpc13354:
	s_add_u32 s14, s14, (.LBB1_5206-.Lpost_getpc13354)&4294967295
	s_addc_u32 s15, s15, (.LBB1_5206-.Lpost_getpc13354)>>32
	s_setpc_b64 s[14:15]
.LBB1_19544:
	v_cmp_ne_u16_e32 vcc, 0, v3
	s_andn2_b64 s[4:5], s[4:5], exec
	s_and_b64 s[8:9], vcc, exec
	v_mov_b32_e32 v6, 0
	s_or_b64 s[4:5], s[4:5], s[8:9]
	s_or_b64 exec, exec, s[6:7]
	s_and_saveexec_b64 s[6:7], s[4:5]
	s_cbranch_execz .LBB1_31275
; %bb.55383:
	s_getpc_b64 s[14:15]
.Lpost_getpc13355:
	s_add_u32 s14, s14, (.LBB1_5207-.Lpost_getpc13355)&4294967295
	s_addc_u32 s15, s15, (.LBB1_5207-.Lpost_getpc13355)>>32
	s_setpc_b64 s[14:15]
.LBB1_31275:
	s_getpc_b64 s[14:15]
.Lpost_getpc1301:
	s_add_u32 s14, s14, (.LBB1_5208-.Lpost_getpc1301)&4294967295
	s_addc_u32 s15, s15, (.LBB1_5208-.Lpost_getpc1301)>>32
	s_setpc_b64 s[14:15]
.LBB1_19545:
	s_movk_i32 s4, 0x80
	v_cmp_eq_u16_sdwa s[12:13], v8, s4 src0_sel:BYTE_3 src1_sel:DWORD
	s_mov_b64 s[4:5], -1
                                        ; implicit-def: $sgpr10
	s_and_saveexec_b64 s[8:9], s[12:13]
; %bb.19546:
	s_mov_b32 s10, 0x7f800001
	s_xor_b64 s[4:5], exec, -1
; %bb.19547:
	s_or_b64 exec, exec, s[8:9]
	s_and_b64 s[4:5], s[4:5], exec
	s_or_saveexec_b64 s[6:7], s[6:7]
	v_mov_b32_e32 v2, s10
	s_xor_b64 exec, exec, s[6:7]
	s_cbranch_execnz .LBB1_19548
; %bb.55385:
	s_getpc_b64 s[14:15]
.Lpost_getpc13356:
	s_add_u32 s14, s14, (.LBB1_5210-.Lpost_getpc13356)&4294967295
	s_addc_u32 s15, s15, (.LBB1_5210-.Lpost_getpc13356)>>32
	s_setpc_b64 s[14:15]
.LBB1_19548:
	v_mov_b32_e32 v2, 0
	v_cmp_ne_u16_sdwa s[8:9], v8, v2 src0_sel:BYTE_3 src1_sel:DWORD
	s_andn2_b64 s[4:5], s[4:5], exec
	s_and_b64 s[8:9], s[8:9], exec
	s_or_b64 s[4:5], s[4:5], s[8:9]
	s_or_b64 exec, exec, s[6:7]
	s_and_saveexec_b64 s[6:7], s[4:5]
	s_cbranch_execz .LBB1_31277
; %bb.55387:
	s_getpc_b64 s[14:15]
.Lpost_getpc13357:
	s_add_u32 s14, s14, (.LBB1_5211-.Lpost_getpc13357)&4294967295
	s_addc_u32 s15, s15, (.LBB1_5211-.Lpost_getpc13357)>>32
	s_setpc_b64 s[14:15]
.LBB1_31277:
	s_getpc_b64 s[14:15]
.Lpost_getpc1302:
	s_add_u32 s14, s14, (.LBB1_5212-.Lpost_getpc1302)&4294967295
	s_addc_u32 s15, s15, (.LBB1_5212-.Lpost_getpc1302)>>32
	s_setpc_b64 s[14:15]
.LBB1_19549:
	s_movk_i32 s4, 0x80
	v_cmp_eq_u16_sdwa s[12:13], v4, s4 src0_sel:BYTE_3 src1_sel:DWORD
	s_mov_b64 s[4:5], -1
                                        ; implicit-def: $sgpr10
	s_and_saveexec_b64 s[8:9], s[12:13]
; %bb.19550:
	s_mov_b32 s10, 0x7f800001
	s_xor_b64 s[4:5], exec, -1
; %bb.19551:
	s_or_b64 exec, exec, s[8:9]
	s_and_b64 s[4:5], s[4:5], exec
	s_or_saveexec_b64 s[6:7], s[6:7]
	v_mov_b32_e32 v3, s10
	s_xor_b64 exec, exec, s[6:7]
	s_cbranch_execnz .LBB1_19552
; %bb.55389:
	s_getpc_b64 s[14:15]
.Lpost_getpc13358:
	s_add_u32 s14, s14, (.LBB1_5214-.Lpost_getpc13358)&4294967295
	s_addc_u32 s15, s15, (.LBB1_5214-.Lpost_getpc13358)>>32
	s_setpc_b64 s[14:15]
.LBB1_19552:
	v_mov_b32_e32 v3, 0
	v_cmp_ne_u16_sdwa s[8:9], v4, v3 src0_sel:BYTE_3 src1_sel:DWORD
	s_andn2_b64 s[4:5], s[4:5], exec
	s_and_b64 s[8:9], s[8:9], exec
	s_or_b64 s[4:5], s[4:5], s[8:9]
	s_or_b64 exec, exec, s[6:7]
	s_and_saveexec_b64 s[6:7], s[4:5]
	s_cbranch_execz .LBB1_31279
; %bb.55391:
	s_getpc_b64 s[14:15]
.Lpost_getpc13359:
	s_add_u32 s14, s14, (.LBB1_5215-.Lpost_getpc13359)&4294967295
	s_addc_u32 s15, s15, (.LBB1_5215-.Lpost_getpc13359)>>32
	s_setpc_b64 s[14:15]
.LBB1_31279:
	s_getpc_b64 s[14:15]
.Lpost_getpc1303:
	s_add_u32 s14, s14, (.LBB1_5216-.Lpost_getpc1303)&4294967295
	s_addc_u32 s15, s15, (.LBB1_5216-.Lpost_getpc1303)>>32
	s_setpc_b64 s[14:15]
.LBB1_19553:
	s_movk_i32 s4, 0x80
	v_cmp_eq_u16_sdwa s[12:13], v9, s4 src0_sel:BYTE_0 src1_sel:DWORD
	s_mov_b64 s[4:5], -1
                                        ; implicit-def: $sgpr10
	s_and_saveexec_b64 s[8:9], s[12:13]
; %bb.19554:
	s_mov_b32 s10, 0x7f800001
	s_xor_b64 s[4:5], exec, -1
; %bb.19555:
	s_or_b64 exec, exec, s[8:9]
	s_and_b64 s[4:5], s[4:5], exec
	s_or_saveexec_b64 s[6:7], s[6:7]
	v_mov_b32_e32 v2, s10
	s_xor_b64 exec, exec, s[6:7]
	s_cbranch_execnz .LBB1_19556
; %bb.55393:
	s_getpc_b64 s[14:15]
.Lpost_getpc13360:
	s_add_u32 s14, s14, (.LBB1_5218-.Lpost_getpc13360)&4294967295
	s_addc_u32 s15, s15, (.LBB1_5218-.Lpost_getpc13360)>>32
	s_setpc_b64 s[14:15]
.LBB1_19556:
	v_mov_b32_e32 v2, 0
	v_cmp_ne_u16_sdwa s[8:9], v9, v2 src0_sel:BYTE_0 src1_sel:DWORD
	s_andn2_b64 s[4:5], s[4:5], exec
	s_and_b64 s[8:9], s[8:9], exec
	s_or_b64 s[4:5], s[4:5], s[8:9]
	s_or_b64 exec, exec, s[6:7]
	s_and_saveexec_b64 s[6:7], s[4:5]
	s_cbranch_execz .LBB1_31281
; %bb.55395:
	s_getpc_b64 s[14:15]
.Lpost_getpc13361:
	s_add_u32 s14, s14, (.LBB1_5219-.Lpost_getpc13361)&4294967295
	s_addc_u32 s15, s15, (.LBB1_5219-.Lpost_getpc13361)>>32
	s_setpc_b64 s[14:15]
.LBB1_31281:
	s_getpc_b64 s[14:15]
.Lpost_getpc1304:
	s_add_u32 s14, s14, (.LBB1_5220-.Lpost_getpc1304)&4294967295
	s_addc_u32 s15, s15, (.LBB1_5220-.Lpost_getpc1304)>>32
	s_setpc_b64 s[14:15]
.LBB1_19557:
	s_movk_i32 s4, 0x80
	v_cmp_eq_u16_sdwa s[12:13], v5, s4 src0_sel:BYTE_0 src1_sel:DWORD
	s_mov_b64 s[4:5], -1
                                        ; implicit-def: $sgpr10
	s_and_saveexec_b64 s[8:9], s[12:13]
; %bb.19558:
	s_mov_b32 s10, 0x7f800001
	s_xor_b64 s[4:5], exec, -1
; %bb.19559:
	s_or_b64 exec, exec, s[8:9]
	s_and_b64 s[4:5], s[4:5], exec
	s_or_saveexec_b64 s[6:7], s[6:7]
	v_mov_b32_e32 v3, s10
	s_xor_b64 exec, exec, s[6:7]
	s_cbranch_execnz .LBB1_19560
; %bb.55397:
	s_getpc_b64 s[14:15]
.Lpost_getpc13362:
	s_add_u32 s14, s14, (.LBB1_5222-.Lpost_getpc13362)&4294967295
	s_addc_u32 s15, s15, (.LBB1_5222-.Lpost_getpc13362)>>32
	s_setpc_b64 s[14:15]
.LBB1_19560:
	v_mov_b32_e32 v3, 0
	v_cmp_ne_u16_sdwa s[8:9], v5, v3 src0_sel:BYTE_0 src1_sel:DWORD
	s_andn2_b64 s[4:5], s[4:5], exec
	s_and_b64 s[8:9], s[8:9], exec
	s_or_b64 s[4:5], s[4:5], s[8:9]
	s_or_b64 exec, exec, s[6:7]
	s_and_saveexec_b64 s[6:7], s[4:5]
	s_cbranch_execz .LBB1_31283
; %bb.55399:
	s_getpc_b64 s[14:15]
.Lpost_getpc13363:
	s_add_u32 s14, s14, (.LBB1_5223-.Lpost_getpc13363)&4294967295
	s_addc_u32 s15, s15, (.LBB1_5223-.Lpost_getpc13363)>>32
	s_setpc_b64 s[14:15]
.LBB1_31283:
	s_getpc_b64 s[14:15]
.Lpost_getpc1305:
	s_add_u32 s14, s14, (.LBB1_5224-.Lpost_getpc1305)&4294967295
	s_addc_u32 s15, s15, (.LBB1_5224-.Lpost_getpc1305)>>32
	s_setpc_b64 s[14:15]
.LBB1_19561:
	s_movk_i32 s4, 0x80
	v_cmp_eq_u16_sdwa s[12:13], v3, s4 src0_sel:BYTE_0 src1_sel:DWORD
	s_mov_b64 s[4:5], -1
                                        ; implicit-def: $sgpr10
	s_and_saveexec_b64 s[8:9], s[12:13]
; %bb.19562:
	s_mov_b32 s10, 0x7f800001
	s_xor_b64 s[4:5], exec, -1
; %bb.19563:
	s_or_b64 exec, exec, s[8:9]
	s_and_b64 s[4:5], s[4:5], exec
	s_or_saveexec_b64 s[6:7], s[6:7]
	v_mov_b32_e32 v2, s10
	s_xor_b64 exec, exec, s[6:7]
	s_cbranch_execnz .LBB1_19564
; %bb.55401:
	s_getpc_b64 s[14:15]
.Lpost_getpc13364:
	s_add_u32 s14, s14, (.LBB1_5226-.Lpost_getpc13364)&4294967295
	s_addc_u32 s15, s15, (.LBB1_5226-.Lpost_getpc13364)>>32
	s_setpc_b64 s[14:15]
.LBB1_19564:
	v_mov_b32_e32 v2, 0
	v_cmp_ne_u16_sdwa s[8:9], v3, v2 src0_sel:BYTE_0 src1_sel:DWORD
	s_andn2_b64 s[4:5], s[4:5], exec
	s_and_b64 s[8:9], s[8:9], exec
	s_or_b64 s[4:5], s[4:5], s[8:9]
	s_or_b64 exec, exec, s[6:7]
	s_and_saveexec_b64 s[6:7], s[4:5]
	s_cbranch_execz .LBB1_31285
; %bb.55403:
	s_getpc_b64 s[14:15]
.Lpost_getpc13365:
	s_add_u32 s14, s14, (.LBB1_5227-.Lpost_getpc13365)&4294967295
	s_addc_u32 s15, s15, (.LBB1_5227-.Lpost_getpc13365)>>32
	s_setpc_b64 s[14:15]
.LBB1_31285:
	s_getpc_b64 s[14:15]
.Lpost_getpc1306:
	s_add_u32 s14, s14, (.LBB1_5228-.Lpost_getpc1306)&4294967295
	s_addc_u32 s15, s15, (.LBB1_5228-.Lpost_getpc1306)>>32
	s_setpc_b64 s[14:15]
.LBB1_19565:
	s_movk_i32 s4, 0x80
	v_cmp_eq_u16_sdwa s[12:13], v3, s4 src0_sel:BYTE_0 src1_sel:DWORD
	s_mov_b64 s[4:5], -1
                                        ; implicit-def: $sgpr10
	s_and_saveexec_b64 s[8:9], s[12:13]
; %bb.19566:
	s_mov_b32 s10, 0x7f800001
	s_xor_b64 s[4:5], exec, -1
; %bb.19567:
	s_or_b64 exec, exec, s[8:9]
	s_and_b64 s[4:5], s[4:5], exec
	s_or_saveexec_b64 s[6:7], s[6:7]
	v_mov_b32_e32 v4, s10
	s_xor_b64 exec, exec, s[6:7]
	s_cbranch_execnz .LBB1_19568
; %bb.55405:
	s_getpc_b64 s[14:15]
.Lpost_getpc13366:
	s_add_u32 s14, s14, (.LBB1_5230-.Lpost_getpc13366)&4294967295
	s_addc_u32 s15, s15, (.LBB1_5230-.Lpost_getpc13366)>>32
	s_setpc_b64 s[14:15]
.LBB1_19568:
	v_mov_b32_e32 v4, 0
	v_cmp_ne_u16_sdwa s[8:9], v3, v4 src0_sel:BYTE_0 src1_sel:DWORD
	s_andn2_b64 s[4:5], s[4:5], exec
	s_and_b64 s[8:9], s[8:9], exec
	s_or_b64 s[4:5], s[4:5], s[8:9]
	s_or_b64 exec, exec, s[6:7]
	s_and_saveexec_b64 s[6:7], s[4:5]
	s_cbranch_execz .LBB1_31287
; %bb.55407:
	s_getpc_b64 s[14:15]
.Lpost_getpc13367:
	s_add_u32 s14, s14, (.LBB1_5231-.Lpost_getpc13367)&4294967295
	s_addc_u32 s15, s15, (.LBB1_5231-.Lpost_getpc13367)>>32
	s_setpc_b64 s[14:15]
.LBB1_31287:
	s_getpc_b64 s[14:15]
.Lpost_getpc1307:
	s_add_u32 s14, s14, (.LBB1_5232-.Lpost_getpc1307)&4294967295
	s_addc_u32 s15, s15, (.LBB1_5232-.Lpost_getpc1307)>>32
	s_setpc_b64 s[14:15]
.LBB1_19569:
	s_movk_i32 s4, 0x80
	v_cmp_eq_u16_e32 vcc, s4, v3
	s_mov_b64 s[4:5], -1
                                        ; implicit-def: $sgpr10
	s_and_saveexec_b64 s[8:9], vcc
; %bb.19570:
	s_mov_b32 s10, 0x7f800001
	s_xor_b64 s[4:5], exec, -1
; %bb.19571:
	s_or_b64 exec, exec, s[8:9]
	s_and_b64 s[4:5], s[4:5], exec
                                        ; implicit-def: $vgpr3
	s_or_saveexec_b64 s[6:7], s[6:7]
	v_mov_b32_e32 v2, s10
	s_xor_b64 exec, exec, s[6:7]
	s_cbranch_execnz .LBB1_19572
; %bb.55409:
	s_getpc_b64 s[14:15]
.Lpost_getpc13368:
	s_add_u32 s14, s14, (.LBB1_5234-.Lpost_getpc13368)&4294967295
	s_addc_u32 s15, s15, (.LBB1_5234-.Lpost_getpc13368)>>32
	s_setpc_b64 s[14:15]
.LBB1_19572:
	v_cmp_ne_u16_e32 vcc, 0, v3
	s_andn2_b64 s[4:5], s[4:5], exec
	s_and_b64 s[8:9], vcc, exec
	v_mov_b32_e32 v2, 0
	s_or_b64 s[4:5], s[4:5], s[8:9]
	s_or_b64 exec, exec, s[6:7]
	s_and_saveexec_b64 s[6:7], s[4:5]
	s_cbranch_execz .LBB1_31289
; %bb.55411:
	s_getpc_b64 s[14:15]
.Lpost_getpc13369:
	s_add_u32 s14, s14, (.LBB1_5235-.Lpost_getpc13369)&4294967295
	s_addc_u32 s15, s15, (.LBB1_5235-.Lpost_getpc13369)>>32
	s_setpc_b64 s[14:15]
.LBB1_31289:
	s_getpc_b64 s[14:15]
.Lpost_getpc1308:
	s_add_u32 s14, s14, (.LBB1_5236-.Lpost_getpc1308)&4294967295
	s_addc_u32 s15, s15, (.LBB1_5236-.Lpost_getpc1308)>>32
	s_setpc_b64 s[14:15]
.LBB1_19573:
	s_movk_i32 s4, 0x80
	v_cmp_eq_u16_e32 vcc, s4, v3
	s_mov_b64 s[4:5], -1
                                        ; implicit-def: $sgpr10
	s_and_saveexec_b64 s[8:9], vcc
; %bb.19574:
	s_mov_b32 s10, 0x7f800001
	s_xor_b64 s[4:5], exec, -1
; %bb.19575:
	s_or_b64 exec, exec, s[8:9]
	s_and_b64 s[4:5], s[4:5], exec
                                        ; implicit-def: $vgpr3
	s_or_saveexec_b64 s[6:7], s[6:7]
	v_mov_b32_e32 v4, s10
	s_xor_b64 exec, exec, s[6:7]
	s_cbranch_execnz .LBB1_19576
; %bb.55413:
	s_getpc_b64 s[14:15]
.Lpost_getpc13370:
	s_add_u32 s14, s14, (.LBB1_5238-.Lpost_getpc13370)&4294967295
	s_addc_u32 s15, s15, (.LBB1_5238-.Lpost_getpc13370)>>32
	s_setpc_b64 s[14:15]
.LBB1_19576:
	v_cmp_ne_u16_e32 vcc, 0, v3
	s_andn2_b64 s[4:5], s[4:5], exec
	s_and_b64 s[8:9], vcc, exec
	v_mov_b32_e32 v4, 0
	s_or_b64 s[4:5], s[4:5], s[8:9]
	s_or_b64 exec, exec, s[6:7]
	s_and_saveexec_b64 s[6:7], s[4:5]
	s_cbranch_execz .LBB1_31291
; %bb.55415:
	s_getpc_b64 s[14:15]
.Lpost_getpc13371:
	s_add_u32 s14, s14, (.LBB1_5239-.Lpost_getpc13371)&4294967295
	s_addc_u32 s15, s15, (.LBB1_5239-.Lpost_getpc13371)>>32
	s_setpc_b64 s[14:15]
.LBB1_31291:
	s_getpc_b64 s[14:15]
.Lpost_getpc1309:
	s_add_u32 s14, s14, (.LBB1_5240-.Lpost_getpc1309)&4294967295
	s_addc_u32 s15, s15, (.LBB1_5240-.Lpost_getpc1309)>>32
	s_setpc_b64 s[14:15]
.LBB1_19577:
	s_movk_i32 s4, 0x80
	v_cmp_eq_u16_sdwa s[12:13], v9, s4 src0_sel:BYTE_3 src1_sel:DWORD
	s_mov_b64 s[4:5], -1
                                        ; implicit-def: $sgpr10
	s_and_saveexec_b64 s[8:9], s[12:13]
; %bb.19578:
	s_mov_b32 s10, 0x7f800001
	s_xor_b64 s[4:5], exec, -1
; %bb.19579:
	s_or_b64 exec, exec, s[8:9]
	s_and_b64 s[4:5], s[4:5], exec
	s_or_saveexec_b64 s[6:7], s[6:7]
	v_mov_b32_e32 v2, s10
	s_xor_b64 exec, exec, s[6:7]
	s_cbranch_execnz .LBB1_19580
; %bb.55417:
	s_getpc_b64 s[14:15]
.Lpost_getpc13372:
	s_add_u32 s14, s14, (.LBB1_5242-.Lpost_getpc13372)&4294967295
	s_addc_u32 s15, s15, (.LBB1_5242-.Lpost_getpc13372)>>32
	s_setpc_b64 s[14:15]
.LBB1_19580:
	v_mov_b32_e32 v2, 0
	v_cmp_ne_u16_sdwa s[8:9], v9, v2 src0_sel:BYTE_3 src1_sel:DWORD
	s_andn2_b64 s[4:5], s[4:5], exec
	s_and_b64 s[8:9], s[8:9], exec
	s_or_b64 s[4:5], s[4:5], s[8:9]
	s_or_b64 exec, exec, s[6:7]
	s_and_saveexec_b64 s[6:7], s[4:5]
	s_cbranch_execz .LBB1_31293
; %bb.55419:
	s_getpc_b64 s[14:15]
.Lpost_getpc13373:
	s_add_u32 s14, s14, (.LBB1_5243-.Lpost_getpc13373)&4294967295
	s_addc_u32 s15, s15, (.LBB1_5243-.Lpost_getpc13373)>>32
	s_setpc_b64 s[14:15]
.LBB1_31293:
	s_getpc_b64 s[14:15]
.Lpost_getpc1310:
	s_add_u32 s14, s14, (.LBB1_5244-.Lpost_getpc1310)&4294967295
	s_addc_u32 s15, s15, (.LBB1_5244-.Lpost_getpc1310)>>32
	s_setpc_b64 s[14:15]
.LBB1_19581:
	s_movk_i32 s4, 0x80
	v_cmp_eq_u16_sdwa s[12:13], v5, s4 src0_sel:BYTE_3 src1_sel:DWORD
	s_mov_b64 s[4:5], -1
                                        ; implicit-def: $sgpr10
	s_and_saveexec_b64 s[8:9], s[12:13]
; %bb.19582:
	s_mov_b32 s10, 0x7f800001
	s_xor_b64 s[4:5], exec, -1
; %bb.19583:
	s_or_b64 exec, exec, s[8:9]
	s_and_b64 s[4:5], s[4:5], exec
	s_or_saveexec_b64 s[6:7], s[6:7]
	v_mov_b32_e32 v3, s10
	s_xor_b64 exec, exec, s[6:7]
	s_cbranch_execnz .LBB1_19584
; %bb.55421:
	s_getpc_b64 s[14:15]
.Lpost_getpc13374:
	s_add_u32 s14, s14, (.LBB1_5246-.Lpost_getpc13374)&4294967295
	s_addc_u32 s15, s15, (.LBB1_5246-.Lpost_getpc13374)>>32
	s_setpc_b64 s[14:15]
.LBB1_19584:
	v_mov_b32_e32 v3, 0
	v_cmp_ne_u16_sdwa s[8:9], v5, v3 src0_sel:BYTE_3 src1_sel:DWORD
	s_andn2_b64 s[4:5], s[4:5], exec
	s_and_b64 s[8:9], s[8:9], exec
	s_or_b64 s[4:5], s[4:5], s[8:9]
	s_or_b64 exec, exec, s[6:7]
	s_and_saveexec_b64 s[6:7], s[4:5]
	s_cbranch_execz .LBB1_31295
; %bb.55423:
	s_getpc_b64 s[14:15]
.Lpost_getpc13375:
	s_add_u32 s14, s14, (.LBB1_5247-.Lpost_getpc13375)&4294967295
	s_addc_u32 s15, s15, (.LBB1_5247-.Lpost_getpc13375)>>32
	s_setpc_b64 s[14:15]
.LBB1_31295:
	s_getpc_b64 s[14:15]
.Lpost_getpc1311:
	s_add_u32 s14, s14, (.LBB1_5248-.Lpost_getpc1311)&4294967295
	s_addc_u32 s15, s15, (.LBB1_5248-.Lpost_getpc1311)>>32
	s_setpc_b64 s[14:15]
.LBB1_19585:
	s_movk_i32 s4, 0x80
	v_cmp_eq_u16_sdwa s[12:13], v6, s4 src0_sel:BYTE_0 src1_sel:DWORD
	s_mov_b64 s[4:5], -1
                                        ; implicit-def: $sgpr10
	s_and_saveexec_b64 s[8:9], s[12:13]
; %bb.19586:
	s_mov_b32 s10, 0x7f800001
	s_xor_b64 s[4:5], exec, -1
; %bb.19587:
	s_or_b64 exec, exec, s[8:9]
	s_and_b64 s[4:5], s[4:5], exec
	s_or_saveexec_b64 s[6:7], s[6:7]
	v_mov_b32_e32 v12, s10
	s_xor_b64 exec, exec, s[6:7]
	s_cbranch_execnz .LBB1_19588
; %bb.55425:
	s_getpc_b64 s[14:15]
.Lpost_getpc13376:
	s_add_u32 s14, s14, (.LBB1_5250-.Lpost_getpc13376)&4294967295
	s_addc_u32 s15, s15, (.LBB1_5250-.Lpost_getpc13376)>>32
	s_setpc_b64 s[14:15]
.LBB1_19588:
	v_mov_b32_e32 v12, 0
	v_cmp_ne_u16_sdwa s[8:9], v6, v12 src0_sel:BYTE_0 src1_sel:DWORD
	s_andn2_b64 s[4:5], s[4:5], exec
	s_and_b64 s[8:9], s[8:9], exec
	s_or_b64 s[4:5], s[4:5], s[8:9]
	s_or_b64 exec, exec, s[6:7]
	s_and_saveexec_b64 s[6:7], s[4:5]
	s_cbranch_execz .LBB1_31297
; %bb.55427:
	s_getpc_b64 s[14:15]
.Lpost_getpc13377:
	s_add_u32 s14, s14, (.LBB1_5251-.Lpost_getpc13377)&4294967295
	s_addc_u32 s15, s15, (.LBB1_5251-.Lpost_getpc13377)>>32
	s_setpc_b64 s[14:15]
.LBB1_31297:
	s_getpc_b64 s[14:15]
.Lpost_getpc1312:
	s_add_u32 s14, s14, (.LBB1_5252-.Lpost_getpc1312)&4294967295
	s_addc_u32 s15, s15, (.LBB1_5252-.Lpost_getpc1312)>>32
	s_setpc_b64 s[14:15]
.LBB1_19589:
	s_movk_i32 s4, 0x80
	v_cmp_eq_u16_sdwa s[12:13], v2, s4 src0_sel:BYTE_0 src1_sel:DWORD
	s_mov_b64 s[4:5], -1
                                        ; implicit-def: $sgpr10
	s_and_saveexec_b64 s[8:9], s[12:13]
; %bb.19590:
	s_mov_b32 s10, 0x7f800001
	s_xor_b64 s[4:5], exec, -1
; %bb.19591:
	s_or_b64 exec, exec, s[8:9]
	s_and_b64 s[4:5], s[4:5], exec
	s_or_saveexec_b64 s[6:7], s[6:7]
	v_mov_b32_e32 v13, s10
	s_xor_b64 exec, exec, s[6:7]
	s_cbranch_execnz .LBB1_19592
; %bb.55429:
	s_getpc_b64 s[14:15]
.Lpost_getpc13378:
	s_add_u32 s14, s14, (.LBB1_5254-.Lpost_getpc13378)&4294967295
	s_addc_u32 s15, s15, (.LBB1_5254-.Lpost_getpc13378)>>32
	s_setpc_b64 s[14:15]
.LBB1_19592:
	v_mov_b32_e32 v13, 0
	v_cmp_ne_u16_sdwa s[8:9], v2, v13 src0_sel:BYTE_0 src1_sel:DWORD
	s_andn2_b64 s[4:5], s[4:5], exec
	s_and_b64 s[8:9], s[8:9], exec
	s_or_b64 s[4:5], s[4:5], s[8:9]
	s_or_b64 exec, exec, s[6:7]
	s_and_saveexec_b64 s[6:7], s[4:5]
	s_cbranch_execz .LBB1_31299
; %bb.55431:
	s_getpc_b64 s[14:15]
.Lpost_getpc13379:
	s_add_u32 s14, s14, (.LBB1_5255-.Lpost_getpc13379)&4294967295
	s_addc_u32 s15, s15, (.LBB1_5255-.Lpost_getpc13379)>>32
	s_setpc_b64 s[14:15]
.LBB1_31299:
	s_getpc_b64 s[14:15]
.Lpost_getpc1313:
	s_add_u32 s14, s14, (.LBB1_5256-.Lpost_getpc1313)&4294967295
	s_addc_u32 s15, s15, (.LBB1_5256-.Lpost_getpc1313)>>32
	s_setpc_b64 s[14:15]
.LBB1_19593:
	s_movk_i32 s4, 0x80
	v_cmp_eq_u16_sdwa s[12:13], v13, s4 src0_sel:BYTE_0 src1_sel:DWORD
	s_mov_b64 s[4:5], -1
                                        ; implicit-def: $sgpr10
	s_and_saveexec_b64 s[8:9], s[12:13]
; %bb.19594:
	s_mov_b32 s10, 0x7f800001
	s_xor_b64 s[4:5], exec, -1
; %bb.19595:
	s_or_b64 exec, exec, s[8:9]
	s_and_b64 s[4:5], s[4:5], exec
	s_or_saveexec_b64 s[6:7], s[6:7]
	v_mov_b32_e32 v12, s10
	s_xor_b64 exec, exec, s[6:7]
	s_cbranch_execnz .LBB1_19596
; %bb.55433:
	s_getpc_b64 s[14:15]
.Lpost_getpc13380:
	s_add_u32 s14, s14, (.LBB1_5258-.Lpost_getpc13380)&4294967295
	s_addc_u32 s15, s15, (.LBB1_5258-.Lpost_getpc13380)>>32
	s_setpc_b64 s[14:15]
.LBB1_19596:
	v_mov_b32_e32 v12, 0
	v_cmp_ne_u16_sdwa s[8:9], v13, v12 src0_sel:BYTE_0 src1_sel:DWORD
	s_andn2_b64 s[4:5], s[4:5], exec
	s_and_b64 s[8:9], s[8:9], exec
	s_or_b64 s[4:5], s[4:5], s[8:9]
	s_or_b64 exec, exec, s[6:7]
	s_and_saveexec_b64 s[6:7], s[4:5]
	s_cbranch_execz .LBB1_31301
; %bb.55435:
	s_getpc_b64 s[14:15]
.Lpost_getpc13381:
	s_add_u32 s14, s14, (.LBB1_5259-.Lpost_getpc13381)&4294967295
	s_addc_u32 s15, s15, (.LBB1_5259-.Lpost_getpc13381)>>32
	s_setpc_b64 s[14:15]
.LBB1_31301:
	s_getpc_b64 s[14:15]
.Lpost_getpc1314:
	s_add_u32 s14, s14, (.LBB1_5260-.Lpost_getpc1314)&4294967295
	s_addc_u32 s15, s15, (.LBB1_5260-.Lpost_getpc1314)>>32
	s_setpc_b64 s[14:15]
.LBB1_19597:
	s_movk_i32 s4, 0x80
	v_cmp_eq_u16_sdwa s[12:13], v13, s4 src0_sel:BYTE_0 src1_sel:DWORD
	s_mov_b64 s[4:5], -1
                                        ; implicit-def: $sgpr10
	s_and_saveexec_b64 s[8:9], s[12:13]
; %bb.19598:
	s_mov_b32 s10, 0x7f800001
	s_xor_b64 s[4:5], exec, -1
; %bb.19599:
	s_or_b64 exec, exec, s[8:9]
	s_and_b64 s[4:5], s[4:5], exec
	s_or_saveexec_b64 s[6:7], s[6:7]
	v_mov_b32_e32 v14, s10
	s_xor_b64 exec, exec, s[6:7]
	s_cbranch_execnz .LBB1_19600
; %bb.55437:
	s_getpc_b64 s[14:15]
.Lpost_getpc13382:
	s_add_u32 s14, s14, (.LBB1_5262-.Lpost_getpc13382)&4294967295
	s_addc_u32 s15, s15, (.LBB1_5262-.Lpost_getpc13382)>>32
	s_setpc_b64 s[14:15]
.LBB1_19600:
	v_mov_b32_e32 v14, 0
	v_cmp_ne_u16_sdwa s[8:9], v13, v14 src0_sel:BYTE_0 src1_sel:DWORD
	s_andn2_b64 s[4:5], s[4:5], exec
	s_and_b64 s[8:9], s[8:9], exec
	s_or_b64 s[4:5], s[4:5], s[8:9]
	s_or_b64 exec, exec, s[6:7]
	s_and_saveexec_b64 s[6:7], s[4:5]
	s_cbranch_execz .LBB1_31303
; %bb.55439:
	s_getpc_b64 s[14:15]
.Lpost_getpc13383:
	s_add_u32 s14, s14, (.LBB1_5263-.Lpost_getpc13383)&4294967295
	s_addc_u32 s15, s15, (.LBB1_5263-.Lpost_getpc13383)>>32
	s_setpc_b64 s[14:15]
.LBB1_31303:
	s_getpc_b64 s[14:15]
.Lpost_getpc1315:
	s_add_u32 s14, s14, (.LBB1_5264-.Lpost_getpc1315)&4294967295
	s_addc_u32 s15, s15, (.LBB1_5264-.Lpost_getpc1315)>>32
	s_setpc_b64 s[14:15]
.LBB1_19601:
	s_movk_i32 s4, 0x80
	v_cmp_eq_u16_e32 vcc, s4, v13
	s_mov_b64 s[4:5], -1
                                        ; implicit-def: $sgpr10
	s_and_saveexec_b64 s[8:9], vcc
; %bb.19602:
	s_mov_b32 s10, 0x7f800001
	s_xor_b64 s[4:5], exec, -1
; %bb.19603:
	s_or_b64 exec, exec, s[8:9]
	s_and_b64 s[4:5], s[4:5], exec
                                        ; implicit-def: $vgpr13
	s_or_saveexec_b64 s[6:7], s[6:7]
	v_mov_b32_e32 v12, s10
	s_xor_b64 exec, exec, s[6:7]
	s_cbranch_execnz .LBB1_19604
; %bb.55441:
	s_getpc_b64 s[14:15]
.Lpost_getpc13384:
	s_add_u32 s14, s14, (.LBB1_5266-.Lpost_getpc13384)&4294967295
	s_addc_u32 s15, s15, (.LBB1_5266-.Lpost_getpc13384)>>32
	s_setpc_b64 s[14:15]
.LBB1_19604:
	v_cmp_ne_u16_e32 vcc, 0, v13
	s_andn2_b64 s[4:5], s[4:5], exec
	s_and_b64 s[8:9], vcc, exec
	v_mov_b32_e32 v12, 0
	s_or_b64 s[4:5], s[4:5], s[8:9]
	s_or_b64 exec, exec, s[6:7]
	s_and_saveexec_b64 s[6:7], s[4:5]
	s_cbranch_execz .LBB1_31305
; %bb.55443:
	s_getpc_b64 s[14:15]
.Lpost_getpc13385:
	s_add_u32 s14, s14, (.LBB1_5267-.Lpost_getpc13385)&4294967295
	s_addc_u32 s15, s15, (.LBB1_5267-.Lpost_getpc13385)>>32
	s_setpc_b64 s[14:15]
.LBB1_31305:
	s_getpc_b64 s[14:15]
.Lpost_getpc1316:
	s_add_u32 s14, s14, (.LBB1_5268-.Lpost_getpc1316)&4294967295
	s_addc_u32 s15, s15, (.LBB1_5268-.Lpost_getpc1316)>>32
	s_setpc_b64 s[14:15]
.LBB1_19605:
	s_movk_i32 s4, 0x80
	v_cmp_eq_u16_e32 vcc, s4, v13
	s_mov_b64 s[4:5], -1
                                        ; implicit-def: $sgpr10
	s_and_saveexec_b64 s[8:9], vcc
; %bb.19606:
	s_mov_b32 s10, 0x7f800001
	s_xor_b64 s[4:5], exec, -1
; %bb.19607:
	s_or_b64 exec, exec, s[8:9]
	s_and_b64 s[4:5], s[4:5], exec
                                        ; implicit-def: $vgpr13
	s_or_saveexec_b64 s[6:7], s[6:7]
	v_mov_b32_e32 v14, s10
	s_xor_b64 exec, exec, s[6:7]
	s_cbranch_execnz .LBB1_19608
; %bb.55445:
	s_getpc_b64 s[14:15]
.Lpost_getpc13386:
	s_add_u32 s14, s14, (.LBB1_5270-.Lpost_getpc13386)&4294967295
	s_addc_u32 s15, s15, (.LBB1_5270-.Lpost_getpc13386)>>32
	s_setpc_b64 s[14:15]
.LBB1_19608:
	v_cmp_ne_u16_e32 vcc, 0, v13
	s_andn2_b64 s[4:5], s[4:5], exec
	s_and_b64 s[8:9], vcc, exec
	v_mov_b32_e32 v14, 0
	s_or_b64 s[4:5], s[4:5], s[8:9]
	s_or_b64 exec, exec, s[6:7]
	s_and_saveexec_b64 s[6:7], s[4:5]
	s_cbranch_execz .LBB1_31307
; %bb.55447:
	s_getpc_b64 s[14:15]
.Lpost_getpc13387:
	s_add_u32 s14, s14, (.LBB1_5271-.Lpost_getpc13387)&4294967295
	s_addc_u32 s15, s15, (.LBB1_5271-.Lpost_getpc13387)>>32
	s_setpc_b64 s[14:15]
.LBB1_31307:
	s_getpc_b64 s[14:15]
.Lpost_getpc1317:
	s_add_u32 s14, s14, (.LBB1_5272-.Lpost_getpc1317)&4294967295
	s_addc_u32 s15, s15, (.LBB1_5272-.Lpost_getpc1317)>>32
	s_setpc_b64 s[14:15]
.LBB1_19609:
	s_movk_i32 s4, 0x80
	v_cmp_eq_u16_sdwa s[12:13], v6, s4 src0_sel:BYTE_3 src1_sel:DWORD
	s_mov_b64 s[4:5], -1
                                        ; implicit-def: $sgpr10
	s_and_saveexec_b64 s[8:9], s[12:13]
; %bb.19610:
	s_mov_b32 s10, 0x7f800001
	s_xor_b64 s[4:5], exec, -1
; %bb.19611:
	s_or_b64 exec, exec, s[8:9]
	s_and_b64 s[4:5], s[4:5], exec
	s_or_saveexec_b64 s[6:7], s[6:7]
	v_mov_b32_e32 v12, s10
	s_xor_b64 exec, exec, s[6:7]
	s_cbranch_execnz .LBB1_19612
; %bb.55449:
	s_getpc_b64 s[14:15]
.Lpost_getpc13388:
	s_add_u32 s14, s14, (.LBB1_5274-.Lpost_getpc13388)&4294967295
	s_addc_u32 s15, s15, (.LBB1_5274-.Lpost_getpc13388)>>32
	s_setpc_b64 s[14:15]
.LBB1_19612:
	v_mov_b32_e32 v12, 0
	v_cmp_ne_u16_sdwa s[8:9], v6, v12 src0_sel:BYTE_3 src1_sel:DWORD
	s_andn2_b64 s[4:5], s[4:5], exec
	s_and_b64 s[8:9], s[8:9], exec
	s_or_b64 s[4:5], s[4:5], s[8:9]
	s_or_b64 exec, exec, s[6:7]
	s_and_saveexec_b64 s[6:7], s[4:5]
	s_cbranch_execz .LBB1_31309
; %bb.55451:
	s_getpc_b64 s[14:15]
.Lpost_getpc13389:
	s_add_u32 s14, s14, (.LBB1_5275-.Lpost_getpc13389)&4294967295
	s_addc_u32 s15, s15, (.LBB1_5275-.Lpost_getpc13389)>>32
	s_setpc_b64 s[14:15]
.LBB1_31309:
	s_getpc_b64 s[14:15]
.Lpost_getpc1318:
	s_add_u32 s14, s14, (.LBB1_5276-.Lpost_getpc1318)&4294967295
	s_addc_u32 s15, s15, (.LBB1_5276-.Lpost_getpc1318)>>32
	s_setpc_b64 s[14:15]
.LBB1_19613:
	s_movk_i32 s4, 0x80
	v_cmp_eq_u16_sdwa s[12:13], v2, s4 src0_sel:BYTE_3 src1_sel:DWORD
	s_mov_b64 s[4:5], -1
                                        ; implicit-def: $sgpr10
	s_and_saveexec_b64 s[8:9], s[12:13]
; %bb.19614:
	s_mov_b32 s10, 0x7f800001
	s_xor_b64 s[4:5], exec, -1
; %bb.19615:
	s_or_b64 exec, exec, s[8:9]
	s_and_b64 s[4:5], s[4:5], exec
	s_or_saveexec_b64 s[6:7], s[6:7]
	v_mov_b32_e32 v6, s10
	s_xor_b64 exec, exec, s[6:7]
	s_cbranch_execnz .LBB1_19616
; %bb.55453:
	s_getpc_b64 s[14:15]
.Lpost_getpc13390:
	s_add_u32 s14, s14, (.LBB1_5278-.Lpost_getpc13390)&4294967295
	s_addc_u32 s15, s15, (.LBB1_5278-.Lpost_getpc13390)>>32
	s_setpc_b64 s[14:15]
.LBB1_19616:
	v_mov_b32_e32 v6, 0
	v_cmp_ne_u16_sdwa s[8:9], v2, v6 src0_sel:BYTE_3 src1_sel:DWORD
	s_andn2_b64 s[4:5], s[4:5], exec
	s_and_b64 s[8:9], s[8:9], exec
	s_or_b64 s[4:5], s[4:5], s[8:9]
	s_or_b64 exec, exec, s[6:7]
	s_and_saveexec_b64 s[6:7], s[4:5]
	s_cbranch_execz .LBB1_31311
; %bb.55455:
	s_getpc_b64 s[14:15]
.Lpost_getpc13391:
	s_add_u32 s14, s14, (.LBB1_5279-.Lpost_getpc13391)&4294967295
	s_addc_u32 s15, s15, (.LBB1_5279-.Lpost_getpc13391)>>32
	s_setpc_b64 s[14:15]
.LBB1_31311:
	s_getpc_b64 s[14:15]
.Lpost_getpc1319:
	s_add_u32 s14, s14, (.LBB1_5280-.Lpost_getpc1319)&4294967295
	s_addc_u32 s15, s15, (.LBB1_5280-.Lpost_getpc1319)>>32
	s_setpc_b64 s[14:15]
.LBB1_19617:
	s_movk_i32 s4, 0x80
	v_cmp_eq_u16_sdwa s[12:13], v7, s4 src0_sel:BYTE_0 src1_sel:DWORD
	s_mov_b64 s[4:5], -1
                                        ; implicit-def: $sgpr10
	s_and_saveexec_b64 s[8:9], s[12:13]
; %bb.19618:
	s_mov_b32 s10, 0x7f800001
	s_xor_b64 s[4:5], exec, -1
; %bb.19619:
	s_or_b64 exec, exec, s[8:9]
	s_and_b64 s[4:5], s[4:5], exec
	s_or_saveexec_b64 s[6:7], s[6:7]
	v_mov_b32_e32 v2, s10
	s_xor_b64 exec, exec, s[6:7]
	s_cbranch_execnz .LBB1_19620
; %bb.55457:
	s_getpc_b64 s[14:15]
.Lpost_getpc13392:
	s_add_u32 s14, s14, (.LBB1_5282-.Lpost_getpc13392)&4294967295
	s_addc_u32 s15, s15, (.LBB1_5282-.Lpost_getpc13392)>>32
	s_setpc_b64 s[14:15]
.LBB1_19620:
	v_mov_b32_e32 v2, 0
	v_cmp_ne_u16_sdwa s[8:9], v7, v2 src0_sel:BYTE_0 src1_sel:DWORD
	s_andn2_b64 s[4:5], s[4:5], exec
	s_and_b64 s[8:9], s[8:9], exec
	s_or_b64 s[4:5], s[4:5], s[8:9]
	s_or_b64 exec, exec, s[6:7]
	s_and_saveexec_b64 s[6:7], s[4:5]
	s_cbranch_execz .LBB1_31313
; %bb.55459:
	s_getpc_b64 s[14:15]
.Lpost_getpc13393:
	s_add_u32 s14, s14, (.LBB1_5283-.Lpost_getpc13393)&4294967295
	s_addc_u32 s15, s15, (.LBB1_5283-.Lpost_getpc13393)>>32
	s_setpc_b64 s[14:15]
.LBB1_31313:
	s_getpc_b64 s[14:15]
.Lpost_getpc1320:
	s_add_u32 s14, s14, (.LBB1_5284-.Lpost_getpc1320)&4294967295
	s_addc_u32 s15, s15, (.LBB1_5284-.Lpost_getpc1320)>>32
	s_setpc_b64 s[14:15]
.LBB1_19621:
	s_movk_i32 s4, 0x80
	v_cmp_eq_u16_sdwa s[12:13], v3, s4 src0_sel:BYTE_0 src1_sel:DWORD
	s_mov_b64 s[4:5], -1
                                        ; implicit-def: $sgpr10
	s_and_saveexec_b64 s[8:9], s[12:13]
; %bb.19622:
	s_mov_b32 s10, 0x7f800001
	s_xor_b64 s[4:5], exec, -1
; %bb.19623:
	s_or_b64 exec, exec, s[8:9]
	s_and_b64 s[4:5], s[4:5], exec
	s_or_saveexec_b64 s[6:7], s[6:7]
	v_mov_b32_e32 v6, s10
	s_xor_b64 exec, exec, s[6:7]
	s_cbranch_execnz .LBB1_19624
; %bb.55461:
	s_getpc_b64 s[14:15]
.Lpost_getpc13394:
	s_add_u32 s14, s14, (.LBB1_5286-.Lpost_getpc13394)&4294967295
	s_addc_u32 s15, s15, (.LBB1_5286-.Lpost_getpc13394)>>32
	s_setpc_b64 s[14:15]
.LBB1_19624:
	v_mov_b32_e32 v6, 0
	v_cmp_ne_u16_sdwa s[8:9], v3, v6 src0_sel:BYTE_0 src1_sel:DWORD
	s_andn2_b64 s[4:5], s[4:5], exec
	s_and_b64 s[8:9], s[8:9], exec
	s_or_b64 s[4:5], s[4:5], s[8:9]
	s_or_b64 exec, exec, s[6:7]
	s_and_saveexec_b64 s[6:7], s[4:5]
	s_cbranch_execz .LBB1_31315
; %bb.55463:
	s_getpc_b64 s[14:15]
.Lpost_getpc13395:
	s_add_u32 s14, s14, (.LBB1_5287-.Lpost_getpc13395)&4294967295
	s_addc_u32 s15, s15, (.LBB1_5287-.Lpost_getpc13395)>>32
	s_setpc_b64 s[14:15]
.LBB1_31315:
	s_getpc_b64 s[14:15]
.Lpost_getpc1321:
	s_add_u32 s14, s14, (.LBB1_5288-.Lpost_getpc1321)&4294967295
	s_addc_u32 s15, s15, (.LBB1_5288-.Lpost_getpc1321)>>32
	s_setpc_b64 s[14:15]
.LBB1_19625:
	s_movk_i32 s4, 0x80
	v_cmp_eq_u16_sdwa s[12:13], v6, s4 src0_sel:BYTE_0 src1_sel:DWORD
	s_mov_b64 s[4:5], -1
                                        ; implicit-def: $sgpr10
	s_and_saveexec_b64 s[8:9], s[12:13]
; %bb.19626:
	s_mov_b32 s10, 0x7f800001
	s_xor_b64 s[4:5], exec, -1
; %bb.19627:
	s_or_b64 exec, exec, s[8:9]
	s_and_b64 s[4:5], s[4:5], exec
	s_or_saveexec_b64 s[6:7], s[6:7]
	v_mov_b32_e32 v2, s10
	s_xor_b64 exec, exec, s[6:7]
	s_cbranch_execnz .LBB1_19628
; %bb.55465:
	s_getpc_b64 s[14:15]
.Lpost_getpc13396:
	s_add_u32 s14, s14, (.LBB1_5290-.Lpost_getpc13396)&4294967295
	s_addc_u32 s15, s15, (.LBB1_5290-.Lpost_getpc13396)>>32
	s_setpc_b64 s[14:15]
.LBB1_19628:
	v_mov_b32_e32 v2, 0
	v_cmp_ne_u16_sdwa s[8:9], v6, v2 src0_sel:BYTE_0 src1_sel:DWORD
	s_andn2_b64 s[4:5], s[4:5], exec
	s_and_b64 s[8:9], s[8:9], exec
	s_or_b64 s[4:5], s[4:5], s[8:9]
	s_or_b64 exec, exec, s[6:7]
	s_and_saveexec_b64 s[6:7], s[4:5]
	s_cbranch_execz .LBB1_31317
; %bb.55467:
	s_getpc_b64 s[14:15]
.Lpost_getpc13397:
	s_add_u32 s14, s14, (.LBB1_5291-.Lpost_getpc13397)&4294967295
	s_addc_u32 s15, s15, (.LBB1_5291-.Lpost_getpc13397)>>32
	s_setpc_b64 s[14:15]
.LBB1_31317:
	s_getpc_b64 s[14:15]
.Lpost_getpc1322:
	s_add_u32 s14, s14, (.LBB1_5292-.Lpost_getpc1322)&4294967295
	s_addc_u32 s15, s15, (.LBB1_5292-.Lpost_getpc1322)>>32
	s_setpc_b64 s[14:15]
.LBB1_19629:
	s_movk_i32 s4, 0x80
	v_cmp_eq_u16_sdwa s[12:13], v6, s4 src0_sel:BYTE_0 src1_sel:DWORD
	s_mov_b64 s[4:5], -1
                                        ; implicit-def: $sgpr10
	s_and_saveexec_b64 s[8:9], s[12:13]
; %bb.19630:
	s_mov_b32 s10, 0x7f800001
	s_xor_b64 s[4:5], exec, -1
; %bb.19631:
	s_or_b64 exec, exec, s[8:9]
	s_and_b64 s[4:5], s[4:5], exec
	s_or_saveexec_b64 s[6:7], s[6:7]
	v_mov_b32_e32 v12, s10
	s_xor_b64 exec, exec, s[6:7]
	s_cbranch_execnz .LBB1_19632
; %bb.55469:
	s_getpc_b64 s[14:15]
.Lpost_getpc13398:
	s_add_u32 s14, s14, (.LBB1_5294-.Lpost_getpc13398)&4294967295
	s_addc_u32 s15, s15, (.LBB1_5294-.Lpost_getpc13398)>>32
	s_setpc_b64 s[14:15]
.LBB1_19632:
	v_mov_b32_e32 v12, 0
	v_cmp_ne_u16_sdwa s[8:9], v6, v12 src0_sel:BYTE_0 src1_sel:DWORD
	s_andn2_b64 s[4:5], s[4:5], exec
	s_and_b64 s[8:9], s[8:9], exec
	s_or_b64 s[4:5], s[4:5], s[8:9]
	s_or_b64 exec, exec, s[6:7]
	s_and_saveexec_b64 s[6:7], s[4:5]
	s_cbranch_execz .LBB1_31319
; %bb.55471:
	s_getpc_b64 s[14:15]
.Lpost_getpc13399:
	s_add_u32 s14, s14, (.LBB1_5295-.Lpost_getpc13399)&4294967295
	s_addc_u32 s15, s15, (.LBB1_5295-.Lpost_getpc13399)>>32
	s_setpc_b64 s[14:15]
.LBB1_31319:
	s_getpc_b64 s[14:15]
.Lpost_getpc1323:
	s_add_u32 s14, s14, (.LBB1_5296-.Lpost_getpc1323)&4294967295
	s_addc_u32 s15, s15, (.LBB1_5296-.Lpost_getpc1323)>>32
	s_setpc_b64 s[14:15]
.LBB1_19633:
	s_movk_i32 s4, 0x80
	v_cmp_eq_u16_e32 vcc, s4, v6
	s_mov_b64 s[4:5], -1
                                        ; implicit-def: $sgpr10
	s_and_saveexec_b64 s[8:9], vcc
; %bb.19634:
	s_mov_b32 s10, 0x7f800001
	s_xor_b64 s[4:5], exec, -1
; %bb.19635:
	s_or_b64 exec, exec, s[8:9]
	s_and_b64 s[4:5], s[4:5], exec
                                        ; implicit-def: $vgpr6
	s_or_saveexec_b64 s[6:7], s[6:7]
	v_mov_b32_e32 v2, s10
	s_xor_b64 exec, exec, s[6:7]
	s_cbranch_execnz .LBB1_19636
; %bb.55473:
	s_getpc_b64 s[14:15]
.Lpost_getpc13400:
	s_add_u32 s14, s14, (.LBB1_5298-.Lpost_getpc13400)&4294967295
	s_addc_u32 s15, s15, (.LBB1_5298-.Lpost_getpc13400)>>32
	s_setpc_b64 s[14:15]
.LBB1_19636:
	v_cmp_ne_u16_e32 vcc, 0, v6
	s_andn2_b64 s[4:5], s[4:5], exec
	s_and_b64 s[8:9], vcc, exec
	v_mov_b32_e32 v2, 0
	s_or_b64 s[4:5], s[4:5], s[8:9]
	s_or_b64 exec, exec, s[6:7]
	s_and_saveexec_b64 s[6:7], s[4:5]
	s_cbranch_execz .LBB1_31321
; %bb.55475:
	s_getpc_b64 s[14:15]
.Lpost_getpc13401:
	s_add_u32 s14, s14, (.LBB1_5299-.Lpost_getpc13401)&4294967295
	s_addc_u32 s15, s15, (.LBB1_5299-.Lpost_getpc13401)>>32
	s_setpc_b64 s[14:15]
.LBB1_31321:
	s_getpc_b64 s[14:15]
.Lpost_getpc1324:
	s_add_u32 s14, s14, (.LBB1_5300-.Lpost_getpc1324)&4294967295
	s_addc_u32 s15, s15, (.LBB1_5300-.Lpost_getpc1324)>>32
	s_setpc_b64 s[14:15]
.LBB1_19637:
	s_movk_i32 s4, 0x80
	v_cmp_eq_u16_e32 vcc, s4, v6
	s_mov_b64 s[4:5], -1
                                        ; implicit-def: $sgpr10
	s_and_saveexec_b64 s[8:9], vcc
; %bb.19638:
	s_mov_b32 s10, 0x7f800001
	s_xor_b64 s[4:5], exec, -1
; %bb.19639:
	s_or_b64 exec, exec, s[8:9]
	s_and_b64 s[4:5], s[4:5], exec
                                        ; implicit-def: $vgpr6
	s_or_saveexec_b64 s[6:7], s[6:7]
	v_mov_b32_e32 v12, s10
	s_xor_b64 exec, exec, s[6:7]
	s_cbranch_execnz .LBB1_19640
; %bb.55477:
	s_getpc_b64 s[14:15]
.Lpost_getpc13402:
	s_add_u32 s14, s14, (.LBB1_5302-.Lpost_getpc13402)&4294967295
	s_addc_u32 s15, s15, (.LBB1_5302-.Lpost_getpc13402)>>32
	s_setpc_b64 s[14:15]
.LBB1_19640:
	v_cmp_ne_u16_e32 vcc, 0, v6
	s_andn2_b64 s[4:5], s[4:5], exec
	s_and_b64 s[8:9], vcc, exec
	v_mov_b32_e32 v12, 0
	s_or_b64 s[4:5], s[4:5], s[8:9]
	s_or_b64 exec, exec, s[6:7]
	s_and_saveexec_b64 s[6:7], s[4:5]
	s_cbranch_execz .LBB1_31323
; %bb.55479:
	s_getpc_b64 s[14:15]
.Lpost_getpc13403:
	s_add_u32 s14, s14, (.LBB1_5303-.Lpost_getpc13403)&4294967295
	s_addc_u32 s15, s15, (.LBB1_5303-.Lpost_getpc13403)>>32
	s_setpc_b64 s[14:15]
.LBB1_31323:
	s_getpc_b64 s[14:15]
.Lpost_getpc1325:
	s_add_u32 s14, s14, (.LBB1_5304-.Lpost_getpc1325)&4294967295
	s_addc_u32 s15, s15, (.LBB1_5304-.Lpost_getpc1325)>>32
	s_setpc_b64 s[14:15]
.LBB1_19641:
	s_movk_i32 s4, 0x80
	v_cmp_eq_u16_sdwa s[12:13], v7, s4 src0_sel:BYTE_3 src1_sel:DWORD
	s_mov_b64 s[4:5], -1
                                        ; implicit-def: $sgpr10
	s_and_saveexec_b64 s[8:9], s[12:13]
; %bb.19642:
	s_mov_b32 s10, 0x7f800001
	s_xor_b64 s[4:5], exec, -1
; %bb.19643:
	s_or_b64 exec, exec, s[8:9]
	s_and_b64 s[4:5], s[4:5], exec
	s_or_saveexec_b64 s[6:7], s[6:7]
	v_mov_b32_e32 v2, s10
	s_xor_b64 exec, exec, s[6:7]
	s_cbranch_execnz .LBB1_19644
; %bb.55481:
	s_getpc_b64 s[14:15]
.Lpost_getpc13404:
	s_add_u32 s14, s14, (.LBB1_5306-.Lpost_getpc13404)&4294967295
	s_addc_u32 s15, s15, (.LBB1_5306-.Lpost_getpc13404)>>32
	s_setpc_b64 s[14:15]
.LBB1_19644:
	v_mov_b32_e32 v2, 0
	v_cmp_ne_u16_sdwa s[8:9], v7, v2 src0_sel:BYTE_3 src1_sel:DWORD
	s_andn2_b64 s[4:5], s[4:5], exec
	s_and_b64 s[8:9], s[8:9], exec
	s_or_b64 s[4:5], s[4:5], s[8:9]
	s_or_b64 exec, exec, s[6:7]
	s_and_saveexec_b64 s[6:7], s[4:5]
	s_cbranch_execz .LBB1_31325
; %bb.55483:
	s_getpc_b64 s[14:15]
.Lpost_getpc13405:
	s_add_u32 s14, s14, (.LBB1_5307-.Lpost_getpc13405)&4294967295
	s_addc_u32 s15, s15, (.LBB1_5307-.Lpost_getpc13405)>>32
	s_setpc_b64 s[14:15]
.LBB1_31325:
	s_getpc_b64 s[14:15]
.Lpost_getpc1326:
	s_add_u32 s14, s14, (.LBB1_5308-.Lpost_getpc1326)&4294967295
	s_addc_u32 s15, s15, (.LBB1_5308-.Lpost_getpc1326)>>32
	s_setpc_b64 s[14:15]
.LBB1_19645:
	s_movk_i32 s4, 0x80
	v_cmp_eq_u16_sdwa s[12:13], v3, s4 src0_sel:BYTE_3 src1_sel:DWORD
	s_mov_b64 s[4:5], -1
                                        ; implicit-def: $sgpr10
	s_and_saveexec_b64 s[8:9], s[12:13]
; %bb.19646:
	s_mov_b32 s10, 0x7f800001
	s_xor_b64 s[4:5], exec, -1
; %bb.19647:
	s_or_b64 exec, exec, s[8:9]
	s_and_b64 s[4:5], s[4:5], exec
	s_or_saveexec_b64 s[6:7], s[6:7]
	v_mov_b32_e32 v6, s10
	s_xor_b64 exec, exec, s[6:7]
	s_cbranch_execnz .LBB1_19648
; %bb.55485:
	s_getpc_b64 s[14:15]
.Lpost_getpc13406:
	s_add_u32 s14, s14, (.LBB1_5310-.Lpost_getpc13406)&4294967295
	s_addc_u32 s15, s15, (.LBB1_5310-.Lpost_getpc13406)>>32
	s_setpc_b64 s[14:15]
.LBB1_19648:
	v_mov_b32_e32 v6, 0
	v_cmp_ne_u16_sdwa s[8:9], v3, v6 src0_sel:BYTE_3 src1_sel:DWORD
	s_andn2_b64 s[4:5], s[4:5], exec
	s_and_b64 s[8:9], s[8:9], exec
	s_or_b64 s[4:5], s[4:5], s[8:9]
	s_or_b64 exec, exec, s[6:7]
	s_and_saveexec_b64 s[6:7], s[4:5]
	s_cbranch_execz .LBB1_31327
; %bb.55487:
	s_getpc_b64 s[14:15]
.Lpost_getpc13407:
	s_add_u32 s14, s14, (.LBB1_5311-.Lpost_getpc13407)&4294967295
	s_addc_u32 s15, s15, (.LBB1_5311-.Lpost_getpc13407)>>32
	s_setpc_b64 s[14:15]
.LBB1_31327:
	s_getpc_b64 s[14:15]
.Lpost_getpc1327:
	s_add_u32 s14, s14, (.LBB1_5312-.Lpost_getpc1327)&4294967295
	s_addc_u32 s15, s15, (.LBB1_5312-.Lpost_getpc1327)>>32
	s_setpc_b64 s[14:15]
.LBB1_19649:
	s_movk_i32 s4, 0x80
	v_cmp_eq_u16_sdwa s[12:13], v8, s4 src0_sel:BYTE_0 src1_sel:DWORD
	s_mov_b64 s[4:5], -1
                                        ; implicit-def: $sgpr10
	s_and_saveexec_b64 s[8:9], s[12:13]
; %bb.19650:
	s_mov_b32 s10, 0x7f800001
	s_xor_b64 s[4:5], exec, -1
; %bb.19651:
	s_or_b64 exec, exec, s[8:9]
	s_and_b64 s[4:5], s[4:5], exec
	s_or_saveexec_b64 s[6:7], s[6:7]
	v_mov_b32_e32 v2, s10
	s_xor_b64 exec, exec, s[6:7]
	s_cbranch_execnz .LBB1_19652
; %bb.55489:
	s_getpc_b64 s[14:15]
.Lpost_getpc13408:
	s_add_u32 s14, s14, (.LBB1_5314-.Lpost_getpc13408)&4294967295
	s_addc_u32 s15, s15, (.LBB1_5314-.Lpost_getpc13408)>>32
	s_setpc_b64 s[14:15]
.LBB1_19652:
	v_mov_b32_e32 v2, 0
	v_cmp_ne_u16_sdwa s[8:9], v8, v2 src0_sel:BYTE_0 src1_sel:DWORD
	s_andn2_b64 s[4:5], s[4:5], exec
	s_and_b64 s[8:9], s[8:9], exec
	s_or_b64 s[4:5], s[4:5], s[8:9]
	s_or_b64 exec, exec, s[6:7]
	s_and_saveexec_b64 s[6:7], s[4:5]
	s_cbranch_execz .LBB1_31329
; %bb.55491:
	s_getpc_b64 s[14:15]
.Lpost_getpc13409:
	s_add_u32 s14, s14, (.LBB1_5315-.Lpost_getpc13409)&4294967295
	s_addc_u32 s15, s15, (.LBB1_5315-.Lpost_getpc13409)>>32
	s_setpc_b64 s[14:15]
.LBB1_31329:
	s_getpc_b64 s[14:15]
.Lpost_getpc1328:
	s_add_u32 s14, s14, (.LBB1_5316-.Lpost_getpc1328)&4294967295
	s_addc_u32 s15, s15, (.LBB1_5316-.Lpost_getpc1328)>>32
	s_setpc_b64 s[14:15]
.LBB1_19653:
	s_movk_i32 s4, 0x80
	v_cmp_eq_u16_sdwa s[12:13], v4, s4 src0_sel:BYTE_0 src1_sel:DWORD
	s_mov_b64 s[4:5], -1
                                        ; implicit-def: $sgpr10
	s_and_saveexec_b64 s[8:9], s[12:13]
; %bb.19654:
	s_mov_b32 s10, 0x7f800001
	s_xor_b64 s[4:5], exec, -1
; %bb.19655:
	s_or_b64 exec, exec, s[8:9]
	s_and_b64 s[4:5], s[4:5], exec
	s_or_saveexec_b64 s[6:7], s[6:7]
	v_mov_b32_e32 v3, s10
	s_xor_b64 exec, exec, s[6:7]
	s_cbranch_execnz .LBB1_19656
; %bb.55493:
	s_getpc_b64 s[14:15]
.Lpost_getpc13410:
	s_add_u32 s14, s14, (.LBB1_5318-.Lpost_getpc13410)&4294967295
	s_addc_u32 s15, s15, (.LBB1_5318-.Lpost_getpc13410)>>32
	s_setpc_b64 s[14:15]
.LBB1_19656:
	v_mov_b32_e32 v3, 0
	v_cmp_ne_u16_sdwa s[8:9], v4, v3 src0_sel:BYTE_0 src1_sel:DWORD
	s_andn2_b64 s[4:5], s[4:5], exec
	s_and_b64 s[8:9], s[8:9], exec
	s_or_b64 s[4:5], s[4:5], s[8:9]
	s_or_b64 exec, exec, s[6:7]
	s_and_saveexec_b64 s[6:7], s[4:5]
	s_cbranch_execz .LBB1_31331
; %bb.55495:
	s_getpc_b64 s[14:15]
.Lpost_getpc13411:
	s_add_u32 s14, s14, (.LBB1_5319-.Lpost_getpc13411)&4294967295
	s_addc_u32 s15, s15, (.LBB1_5319-.Lpost_getpc13411)>>32
	s_setpc_b64 s[14:15]
.LBB1_31331:
	s_getpc_b64 s[14:15]
.Lpost_getpc1329:
	s_add_u32 s14, s14, (.LBB1_5320-.Lpost_getpc1329)&4294967295
	s_addc_u32 s15, s15, (.LBB1_5320-.Lpost_getpc1329)>>32
	s_setpc_b64 s[14:15]
.LBB1_19657:
	s_movk_i32 s4, 0x80
	v_cmp_eq_u16_sdwa s[12:13], v3, s4 src0_sel:BYTE_0 src1_sel:DWORD
	s_mov_b64 s[4:5], -1
                                        ; implicit-def: $sgpr10
	s_and_saveexec_b64 s[8:9], s[12:13]
; %bb.19658:
	s_mov_b32 s10, 0x7f800001
	s_xor_b64 s[4:5], exec, -1
; %bb.19659:
	s_or_b64 exec, exec, s[8:9]
	s_and_b64 s[4:5], s[4:5], exec
	s_or_saveexec_b64 s[6:7], s[6:7]
	v_mov_b32_e32 v2, s10
	s_xor_b64 exec, exec, s[6:7]
	s_cbranch_execnz .LBB1_19660
; %bb.55497:
	s_getpc_b64 s[14:15]
.Lpost_getpc13412:
	s_add_u32 s14, s14, (.LBB1_5322-.Lpost_getpc13412)&4294967295
	s_addc_u32 s15, s15, (.LBB1_5322-.Lpost_getpc13412)>>32
	s_setpc_b64 s[14:15]
.LBB1_19660:
	v_mov_b32_e32 v2, 0
	v_cmp_ne_u16_sdwa s[8:9], v3, v2 src0_sel:BYTE_0 src1_sel:DWORD
	s_andn2_b64 s[4:5], s[4:5], exec
	s_and_b64 s[8:9], s[8:9], exec
	s_or_b64 s[4:5], s[4:5], s[8:9]
	s_or_b64 exec, exec, s[6:7]
	s_and_saveexec_b64 s[6:7], s[4:5]
	s_cbranch_execz .LBB1_31333
; %bb.55499:
	s_getpc_b64 s[14:15]
.Lpost_getpc13413:
	s_add_u32 s14, s14, (.LBB1_5323-.Lpost_getpc13413)&4294967295
	s_addc_u32 s15, s15, (.LBB1_5323-.Lpost_getpc13413)>>32
	s_setpc_b64 s[14:15]
.LBB1_31333:
	s_getpc_b64 s[14:15]
.Lpost_getpc1330:
	s_add_u32 s14, s14, (.LBB1_5324-.Lpost_getpc1330)&4294967295
	s_addc_u32 s15, s15, (.LBB1_5324-.Lpost_getpc1330)>>32
	s_setpc_b64 s[14:15]
.LBB1_19661:
	s_movk_i32 s4, 0x80
	v_cmp_eq_u16_sdwa s[12:13], v3, s4 src0_sel:BYTE_0 src1_sel:DWORD
	s_mov_b64 s[4:5], -1
                                        ; implicit-def: $sgpr10
	s_and_saveexec_b64 s[8:9], s[12:13]
; %bb.19662:
	s_mov_b32 s10, 0x7f800001
	s_xor_b64 s[4:5], exec, -1
; %bb.19663:
	s_or_b64 exec, exec, s[8:9]
	s_and_b64 s[4:5], s[4:5], exec
	s_or_saveexec_b64 s[6:7], s[6:7]
	v_mov_b32_e32 v6, s10
	s_xor_b64 exec, exec, s[6:7]
	s_cbranch_execnz .LBB1_19664
; %bb.55501:
	s_getpc_b64 s[14:15]
.Lpost_getpc13414:
	s_add_u32 s14, s14, (.LBB1_5326-.Lpost_getpc13414)&4294967295
	s_addc_u32 s15, s15, (.LBB1_5326-.Lpost_getpc13414)>>32
	s_setpc_b64 s[14:15]
.LBB1_19664:
	v_mov_b32_e32 v6, 0
	v_cmp_ne_u16_sdwa s[8:9], v3, v6 src0_sel:BYTE_0 src1_sel:DWORD
	s_andn2_b64 s[4:5], s[4:5], exec
	s_and_b64 s[8:9], s[8:9], exec
	s_or_b64 s[4:5], s[4:5], s[8:9]
	s_or_b64 exec, exec, s[6:7]
	s_and_saveexec_b64 s[6:7], s[4:5]
	s_cbranch_execz .LBB1_31335
; %bb.55503:
	s_getpc_b64 s[14:15]
.Lpost_getpc13415:
	s_add_u32 s14, s14, (.LBB1_5327-.Lpost_getpc13415)&4294967295
	s_addc_u32 s15, s15, (.LBB1_5327-.Lpost_getpc13415)>>32
	s_setpc_b64 s[14:15]
.LBB1_31335:
	s_getpc_b64 s[14:15]
.Lpost_getpc1331:
	s_add_u32 s14, s14, (.LBB1_5328-.Lpost_getpc1331)&4294967295
	s_addc_u32 s15, s15, (.LBB1_5328-.Lpost_getpc1331)>>32
	s_setpc_b64 s[14:15]
.LBB1_19665:
	s_movk_i32 s4, 0x80
	v_cmp_eq_u16_e32 vcc, s4, v3
	s_mov_b64 s[4:5], -1
                                        ; implicit-def: $sgpr10
	s_and_saveexec_b64 s[8:9], vcc
; %bb.19666:
	s_mov_b32 s10, 0x7f800001
	s_xor_b64 s[4:5], exec, -1
; %bb.19667:
	s_or_b64 exec, exec, s[8:9]
	s_and_b64 s[4:5], s[4:5], exec
                                        ; implicit-def: $vgpr3
	s_or_saveexec_b64 s[6:7], s[6:7]
	v_mov_b32_e32 v2, s10
	s_xor_b64 exec, exec, s[6:7]
	s_cbranch_execnz .LBB1_19668
; %bb.55505:
	s_getpc_b64 s[14:15]
.Lpost_getpc13416:
	s_add_u32 s14, s14, (.LBB1_5330-.Lpost_getpc13416)&4294967295
	s_addc_u32 s15, s15, (.LBB1_5330-.Lpost_getpc13416)>>32
	s_setpc_b64 s[14:15]
.LBB1_19668:
	v_cmp_ne_u16_e32 vcc, 0, v3
	s_andn2_b64 s[4:5], s[4:5], exec
	s_and_b64 s[8:9], vcc, exec
	v_mov_b32_e32 v2, 0
	s_or_b64 s[4:5], s[4:5], s[8:9]
	s_or_b64 exec, exec, s[6:7]
	s_and_saveexec_b64 s[6:7], s[4:5]
	s_cbranch_execz .LBB1_31337
; %bb.55507:
	s_getpc_b64 s[14:15]
.Lpost_getpc13417:
	s_add_u32 s14, s14, (.LBB1_5331-.Lpost_getpc13417)&4294967295
	s_addc_u32 s15, s15, (.LBB1_5331-.Lpost_getpc13417)>>32
	s_setpc_b64 s[14:15]
.LBB1_31337:
	s_getpc_b64 s[14:15]
.Lpost_getpc1332:
	s_add_u32 s14, s14, (.LBB1_5332-.Lpost_getpc1332)&4294967295
	s_addc_u32 s15, s15, (.LBB1_5332-.Lpost_getpc1332)>>32
	s_setpc_b64 s[14:15]
.LBB1_19669:
	s_movk_i32 s4, 0x80
	v_cmp_eq_u16_e32 vcc, s4, v3
	s_mov_b64 s[4:5], -1
                                        ; implicit-def: $sgpr10
	s_and_saveexec_b64 s[8:9], vcc
; %bb.19670:
	s_mov_b32 s10, 0x7f800001
	s_xor_b64 s[4:5], exec, -1
; %bb.19671:
	s_or_b64 exec, exec, s[8:9]
	s_and_b64 s[4:5], s[4:5], exec
                                        ; implicit-def: $vgpr3
	s_or_saveexec_b64 s[6:7], s[6:7]
	v_mov_b32_e32 v6, s10
	s_xor_b64 exec, exec, s[6:7]
	s_cbranch_execnz .LBB1_19672
; %bb.55509:
	s_getpc_b64 s[14:15]
.Lpost_getpc13418:
	s_add_u32 s14, s14, (.LBB1_5334-.Lpost_getpc13418)&4294967295
	s_addc_u32 s15, s15, (.LBB1_5334-.Lpost_getpc13418)>>32
	s_setpc_b64 s[14:15]
.LBB1_19672:
	v_cmp_ne_u16_e32 vcc, 0, v3
	s_andn2_b64 s[4:5], s[4:5], exec
	s_and_b64 s[8:9], vcc, exec
	v_mov_b32_e32 v6, 0
	s_or_b64 s[4:5], s[4:5], s[8:9]
	s_or_b64 exec, exec, s[6:7]
	s_and_saveexec_b64 s[6:7], s[4:5]
	s_cbranch_execz .LBB1_31339
; %bb.55511:
	s_getpc_b64 s[14:15]
.Lpost_getpc13419:
	s_add_u32 s14, s14, (.LBB1_5335-.Lpost_getpc13419)&4294967295
	s_addc_u32 s15, s15, (.LBB1_5335-.Lpost_getpc13419)>>32
	s_setpc_b64 s[14:15]
.LBB1_31339:
	s_getpc_b64 s[14:15]
.Lpost_getpc1333:
	s_add_u32 s14, s14, (.LBB1_5336-.Lpost_getpc1333)&4294967295
	s_addc_u32 s15, s15, (.LBB1_5336-.Lpost_getpc1333)>>32
	s_setpc_b64 s[14:15]
.LBB1_19673:
	s_movk_i32 s4, 0x80
	v_cmp_eq_u16_sdwa s[12:13], v8, s4 src0_sel:BYTE_3 src1_sel:DWORD
	s_mov_b64 s[4:5], -1
                                        ; implicit-def: $sgpr10
	s_and_saveexec_b64 s[8:9], s[12:13]
; %bb.19674:
	s_mov_b32 s10, 0x7f800001
	s_xor_b64 s[4:5], exec, -1
; %bb.19675:
	s_or_b64 exec, exec, s[8:9]
	s_and_b64 s[4:5], s[4:5], exec
	s_or_saveexec_b64 s[6:7], s[6:7]
	v_mov_b32_e32 v2, s10
	s_xor_b64 exec, exec, s[6:7]
	s_cbranch_execnz .LBB1_19676
; %bb.55513:
	s_getpc_b64 s[14:15]
.Lpost_getpc13420:
	s_add_u32 s14, s14, (.LBB1_5338-.Lpost_getpc13420)&4294967295
	s_addc_u32 s15, s15, (.LBB1_5338-.Lpost_getpc13420)>>32
	s_setpc_b64 s[14:15]
.LBB1_19676:
	v_mov_b32_e32 v2, 0
	v_cmp_ne_u16_sdwa s[8:9], v8, v2 src0_sel:BYTE_3 src1_sel:DWORD
	s_andn2_b64 s[4:5], s[4:5], exec
	s_and_b64 s[8:9], s[8:9], exec
	s_or_b64 s[4:5], s[4:5], s[8:9]
	s_or_b64 exec, exec, s[6:7]
	s_and_saveexec_b64 s[6:7], s[4:5]
	s_cbranch_execz .LBB1_31341
; %bb.55515:
	s_getpc_b64 s[14:15]
.Lpost_getpc13421:
	s_add_u32 s14, s14, (.LBB1_5339-.Lpost_getpc13421)&4294967295
	s_addc_u32 s15, s15, (.LBB1_5339-.Lpost_getpc13421)>>32
	s_setpc_b64 s[14:15]
.LBB1_31341:
	s_getpc_b64 s[14:15]
.Lpost_getpc1334:
	s_add_u32 s14, s14, (.LBB1_5340-.Lpost_getpc1334)&4294967295
	s_addc_u32 s15, s15, (.LBB1_5340-.Lpost_getpc1334)>>32
	s_setpc_b64 s[14:15]
.LBB1_19677:
	s_movk_i32 s4, 0x80
	v_cmp_eq_u16_sdwa s[12:13], v4, s4 src0_sel:BYTE_3 src1_sel:DWORD
	s_mov_b64 s[4:5], -1
                                        ; implicit-def: $sgpr10
	s_and_saveexec_b64 s[8:9], s[12:13]
; %bb.19678:
	s_mov_b32 s10, 0x7f800001
	s_xor_b64 s[4:5], exec, -1
; %bb.19679:
	s_or_b64 exec, exec, s[8:9]
	s_and_b64 s[4:5], s[4:5], exec
	s_or_saveexec_b64 s[6:7], s[6:7]
	v_mov_b32_e32 v3, s10
	s_xor_b64 exec, exec, s[6:7]
	s_cbranch_execnz .LBB1_19680
; %bb.55517:
	s_getpc_b64 s[14:15]
.Lpost_getpc13422:
	s_add_u32 s14, s14, (.LBB1_5342-.Lpost_getpc13422)&4294967295
	s_addc_u32 s15, s15, (.LBB1_5342-.Lpost_getpc13422)>>32
	s_setpc_b64 s[14:15]
.LBB1_19680:
	v_mov_b32_e32 v3, 0
	v_cmp_ne_u16_sdwa s[8:9], v4, v3 src0_sel:BYTE_3 src1_sel:DWORD
	s_andn2_b64 s[4:5], s[4:5], exec
	s_and_b64 s[8:9], s[8:9], exec
	s_or_b64 s[4:5], s[4:5], s[8:9]
	s_or_b64 exec, exec, s[6:7]
	s_and_saveexec_b64 s[6:7], s[4:5]
	s_cbranch_execz .LBB1_31343
; %bb.55519:
	s_getpc_b64 s[14:15]
.Lpost_getpc13423:
	s_add_u32 s14, s14, (.LBB1_5343-.Lpost_getpc13423)&4294967295
	s_addc_u32 s15, s15, (.LBB1_5343-.Lpost_getpc13423)>>32
	s_setpc_b64 s[14:15]
.LBB1_31343:
	s_getpc_b64 s[14:15]
.Lpost_getpc1335:
	s_add_u32 s14, s14, (.LBB1_5344-.Lpost_getpc1335)&4294967295
	s_addc_u32 s15, s15, (.LBB1_5344-.Lpost_getpc1335)>>32
	s_setpc_b64 s[14:15]
.LBB1_19681:
	s_movk_i32 s4, 0x80
	v_cmp_eq_u16_sdwa s[12:13], v9, s4 src0_sel:BYTE_0 src1_sel:DWORD
	s_mov_b64 s[4:5], -1
                                        ; implicit-def: $sgpr10
	s_and_saveexec_b64 s[8:9], s[12:13]
; %bb.19682:
	s_mov_b32 s10, 0x7f800001
	s_xor_b64 s[4:5], exec, -1
; %bb.19683:
	s_or_b64 exec, exec, s[8:9]
	s_and_b64 s[4:5], s[4:5], exec
	s_or_saveexec_b64 s[6:7], s[6:7]
	v_mov_b32_e32 v2, s10
	s_xor_b64 exec, exec, s[6:7]
	s_cbranch_execnz .LBB1_19684
; %bb.55521:
	s_getpc_b64 s[14:15]
.Lpost_getpc13424:
	s_add_u32 s14, s14, (.LBB1_5346-.Lpost_getpc13424)&4294967295
	s_addc_u32 s15, s15, (.LBB1_5346-.Lpost_getpc13424)>>32
	s_setpc_b64 s[14:15]
.LBB1_19684:
	v_mov_b32_e32 v2, 0
	v_cmp_ne_u16_sdwa s[8:9], v9, v2 src0_sel:BYTE_0 src1_sel:DWORD
	s_andn2_b64 s[4:5], s[4:5], exec
	s_and_b64 s[8:9], s[8:9], exec
	s_or_b64 s[4:5], s[4:5], s[8:9]
	s_or_b64 exec, exec, s[6:7]
	s_and_saveexec_b64 s[6:7], s[4:5]
	s_cbranch_execz .LBB1_31345
; %bb.55523:
	s_getpc_b64 s[14:15]
.Lpost_getpc13425:
	s_add_u32 s14, s14, (.LBB1_5347-.Lpost_getpc13425)&4294967295
	s_addc_u32 s15, s15, (.LBB1_5347-.Lpost_getpc13425)>>32
	s_setpc_b64 s[14:15]
.LBB1_31345:
	s_getpc_b64 s[14:15]
.Lpost_getpc1336:
	s_add_u32 s14, s14, (.LBB1_5348-.Lpost_getpc1336)&4294967295
	s_addc_u32 s15, s15, (.LBB1_5348-.Lpost_getpc1336)>>32
	s_setpc_b64 s[14:15]
.LBB1_19685:
	s_movk_i32 s4, 0x80
	v_cmp_eq_u16_sdwa s[12:13], v5, s4 src0_sel:BYTE_0 src1_sel:DWORD
	s_mov_b64 s[4:5], -1
                                        ; implicit-def: $sgpr10
	s_and_saveexec_b64 s[8:9], s[12:13]
; %bb.19686:
	s_mov_b32 s10, 0x7f800001
	s_xor_b64 s[4:5], exec, -1
; %bb.19687:
	s_or_b64 exec, exec, s[8:9]
	s_and_b64 s[4:5], s[4:5], exec
	s_or_saveexec_b64 s[6:7], s[6:7]
	v_mov_b32_e32 v3, s10
	s_xor_b64 exec, exec, s[6:7]
	s_cbranch_execnz .LBB1_19688
; %bb.55525:
	s_getpc_b64 s[14:15]
.Lpost_getpc13426:
	s_add_u32 s14, s14, (.LBB1_5350-.Lpost_getpc13426)&4294967295
	s_addc_u32 s15, s15, (.LBB1_5350-.Lpost_getpc13426)>>32
	s_setpc_b64 s[14:15]
.LBB1_19688:
	v_mov_b32_e32 v3, 0
	v_cmp_ne_u16_sdwa s[8:9], v5, v3 src0_sel:BYTE_0 src1_sel:DWORD
	s_andn2_b64 s[4:5], s[4:5], exec
	s_and_b64 s[8:9], s[8:9], exec
	s_or_b64 s[4:5], s[4:5], s[8:9]
	s_or_b64 exec, exec, s[6:7]
	s_and_saveexec_b64 s[6:7], s[4:5]
	s_cbranch_execz .LBB1_31347
; %bb.55527:
	s_getpc_b64 s[14:15]
.Lpost_getpc13427:
	s_add_u32 s14, s14, (.LBB1_5351-.Lpost_getpc13427)&4294967295
	s_addc_u32 s15, s15, (.LBB1_5351-.Lpost_getpc13427)>>32
	s_setpc_b64 s[14:15]
.LBB1_31347:
	s_getpc_b64 s[14:15]
.Lpost_getpc1337:
	s_add_u32 s14, s14, (.LBB1_5352-.Lpost_getpc1337)&4294967295
	s_addc_u32 s15, s15, (.LBB1_5352-.Lpost_getpc1337)>>32
	s_setpc_b64 s[14:15]
.LBB1_19689:
	s_movk_i32 s4, 0x80
	v_cmp_eq_u16_sdwa s[12:13], v3, s4 src0_sel:BYTE_0 src1_sel:DWORD
	s_mov_b64 s[4:5], -1
                                        ; implicit-def: $sgpr10
	s_and_saveexec_b64 s[8:9], s[12:13]
; %bb.19690:
	s_mov_b32 s10, 0x7f800001
	s_xor_b64 s[4:5], exec, -1
; %bb.19691:
	s_or_b64 exec, exec, s[8:9]
	s_and_b64 s[4:5], s[4:5], exec
	s_or_saveexec_b64 s[6:7], s[6:7]
	v_mov_b32_e32 v2, s10
	s_xor_b64 exec, exec, s[6:7]
	s_cbranch_execnz .LBB1_19692
; %bb.55529:
	s_getpc_b64 s[14:15]
.Lpost_getpc13428:
	s_add_u32 s14, s14, (.LBB1_5354-.Lpost_getpc13428)&4294967295
	s_addc_u32 s15, s15, (.LBB1_5354-.Lpost_getpc13428)>>32
	s_setpc_b64 s[14:15]
.LBB1_19692:
	v_mov_b32_e32 v2, 0
	v_cmp_ne_u16_sdwa s[8:9], v3, v2 src0_sel:BYTE_0 src1_sel:DWORD
	s_andn2_b64 s[4:5], s[4:5], exec
	s_and_b64 s[8:9], s[8:9], exec
	s_or_b64 s[4:5], s[4:5], s[8:9]
	s_or_b64 exec, exec, s[6:7]
	s_and_saveexec_b64 s[6:7], s[4:5]
	s_cbranch_execz .LBB1_31349
; %bb.55531:
	s_getpc_b64 s[14:15]
.Lpost_getpc13429:
	s_add_u32 s14, s14, (.LBB1_5355-.Lpost_getpc13429)&4294967295
	s_addc_u32 s15, s15, (.LBB1_5355-.Lpost_getpc13429)>>32
	s_setpc_b64 s[14:15]
.LBB1_31349:
	s_getpc_b64 s[14:15]
.Lpost_getpc1338:
	s_add_u32 s14, s14, (.LBB1_5356-.Lpost_getpc1338)&4294967295
	s_addc_u32 s15, s15, (.LBB1_5356-.Lpost_getpc1338)>>32
	s_setpc_b64 s[14:15]
.LBB1_19693:
	s_movk_i32 s4, 0x80
	v_cmp_eq_u16_sdwa s[12:13], v3, s4 src0_sel:BYTE_0 src1_sel:DWORD
	s_mov_b64 s[4:5], -1
                                        ; implicit-def: $sgpr10
	s_and_saveexec_b64 s[8:9], s[12:13]
; %bb.19694:
	s_mov_b32 s10, 0x7f800001
	s_xor_b64 s[4:5], exec, -1
; %bb.19695:
	s_or_b64 exec, exec, s[8:9]
	s_and_b64 s[4:5], s[4:5], exec
	s_or_saveexec_b64 s[6:7], s[6:7]
	v_mov_b32_e32 v4, s10
	s_xor_b64 exec, exec, s[6:7]
	s_cbranch_execnz .LBB1_19696
; %bb.55533:
	s_getpc_b64 s[14:15]
.Lpost_getpc13430:
	s_add_u32 s14, s14, (.LBB1_5358-.Lpost_getpc13430)&4294967295
	s_addc_u32 s15, s15, (.LBB1_5358-.Lpost_getpc13430)>>32
	s_setpc_b64 s[14:15]
.LBB1_19696:
	v_mov_b32_e32 v4, 0
	v_cmp_ne_u16_sdwa s[8:9], v3, v4 src0_sel:BYTE_0 src1_sel:DWORD
	s_andn2_b64 s[4:5], s[4:5], exec
	s_and_b64 s[8:9], s[8:9], exec
	s_or_b64 s[4:5], s[4:5], s[8:9]
	s_or_b64 exec, exec, s[6:7]
	s_and_saveexec_b64 s[6:7], s[4:5]
	s_cbranch_execz .LBB1_31351
; %bb.55535:
	s_getpc_b64 s[14:15]
.Lpost_getpc13431:
	s_add_u32 s14, s14, (.LBB1_5359-.Lpost_getpc13431)&4294967295
	s_addc_u32 s15, s15, (.LBB1_5359-.Lpost_getpc13431)>>32
	s_setpc_b64 s[14:15]
.LBB1_31351:
	s_getpc_b64 s[14:15]
.Lpost_getpc1339:
	s_add_u32 s14, s14, (.LBB1_5360-.Lpost_getpc1339)&4294967295
	s_addc_u32 s15, s15, (.LBB1_5360-.Lpost_getpc1339)>>32
	s_setpc_b64 s[14:15]
.LBB1_19697:
	s_movk_i32 s4, 0x80
	v_cmp_eq_u16_e32 vcc, s4, v3
	s_mov_b64 s[4:5], -1
                                        ; implicit-def: $sgpr10
	s_and_saveexec_b64 s[8:9], vcc
; %bb.19698:
	s_mov_b32 s10, 0x7f800001
	s_xor_b64 s[4:5], exec, -1
; %bb.19699:
	s_or_b64 exec, exec, s[8:9]
	s_and_b64 s[4:5], s[4:5], exec
                                        ; implicit-def: $vgpr3
	s_or_saveexec_b64 s[6:7], s[6:7]
	v_mov_b32_e32 v2, s10
	s_xor_b64 exec, exec, s[6:7]
	s_cbranch_execnz .LBB1_19700
; %bb.55537:
	s_getpc_b64 s[14:15]
.Lpost_getpc13432:
	s_add_u32 s14, s14, (.LBB1_5362-.Lpost_getpc13432)&4294967295
	s_addc_u32 s15, s15, (.LBB1_5362-.Lpost_getpc13432)>>32
	s_setpc_b64 s[14:15]
.LBB1_19700:
	v_cmp_ne_u16_e32 vcc, 0, v3
	s_andn2_b64 s[4:5], s[4:5], exec
	s_and_b64 s[8:9], vcc, exec
	v_mov_b32_e32 v2, 0
	s_or_b64 s[4:5], s[4:5], s[8:9]
	s_or_b64 exec, exec, s[6:7]
	s_and_saveexec_b64 s[6:7], s[4:5]
	s_cbranch_execz .LBB1_31353
; %bb.55539:
	s_getpc_b64 s[14:15]
.Lpost_getpc13433:
	s_add_u32 s14, s14, (.LBB1_5363-.Lpost_getpc13433)&4294967295
	s_addc_u32 s15, s15, (.LBB1_5363-.Lpost_getpc13433)>>32
	s_setpc_b64 s[14:15]
.LBB1_31353:
	s_getpc_b64 s[14:15]
.Lpost_getpc1340:
	s_add_u32 s14, s14, (.LBB1_5364-.Lpost_getpc1340)&4294967295
	s_addc_u32 s15, s15, (.LBB1_5364-.Lpost_getpc1340)>>32
	s_setpc_b64 s[14:15]
.LBB1_19701:
	s_movk_i32 s4, 0x80
	v_cmp_eq_u16_e32 vcc, s4, v3
	s_mov_b64 s[4:5], -1
                                        ; implicit-def: $sgpr10
	s_and_saveexec_b64 s[8:9], vcc
; %bb.19702:
	s_mov_b32 s10, 0x7f800001
	s_xor_b64 s[4:5], exec, -1
; %bb.19703:
	s_or_b64 exec, exec, s[8:9]
	s_and_b64 s[4:5], s[4:5], exec
                                        ; implicit-def: $vgpr3
	s_or_saveexec_b64 s[6:7], s[6:7]
	v_mov_b32_e32 v4, s10
	s_xor_b64 exec, exec, s[6:7]
	s_cbranch_execnz .LBB1_19704
; %bb.55541:
	s_getpc_b64 s[14:15]
.Lpost_getpc13434:
	s_add_u32 s14, s14, (.LBB1_5366-.Lpost_getpc13434)&4294967295
	s_addc_u32 s15, s15, (.LBB1_5366-.Lpost_getpc13434)>>32
	s_setpc_b64 s[14:15]
.LBB1_19704:
	v_cmp_ne_u16_e32 vcc, 0, v3
	s_andn2_b64 s[4:5], s[4:5], exec
	s_and_b64 s[8:9], vcc, exec
	v_mov_b32_e32 v4, 0
	s_or_b64 s[4:5], s[4:5], s[8:9]
	s_or_b64 exec, exec, s[6:7]
	s_and_saveexec_b64 s[6:7], s[4:5]
	s_cbranch_execz .LBB1_31355
; %bb.55543:
	s_getpc_b64 s[14:15]
.Lpost_getpc13435:
	s_add_u32 s14, s14, (.LBB1_5367-.Lpost_getpc13435)&4294967295
	s_addc_u32 s15, s15, (.LBB1_5367-.Lpost_getpc13435)>>32
	s_setpc_b64 s[14:15]
.LBB1_31355:
	s_getpc_b64 s[14:15]
.Lpost_getpc1341:
	s_add_u32 s14, s14, (.LBB1_5368-.Lpost_getpc1341)&4294967295
	s_addc_u32 s15, s15, (.LBB1_5368-.Lpost_getpc1341)>>32
	s_setpc_b64 s[14:15]
.LBB1_19705:
	s_movk_i32 s4, 0x80
	v_cmp_eq_u16_sdwa s[12:13], v9, s4 src0_sel:BYTE_3 src1_sel:DWORD
	s_mov_b64 s[4:5], -1
                                        ; implicit-def: $sgpr10
	s_and_saveexec_b64 s[8:9], s[12:13]
; %bb.19706:
	s_mov_b32 s10, 0x7f800001
	s_xor_b64 s[4:5], exec, -1
; %bb.19707:
	s_or_b64 exec, exec, s[8:9]
	s_and_b64 s[4:5], s[4:5], exec
	s_or_saveexec_b64 s[6:7], s[6:7]
	v_mov_b32_e32 v2, s10
	s_xor_b64 exec, exec, s[6:7]
	s_cbranch_execnz .LBB1_19708
; %bb.55545:
	s_getpc_b64 s[14:15]
.Lpost_getpc13436:
	s_add_u32 s14, s14, (.LBB1_5370-.Lpost_getpc13436)&4294967295
	s_addc_u32 s15, s15, (.LBB1_5370-.Lpost_getpc13436)>>32
	s_setpc_b64 s[14:15]
.LBB1_19708:
	v_mov_b32_e32 v2, 0
	v_cmp_ne_u16_sdwa s[8:9], v9, v2 src0_sel:BYTE_3 src1_sel:DWORD
	s_andn2_b64 s[4:5], s[4:5], exec
	s_and_b64 s[8:9], s[8:9], exec
	s_or_b64 s[4:5], s[4:5], s[8:9]
	s_or_b64 exec, exec, s[6:7]
	s_and_saveexec_b64 s[6:7], s[4:5]
	s_cbranch_execz .LBB1_31357
; %bb.55547:
	s_getpc_b64 s[14:15]
.Lpost_getpc13437:
	s_add_u32 s14, s14, (.LBB1_5371-.Lpost_getpc13437)&4294967295
	s_addc_u32 s15, s15, (.LBB1_5371-.Lpost_getpc13437)>>32
	s_setpc_b64 s[14:15]
.LBB1_31357:
	s_getpc_b64 s[14:15]
.Lpost_getpc1342:
	s_add_u32 s14, s14, (.LBB1_5372-.Lpost_getpc1342)&4294967295
	s_addc_u32 s15, s15, (.LBB1_5372-.Lpost_getpc1342)>>32
	s_setpc_b64 s[14:15]
.LBB1_19709:
	s_movk_i32 s4, 0x80
	v_cmp_eq_u16_sdwa s[12:13], v5, s4 src0_sel:BYTE_3 src1_sel:DWORD
	s_mov_b64 s[4:5], -1
                                        ; implicit-def: $sgpr10
	s_and_saveexec_b64 s[8:9], s[12:13]
; %bb.19710:
	s_mov_b32 s10, 0x7f800001
	s_xor_b64 s[4:5], exec, -1
; %bb.19711:
	s_or_b64 exec, exec, s[8:9]
	s_and_b64 s[4:5], s[4:5], exec
	s_or_saveexec_b64 s[6:7], s[6:7]
	v_mov_b32_e32 v3, s10
	s_xor_b64 exec, exec, s[6:7]
	s_cbranch_execnz .LBB1_19712
; %bb.55549:
	s_getpc_b64 s[14:15]
.Lpost_getpc13438:
	s_add_u32 s14, s14, (.LBB1_5374-.Lpost_getpc13438)&4294967295
	s_addc_u32 s15, s15, (.LBB1_5374-.Lpost_getpc13438)>>32
	s_setpc_b64 s[14:15]
.LBB1_19712:
	v_mov_b32_e32 v3, 0
	v_cmp_ne_u16_sdwa s[8:9], v5, v3 src0_sel:BYTE_3 src1_sel:DWORD
	s_andn2_b64 s[4:5], s[4:5], exec
	s_and_b64 s[8:9], s[8:9], exec
	s_or_b64 s[4:5], s[4:5], s[8:9]
	s_or_b64 exec, exec, s[6:7]
	s_and_saveexec_b64 s[6:7], s[4:5]
	s_cbranch_execz .LBB1_31359
; %bb.55551:
	s_getpc_b64 s[14:15]
.Lpost_getpc13439:
	s_add_u32 s14, s14, (.LBB1_5375-.Lpost_getpc13439)&4294967295
	s_addc_u32 s15, s15, (.LBB1_5375-.Lpost_getpc13439)>>32
	s_setpc_b64 s[14:15]
.LBB1_31359:
	s_getpc_b64 s[14:15]
.Lpost_getpc1343:
	s_add_u32 s14, s14, (.LBB1_5376-.Lpost_getpc1343)&4294967295
	s_addc_u32 s15, s15, (.LBB1_5376-.Lpost_getpc1343)>>32
	s_setpc_b64 s[14:15]
.LBB1_19713:
	s_movk_i32 s4, 0x80
	v_cmp_eq_u16_sdwa s[12:13], v6, s4 src0_sel:BYTE_0 src1_sel:DWORD
	s_mov_b64 s[4:5], -1
                                        ; implicit-def: $sgpr10
	s_and_saveexec_b64 s[8:9], s[12:13]
; %bb.19714:
	s_mov_b32 s10, 0x7f800001
	s_xor_b64 s[4:5], exec, -1
; %bb.19715:
	s_or_b64 exec, exec, s[8:9]
	s_and_b64 s[4:5], s[4:5], exec
	s_or_saveexec_b64 s[6:7], s[6:7]
	v_mov_b32_e32 v12, s10
	s_xor_b64 exec, exec, s[6:7]
	s_cbranch_execnz .LBB1_19716
; %bb.55553:
	s_getpc_b64 s[14:15]
.Lpost_getpc13440:
	s_add_u32 s14, s14, (.LBB1_5378-.Lpost_getpc13440)&4294967295
	s_addc_u32 s15, s15, (.LBB1_5378-.Lpost_getpc13440)>>32
	s_setpc_b64 s[14:15]
.LBB1_19716:
	v_mov_b32_e32 v12, 0
	v_cmp_ne_u16_sdwa s[8:9], v6, v12 src0_sel:BYTE_0 src1_sel:DWORD
	s_andn2_b64 s[4:5], s[4:5], exec
	s_and_b64 s[8:9], s[8:9], exec
	s_or_b64 s[4:5], s[4:5], s[8:9]
	s_or_b64 exec, exec, s[6:7]
	s_and_saveexec_b64 s[6:7], s[4:5]
	s_cbranch_execz .LBB1_31361
; %bb.55555:
	s_getpc_b64 s[14:15]
.Lpost_getpc13441:
	s_add_u32 s14, s14, (.LBB1_5379-.Lpost_getpc13441)&4294967295
	s_addc_u32 s15, s15, (.LBB1_5379-.Lpost_getpc13441)>>32
	s_setpc_b64 s[14:15]
.LBB1_31361:
	s_getpc_b64 s[14:15]
.Lpost_getpc1344:
	s_add_u32 s14, s14, (.LBB1_5380-.Lpost_getpc1344)&4294967295
	s_addc_u32 s15, s15, (.LBB1_5380-.Lpost_getpc1344)>>32
	s_setpc_b64 s[14:15]
.LBB1_19717:
	s_movk_i32 s4, 0x80
	v_cmp_eq_u16_sdwa s[12:13], v2, s4 src0_sel:BYTE_0 src1_sel:DWORD
	s_mov_b64 s[4:5], -1
                                        ; implicit-def: $sgpr10
	s_and_saveexec_b64 s[8:9], s[12:13]
; %bb.19718:
	s_mov_b32 s10, 0x7f800001
	s_xor_b64 s[4:5], exec, -1
; %bb.19719:
	s_or_b64 exec, exec, s[8:9]
	s_and_b64 s[4:5], s[4:5], exec
	s_or_saveexec_b64 s[6:7], s[6:7]
	v_mov_b32_e32 v13, s10
	s_xor_b64 exec, exec, s[6:7]
	s_cbranch_execnz .LBB1_19720
; %bb.55557:
	s_getpc_b64 s[14:15]
.Lpost_getpc13442:
	s_add_u32 s14, s14, (.LBB1_5382-.Lpost_getpc13442)&4294967295
	s_addc_u32 s15, s15, (.LBB1_5382-.Lpost_getpc13442)>>32
	s_setpc_b64 s[14:15]
.LBB1_19720:
	v_mov_b32_e32 v13, 0
	v_cmp_ne_u16_sdwa s[8:9], v2, v13 src0_sel:BYTE_0 src1_sel:DWORD
	s_andn2_b64 s[4:5], s[4:5], exec
	s_and_b64 s[8:9], s[8:9], exec
	s_or_b64 s[4:5], s[4:5], s[8:9]
	s_or_b64 exec, exec, s[6:7]
	s_and_saveexec_b64 s[6:7], s[4:5]
	s_cbranch_execz .LBB1_31363
; %bb.55559:
	s_getpc_b64 s[14:15]
.Lpost_getpc13443:
	s_add_u32 s14, s14, (.LBB1_5383-.Lpost_getpc13443)&4294967295
	s_addc_u32 s15, s15, (.LBB1_5383-.Lpost_getpc13443)>>32
	s_setpc_b64 s[14:15]
.LBB1_31363:
	s_getpc_b64 s[14:15]
.Lpost_getpc1345:
	s_add_u32 s14, s14, (.LBB1_5384-.Lpost_getpc1345)&4294967295
	s_addc_u32 s15, s15, (.LBB1_5384-.Lpost_getpc1345)>>32
	s_setpc_b64 s[14:15]
.LBB1_19721:
	s_movk_i32 s4, 0x80
	v_cmp_eq_u16_sdwa s[12:13], v13, s4 src0_sel:BYTE_0 src1_sel:DWORD
	s_mov_b64 s[4:5], -1
                                        ; implicit-def: $sgpr10
	s_and_saveexec_b64 s[8:9], s[12:13]
; %bb.19722:
	s_mov_b32 s10, 0x7f800001
	s_xor_b64 s[4:5], exec, -1
; %bb.19723:
	s_or_b64 exec, exec, s[8:9]
	s_and_b64 s[4:5], s[4:5], exec
	s_or_saveexec_b64 s[6:7], s[6:7]
	v_mov_b32_e32 v12, s10
	s_xor_b64 exec, exec, s[6:7]
	s_cbranch_execnz .LBB1_19724
; %bb.55561:
	s_getpc_b64 s[14:15]
.Lpost_getpc13444:
	s_add_u32 s14, s14, (.LBB1_5386-.Lpost_getpc13444)&4294967295
	s_addc_u32 s15, s15, (.LBB1_5386-.Lpost_getpc13444)>>32
	s_setpc_b64 s[14:15]
.LBB1_19724:
	v_mov_b32_e32 v12, 0
	v_cmp_ne_u16_sdwa s[8:9], v13, v12 src0_sel:BYTE_0 src1_sel:DWORD
	s_andn2_b64 s[4:5], s[4:5], exec
	s_and_b64 s[8:9], s[8:9], exec
	s_or_b64 s[4:5], s[4:5], s[8:9]
	s_or_b64 exec, exec, s[6:7]
	s_and_saveexec_b64 s[6:7], s[4:5]
	s_cbranch_execz .LBB1_31365
; %bb.55563:
	s_getpc_b64 s[14:15]
.Lpost_getpc13445:
	s_add_u32 s14, s14, (.LBB1_5387-.Lpost_getpc13445)&4294967295
	s_addc_u32 s15, s15, (.LBB1_5387-.Lpost_getpc13445)>>32
	s_setpc_b64 s[14:15]
.LBB1_31365:
	s_getpc_b64 s[14:15]
.Lpost_getpc1346:
	s_add_u32 s14, s14, (.LBB1_5388-.Lpost_getpc1346)&4294967295
	s_addc_u32 s15, s15, (.LBB1_5388-.Lpost_getpc1346)>>32
	s_setpc_b64 s[14:15]
.LBB1_19725:
	s_movk_i32 s4, 0x80
	v_cmp_eq_u16_sdwa s[12:13], v13, s4 src0_sel:BYTE_0 src1_sel:DWORD
	s_mov_b64 s[4:5], -1
                                        ; implicit-def: $sgpr10
	s_and_saveexec_b64 s[8:9], s[12:13]
; %bb.19726:
	s_mov_b32 s10, 0x7f800001
	s_xor_b64 s[4:5], exec, -1
; %bb.19727:
	s_or_b64 exec, exec, s[8:9]
	s_and_b64 s[4:5], s[4:5], exec
	s_or_saveexec_b64 s[6:7], s[6:7]
	v_mov_b32_e32 v14, s10
	s_xor_b64 exec, exec, s[6:7]
	s_cbranch_execnz .LBB1_19728
; %bb.55565:
	s_getpc_b64 s[14:15]
.Lpost_getpc13446:
	s_add_u32 s14, s14, (.LBB1_5390-.Lpost_getpc13446)&4294967295
	s_addc_u32 s15, s15, (.LBB1_5390-.Lpost_getpc13446)>>32
	s_setpc_b64 s[14:15]
.LBB1_19728:
	v_mov_b32_e32 v14, 0
	v_cmp_ne_u16_sdwa s[8:9], v13, v14 src0_sel:BYTE_0 src1_sel:DWORD
	s_andn2_b64 s[4:5], s[4:5], exec
	s_and_b64 s[8:9], s[8:9], exec
	s_or_b64 s[4:5], s[4:5], s[8:9]
	s_or_b64 exec, exec, s[6:7]
	s_and_saveexec_b64 s[6:7], s[4:5]
	s_cbranch_execz .LBB1_31367
; %bb.55567:
	s_getpc_b64 s[14:15]
.Lpost_getpc13447:
	s_add_u32 s14, s14, (.LBB1_5391-.Lpost_getpc13447)&4294967295
	s_addc_u32 s15, s15, (.LBB1_5391-.Lpost_getpc13447)>>32
	s_setpc_b64 s[14:15]
.LBB1_31367:
	s_getpc_b64 s[14:15]
.Lpost_getpc1347:
	s_add_u32 s14, s14, (.LBB1_5392-.Lpost_getpc1347)&4294967295
	s_addc_u32 s15, s15, (.LBB1_5392-.Lpost_getpc1347)>>32
	s_setpc_b64 s[14:15]
.LBB1_19729:
	s_movk_i32 s4, 0x80
	v_cmp_eq_u16_e32 vcc, s4, v13
	s_mov_b64 s[4:5], -1
                                        ; implicit-def: $sgpr10
	s_and_saveexec_b64 s[8:9], vcc
; %bb.19730:
	s_mov_b32 s10, 0x7f800001
	s_xor_b64 s[4:5], exec, -1
; %bb.19731:
	s_or_b64 exec, exec, s[8:9]
	s_and_b64 s[4:5], s[4:5], exec
                                        ; implicit-def: $vgpr13
	s_or_saveexec_b64 s[6:7], s[6:7]
	v_mov_b32_e32 v12, s10
	s_xor_b64 exec, exec, s[6:7]
	s_cbranch_execnz .LBB1_19732
; %bb.55569:
	s_getpc_b64 s[14:15]
.Lpost_getpc13448:
	s_add_u32 s14, s14, (.LBB1_5394-.Lpost_getpc13448)&4294967295
	s_addc_u32 s15, s15, (.LBB1_5394-.Lpost_getpc13448)>>32
	s_setpc_b64 s[14:15]
.LBB1_19732:
	v_cmp_ne_u16_e32 vcc, 0, v13
	s_andn2_b64 s[4:5], s[4:5], exec
	s_and_b64 s[8:9], vcc, exec
	v_mov_b32_e32 v12, 0
	s_or_b64 s[4:5], s[4:5], s[8:9]
	s_or_b64 exec, exec, s[6:7]
	s_and_saveexec_b64 s[6:7], s[4:5]
	s_cbranch_execz .LBB1_31369
; %bb.55571:
	s_getpc_b64 s[14:15]
.Lpost_getpc13449:
	s_add_u32 s14, s14, (.LBB1_5395-.Lpost_getpc13449)&4294967295
	s_addc_u32 s15, s15, (.LBB1_5395-.Lpost_getpc13449)>>32
	s_setpc_b64 s[14:15]
.LBB1_31369:
	s_getpc_b64 s[14:15]
.Lpost_getpc1348:
	s_add_u32 s14, s14, (.LBB1_5396-.Lpost_getpc1348)&4294967295
	s_addc_u32 s15, s15, (.LBB1_5396-.Lpost_getpc1348)>>32
	s_setpc_b64 s[14:15]
.LBB1_19733:
	s_movk_i32 s4, 0x80
	v_cmp_eq_u16_e32 vcc, s4, v13
	s_mov_b64 s[4:5], -1
                                        ; implicit-def: $sgpr10
	s_and_saveexec_b64 s[8:9], vcc
; %bb.19734:
	s_mov_b32 s10, 0x7f800001
	s_xor_b64 s[4:5], exec, -1
; %bb.19735:
	s_or_b64 exec, exec, s[8:9]
	s_and_b64 s[4:5], s[4:5], exec
                                        ; implicit-def: $vgpr13
	s_or_saveexec_b64 s[6:7], s[6:7]
	v_mov_b32_e32 v14, s10
	s_xor_b64 exec, exec, s[6:7]
	s_cbranch_execnz .LBB1_19736
; %bb.55573:
	s_getpc_b64 s[14:15]
.Lpost_getpc13450:
	s_add_u32 s14, s14, (.LBB1_5398-.Lpost_getpc13450)&4294967295
	s_addc_u32 s15, s15, (.LBB1_5398-.Lpost_getpc13450)>>32
	s_setpc_b64 s[14:15]
.LBB1_19736:
	v_cmp_ne_u16_e32 vcc, 0, v13
	s_andn2_b64 s[4:5], s[4:5], exec
	s_and_b64 s[8:9], vcc, exec
	v_mov_b32_e32 v14, 0
	s_or_b64 s[4:5], s[4:5], s[8:9]
	s_or_b64 exec, exec, s[6:7]
	s_and_saveexec_b64 s[6:7], s[4:5]
	s_cbranch_execz .LBB1_31371
; %bb.55575:
	s_getpc_b64 s[14:15]
.Lpost_getpc13451:
	s_add_u32 s14, s14, (.LBB1_5399-.Lpost_getpc13451)&4294967295
	s_addc_u32 s15, s15, (.LBB1_5399-.Lpost_getpc13451)>>32
	s_setpc_b64 s[14:15]
.LBB1_31371:
	s_getpc_b64 s[14:15]
.Lpost_getpc1349:
	s_add_u32 s14, s14, (.LBB1_5400-.Lpost_getpc1349)&4294967295
	s_addc_u32 s15, s15, (.LBB1_5400-.Lpost_getpc1349)>>32
	s_setpc_b64 s[14:15]
.LBB1_19737:
	s_movk_i32 s4, 0x80
	v_cmp_eq_u16_sdwa s[12:13], v6, s4 src0_sel:BYTE_3 src1_sel:DWORD
	s_mov_b64 s[4:5], -1
                                        ; implicit-def: $sgpr10
	s_and_saveexec_b64 s[8:9], s[12:13]
; %bb.19738:
	s_mov_b32 s10, 0x7f800001
	s_xor_b64 s[4:5], exec, -1
; %bb.19739:
	s_or_b64 exec, exec, s[8:9]
	s_and_b64 s[4:5], s[4:5], exec
	s_or_saveexec_b64 s[6:7], s[6:7]
	v_mov_b32_e32 v12, s10
	s_xor_b64 exec, exec, s[6:7]
	s_cbranch_execnz .LBB1_19740
; %bb.55577:
	s_getpc_b64 s[14:15]
.Lpost_getpc13452:
	s_add_u32 s14, s14, (.LBB1_5402-.Lpost_getpc13452)&4294967295
	s_addc_u32 s15, s15, (.LBB1_5402-.Lpost_getpc13452)>>32
	s_setpc_b64 s[14:15]
.LBB1_19740:
	v_mov_b32_e32 v12, 0
	v_cmp_ne_u16_sdwa s[8:9], v6, v12 src0_sel:BYTE_3 src1_sel:DWORD
	s_andn2_b64 s[4:5], s[4:5], exec
	s_and_b64 s[8:9], s[8:9], exec
	s_or_b64 s[4:5], s[4:5], s[8:9]
	s_or_b64 exec, exec, s[6:7]
	s_and_saveexec_b64 s[6:7], s[4:5]
	s_cbranch_execz .LBB1_31373
; %bb.55579:
	s_getpc_b64 s[14:15]
.Lpost_getpc13453:
	s_add_u32 s14, s14, (.LBB1_5403-.Lpost_getpc13453)&4294967295
	s_addc_u32 s15, s15, (.LBB1_5403-.Lpost_getpc13453)>>32
	s_setpc_b64 s[14:15]
.LBB1_31373:
	s_getpc_b64 s[14:15]
.Lpost_getpc1350:
	s_add_u32 s14, s14, (.LBB1_5404-.Lpost_getpc1350)&4294967295
	s_addc_u32 s15, s15, (.LBB1_5404-.Lpost_getpc1350)>>32
	s_setpc_b64 s[14:15]
.LBB1_19741:
	s_movk_i32 s4, 0x80
	v_cmp_eq_u16_sdwa s[12:13], v2, s4 src0_sel:BYTE_3 src1_sel:DWORD
	s_mov_b64 s[4:5], -1
                                        ; implicit-def: $sgpr10
	s_and_saveexec_b64 s[8:9], s[12:13]
; %bb.19742:
	s_mov_b32 s10, 0x7f800001
	s_xor_b64 s[4:5], exec, -1
; %bb.19743:
	s_or_b64 exec, exec, s[8:9]
	s_and_b64 s[4:5], s[4:5], exec
	s_or_saveexec_b64 s[6:7], s[6:7]
	v_mov_b32_e32 v6, s10
	s_xor_b64 exec, exec, s[6:7]
	s_cbranch_execnz .LBB1_19744
; %bb.55581:
	s_getpc_b64 s[14:15]
.Lpost_getpc13454:
	s_add_u32 s14, s14, (.LBB1_5406-.Lpost_getpc13454)&4294967295
	s_addc_u32 s15, s15, (.LBB1_5406-.Lpost_getpc13454)>>32
	s_setpc_b64 s[14:15]
.LBB1_19744:
	v_mov_b32_e32 v6, 0
	v_cmp_ne_u16_sdwa s[8:9], v2, v6 src0_sel:BYTE_3 src1_sel:DWORD
	s_andn2_b64 s[4:5], s[4:5], exec
	s_and_b64 s[8:9], s[8:9], exec
	s_or_b64 s[4:5], s[4:5], s[8:9]
	s_or_b64 exec, exec, s[6:7]
	s_and_saveexec_b64 s[6:7], s[4:5]
	s_cbranch_execz .LBB1_31375
; %bb.55583:
	s_getpc_b64 s[14:15]
.Lpost_getpc13455:
	s_add_u32 s14, s14, (.LBB1_5407-.Lpost_getpc13455)&4294967295
	s_addc_u32 s15, s15, (.LBB1_5407-.Lpost_getpc13455)>>32
	s_setpc_b64 s[14:15]
.LBB1_31375:
	s_getpc_b64 s[14:15]
.Lpost_getpc1351:
	s_add_u32 s14, s14, (.LBB1_5408-.Lpost_getpc1351)&4294967295
	s_addc_u32 s15, s15, (.LBB1_5408-.Lpost_getpc1351)>>32
	s_setpc_b64 s[14:15]
.LBB1_19745:
	s_movk_i32 s4, 0x80
	v_cmp_eq_u16_sdwa s[12:13], v7, s4 src0_sel:BYTE_0 src1_sel:DWORD
	s_mov_b64 s[4:5], -1
                                        ; implicit-def: $sgpr10
	s_and_saveexec_b64 s[8:9], s[12:13]
; %bb.19746:
	s_mov_b32 s10, 0x7f800001
	s_xor_b64 s[4:5], exec, -1
; %bb.19747:
	s_or_b64 exec, exec, s[8:9]
	s_and_b64 s[4:5], s[4:5], exec
	s_or_saveexec_b64 s[6:7], s[6:7]
	v_mov_b32_e32 v2, s10
	s_xor_b64 exec, exec, s[6:7]
	s_cbranch_execnz .LBB1_19748
; %bb.55585:
	s_getpc_b64 s[14:15]
.Lpost_getpc13456:
	s_add_u32 s14, s14, (.LBB1_5410-.Lpost_getpc13456)&4294967295
	s_addc_u32 s15, s15, (.LBB1_5410-.Lpost_getpc13456)>>32
	s_setpc_b64 s[14:15]
.LBB1_19748:
	v_mov_b32_e32 v2, 0
	v_cmp_ne_u16_sdwa s[8:9], v7, v2 src0_sel:BYTE_0 src1_sel:DWORD
	s_andn2_b64 s[4:5], s[4:5], exec
	s_and_b64 s[8:9], s[8:9], exec
	s_or_b64 s[4:5], s[4:5], s[8:9]
	s_or_b64 exec, exec, s[6:7]
	s_and_saveexec_b64 s[6:7], s[4:5]
	s_cbranch_execz .LBB1_31377
; %bb.55587:
	s_getpc_b64 s[14:15]
.Lpost_getpc13457:
	s_add_u32 s14, s14, (.LBB1_5411-.Lpost_getpc13457)&4294967295
	s_addc_u32 s15, s15, (.LBB1_5411-.Lpost_getpc13457)>>32
	s_setpc_b64 s[14:15]
.LBB1_31377:
	s_getpc_b64 s[14:15]
.Lpost_getpc1352:
	s_add_u32 s14, s14, (.LBB1_5412-.Lpost_getpc1352)&4294967295
	s_addc_u32 s15, s15, (.LBB1_5412-.Lpost_getpc1352)>>32
	s_setpc_b64 s[14:15]
.LBB1_19749:
	s_movk_i32 s4, 0x80
	v_cmp_eq_u16_sdwa s[12:13], v3, s4 src0_sel:BYTE_0 src1_sel:DWORD
	s_mov_b64 s[4:5], -1
                                        ; implicit-def: $sgpr10
	s_and_saveexec_b64 s[8:9], s[12:13]
; %bb.19750:
	s_mov_b32 s10, 0x7f800001
	s_xor_b64 s[4:5], exec, -1
; %bb.19751:
	s_or_b64 exec, exec, s[8:9]
	s_and_b64 s[4:5], s[4:5], exec
	s_or_saveexec_b64 s[6:7], s[6:7]
	v_mov_b32_e32 v6, s10
	s_xor_b64 exec, exec, s[6:7]
	s_cbranch_execnz .LBB1_19752
; %bb.55589:
	s_getpc_b64 s[14:15]
.Lpost_getpc13458:
	s_add_u32 s14, s14, (.LBB1_5414-.Lpost_getpc13458)&4294967295
	s_addc_u32 s15, s15, (.LBB1_5414-.Lpost_getpc13458)>>32
	s_setpc_b64 s[14:15]
.LBB1_19752:
	v_mov_b32_e32 v6, 0
	v_cmp_ne_u16_sdwa s[8:9], v3, v6 src0_sel:BYTE_0 src1_sel:DWORD
	s_andn2_b64 s[4:5], s[4:5], exec
	s_and_b64 s[8:9], s[8:9], exec
	s_or_b64 s[4:5], s[4:5], s[8:9]
	s_or_b64 exec, exec, s[6:7]
	s_and_saveexec_b64 s[6:7], s[4:5]
	s_cbranch_execz .LBB1_31379
; %bb.55591:
	s_getpc_b64 s[14:15]
.Lpost_getpc13459:
	s_add_u32 s14, s14, (.LBB1_5415-.Lpost_getpc13459)&4294967295
	s_addc_u32 s15, s15, (.LBB1_5415-.Lpost_getpc13459)>>32
	s_setpc_b64 s[14:15]
.LBB1_31379:
	s_getpc_b64 s[14:15]
.Lpost_getpc1353:
	s_add_u32 s14, s14, (.LBB1_5416-.Lpost_getpc1353)&4294967295
	s_addc_u32 s15, s15, (.LBB1_5416-.Lpost_getpc1353)>>32
	s_setpc_b64 s[14:15]
.LBB1_19753:
	s_movk_i32 s4, 0x80
	v_cmp_eq_u16_sdwa s[12:13], v6, s4 src0_sel:BYTE_0 src1_sel:DWORD
	s_mov_b64 s[4:5], -1
                                        ; implicit-def: $sgpr10
	s_and_saveexec_b64 s[8:9], s[12:13]
; %bb.19754:
	s_mov_b32 s10, 0x7f800001
	s_xor_b64 s[4:5], exec, -1
; %bb.19755:
	s_or_b64 exec, exec, s[8:9]
	s_and_b64 s[4:5], s[4:5], exec
	s_or_saveexec_b64 s[6:7], s[6:7]
	v_mov_b32_e32 v2, s10
	s_xor_b64 exec, exec, s[6:7]
	s_cbranch_execnz .LBB1_19756
; %bb.55593:
	s_getpc_b64 s[14:15]
.Lpost_getpc13460:
	s_add_u32 s14, s14, (.LBB1_5418-.Lpost_getpc13460)&4294967295
	s_addc_u32 s15, s15, (.LBB1_5418-.Lpost_getpc13460)>>32
	s_setpc_b64 s[14:15]
.LBB1_19756:
	v_mov_b32_e32 v2, 0
	v_cmp_ne_u16_sdwa s[8:9], v6, v2 src0_sel:BYTE_0 src1_sel:DWORD
	s_andn2_b64 s[4:5], s[4:5], exec
	s_and_b64 s[8:9], s[8:9], exec
	s_or_b64 s[4:5], s[4:5], s[8:9]
	s_or_b64 exec, exec, s[6:7]
	s_and_saveexec_b64 s[6:7], s[4:5]
	s_cbranch_execz .LBB1_31381
; %bb.55595:
	s_getpc_b64 s[14:15]
.Lpost_getpc13461:
	s_add_u32 s14, s14, (.LBB1_5419-.Lpost_getpc13461)&4294967295
	s_addc_u32 s15, s15, (.LBB1_5419-.Lpost_getpc13461)>>32
	s_setpc_b64 s[14:15]
.LBB1_31381:
	s_getpc_b64 s[14:15]
.Lpost_getpc1354:
	s_add_u32 s14, s14, (.LBB1_5420-.Lpost_getpc1354)&4294967295
	s_addc_u32 s15, s15, (.LBB1_5420-.Lpost_getpc1354)>>32
	s_setpc_b64 s[14:15]
.LBB1_19757:
	s_movk_i32 s4, 0x80
	v_cmp_eq_u16_sdwa s[12:13], v6, s4 src0_sel:BYTE_0 src1_sel:DWORD
	s_mov_b64 s[4:5], -1
                                        ; implicit-def: $sgpr10
	s_and_saveexec_b64 s[8:9], s[12:13]
; %bb.19758:
	s_mov_b32 s10, 0x7f800001
	s_xor_b64 s[4:5], exec, -1
; %bb.19759:
	s_or_b64 exec, exec, s[8:9]
	s_and_b64 s[4:5], s[4:5], exec
	s_or_saveexec_b64 s[6:7], s[6:7]
	v_mov_b32_e32 v12, s10
	s_xor_b64 exec, exec, s[6:7]
	s_cbranch_execnz .LBB1_19760
; %bb.55597:
	s_getpc_b64 s[14:15]
.Lpost_getpc13462:
	s_add_u32 s14, s14, (.LBB1_5422-.Lpost_getpc13462)&4294967295
	s_addc_u32 s15, s15, (.LBB1_5422-.Lpost_getpc13462)>>32
	s_setpc_b64 s[14:15]
.LBB1_19760:
	v_mov_b32_e32 v12, 0
	v_cmp_ne_u16_sdwa s[8:9], v6, v12 src0_sel:BYTE_0 src1_sel:DWORD
	s_andn2_b64 s[4:5], s[4:5], exec
	s_and_b64 s[8:9], s[8:9], exec
	s_or_b64 s[4:5], s[4:5], s[8:9]
	s_or_b64 exec, exec, s[6:7]
	s_and_saveexec_b64 s[6:7], s[4:5]
	s_cbranch_execz .LBB1_31383
; %bb.55599:
	s_getpc_b64 s[14:15]
.Lpost_getpc13463:
	s_add_u32 s14, s14, (.LBB1_5423-.Lpost_getpc13463)&4294967295
	s_addc_u32 s15, s15, (.LBB1_5423-.Lpost_getpc13463)>>32
	s_setpc_b64 s[14:15]
.LBB1_31383:
	s_getpc_b64 s[14:15]
.Lpost_getpc1355:
	s_add_u32 s14, s14, (.LBB1_5424-.Lpost_getpc1355)&4294967295
	s_addc_u32 s15, s15, (.LBB1_5424-.Lpost_getpc1355)>>32
	s_setpc_b64 s[14:15]
.LBB1_19761:
	s_movk_i32 s4, 0x80
	v_cmp_eq_u16_e32 vcc, s4, v6
	s_mov_b64 s[4:5], -1
                                        ; implicit-def: $sgpr10
	s_and_saveexec_b64 s[8:9], vcc
; %bb.19762:
	s_mov_b32 s10, 0x7f800001
	s_xor_b64 s[4:5], exec, -1
; %bb.19763:
	s_or_b64 exec, exec, s[8:9]
	s_and_b64 s[4:5], s[4:5], exec
                                        ; implicit-def: $vgpr6
	s_or_saveexec_b64 s[6:7], s[6:7]
	v_mov_b32_e32 v2, s10
	s_xor_b64 exec, exec, s[6:7]
	s_cbranch_execnz .LBB1_19764
; %bb.55601:
	s_getpc_b64 s[14:15]
.Lpost_getpc13464:
	s_add_u32 s14, s14, (.LBB1_5426-.Lpost_getpc13464)&4294967295
	s_addc_u32 s15, s15, (.LBB1_5426-.Lpost_getpc13464)>>32
	s_setpc_b64 s[14:15]
.LBB1_19764:
	v_cmp_ne_u16_e32 vcc, 0, v6
	s_andn2_b64 s[4:5], s[4:5], exec
	s_and_b64 s[8:9], vcc, exec
	v_mov_b32_e32 v2, 0
	s_or_b64 s[4:5], s[4:5], s[8:9]
	s_or_b64 exec, exec, s[6:7]
	s_and_saveexec_b64 s[6:7], s[4:5]
	s_cbranch_execz .LBB1_31385
; %bb.55603:
	s_getpc_b64 s[14:15]
.Lpost_getpc13465:
	s_add_u32 s14, s14, (.LBB1_5427-.Lpost_getpc13465)&4294967295
	s_addc_u32 s15, s15, (.LBB1_5427-.Lpost_getpc13465)>>32
	s_setpc_b64 s[14:15]
.LBB1_31385:
	s_getpc_b64 s[14:15]
.Lpost_getpc1356:
	s_add_u32 s14, s14, (.LBB1_5428-.Lpost_getpc1356)&4294967295
	s_addc_u32 s15, s15, (.LBB1_5428-.Lpost_getpc1356)>>32
	s_setpc_b64 s[14:15]
.LBB1_19765:
	s_movk_i32 s4, 0x80
	v_cmp_eq_u16_e32 vcc, s4, v6
	s_mov_b64 s[4:5], -1
                                        ; implicit-def: $sgpr10
	s_and_saveexec_b64 s[8:9], vcc
; %bb.19766:
	s_mov_b32 s10, 0x7f800001
	s_xor_b64 s[4:5], exec, -1
; %bb.19767:
	s_or_b64 exec, exec, s[8:9]
	s_and_b64 s[4:5], s[4:5], exec
                                        ; implicit-def: $vgpr6
	s_or_saveexec_b64 s[6:7], s[6:7]
	v_mov_b32_e32 v12, s10
	s_xor_b64 exec, exec, s[6:7]
	s_cbranch_execnz .LBB1_19768
; %bb.55605:
	s_getpc_b64 s[14:15]
.Lpost_getpc13466:
	s_add_u32 s14, s14, (.LBB1_5430-.Lpost_getpc13466)&4294967295
	s_addc_u32 s15, s15, (.LBB1_5430-.Lpost_getpc13466)>>32
	s_setpc_b64 s[14:15]
.LBB1_19768:
	v_cmp_ne_u16_e32 vcc, 0, v6
	s_andn2_b64 s[4:5], s[4:5], exec
	s_and_b64 s[8:9], vcc, exec
	v_mov_b32_e32 v12, 0
	s_or_b64 s[4:5], s[4:5], s[8:9]
	s_or_b64 exec, exec, s[6:7]
	s_and_saveexec_b64 s[6:7], s[4:5]
	s_cbranch_execz .LBB1_31387
; %bb.55607:
	s_getpc_b64 s[14:15]
.Lpost_getpc13467:
	s_add_u32 s14, s14, (.LBB1_5431-.Lpost_getpc13467)&4294967295
	s_addc_u32 s15, s15, (.LBB1_5431-.Lpost_getpc13467)>>32
	s_setpc_b64 s[14:15]
.LBB1_31387:
	s_getpc_b64 s[14:15]
.Lpost_getpc1357:
	s_add_u32 s14, s14, (.LBB1_5432-.Lpost_getpc1357)&4294967295
	s_addc_u32 s15, s15, (.LBB1_5432-.Lpost_getpc1357)>>32
	s_setpc_b64 s[14:15]
.LBB1_19769:
	s_movk_i32 s4, 0x80
	v_cmp_eq_u16_sdwa s[12:13], v7, s4 src0_sel:BYTE_3 src1_sel:DWORD
	s_mov_b64 s[4:5], -1
                                        ; implicit-def: $sgpr10
	s_and_saveexec_b64 s[8:9], s[12:13]
; %bb.19770:
	s_mov_b32 s10, 0x7f800001
	s_xor_b64 s[4:5], exec, -1
; %bb.19771:
	s_or_b64 exec, exec, s[8:9]
	s_and_b64 s[4:5], s[4:5], exec
	s_or_saveexec_b64 s[6:7], s[6:7]
	v_mov_b32_e32 v2, s10
	s_xor_b64 exec, exec, s[6:7]
	s_cbranch_execnz .LBB1_19772
; %bb.55609:
	s_getpc_b64 s[14:15]
.Lpost_getpc13468:
	s_add_u32 s14, s14, (.LBB1_5434-.Lpost_getpc13468)&4294967295
	s_addc_u32 s15, s15, (.LBB1_5434-.Lpost_getpc13468)>>32
	s_setpc_b64 s[14:15]
.LBB1_19772:
	v_mov_b32_e32 v2, 0
	v_cmp_ne_u16_sdwa s[8:9], v7, v2 src0_sel:BYTE_3 src1_sel:DWORD
	s_andn2_b64 s[4:5], s[4:5], exec
	s_and_b64 s[8:9], s[8:9], exec
	s_or_b64 s[4:5], s[4:5], s[8:9]
	s_or_b64 exec, exec, s[6:7]
	s_and_saveexec_b64 s[6:7], s[4:5]
	s_cbranch_execz .LBB1_31389
; %bb.55611:
	s_getpc_b64 s[14:15]
.Lpost_getpc13469:
	s_add_u32 s14, s14, (.LBB1_5435-.Lpost_getpc13469)&4294967295
	s_addc_u32 s15, s15, (.LBB1_5435-.Lpost_getpc13469)>>32
	s_setpc_b64 s[14:15]
.LBB1_31389:
	s_getpc_b64 s[14:15]
.Lpost_getpc1358:
	s_add_u32 s14, s14, (.LBB1_5436-.Lpost_getpc1358)&4294967295
	s_addc_u32 s15, s15, (.LBB1_5436-.Lpost_getpc1358)>>32
	s_setpc_b64 s[14:15]
.LBB1_19773:
	s_movk_i32 s4, 0x80
	v_cmp_eq_u16_sdwa s[12:13], v3, s4 src0_sel:BYTE_3 src1_sel:DWORD
	s_mov_b64 s[4:5], -1
                                        ; implicit-def: $sgpr10
	s_and_saveexec_b64 s[8:9], s[12:13]
; %bb.19774:
	s_mov_b32 s10, 0x7f800001
	s_xor_b64 s[4:5], exec, -1
; %bb.19775:
	s_or_b64 exec, exec, s[8:9]
	s_and_b64 s[4:5], s[4:5], exec
	s_or_saveexec_b64 s[6:7], s[6:7]
	v_mov_b32_e32 v6, s10
	s_xor_b64 exec, exec, s[6:7]
	s_cbranch_execnz .LBB1_19776
; %bb.55613:
	s_getpc_b64 s[14:15]
.Lpost_getpc13470:
	s_add_u32 s14, s14, (.LBB1_5438-.Lpost_getpc13470)&4294967295
	s_addc_u32 s15, s15, (.LBB1_5438-.Lpost_getpc13470)>>32
	s_setpc_b64 s[14:15]
.LBB1_19776:
	v_mov_b32_e32 v6, 0
	v_cmp_ne_u16_sdwa s[8:9], v3, v6 src0_sel:BYTE_3 src1_sel:DWORD
	s_andn2_b64 s[4:5], s[4:5], exec
	s_and_b64 s[8:9], s[8:9], exec
	s_or_b64 s[4:5], s[4:5], s[8:9]
	s_or_b64 exec, exec, s[6:7]
	s_and_saveexec_b64 s[6:7], s[4:5]
	s_cbranch_execz .LBB1_31391
; %bb.55615:
	s_getpc_b64 s[14:15]
.Lpost_getpc13471:
	s_add_u32 s14, s14, (.LBB1_5439-.Lpost_getpc13471)&4294967295
	s_addc_u32 s15, s15, (.LBB1_5439-.Lpost_getpc13471)>>32
	s_setpc_b64 s[14:15]
.LBB1_31391:
	s_getpc_b64 s[14:15]
.Lpost_getpc1359:
	s_add_u32 s14, s14, (.LBB1_5440-.Lpost_getpc1359)&4294967295
	s_addc_u32 s15, s15, (.LBB1_5440-.Lpost_getpc1359)>>32
	s_setpc_b64 s[14:15]
.LBB1_19777:
	s_movk_i32 s4, 0x80
	v_cmp_eq_u16_sdwa s[12:13], v8, s4 src0_sel:BYTE_0 src1_sel:DWORD
	s_mov_b64 s[4:5], -1
                                        ; implicit-def: $sgpr10
	s_and_saveexec_b64 s[8:9], s[12:13]
; %bb.19778:
	s_mov_b32 s10, 0x7f800001
	s_xor_b64 s[4:5], exec, -1
; %bb.19779:
	s_or_b64 exec, exec, s[8:9]
	s_and_b64 s[4:5], s[4:5], exec
	s_or_saveexec_b64 s[6:7], s[6:7]
	v_mov_b32_e32 v2, s10
	s_xor_b64 exec, exec, s[6:7]
	s_cbranch_execnz .LBB1_19780
; %bb.55617:
	s_getpc_b64 s[14:15]
.Lpost_getpc13472:
	s_add_u32 s14, s14, (.LBB1_5442-.Lpost_getpc13472)&4294967295
	s_addc_u32 s15, s15, (.LBB1_5442-.Lpost_getpc13472)>>32
	s_setpc_b64 s[14:15]
.LBB1_19780:
	v_mov_b32_e32 v2, 0
	v_cmp_ne_u16_sdwa s[8:9], v8, v2 src0_sel:BYTE_0 src1_sel:DWORD
	s_andn2_b64 s[4:5], s[4:5], exec
	s_and_b64 s[8:9], s[8:9], exec
	s_or_b64 s[4:5], s[4:5], s[8:9]
	s_or_b64 exec, exec, s[6:7]
	s_and_saveexec_b64 s[6:7], s[4:5]
	s_cbranch_execz .LBB1_31393
; %bb.55619:
	s_getpc_b64 s[14:15]
.Lpost_getpc13473:
	s_add_u32 s14, s14, (.LBB1_5443-.Lpost_getpc13473)&4294967295
	s_addc_u32 s15, s15, (.LBB1_5443-.Lpost_getpc13473)>>32
	s_setpc_b64 s[14:15]
.LBB1_31393:
	s_getpc_b64 s[14:15]
.Lpost_getpc1360:
	s_add_u32 s14, s14, (.LBB1_5444-.Lpost_getpc1360)&4294967295
	s_addc_u32 s15, s15, (.LBB1_5444-.Lpost_getpc1360)>>32
	s_setpc_b64 s[14:15]
.LBB1_19781:
	s_movk_i32 s4, 0x80
	v_cmp_eq_u16_sdwa s[12:13], v4, s4 src0_sel:BYTE_0 src1_sel:DWORD
	s_mov_b64 s[4:5], -1
                                        ; implicit-def: $sgpr10
	s_and_saveexec_b64 s[8:9], s[12:13]
; %bb.19782:
	s_mov_b32 s10, 0x7f800001
	s_xor_b64 s[4:5], exec, -1
; %bb.19783:
	s_or_b64 exec, exec, s[8:9]
	s_and_b64 s[4:5], s[4:5], exec
	s_or_saveexec_b64 s[6:7], s[6:7]
	v_mov_b32_e32 v3, s10
	s_xor_b64 exec, exec, s[6:7]
	s_cbranch_execnz .LBB1_19784
; %bb.55621:
	s_getpc_b64 s[14:15]
.Lpost_getpc13474:
	s_add_u32 s14, s14, (.LBB1_5446-.Lpost_getpc13474)&4294967295
	s_addc_u32 s15, s15, (.LBB1_5446-.Lpost_getpc13474)>>32
	s_setpc_b64 s[14:15]
.LBB1_19784:
	v_mov_b32_e32 v3, 0
	v_cmp_ne_u16_sdwa s[8:9], v4, v3 src0_sel:BYTE_0 src1_sel:DWORD
	s_andn2_b64 s[4:5], s[4:5], exec
	s_and_b64 s[8:9], s[8:9], exec
	s_or_b64 s[4:5], s[4:5], s[8:9]
	s_or_b64 exec, exec, s[6:7]
	s_and_saveexec_b64 s[6:7], s[4:5]
	s_cbranch_execz .LBB1_31395
; %bb.55623:
	s_getpc_b64 s[14:15]
.Lpost_getpc13475:
	s_add_u32 s14, s14, (.LBB1_5447-.Lpost_getpc13475)&4294967295
	s_addc_u32 s15, s15, (.LBB1_5447-.Lpost_getpc13475)>>32
	s_setpc_b64 s[14:15]
.LBB1_31395:
	s_getpc_b64 s[14:15]
.Lpost_getpc1361:
	s_add_u32 s14, s14, (.LBB1_5448-.Lpost_getpc1361)&4294967295
	s_addc_u32 s15, s15, (.LBB1_5448-.Lpost_getpc1361)>>32
	s_setpc_b64 s[14:15]
.LBB1_19785:
	s_movk_i32 s4, 0x80
	v_cmp_eq_u16_sdwa s[12:13], v3, s4 src0_sel:BYTE_0 src1_sel:DWORD
	s_mov_b64 s[4:5], -1
                                        ; implicit-def: $sgpr10
	s_and_saveexec_b64 s[8:9], s[12:13]
; %bb.19786:
	s_mov_b32 s10, 0x7f800001
	s_xor_b64 s[4:5], exec, -1
; %bb.19787:
	s_or_b64 exec, exec, s[8:9]
	s_and_b64 s[4:5], s[4:5], exec
	s_or_saveexec_b64 s[6:7], s[6:7]
	v_mov_b32_e32 v2, s10
	s_xor_b64 exec, exec, s[6:7]
	s_cbranch_execnz .LBB1_19788
; %bb.55625:
	s_getpc_b64 s[14:15]
.Lpost_getpc13476:
	s_add_u32 s14, s14, (.LBB1_5450-.Lpost_getpc13476)&4294967295
	s_addc_u32 s15, s15, (.LBB1_5450-.Lpost_getpc13476)>>32
	s_setpc_b64 s[14:15]
.LBB1_19788:
	v_mov_b32_e32 v2, 0
	v_cmp_ne_u16_sdwa s[8:9], v3, v2 src0_sel:BYTE_0 src1_sel:DWORD
	s_andn2_b64 s[4:5], s[4:5], exec
	s_and_b64 s[8:9], s[8:9], exec
	s_or_b64 s[4:5], s[4:5], s[8:9]
	s_or_b64 exec, exec, s[6:7]
	s_and_saveexec_b64 s[6:7], s[4:5]
	s_cbranch_execz .LBB1_31397
; %bb.55627:
	s_getpc_b64 s[14:15]
.Lpost_getpc13477:
	s_add_u32 s14, s14, (.LBB1_5451-.Lpost_getpc13477)&4294967295
	s_addc_u32 s15, s15, (.LBB1_5451-.Lpost_getpc13477)>>32
	s_setpc_b64 s[14:15]
.LBB1_31397:
	s_getpc_b64 s[14:15]
.Lpost_getpc1362:
	s_add_u32 s14, s14, (.LBB1_5452-.Lpost_getpc1362)&4294967295
	s_addc_u32 s15, s15, (.LBB1_5452-.Lpost_getpc1362)>>32
	s_setpc_b64 s[14:15]
.LBB1_19789:
	s_movk_i32 s4, 0x80
	v_cmp_eq_u16_sdwa s[12:13], v3, s4 src0_sel:BYTE_0 src1_sel:DWORD
	s_mov_b64 s[4:5], -1
                                        ; implicit-def: $sgpr10
	s_and_saveexec_b64 s[8:9], s[12:13]
; %bb.19790:
	s_mov_b32 s10, 0x7f800001
	s_xor_b64 s[4:5], exec, -1
; %bb.19791:
	s_or_b64 exec, exec, s[8:9]
	s_and_b64 s[4:5], s[4:5], exec
	s_or_saveexec_b64 s[6:7], s[6:7]
	v_mov_b32_e32 v6, s10
	s_xor_b64 exec, exec, s[6:7]
	s_cbranch_execnz .LBB1_19792
; %bb.55629:
	s_getpc_b64 s[14:15]
.Lpost_getpc13478:
	s_add_u32 s14, s14, (.LBB1_5454-.Lpost_getpc13478)&4294967295
	s_addc_u32 s15, s15, (.LBB1_5454-.Lpost_getpc13478)>>32
	s_setpc_b64 s[14:15]
.LBB1_19792:
	v_mov_b32_e32 v6, 0
	v_cmp_ne_u16_sdwa s[8:9], v3, v6 src0_sel:BYTE_0 src1_sel:DWORD
	s_andn2_b64 s[4:5], s[4:5], exec
	s_and_b64 s[8:9], s[8:9], exec
	s_or_b64 s[4:5], s[4:5], s[8:9]
	s_or_b64 exec, exec, s[6:7]
	s_and_saveexec_b64 s[6:7], s[4:5]
	s_cbranch_execz .LBB1_31399
; %bb.55631:
	s_getpc_b64 s[14:15]
.Lpost_getpc13479:
	s_add_u32 s14, s14, (.LBB1_5455-.Lpost_getpc13479)&4294967295
	s_addc_u32 s15, s15, (.LBB1_5455-.Lpost_getpc13479)>>32
	s_setpc_b64 s[14:15]
.LBB1_31399:
	s_getpc_b64 s[14:15]
.Lpost_getpc1363:
	s_add_u32 s14, s14, (.LBB1_5456-.Lpost_getpc1363)&4294967295
	s_addc_u32 s15, s15, (.LBB1_5456-.Lpost_getpc1363)>>32
	s_setpc_b64 s[14:15]
.LBB1_19793:
	s_movk_i32 s4, 0x80
	v_cmp_eq_u16_e32 vcc, s4, v3
	s_mov_b64 s[4:5], -1
                                        ; implicit-def: $sgpr10
	s_and_saveexec_b64 s[8:9], vcc
; %bb.19794:
	s_mov_b32 s10, 0x7f800001
	s_xor_b64 s[4:5], exec, -1
; %bb.19795:
	s_or_b64 exec, exec, s[8:9]
	s_and_b64 s[4:5], s[4:5], exec
                                        ; implicit-def: $vgpr3
	s_or_saveexec_b64 s[6:7], s[6:7]
	v_mov_b32_e32 v2, s10
	s_xor_b64 exec, exec, s[6:7]
	s_cbranch_execnz .LBB1_19796
; %bb.55633:
	s_getpc_b64 s[14:15]
.Lpost_getpc13480:
	s_add_u32 s14, s14, (.LBB1_5458-.Lpost_getpc13480)&4294967295
	s_addc_u32 s15, s15, (.LBB1_5458-.Lpost_getpc13480)>>32
	s_setpc_b64 s[14:15]
.LBB1_19796:
	v_cmp_ne_u16_e32 vcc, 0, v3
	s_andn2_b64 s[4:5], s[4:5], exec
	s_and_b64 s[8:9], vcc, exec
	v_mov_b32_e32 v2, 0
	s_or_b64 s[4:5], s[4:5], s[8:9]
	s_or_b64 exec, exec, s[6:7]
	s_and_saveexec_b64 s[6:7], s[4:5]
	s_cbranch_execz .LBB1_31401
; %bb.55635:
	s_getpc_b64 s[14:15]
.Lpost_getpc13481:
	s_add_u32 s14, s14, (.LBB1_5459-.Lpost_getpc13481)&4294967295
	s_addc_u32 s15, s15, (.LBB1_5459-.Lpost_getpc13481)>>32
	s_setpc_b64 s[14:15]
.LBB1_31401:
	s_getpc_b64 s[14:15]
.Lpost_getpc1364:
	s_add_u32 s14, s14, (.LBB1_5460-.Lpost_getpc1364)&4294967295
	s_addc_u32 s15, s15, (.LBB1_5460-.Lpost_getpc1364)>>32
	s_setpc_b64 s[14:15]
.LBB1_19797:
	s_movk_i32 s4, 0x80
	v_cmp_eq_u16_e32 vcc, s4, v3
	s_mov_b64 s[4:5], -1
                                        ; implicit-def: $sgpr10
	s_and_saveexec_b64 s[8:9], vcc
; %bb.19798:
	s_mov_b32 s10, 0x7f800001
	s_xor_b64 s[4:5], exec, -1
; %bb.19799:
	s_or_b64 exec, exec, s[8:9]
	s_and_b64 s[4:5], s[4:5], exec
                                        ; implicit-def: $vgpr3
	s_or_saveexec_b64 s[6:7], s[6:7]
	v_mov_b32_e32 v6, s10
	s_xor_b64 exec, exec, s[6:7]
	s_cbranch_execnz .LBB1_19800
; %bb.55637:
	s_getpc_b64 s[14:15]
.Lpost_getpc13482:
	s_add_u32 s14, s14, (.LBB1_5462-.Lpost_getpc13482)&4294967295
	s_addc_u32 s15, s15, (.LBB1_5462-.Lpost_getpc13482)>>32
	s_setpc_b64 s[14:15]
.LBB1_19800:
	v_cmp_ne_u16_e32 vcc, 0, v3
	s_andn2_b64 s[4:5], s[4:5], exec
	s_and_b64 s[8:9], vcc, exec
	v_mov_b32_e32 v6, 0
	s_or_b64 s[4:5], s[4:5], s[8:9]
	s_or_b64 exec, exec, s[6:7]
	s_and_saveexec_b64 s[6:7], s[4:5]
	s_cbranch_execz .LBB1_31403
; %bb.55639:
	s_getpc_b64 s[14:15]
.Lpost_getpc13483:
	s_add_u32 s14, s14, (.LBB1_5463-.Lpost_getpc13483)&4294967295
	s_addc_u32 s15, s15, (.LBB1_5463-.Lpost_getpc13483)>>32
	s_setpc_b64 s[14:15]
.LBB1_31403:
	s_getpc_b64 s[14:15]
.Lpost_getpc1365:
	s_add_u32 s14, s14, (.LBB1_5464-.Lpost_getpc1365)&4294967295
	s_addc_u32 s15, s15, (.LBB1_5464-.Lpost_getpc1365)>>32
	s_setpc_b64 s[14:15]
.LBB1_19801:
	s_movk_i32 s4, 0x80
	v_cmp_eq_u16_sdwa s[12:13], v8, s4 src0_sel:BYTE_3 src1_sel:DWORD
	s_mov_b64 s[4:5], -1
                                        ; implicit-def: $sgpr10
	s_and_saveexec_b64 s[8:9], s[12:13]
; %bb.19802:
	s_mov_b32 s10, 0x7f800001
	s_xor_b64 s[4:5], exec, -1
; %bb.19803:
	s_or_b64 exec, exec, s[8:9]
	s_and_b64 s[4:5], s[4:5], exec
	s_or_saveexec_b64 s[6:7], s[6:7]
	v_mov_b32_e32 v2, s10
	s_xor_b64 exec, exec, s[6:7]
	s_cbranch_execnz .LBB1_19804
; %bb.55641:
	s_getpc_b64 s[14:15]
.Lpost_getpc13484:
	s_add_u32 s14, s14, (.LBB1_5466-.Lpost_getpc13484)&4294967295
	s_addc_u32 s15, s15, (.LBB1_5466-.Lpost_getpc13484)>>32
	s_setpc_b64 s[14:15]
.LBB1_19804:
	v_mov_b32_e32 v2, 0
	v_cmp_ne_u16_sdwa s[8:9], v8, v2 src0_sel:BYTE_3 src1_sel:DWORD
	s_andn2_b64 s[4:5], s[4:5], exec
	s_and_b64 s[8:9], s[8:9], exec
	s_or_b64 s[4:5], s[4:5], s[8:9]
	s_or_b64 exec, exec, s[6:7]
	s_and_saveexec_b64 s[6:7], s[4:5]
	s_cbranch_execz .LBB1_31405
; %bb.55643:
	s_getpc_b64 s[14:15]
.Lpost_getpc13485:
	s_add_u32 s14, s14, (.LBB1_5467-.Lpost_getpc13485)&4294967295
	s_addc_u32 s15, s15, (.LBB1_5467-.Lpost_getpc13485)>>32
	s_setpc_b64 s[14:15]
.LBB1_31405:
	s_getpc_b64 s[14:15]
.Lpost_getpc1366:
	s_add_u32 s14, s14, (.LBB1_5468-.Lpost_getpc1366)&4294967295
	s_addc_u32 s15, s15, (.LBB1_5468-.Lpost_getpc1366)>>32
	s_setpc_b64 s[14:15]
.LBB1_19805:
	s_movk_i32 s4, 0x80
	v_cmp_eq_u16_sdwa s[12:13], v4, s4 src0_sel:BYTE_3 src1_sel:DWORD
	s_mov_b64 s[4:5], -1
                                        ; implicit-def: $sgpr10
	s_and_saveexec_b64 s[8:9], s[12:13]
; %bb.19806:
	s_mov_b32 s10, 0x7f800001
	s_xor_b64 s[4:5], exec, -1
; %bb.19807:
	s_or_b64 exec, exec, s[8:9]
	s_and_b64 s[4:5], s[4:5], exec
	s_or_saveexec_b64 s[6:7], s[6:7]
	v_mov_b32_e32 v3, s10
	s_xor_b64 exec, exec, s[6:7]
	s_cbranch_execnz .LBB1_19808
; %bb.55645:
	s_getpc_b64 s[14:15]
.Lpost_getpc13486:
	s_add_u32 s14, s14, (.LBB1_5470-.Lpost_getpc13486)&4294967295
	s_addc_u32 s15, s15, (.LBB1_5470-.Lpost_getpc13486)>>32
	s_setpc_b64 s[14:15]
.LBB1_19808:
	v_mov_b32_e32 v3, 0
	v_cmp_ne_u16_sdwa s[8:9], v4, v3 src0_sel:BYTE_3 src1_sel:DWORD
	s_andn2_b64 s[4:5], s[4:5], exec
	s_and_b64 s[8:9], s[8:9], exec
	s_or_b64 s[4:5], s[4:5], s[8:9]
	s_or_b64 exec, exec, s[6:7]
	s_and_saveexec_b64 s[6:7], s[4:5]
	s_cbranch_execz .LBB1_31407
; %bb.55647:
	s_getpc_b64 s[14:15]
.Lpost_getpc13487:
	s_add_u32 s14, s14, (.LBB1_5471-.Lpost_getpc13487)&4294967295
	s_addc_u32 s15, s15, (.LBB1_5471-.Lpost_getpc13487)>>32
	s_setpc_b64 s[14:15]
.LBB1_31407:
	s_getpc_b64 s[14:15]
.Lpost_getpc1367:
	s_add_u32 s14, s14, (.LBB1_5472-.Lpost_getpc1367)&4294967295
	s_addc_u32 s15, s15, (.LBB1_5472-.Lpost_getpc1367)>>32
	s_setpc_b64 s[14:15]
.LBB1_19809:
	s_movk_i32 s4, 0x80
	v_cmp_eq_u16_sdwa s[12:13], v9, s4 src0_sel:BYTE_0 src1_sel:DWORD
	s_mov_b64 s[4:5], -1
                                        ; implicit-def: $sgpr10
	s_and_saveexec_b64 s[8:9], s[12:13]
; %bb.19810:
	s_mov_b32 s10, 0x7f800001
	s_xor_b64 s[4:5], exec, -1
; %bb.19811:
	s_or_b64 exec, exec, s[8:9]
	s_and_b64 s[4:5], s[4:5], exec
	s_or_saveexec_b64 s[6:7], s[6:7]
	v_mov_b32_e32 v2, s10
	s_xor_b64 exec, exec, s[6:7]
	s_cbranch_execnz .LBB1_19812
; %bb.55649:
	s_getpc_b64 s[14:15]
.Lpost_getpc13488:
	s_add_u32 s14, s14, (.LBB1_5474-.Lpost_getpc13488)&4294967295
	s_addc_u32 s15, s15, (.LBB1_5474-.Lpost_getpc13488)>>32
	s_setpc_b64 s[14:15]
.LBB1_19812:
	v_mov_b32_e32 v2, 0
	v_cmp_ne_u16_sdwa s[8:9], v9, v2 src0_sel:BYTE_0 src1_sel:DWORD
	s_andn2_b64 s[4:5], s[4:5], exec
	s_and_b64 s[8:9], s[8:9], exec
	s_or_b64 s[4:5], s[4:5], s[8:9]
	s_or_b64 exec, exec, s[6:7]
	s_and_saveexec_b64 s[6:7], s[4:5]
	s_cbranch_execz .LBB1_31409
; %bb.55651:
	s_getpc_b64 s[14:15]
.Lpost_getpc13489:
	s_add_u32 s14, s14, (.LBB1_5475-.Lpost_getpc13489)&4294967295
	s_addc_u32 s15, s15, (.LBB1_5475-.Lpost_getpc13489)>>32
	s_setpc_b64 s[14:15]
.LBB1_31409:
	s_getpc_b64 s[14:15]
.Lpost_getpc1368:
	s_add_u32 s14, s14, (.LBB1_5476-.Lpost_getpc1368)&4294967295
	s_addc_u32 s15, s15, (.LBB1_5476-.Lpost_getpc1368)>>32
	s_setpc_b64 s[14:15]
.LBB1_19813:
	s_movk_i32 s4, 0x80
	v_cmp_eq_u16_sdwa s[12:13], v5, s4 src0_sel:BYTE_0 src1_sel:DWORD
	s_mov_b64 s[4:5], -1
                                        ; implicit-def: $sgpr10
	s_and_saveexec_b64 s[8:9], s[12:13]
; %bb.19814:
	s_mov_b32 s10, 0x7f800001
	s_xor_b64 s[4:5], exec, -1
; %bb.19815:
	s_or_b64 exec, exec, s[8:9]
	s_and_b64 s[4:5], s[4:5], exec
	s_or_saveexec_b64 s[6:7], s[6:7]
	v_mov_b32_e32 v3, s10
	s_xor_b64 exec, exec, s[6:7]
	s_cbranch_execnz .LBB1_19816
; %bb.55653:
	s_getpc_b64 s[14:15]
.Lpost_getpc13490:
	s_add_u32 s14, s14, (.LBB1_5478-.Lpost_getpc13490)&4294967295
	s_addc_u32 s15, s15, (.LBB1_5478-.Lpost_getpc13490)>>32
	s_setpc_b64 s[14:15]
.LBB1_19816:
	v_mov_b32_e32 v3, 0
	v_cmp_ne_u16_sdwa s[8:9], v5, v3 src0_sel:BYTE_0 src1_sel:DWORD
	s_andn2_b64 s[4:5], s[4:5], exec
	s_and_b64 s[8:9], s[8:9], exec
	s_or_b64 s[4:5], s[4:5], s[8:9]
	s_or_b64 exec, exec, s[6:7]
	s_and_saveexec_b64 s[6:7], s[4:5]
	s_cbranch_execz .LBB1_31411
; %bb.55655:
	s_getpc_b64 s[14:15]
.Lpost_getpc13491:
	s_add_u32 s14, s14, (.LBB1_5479-.Lpost_getpc13491)&4294967295
	s_addc_u32 s15, s15, (.LBB1_5479-.Lpost_getpc13491)>>32
	s_setpc_b64 s[14:15]
.LBB1_31411:
	s_getpc_b64 s[14:15]
.Lpost_getpc1369:
	s_add_u32 s14, s14, (.LBB1_5480-.Lpost_getpc1369)&4294967295
	s_addc_u32 s15, s15, (.LBB1_5480-.Lpost_getpc1369)>>32
	s_setpc_b64 s[14:15]
.LBB1_19817:
	s_movk_i32 s4, 0x80
	v_cmp_eq_u16_sdwa s[12:13], v3, s4 src0_sel:BYTE_0 src1_sel:DWORD
	s_mov_b64 s[4:5], -1
                                        ; implicit-def: $sgpr10
	s_and_saveexec_b64 s[8:9], s[12:13]
; %bb.19818:
	s_mov_b32 s10, 0x7f800001
	s_xor_b64 s[4:5], exec, -1
; %bb.19819:
	s_or_b64 exec, exec, s[8:9]
	s_and_b64 s[4:5], s[4:5], exec
	s_or_saveexec_b64 s[6:7], s[6:7]
	v_mov_b32_e32 v2, s10
	s_xor_b64 exec, exec, s[6:7]
	s_cbranch_execnz .LBB1_19820
; %bb.55657:
	s_getpc_b64 s[14:15]
.Lpost_getpc13492:
	s_add_u32 s14, s14, (.LBB1_5482-.Lpost_getpc13492)&4294967295
	s_addc_u32 s15, s15, (.LBB1_5482-.Lpost_getpc13492)>>32
	s_setpc_b64 s[14:15]
.LBB1_19820:
	v_mov_b32_e32 v2, 0
	v_cmp_ne_u16_sdwa s[8:9], v3, v2 src0_sel:BYTE_0 src1_sel:DWORD
	s_andn2_b64 s[4:5], s[4:5], exec
	s_and_b64 s[8:9], s[8:9], exec
	s_or_b64 s[4:5], s[4:5], s[8:9]
	s_or_b64 exec, exec, s[6:7]
	s_and_saveexec_b64 s[6:7], s[4:5]
	s_cbranch_execz .LBB1_31413
; %bb.55659:
	s_getpc_b64 s[14:15]
.Lpost_getpc13493:
	s_add_u32 s14, s14, (.LBB1_5483-.Lpost_getpc13493)&4294967295
	s_addc_u32 s15, s15, (.LBB1_5483-.Lpost_getpc13493)>>32
	s_setpc_b64 s[14:15]
.LBB1_31413:
	s_getpc_b64 s[14:15]
.Lpost_getpc1370:
	s_add_u32 s14, s14, (.LBB1_5484-.Lpost_getpc1370)&4294967295
	s_addc_u32 s15, s15, (.LBB1_5484-.Lpost_getpc1370)>>32
	s_setpc_b64 s[14:15]
.LBB1_19821:
	s_movk_i32 s4, 0x80
	v_cmp_eq_u16_sdwa s[12:13], v3, s4 src0_sel:BYTE_0 src1_sel:DWORD
	s_mov_b64 s[4:5], -1
                                        ; implicit-def: $sgpr10
	s_and_saveexec_b64 s[8:9], s[12:13]
; %bb.19822:
	s_mov_b32 s10, 0x7f800001
	s_xor_b64 s[4:5], exec, -1
; %bb.19823:
	s_or_b64 exec, exec, s[8:9]
	s_and_b64 s[4:5], s[4:5], exec
	s_or_saveexec_b64 s[6:7], s[6:7]
	v_mov_b32_e32 v4, s10
	s_xor_b64 exec, exec, s[6:7]
	s_cbranch_execnz .LBB1_19824
; %bb.55661:
	s_getpc_b64 s[14:15]
.Lpost_getpc13494:
	s_add_u32 s14, s14, (.LBB1_5486-.Lpost_getpc13494)&4294967295
	s_addc_u32 s15, s15, (.LBB1_5486-.Lpost_getpc13494)>>32
	s_setpc_b64 s[14:15]
.LBB1_19824:
	v_mov_b32_e32 v4, 0
	v_cmp_ne_u16_sdwa s[8:9], v3, v4 src0_sel:BYTE_0 src1_sel:DWORD
	s_andn2_b64 s[4:5], s[4:5], exec
	s_and_b64 s[8:9], s[8:9], exec
	s_or_b64 s[4:5], s[4:5], s[8:9]
	s_or_b64 exec, exec, s[6:7]
	s_and_saveexec_b64 s[6:7], s[4:5]
	s_cbranch_execz .LBB1_31415
; %bb.55663:
	s_getpc_b64 s[14:15]
.Lpost_getpc13495:
	s_add_u32 s14, s14, (.LBB1_5487-.Lpost_getpc13495)&4294967295
	s_addc_u32 s15, s15, (.LBB1_5487-.Lpost_getpc13495)>>32
	s_setpc_b64 s[14:15]
.LBB1_31415:
	s_getpc_b64 s[14:15]
.Lpost_getpc1371:
	s_add_u32 s14, s14, (.LBB1_5488-.Lpost_getpc1371)&4294967295
	s_addc_u32 s15, s15, (.LBB1_5488-.Lpost_getpc1371)>>32
	s_setpc_b64 s[14:15]
.LBB1_19825:
	s_movk_i32 s4, 0x80
	v_cmp_eq_u16_e32 vcc, s4, v3
	s_mov_b64 s[4:5], -1
                                        ; implicit-def: $sgpr10
	s_and_saveexec_b64 s[8:9], vcc
; %bb.19826:
	s_mov_b32 s10, 0x7f800001
	s_xor_b64 s[4:5], exec, -1
; %bb.19827:
	s_or_b64 exec, exec, s[8:9]
	s_and_b64 s[4:5], s[4:5], exec
                                        ; implicit-def: $vgpr3
	s_or_saveexec_b64 s[6:7], s[6:7]
	v_mov_b32_e32 v2, s10
	s_xor_b64 exec, exec, s[6:7]
	s_cbranch_execnz .LBB1_19828
; %bb.55665:
	s_getpc_b64 s[14:15]
.Lpost_getpc13496:
	s_add_u32 s14, s14, (.LBB1_5490-.Lpost_getpc13496)&4294967295
	s_addc_u32 s15, s15, (.LBB1_5490-.Lpost_getpc13496)>>32
	s_setpc_b64 s[14:15]
.LBB1_19828:
	v_cmp_ne_u16_e32 vcc, 0, v3
	s_andn2_b64 s[4:5], s[4:5], exec
	s_and_b64 s[8:9], vcc, exec
	v_mov_b32_e32 v2, 0
	s_or_b64 s[4:5], s[4:5], s[8:9]
	s_or_b64 exec, exec, s[6:7]
	s_and_saveexec_b64 s[6:7], s[4:5]
	s_cbranch_execz .LBB1_31417
; %bb.55667:
	s_getpc_b64 s[14:15]
.Lpost_getpc13497:
	s_add_u32 s14, s14, (.LBB1_5491-.Lpost_getpc13497)&4294967295
	s_addc_u32 s15, s15, (.LBB1_5491-.Lpost_getpc13497)>>32
	s_setpc_b64 s[14:15]
.LBB1_31417:
	s_getpc_b64 s[14:15]
.Lpost_getpc1372:
	s_add_u32 s14, s14, (.LBB1_5492-.Lpost_getpc1372)&4294967295
	s_addc_u32 s15, s15, (.LBB1_5492-.Lpost_getpc1372)>>32
	s_setpc_b64 s[14:15]
.LBB1_19829:
	s_movk_i32 s4, 0x80
	v_cmp_eq_u16_e32 vcc, s4, v3
	s_mov_b64 s[4:5], -1
                                        ; implicit-def: $sgpr10
	s_and_saveexec_b64 s[8:9], vcc
; %bb.19830:
	s_mov_b32 s10, 0x7f800001
	s_xor_b64 s[4:5], exec, -1
; %bb.19831:
	s_or_b64 exec, exec, s[8:9]
	s_and_b64 s[4:5], s[4:5], exec
                                        ; implicit-def: $vgpr3
	s_or_saveexec_b64 s[6:7], s[6:7]
	v_mov_b32_e32 v4, s10
	s_xor_b64 exec, exec, s[6:7]
	s_cbranch_execnz .LBB1_19832
; %bb.55669:
	s_getpc_b64 s[14:15]
.Lpost_getpc13498:
	s_add_u32 s14, s14, (.LBB1_5494-.Lpost_getpc13498)&4294967295
	s_addc_u32 s15, s15, (.LBB1_5494-.Lpost_getpc13498)>>32
	s_setpc_b64 s[14:15]
.LBB1_19832:
	v_cmp_ne_u16_e32 vcc, 0, v3
	s_andn2_b64 s[4:5], s[4:5], exec
	s_and_b64 s[8:9], vcc, exec
	v_mov_b32_e32 v4, 0
	s_or_b64 s[4:5], s[4:5], s[8:9]
	s_or_b64 exec, exec, s[6:7]
	s_and_saveexec_b64 s[6:7], s[4:5]
	s_cbranch_execz .LBB1_31419
; %bb.55671:
	s_getpc_b64 s[14:15]
.Lpost_getpc13499:
	s_add_u32 s14, s14, (.LBB1_5495-.Lpost_getpc13499)&4294967295
	s_addc_u32 s15, s15, (.LBB1_5495-.Lpost_getpc13499)>>32
	s_setpc_b64 s[14:15]
.LBB1_31419:
	s_getpc_b64 s[14:15]
.Lpost_getpc1373:
	s_add_u32 s14, s14, (.LBB1_5496-.Lpost_getpc1373)&4294967295
	s_addc_u32 s15, s15, (.LBB1_5496-.Lpost_getpc1373)>>32
	s_setpc_b64 s[14:15]
.LBB1_19833:
	s_movk_i32 s4, 0x80
	v_cmp_eq_u16_sdwa s[12:13], v9, s4 src0_sel:BYTE_3 src1_sel:DWORD
	s_mov_b64 s[4:5], -1
                                        ; implicit-def: $sgpr10
	s_and_saveexec_b64 s[8:9], s[12:13]
; %bb.19834:
	s_mov_b32 s10, 0x7f800001
	s_xor_b64 s[4:5], exec, -1
; %bb.19835:
	s_or_b64 exec, exec, s[8:9]
	s_and_b64 s[4:5], s[4:5], exec
	s_or_saveexec_b64 s[6:7], s[6:7]
	v_mov_b32_e32 v2, s10
	s_xor_b64 exec, exec, s[6:7]
	s_cbranch_execnz .LBB1_19836
; %bb.55673:
	s_getpc_b64 s[14:15]
.Lpost_getpc13500:
	s_add_u32 s14, s14, (.LBB1_5498-.Lpost_getpc13500)&4294967295
	s_addc_u32 s15, s15, (.LBB1_5498-.Lpost_getpc13500)>>32
	s_setpc_b64 s[14:15]
.LBB1_19836:
	v_mov_b32_e32 v2, 0
	v_cmp_ne_u16_sdwa s[8:9], v9, v2 src0_sel:BYTE_3 src1_sel:DWORD
	s_andn2_b64 s[4:5], s[4:5], exec
	s_and_b64 s[8:9], s[8:9], exec
	s_or_b64 s[4:5], s[4:5], s[8:9]
	s_or_b64 exec, exec, s[6:7]
	s_and_saveexec_b64 s[6:7], s[4:5]
	s_cbranch_execz .LBB1_31421
; %bb.55675:
	s_getpc_b64 s[14:15]
.Lpost_getpc13501:
	s_add_u32 s14, s14, (.LBB1_5499-.Lpost_getpc13501)&4294967295
	s_addc_u32 s15, s15, (.LBB1_5499-.Lpost_getpc13501)>>32
	s_setpc_b64 s[14:15]
.LBB1_31421:
	s_getpc_b64 s[14:15]
.Lpost_getpc1374:
	s_add_u32 s14, s14, (.LBB1_5500-.Lpost_getpc1374)&4294967295
	s_addc_u32 s15, s15, (.LBB1_5500-.Lpost_getpc1374)>>32
	s_setpc_b64 s[14:15]
.LBB1_19837:
	s_movk_i32 s4, 0x80
	v_cmp_eq_u16_sdwa s[12:13], v5, s4 src0_sel:BYTE_3 src1_sel:DWORD
	s_mov_b64 s[4:5], -1
                                        ; implicit-def: $sgpr10
	s_and_saveexec_b64 s[8:9], s[12:13]
; %bb.19838:
	s_mov_b32 s10, 0x7f800001
	s_xor_b64 s[4:5], exec, -1
; %bb.19839:
	s_or_b64 exec, exec, s[8:9]
	s_and_b64 s[4:5], s[4:5], exec
	s_or_saveexec_b64 s[6:7], s[6:7]
	v_mov_b32_e32 v3, s10
	s_xor_b64 exec, exec, s[6:7]
	s_cbranch_execnz .LBB1_19840
; %bb.55677:
	s_getpc_b64 s[14:15]
.Lpost_getpc13502:
	s_add_u32 s14, s14, (.LBB1_5502-.Lpost_getpc13502)&4294967295
	s_addc_u32 s15, s15, (.LBB1_5502-.Lpost_getpc13502)>>32
	s_setpc_b64 s[14:15]
.LBB1_19840:
	v_mov_b32_e32 v3, 0
	v_cmp_ne_u16_sdwa s[8:9], v5, v3 src0_sel:BYTE_3 src1_sel:DWORD
	s_andn2_b64 s[4:5], s[4:5], exec
	s_and_b64 s[8:9], s[8:9], exec
	s_or_b64 s[4:5], s[4:5], s[8:9]
	s_or_b64 exec, exec, s[6:7]
	s_and_saveexec_b64 s[6:7], s[4:5]
	s_cbranch_execz .LBB1_31423
; %bb.55679:
	s_getpc_b64 s[14:15]
.Lpost_getpc13503:
	s_add_u32 s14, s14, (.LBB1_5503-.Lpost_getpc13503)&4294967295
	s_addc_u32 s15, s15, (.LBB1_5503-.Lpost_getpc13503)>>32
	s_setpc_b64 s[14:15]
.LBB1_31423:
	s_getpc_b64 s[14:15]
.Lpost_getpc1375:
	s_add_u32 s14, s14, (.LBB1_5504-.Lpost_getpc1375)&4294967295
	s_addc_u32 s15, s15, (.LBB1_5504-.Lpost_getpc1375)>>32
	s_setpc_b64 s[14:15]
.LBB1_19841:
	s_movk_i32 s4, 0x80
	v_cmp_eq_u16_sdwa s[12:13], v6, s4 src0_sel:BYTE_0 src1_sel:DWORD
	s_mov_b64 s[4:5], -1
                                        ; implicit-def: $sgpr10
	s_and_saveexec_b64 s[8:9], s[12:13]
; %bb.19842:
	s_mov_b32 s10, 0x7f800001
	s_xor_b64 s[4:5], exec, -1
; %bb.19843:
	s_or_b64 exec, exec, s[8:9]
	s_and_b64 s[4:5], s[4:5], exec
	s_or_saveexec_b64 s[6:7], s[6:7]
	v_mov_b32_e32 v12, s10
	s_xor_b64 exec, exec, s[6:7]
	s_cbranch_execnz .LBB1_19844
; %bb.55681:
	s_getpc_b64 s[14:15]
.Lpost_getpc13504:
	s_add_u32 s14, s14, (.LBB1_5506-.Lpost_getpc13504)&4294967295
	s_addc_u32 s15, s15, (.LBB1_5506-.Lpost_getpc13504)>>32
	s_setpc_b64 s[14:15]
.LBB1_19844:
	v_mov_b32_e32 v12, 0
	v_cmp_ne_u16_sdwa s[8:9], v6, v12 src0_sel:BYTE_0 src1_sel:DWORD
	s_andn2_b64 s[4:5], s[4:5], exec
	s_and_b64 s[8:9], s[8:9], exec
	s_or_b64 s[4:5], s[4:5], s[8:9]
	s_or_b64 exec, exec, s[6:7]
	s_and_saveexec_b64 s[6:7], s[4:5]
	s_cbranch_execz .LBB1_31425
; %bb.55683:
	s_getpc_b64 s[14:15]
.Lpost_getpc13505:
	s_add_u32 s14, s14, (.LBB1_5507-.Lpost_getpc13505)&4294967295
	s_addc_u32 s15, s15, (.LBB1_5507-.Lpost_getpc13505)>>32
	s_setpc_b64 s[14:15]
.LBB1_31425:
	s_getpc_b64 s[14:15]
.Lpost_getpc1376:
	s_add_u32 s14, s14, (.LBB1_5508-.Lpost_getpc1376)&4294967295
	s_addc_u32 s15, s15, (.LBB1_5508-.Lpost_getpc1376)>>32
	s_setpc_b64 s[14:15]
.LBB1_19845:
	s_movk_i32 s4, 0x80
	v_cmp_eq_u16_sdwa s[12:13], v2, s4 src0_sel:BYTE_0 src1_sel:DWORD
	s_mov_b64 s[4:5], -1
                                        ; implicit-def: $sgpr10
	s_and_saveexec_b64 s[8:9], s[12:13]
; %bb.19846:
	s_mov_b32 s10, 0x7f800001
	s_xor_b64 s[4:5], exec, -1
; %bb.19847:
	s_or_b64 exec, exec, s[8:9]
	s_and_b64 s[4:5], s[4:5], exec
	s_or_saveexec_b64 s[6:7], s[6:7]
	v_mov_b32_e32 v13, s10
	s_xor_b64 exec, exec, s[6:7]
	s_cbranch_execnz .LBB1_19848
; %bb.55685:
	s_getpc_b64 s[14:15]
.Lpost_getpc13506:
	s_add_u32 s14, s14, (.LBB1_5510-.Lpost_getpc13506)&4294967295
	s_addc_u32 s15, s15, (.LBB1_5510-.Lpost_getpc13506)>>32
	s_setpc_b64 s[14:15]
.LBB1_19848:
	v_mov_b32_e32 v13, 0
	v_cmp_ne_u16_sdwa s[8:9], v2, v13 src0_sel:BYTE_0 src1_sel:DWORD
	s_andn2_b64 s[4:5], s[4:5], exec
	s_and_b64 s[8:9], s[8:9], exec
	s_or_b64 s[4:5], s[4:5], s[8:9]
	s_or_b64 exec, exec, s[6:7]
	s_and_saveexec_b64 s[6:7], s[4:5]
	s_cbranch_execz .LBB1_31427
; %bb.55687:
	s_getpc_b64 s[14:15]
.Lpost_getpc13507:
	s_add_u32 s14, s14, (.LBB1_5511-.Lpost_getpc13507)&4294967295
	s_addc_u32 s15, s15, (.LBB1_5511-.Lpost_getpc13507)>>32
	s_setpc_b64 s[14:15]
.LBB1_31427:
	s_getpc_b64 s[14:15]
.Lpost_getpc1377:
	s_add_u32 s14, s14, (.LBB1_5512-.Lpost_getpc1377)&4294967295
	s_addc_u32 s15, s15, (.LBB1_5512-.Lpost_getpc1377)>>32
	s_setpc_b64 s[14:15]
.LBB1_19849:
	s_movk_i32 s4, 0x80
	v_cmp_eq_u16_sdwa s[12:13], v13, s4 src0_sel:BYTE_0 src1_sel:DWORD
	s_mov_b64 s[4:5], -1
                                        ; implicit-def: $sgpr10
	s_and_saveexec_b64 s[8:9], s[12:13]
; %bb.19850:
	s_mov_b32 s10, 0x7f800001
	s_xor_b64 s[4:5], exec, -1
; %bb.19851:
	s_or_b64 exec, exec, s[8:9]
	s_and_b64 s[4:5], s[4:5], exec
	s_or_saveexec_b64 s[6:7], s[6:7]
	v_mov_b32_e32 v12, s10
	s_xor_b64 exec, exec, s[6:7]
	s_cbranch_execnz .LBB1_19852
; %bb.55689:
	s_getpc_b64 s[14:15]
.Lpost_getpc13508:
	s_add_u32 s14, s14, (.LBB1_5514-.Lpost_getpc13508)&4294967295
	s_addc_u32 s15, s15, (.LBB1_5514-.Lpost_getpc13508)>>32
	s_setpc_b64 s[14:15]
.LBB1_19852:
	v_mov_b32_e32 v12, 0
	v_cmp_ne_u16_sdwa s[8:9], v13, v12 src0_sel:BYTE_0 src1_sel:DWORD
	s_andn2_b64 s[4:5], s[4:5], exec
	s_and_b64 s[8:9], s[8:9], exec
	s_or_b64 s[4:5], s[4:5], s[8:9]
	s_or_b64 exec, exec, s[6:7]
	s_and_saveexec_b64 s[6:7], s[4:5]
	s_cbranch_execz .LBB1_31429
; %bb.55691:
	s_getpc_b64 s[14:15]
.Lpost_getpc13509:
	s_add_u32 s14, s14, (.LBB1_5515-.Lpost_getpc13509)&4294967295
	s_addc_u32 s15, s15, (.LBB1_5515-.Lpost_getpc13509)>>32
	s_setpc_b64 s[14:15]
.LBB1_31429:
	s_getpc_b64 s[14:15]
.Lpost_getpc1378:
	s_add_u32 s14, s14, (.LBB1_5516-.Lpost_getpc1378)&4294967295
	s_addc_u32 s15, s15, (.LBB1_5516-.Lpost_getpc1378)>>32
	s_setpc_b64 s[14:15]
.LBB1_19853:
	s_movk_i32 s4, 0x80
	v_cmp_eq_u16_sdwa s[12:13], v13, s4 src0_sel:BYTE_0 src1_sel:DWORD
	s_mov_b64 s[4:5], -1
                                        ; implicit-def: $sgpr10
	s_and_saveexec_b64 s[8:9], s[12:13]
; %bb.19854:
	s_mov_b32 s10, 0x7f800001
	s_xor_b64 s[4:5], exec, -1
; %bb.19855:
	s_or_b64 exec, exec, s[8:9]
	s_and_b64 s[4:5], s[4:5], exec
	s_or_saveexec_b64 s[6:7], s[6:7]
	v_mov_b32_e32 v14, s10
	s_xor_b64 exec, exec, s[6:7]
	s_cbranch_execnz .LBB1_19856
; %bb.55693:
	s_getpc_b64 s[14:15]
.Lpost_getpc13510:
	s_add_u32 s14, s14, (.LBB1_5518-.Lpost_getpc13510)&4294967295
	s_addc_u32 s15, s15, (.LBB1_5518-.Lpost_getpc13510)>>32
	s_setpc_b64 s[14:15]
.LBB1_19856:
	v_mov_b32_e32 v14, 0
	v_cmp_ne_u16_sdwa s[8:9], v13, v14 src0_sel:BYTE_0 src1_sel:DWORD
	s_andn2_b64 s[4:5], s[4:5], exec
	s_and_b64 s[8:9], s[8:9], exec
	s_or_b64 s[4:5], s[4:5], s[8:9]
	s_or_b64 exec, exec, s[6:7]
	s_and_saveexec_b64 s[6:7], s[4:5]
	s_cbranch_execz .LBB1_31431
; %bb.55695:
	s_getpc_b64 s[14:15]
.Lpost_getpc13511:
	s_add_u32 s14, s14, (.LBB1_5519-.Lpost_getpc13511)&4294967295
	s_addc_u32 s15, s15, (.LBB1_5519-.Lpost_getpc13511)>>32
	s_setpc_b64 s[14:15]
.LBB1_31431:
	s_getpc_b64 s[14:15]
.Lpost_getpc1379:
	s_add_u32 s14, s14, (.LBB1_5520-.Lpost_getpc1379)&4294967295
	s_addc_u32 s15, s15, (.LBB1_5520-.Lpost_getpc1379)>>32
	s_setpc_b64 s[14:15]
.LBB1_19857:
	s_movk_i32 s4, 0x80
	v_cmp_eq_u16_e32 vcc, s4, v13
	s_mov_b64 s[4:5], -1
                                        ; implicit-def: $sgpr10
	s_and_saveexec_b64 s[8:9], vcc
; %bb.19858:
	s_mov_b32 s10, 0x7f800001
	s_xor_b64 s[4:5], exec, -1
; %bb.19859:
	s_or_b64 exec, exec, s[8:9]
	s_and_b64 s[4:5], s[4:5], exec
                                        ; implicit-def: $vgpr13
	s_or_saveexec_b64 s[6:7], s[6:7]
	v_mov_b32_e32 v12, s10
	s_xor_b64 exec, exec, s[6:7]
	s_cbranch_execnz .LBB1_19860
; %bb.55697:
	s_getpc_b64 s[14:15]
.Lpost_getpc13512:
	s_add_u32 s14, s14, (.LBB1_5522-.Lpost_getpc13512)&4294967295
	s_addc_u32 s15, s15, (.LBB1_5522-.Lpost_getpc13512)>>32
	s_setpc_b64 s[14:15]
.LBB1_19860:
	v_cmp_ne_u16_e32 vcc, 0, v13
	s_andn2_b64 s[4:5], s[4:5], exec
	s_and_b64 s[8:9], vcc, exec
	v_mov_b32_e32 v12, 0
	s_or_b64 s[4:5], s[4:5], s[8:9]
	s_or_b64 exec, exec, s[6:7]
	s_and_saveexec_b64 s[6:7], s[4:5]
	s_cbranch_execz .LBB1_31433
; %bb.55699:
	s_getpc_b64 s[14:15]
.Lpost_getpc13513:
	s_add_u32 s14, s14, (.LBB1_5523-.Lpost_getpc13513)&4294967295
	s_addc_u32 s15, s15, (.LBB1_5523-.Lpost_getpc13513)>>32
	s_setpc_b64 s[14:15]
.LBB1_31433:
	s_getpc_b64 s[14:15]
.Lpost_getpc1380:
	s_add_u32 s14, s14, (.LBB1_5524-.Lpost_getpc1380)&4294967295
	s_addc_u32 s15, s15, (.LBB1_5524-.Lpost_getpc1380)>>32
	s_setpc_b64 s[14:15]
.LBB1_19861:
	s_movk_i32 s4, 0x80
	v_cmp_eq_u16_e32 vcc, s4, v13
	s_mov_b64 s[4:5], -1
                                        ; implicit-def: $sgpr10
	s_and_saveexec_b64 s[8:9], vcc
; %bb.19862:
	s_mov_b32 s10, 0x7f800001
	s_xor_b64 s[4:5], exec, -1
; %bb.19863:
	s_or_b64 exec, exec, s[8:9]
	s_and_b64 s[4:5], s[4:5], exec
                                        ; implicit-def: $vgpr13
	s_or_saveexec_b64 s[6:7], s[6:7]
	v_mov_b32_e32 v14, s10
	s_xor_b64 exec, exec, s[6:7]
	s_cbranch_execnz .LBB1_19864
; %bb.55701:
	s_getpc_b64 s[14:15]
.Lpost_getpc13514:
	s_add_u32 s14, s14, (.LBB1_5526-.Lpost_getpc13514)&4294967295
	s_addc_u32 s15, s15, (.LBB1_5526-.Lpost_getpc13514)>>32
	s_setpc_b64 s[14:15]
.LBB1_19864:
	v_cmp_ne_u16_e32 vcc, 0, v13
	s_andn2_b64 s[4:5], s[4:5], exec
	s_and_b64 s[8:9], vcc, exec
	v_mov_b32_e32 v14, 0
	s_or_b64 s[4:5], s[4:5], s[8:9]
	s_or_b64 exec, exec, s[6:7]
	s_and_saveexec_b64 s[6:7], s[4:5]
	s_cbranch_execz .LBB1_31435
; %bb.55703:
	s_getpc_b64 s[14:15]
.Lpost_getpc13515:
	s_add_u32 s14, s14, (.LBB1_5527-.Lpost_getpc13515)&4294967295
	s_addc_u32 s15, s15, (.LBB1_5527-.Lpost_getpc13515)>>32
	s_setpc_b64 s[14:15]
.LBB1_31435:
	s_getpc_b64 s[14:15]
.Lpost_getpc1381:
	s_add_u32 s14, s14, (.LBB1_5528-.Lpost_getpc1381)&4294967295
	s_addc_u32 s15, s15, (.LBB1_5528-.Lpost_getpc1381)>>32
	s_setpc_b64 s[14:15]
.LBB1_19865:
	s_movk_i32 s4, 0x80
	v_cmp_eq_u16_sdwa s[12:13], v6, s4 src0_sel:BYTE_3 src1_sel:DWORD
	s_mov_b64 s[4:5], -1
                                        ; implicit-def: $sgpr10
	s_and_saveexec_b64 s[8:9], s[12:13]
; %bb.19866:
	s_mov_b32 s10, 0x7f800001
	s_xor_b64 s[4:5], exec, -1
; %bb.19867:
	s_or_b64 exec, exec, s[8:9]
	s_and_b64 s[4:5], s[4:5], exec
	s_or_saveexec_b64 s[6:7], s[6:7]
	v_mov_b32_e32 v12, s10
	s_xor_b64 exec, exec, s[6:7]
	s_cbranch_execnz .LBB1_19868
; %bb.55705:
	s_getpc_b64 s[14:15]
.Lpost_getpc13516:
	s_add_u32 s14, s14, (.LBB1_5530-.Lpost_getpc13516)&4294967295
	s_addc_u32 s15, s15, (.LBB1_5530-.Lpost_getpc13516)>>32
	s_setpc_b64 s[14:15]
.LBB1_19868:
	v_mov_b32_e32 v12, 0
	v_cmp_ne_u16_sdwa s[8:9], v6, v12 src0_sel:BYTE_3 src1_sel:DWORD
	s_andn2_b64 s[4:5], s[4:5], exec
	s_and_b64 s[8:9], s[8:9], exec
	s_or_b64 s[4:5], s[4:5], s[8:9]
	s_or_b64 exec, exec, s[6:7]
	s_and_saveexec_b64 s[6:7], s[4:5]
	s_cbranch_execz .LBB1_31437
; %bb.55707:
	s_getpc_b64 s[14:15]
.Lpost_getpc13517:
	s_add_u32 s14, s14, (.LBB1_5531-.Lpost_getpc13517)&4294967295
	s_addc_u32 s15, s15, (.LBB1_5531-.Lpost_getpc13517)>>32
	s_setpc_b64 s[14:15]
.LBB1_31437:
	s_getpc_b64 s[14:15]
.Lpost_getpc1382:
	s_add_u32 s14, s14, (.LBB1_5532-.Lpost_getpc1382)&4294967295
	s_addc_u32 s15, s15, (.LBB1_5532-.Lpost_getpc1382)>>32
	s_setpc_b64 s[14:15]
.LBB1_19869:
	s_movk_i32 s4, 0x80
	v_cmp_eq_u16_sdwa s[12:13], v2, s4 src0_sel:BYTE_3 src1_sel:DWORD
	s_mov_b64 s[4:5], -1
                                        ; implicit-def: $sgpr10
	s_and_saveexec_b64 s[8:9], s[12:13]
; %bb.19870:
	s_mov_b32 s10, 0x7f800001
	s_xor_b64 s[4:5], exec, -1
; %bb.19871:
	s_or_b64 exec, exec, s[8:9]
	s_and_b64 s[4:5], s[4:5], exec
	s_or_saveexec_b64 s[6:7], s[6:7]
	v_mov_b32_e32 v6, s10
	s_xor_b64 exec, exec, s[6:7]
	s_cbranch_execnz .LBB1_19872
; %bb.55709:
	s_getpc_b64 s[14:15]
.Lpost_getpc13518:
	s_add_u32 s14, s14, (.LBB1_5534-.Lpost_getpc13518)&4294967295
	s_addc_u32 s15, s15, (.LBB1_5534-.Lpost_getpc13518)>>32
	s_setpc_b64 s[14:15]
.LBB1_19872:
	v_mov_b32_e32 v6, 0
	v_cmp_ne_u16_sdwa s[8:9], v2, v6 src0_sel:BYTE_3 src1_sel:DWORD
	s_andn2_b64 s[4:5], s[4:5], exec
	s_and_b64 s[8:9], s[8:9], exec
	s_or_b64 s[4:5], s[4:5], s[8:9]
	s_or_b64 exec, exec, s[6:7]
	s_and_saveexec_b64 s[6:7], s[4:5]
	s_cbranch_execz .LBB1_31439
; %bb.55711:
	s_getpc_b64 s[14:15]
.Lpost_getpc13519:
	s_add_u32 s14, s14, (.LBB1_5535-.Lpost_getpc13519)&4294967295
	s_addc_u32 s15, s15, (.LBB1_5535-.Lpost_getpc13519)>>32
	s_setpc_b64 s[14:15]
.LBB1_31439:
	s_getpc_b64 s[14:15]
.Lpost_getpc1383:
	s_add_u32 s14, s14, (.LBB1_5536-.Lpost_getpc1383)&4294967295
	s_addc_u32 s15, s15, (.LBB1_5536-.Lpost_getpc1383)>>32
	s_setpc_b64 s[14:15]
.LBB1_19873:
	s_movk_i32 s4, 0x80
	v_cmp_eq_u16_sdwa s[12:13], v7, s4 src0_sel:BYTE_0 src1_sel:DWORD
	s_mov_b64 s[4:5], -1
                                        ; implicit-def: $sgpr10
	s_and_saveexec_b64 s[8:9], s[12:13]
; %bb.19874:
	s_mov_b32 s10, 0x7f800001
	s_xor_b64 s[4:5], exec, -1
; %bb.19875:
	s_or_b64 exec, exec, s[8:9]
	s_and_b64 s[4:5], s[4:5], exec
	s_or_saveexec_b64 s[6:7], s[6:7]
	v_mov_b32_e32 v2, s10
	s_xor_b64 exec, exec, s[6:7]
	s_cbranch_execnz .LBB1_19876
; %bb.55713:
	s_getpc_b64 s[14:15]
.Lpost_getpc13520:
	s_add_u32 s14, s14, (.LBB1_5538-.Lpost_getpc13520)&4294967295
	s_addc_u32 s15, s15, (.LBB1_5538-.Lpost_getpc13520)>>32
	s_setpc_b64 s[14:15]
.LBB1_19876:
	v_mov_b32_e32 v2, 0
	v_cmp_ne_u16_sdwa s[8:9], v7, v2 src0_sel:BYTE_0 src1_sel:DWORD
	s_andn2_b64 s[4:5], s[4:5], exec
	s_and_b64 s[8:9], s[8:9], exec
	s_or_b64 s[4:5], s[4:5], s[8:9]
	s_or_b64 exec, exec, s[6:7]
	s_and_saveexec_b64 s[6:7], s[4:5]
	s_cbranch_execz .LBB1_31441
; %bb.55715:
	s_getpc_b64 s[14:15]
.Lpost_getpc13521:
	s_add_u32 s14, s14, (.LBB1_5539-.Lpost_getpc13521)&4294967295
	s_addc_u32 s15, s15, (.LBB1_5539-.Lpost_getpc13521)>>32
	s_setpc_b64 s[14:15]
.LBB1_31441:
	s_getpc_b64 s[14:15]
.Lpost_getpc1384:
	s_add_u32 s14, s14, (.LBB1_5540-.Lpost_getpc1384)&4294967295
	s_addc_u32 s15, s15, (.LBB1_5540-.Lpost_getpc1384)>>32
	s_setpc_b64 s[14:15]
.LBB1_19877:
	s_movk_i32 s4, 0x80
	v_cmp_eq_u16_sdwa s[12:13], v3, s4 src0_sel:BYTE_0 src1_sel:DWORD
	s_mov_b64 s[4:5], -1
                                        ; implicit-def: $sgpr10
	s_and_saveexec_b64 s[8:9], s[12:13]
; %bb.19878:
	s_mov_b32 s10, 0x7f800001
	s_xor_b64 s[4:5], exec, -1
; %bb.19879:
	s_or_b64 exec, exec, s[8:9]
	s_and_b64 s[4:5], s[4:5], exec
	s_or_saveexec_b64 s[6:7], s[6:7]
	v_mov_b32_e32 v6, s10
	s_xor_b64 exec, exec, s[6:7]
	s_cbranch_execnz .LBB1_19880
; %bb.55717:
	s_getpc_b64 s[14:15]
.Lpost_getpc13522:
	s_add_u32 s14, s14, (.LBB1_5542-.Lpost_getpc13522)&4294967295
	s_addc_u32 s15, s15, (.LBB1_5542-.Lpost_getpc13522)>>32
	s_setpc_b64 s[14:15]
.LBB1_19880:
	v_mov_b32_e32 v6, 0
	v_cmp_ne_u16_sdwa s[8:9], v3, v6 src0_sel:BYTE_0 src1_sel:DWORD
	s_andn2_b64 s[4:5], s[4:5], exec
	s_and_b64 s[8:9], s[8:9], exec
	s_or_b64 s[4:5], s[4:5], s[8:9]
	s_or_b64 exec, exec, s[6:7]
	s_and_saveexec_b64 s[6:7], s[4:5]
	s_cbranch_execz .LBB1_31443
; %bb.55719:
	s_getpc_b64 s[14:15]
.Lpost_getpc13523:
	s_add_u32 s14, s14, (.LBB1_5543-.Lpost_getpc13523)&4294967295
	s_addc_u32 s15, s15, (.LBB1_5543-.Lpost_getpc13523)>>32
	s_setpc_b64 s[14:15]
.LBB1_31443:
	s_getpc_b64 s[14:15]
.Lpost_getpc1385:
	s_add_u32 s14, s14, (.LBB1_5544-.Lpost_getpc1385)&4294967295
	s_addc_u32 s15, s15, (.LBB1_5544-.Lpost_getpc1385)>>32
	s_setpc_b64 s[14:15]
.LBB1_19881:
	s_movk_i32 s4, 0x80
	v_cmp_eq_u16_sdwa s[12:13], v6, s4 src0_sel:BYTE_0 src1_sel:DWORD
	s_mov_b64 s[4:5], -1
                                        ; implicit-def: $sgpr10
	s_and_saveexec_b64 s[8:9], s[12:13]
; %bb.19882:
	s_mov_b32 s10, 0x7f800001
	s_xor_b64 s[4:5], exec, -1
; %bb.19883:
	s_or_b64 exec, exec, s[8:9]
	s_and_b64 s[4:5], s[4:5], exec
	s_or_saveexec_b64 s[6:7], s[6:7]
	v_mov_b32_e32 v2, s10
	s_xor_b64 exec, exec, s[6:7]
	s_cbranch_execnz .LBB1_19884
; %bb.55721:
	s_getpc_b64 s[14:15]
.Lpost_getpc13524:
	s_add_u32 s14, s14, (.LBB1_5546-.Lpost_getpc13524)&4294967295
	s_addc_u32 s15, s15, (.LBB1_5546-.Lpost_getpc13524)>>32
	s_setpc_b64 s[14:15]
.LBB1_19884:
	v_mov_b32_e32 v2, 0
	v_cmp_ne_u16_sdwa s[8:9], v6, v2 src0_sel:BYTE_0 src1_sel:DWORD
	s_andn2_b64 s[4:5], s[4:5], exec
	s_and_b64 s[8:9], s[8:9], exec
	s_or_b64 s[4:5], s[4:5], s[8:9]
	s_or_b64 exec, exec, s[6:7]
	s_and_saveexec_b64 s[6:7], s[4:5]
	s_cbranch_execz .LBB1_31445
; %bb.55723:
	s_getpc_b64 s[14:15]
.Lpost_getpc13525:
	s_add_u32 s14, s14, (.LBB1_5547-.Lpost_getpc13525)&4294967295
	s_addc_u32 s15, s15, (.LBB1_5547-.Lpost_getpc13525)>>32
	s_setpc_b64 s[14:15]
.LBB1_31445:
	s_getpc_b64 s[14:15]
.Lpost_getpc1386:
	s_add_u32 s14, s14, (.LBB1_5548-.Lpost_getpc1386)&4294967295
	s_addc_u32 s15, s15, (.LBB1_5548-.Lpost_getpc1386)>>32
	s_setpc_b64 s[14:15]
.LBB1_19885:
	s_movk_i32 s4, 0x80
	v_cmp_eq_u16_sdwa s[12:13], v6, s4 src0_sel:BYTE_0 src1_sel:DWORD
	s_mov_b64 s[4:5], -1
                                        ; implicit-def: $sgpr10
	s_and_saveexec_b64 s[8:9], s[12:13]
; %bb.19886:
	s_mov_b32 s10, 0x7f800001
	s_xor_b64 s[4:5], exec, -1
; %bb.19887:
	s_or_b64 exec, exec, s[8:9]
	s_and_b64 s[4:5], s[4:5], exec
	s_or_saveexec_b64 s[6:7], s[6:7]
	v_mov_b32_e32 v12, s10
	s_xor_b64 exec, exec, s[6:7]
	s_cbranch_execnz .LBB1_19888
; %bb.55725:
	s_getpc_b64 s[14:15]
.Lpost_getpc13526:
	s_add_u32 s14, s14, (.LBB1_5550-.Lpost_getpc13526)&4294967295
	s_addc_u32 s15, s15, (.LBB1_5550-.Lpost_getpc13526)>>32
	s_setpc_b64 s[14:15]
.LBB1_19888:
	v_mov_b32_e32 v12, 0
	v_cmp_ne_u16_sdwa s[8:9], v6, v12 src0_sel:BYTE_0 src1_sel:DWORD
	s_andn2_b64 s[4:5], s[4:5], exec
	s_and_b64 s[8:9], s[8:9], exec
	s_or_b64 s[4:5], s[4:5], s[8:9]
	s_or_b64 exec, exec, s[6:7]
	s_and_saveexec_b64 s[6:7], s[4:5]
	s_cbranch_execz .LBB1_31447
; %bb.55727:
	s_getpc_b64 s[14:15]
.Lpost_getpc13527:
	s_add_u32 s14, s14, (.LBB1_5551-.Lpost_getpc13527)&4294967295
	s_addc_u32 s15, s15, (.LBB1_5551-.Lpost_getpc13527)>>32
	s_setpc_b64 s[14:15]
.LBB1_31447:
	s_getpc_b64 s[14:15]
.Lpost_getpc1387:
	s_add_u32 s14, s14, (.LBB1_5552-.Lpost_getpc1387)&4294967295
	s_addc_u32 s15, s15, (.LBB1_5552-.Lpost_getpc1387)>>32
	s_setpc_b64 s[14:15]
.LBB1_19889:
	s_movk_i32 s4, 0x80
	v_cmp_eq_u16_e32 vcc, s4, v6
	s_mov_b64 s[4:5], -1
                                        ; implicit-def: $sgpr10
	s_and_saveexec_b64 s[8:9], vcc
; %bb.19890:
	s_mov_b32 s10, 0x7f800001
	s_xor_b64 s[4:5], exec, -1
; %bb.19891:
	s_or_b64 exec, exec, s[8:9]
	s_and_b64 s[4:5], s[4:5], exec
                                        ; implicit-def: $vgpr6
	s_or_saveexec_b64 s[6:7], s[6:7]
	v_mov_b32_e32 v2, s10
	s_xor_b64 exec, exec, s[6:7]
	s_cbranch_execnz .LBB1_19892
; %bb.55729:
	s_getpc_b64 s[14:15]
.Lpost_getpc13528:
	s_add_u32 s14, s14, (.LBB1_5554-.Lpost_getpc13528)&4294967295
	s_addc_u32 s15, s15, (.LBB1_5554-.Lpost_getpc13528)>>32
	s_setpc_b64 s[14:15]
.LBB1_19892:
	v_cmp_ne_u16_e32 vcc, 0, v6
	s_andn2_b64 s[4:5], s[4:5], exec
	s_and_b64 s[8:9], vcc, exec
	v_mov_b32_e32 v2, 0
	s_or_b64 s[4:5], s[4:5], s[8:9]
	s_or_b64 exec, exec, s[6:7]
	s_and_saveexec_b64 s[6:7], s[4:5]
	s_cbranch_execz .LBB1_31449
; %bb.55731:
	s_getpc_b64 s[14:15]
.Lpost_getpc13529:
	s_add_u32 s14, s14, (.LBB1_5555-.Lpost_getpc13529)&4294967295
	s_addc_u32 s15, s15, (.LBB1_5555-.Lpost_getpc13529)>>32
	s_setpc_b64 s[14:15]
.LBB1_31449:
	s_getpc_b64 s[14:15]
.Lpost_getpc1388:
	s_add_u32 s14, s14, (.LBB1_5556-.Lpost_getpc1388)&4294967295
	s_addc_u32 s15, s15, (.LBB1_5556-.Lpost_getpc1388)>>32
	s_setpc_b64 s[14:15]
.LBB1_19893:
	s_movk_i32 s4, 0x80
	v_cmp_eq_u16_e32 vcc, s4, v6
	s_mov_b64 s[4:5], -1
                                        ; implicit-def: $sgpr10
	s_and_saveexec_b64 s[8:9], vcc
; %bb.19894:
	s_mov_b32 s10, 0x7f800001
	s_xor_b64 s[4:5], exec, -1
; %bb.19895:
	s_or_b64 exec, exec, s[8:9]
	s_and_b64 s[4:5], s[4:5], exec
                                        ; implicit-def: $vgpr6
	s_or_saveexec_b64 s[6:7], s[6:7]
	v_mov_b32_e32 v12, s10
	s_xor_b64 exec, exec, s[6:7]
	s_cbranch_execnz .LBB1_19896
; %bb.55733:
	s_getpc_b64 s[14:15]
.Lpost_getpc13530:
	s_add_u32 s14, s14, (.LBB1_5558-.Lpost_getpc13530)&4294967295
	s_addc_u32 s15, s15, (.LBB1_5558-.Lpost_getpc13530)>>32
	s_setpc_b64 s[14:15]
.LBB1_19896:
	v_cmp_ne_u16_e32 vcc, 0, v6
	s_andn2_b64 s[4:5], s[4:5], exec
	s_and_b64 s[8:9], vcc, exec
	v_mov_b32_e32 v12, 0
	s_or_b64 s[4:5], s[4:5], s[8:9]
	s_or_b64 exec, exec, s[6:7]
	s_and_saveexec_b64 s[6:7], s[4:5]
	s_cbranch_execz .LBB1_31451
; %bb.55735:
	s_getpc_b64 s[14:15]
.Lpost_getpc13531:
	s_add_u32 s14, s14, (.LBB1_5559-.Lpost_getpc13531)&4294967295
	s_addc_u32 s15, s15, (.LBB1_5559-.Lpost_getpc13531)>>32
	s_setpc_b64 s[14:15]
.LBB1_31451:
	s_getpc_b64 s[14:15]
.Lpost_getpc1389:
	s_add_u32 s14, s14, (.LBB1_5560-.Lpost_getpc1389)&4294967295
	s_addc_u32 s15, s15, (.LBB1_5560-.Lpost_getpc1389)>>32
	s_setpc_b64 s[14:15]
.LBB1_19897:
	s_movk_i32 s4, 0x80
	v_cmp_eq_u16_sdwa s[12:13], v7, s4 src0_sel:BYTE_3 src1_sel:DWORD
	s_mov_b64 s[4:5], -1
                                        ; implicit-def: $sgpr10
	s_and_saveexec_b64 s[8:9], s[12:13]
; %bb.19898:
	s_mov_b32 s10, 0x7f800001
	s_xor_b64 s[4:5], exec, -1
; %bb.19899:
	s_or_b64 exec, exec, s[8:9]
	s_and_b64 s[4:5], s[4:5], exec
	s_or_saveexec_b64 s[6:7], s[6:7]
	v_mov_b32_e32 v2, s10
	s_xor_b64 exec, exec, s[6:7]
	s_cbranch_execnz .LBB1_19900
; %bb.55737:
	s_getpc_b64 s[14:15]
.Lpost_getpc13532:
	s_add_u32 s14, s14, (.LBB1_5562-.Lpost_getpc13532)&4294967295
	s_addc_u32 s15, s15, (.LBB1_5562-.Lpost_getpc13532)>>32
	s_setpc_b64 s[14:15]
.LBB1_19900:
	v_mov_b32_e32 v2, 0
	v_cmp_ne_u16_sdwa s[8:9], v7, v2 src0_sel:BYTE_3 src1_sel:DWORD
	s_andn2_b64 s[4:5], s[4:5], exec
	s_and_b64 s[8:9], s[8:9], exec
	s_or_b64 s[4:5], s[4:5], s[8:9]
	s_or_b64 exec, exec, s[6:7]
	s_and_saveexec_b64 s[6:7], s[4:5]
	s_cbranch_execz .LBB1_31453
; %bb.55739:
	s_getpc_b64 s[14:15]
.Lpost_getpc13533:
	s_add_u32 s14, s14, (.LBB1_5563-.Lpost_getpc13533)&4294967295
	s_addc_u32 s15, s15, (.LBB1_5563-.Lpost_getpc13533)>>32
	s_setpc_b64 s[14:15]
.LBB1_31453:
	s_getpc_b64 s[14:15]
.Lpost_getpc1390:
	s_add_u32 s14, s14, (.LBB1_5564-.Lpost_getpc1390)&4294967295
	s_addc_u32 s15, s15, (.LBB1_5564-.Lpost_getpc1390)>>32
	s_setpc_b64 s[14:15]
.LBB1_19901:
	s_movk_i32 s4, 0x80
	v_cmp_eq_u16_sdwa s[12:13], v3, s4 src0_sel:BYTE_3 src1_sel:DWORD
	s_mov_b64 s[4:5], -1
                                        ; implicit-def: $sgpr10
	s_and_saveexec_b64 s[8:9], s[12:13]
; %bb.19902:
	s_mov_b32 s10, 0x7f800001
	s_xor_b64 s[4:5], exec, -1
; %bb.19903:
	s_or_b64 exec, exec, s[8:9]
	s_and_b64 s[4:5], s[4:5], exec
	s_or_saveexec_b64 s[6:7], s[6:7]
	v_mov_b32_e32 v6, s10
	s_xor_b64 exec, exec, s[6:7]
	s_cbranch_execnz .LBB1_19904
; %bb.55741:
	s_getpc_b64 s[14:15]
.Lpost_getpc13534:
	s_add_u32 s14, s14, (.LBB1_5566-.Lpost_getpc13534)&4294967295
	s_addc_u32 s15, s15, (.LBB1_5566-.Lpost_getpc13534)>>32
	s_setpc_b64 s[14:15]
.LBB1_19904:
	v_mov_b32_e32 v6, 0
	v_cmp_ne_u16_sdwa s[8:9], v3, v6 src0_sel:BYTE_3 src1_sel:DWORD
	s_andn2_b64 s[4:5], s[4:5], exec
	s_and_b64 s[8:9], s[8:9], exec
	s_or_b64 s[4:5], s[4:5], s[8:9]
	s_or_b64 exec, exec, s[6:7]
	s_and_saveexec_b64 s[6:7], s[4:5]
	s_cbranch_execz .LBB1_31455
; %bb.55743:
	s_getpc_b64 s[14:15]
.Lpost_getpc13535:
	s_add_u32 s14, s14, (.LBB1_5567-.Lpost_getpc13535)&4294967295
	s_addc_u32 s15, s15, (.LBB1_5567-.Lpost_getpc13535)>>32
	s_setpc_b64 s[14:15]
.LBB1_31455:
	s_getpc_b64 s[14:15]
.Lpost_getpc1391:
	s_add_u32 s14, s14, (.LBB1_5568-.Lpost_getpc1391)&4294967295
	s_addc_u32 s15, s15, (.LBB1_5568-.Lpost_getpc1391)>>32
	s_setpc_b64 s[14:15]
.LBB1_19905:
	s_movk_i32 s4, 0x80
	v_cmp_eq_u16_sdwa s[12:13], v8, s4 src0_sel:BYTE_0 src1_sel:DWORD
	s_mov_b64 s[4:5], -1
                                        ; implicit-def: $sgpr10
	s_and_saveexec_b64 s[8:9], s[12:13]
; %bb.19906:
	s_mov_b32 s10, 0x7f800001
	s_xor_b64 s[4:5], exec, -1
; %bb.19907:
	s_or_b64 exec, exec, s[8:9]
	s_and_b64 s[4:5], s[4:5], exec
	s_or_saveexec_b64 s[6:7], s[6:7]
	v_mov_b32_e32 v2, s10
	s_xor_b64 exec, exec, s[6:7]
	s_cbranch_execnz .LBB1_19908
; %bb.55745:
	s_getpc_b64 s[14:15]
.Lpost_getpc13536:
	s_add_u32 s14, s14, (.LBB1_5570-.Lpost_getpc13536)&4294967295
	s_addc_u32 s15, s15, (.LBB1_5570-.Lpost_getpc13536)>>32
	s_setpc_b64 s[14:15]
.LBB1_19908:
	v_mov_b32_e32 v2, 0
	v_cmp_ne_u16_sdwa s[8:9], v8, v2 src0_sel:BYTE_0 src1_sel:DWORD
	s_andn2_b64 s[4:5], s[4:5], exec
	s_and_b64 s[8:9], s[8:9], exec
	s_or_b64 s[4:5], s[4:5], s[8:9]
	s_or_b64 exec, exec, s[6:7]
	s_and_saveexec_b64 s[6:7], s[4:5]
	s_cbranch_execz .LBB1_31457
; %bb.55747:
	s_getpc_b64 s[14:15]
.Lpost_getpc13537:
	s_add_u32 s14, s14, (.LBB1_5571-.Lpost_getpc13537)&4294967295
	s_addc_u32 s15, s15, (.LBB1_5571-.Lpost_getpc13537)>>32
	s_setpc_b64 s[14:15]
.LBB1_31457:
	s_getpc_b64 s[14:15]
.Lpost_getpc1392:
	s_add_u32 s14, s14, (.LBB1_5572-.Lpost_getpc1392)&4294967295
	s_addc_u32 s15, s15, (.LBB1_5572-.Lpost_getpc1392)>>32
	s_setpc_b64 s[14:15]
.LBB1_19909:
	s_movk_i32 s4, 0x80
	v_cmp_eq_u16_sdwa s[12:13], v4, s4 src0_sel:BYTE_0 src1_sel:DWORD
	s_mov_b64 s[4:5], -1
                                        ; implicit-def: $sgpr10
	s_and_saveexec_b64 s[8:9], s[12:13]
; %bb.19910:
	s_mov_b32 s10, 0x7f800001
	s_xor_b64 s[4:5], exec, -1
; %bb.19911:
	s_or_b64 exec, exec, s[8:9]
	s_and_b64 s[4:5], s[4:5], exec
	s_or_saveexec_b64 s[6:7], s[6:7]
	v_mov_b32_e32 v3, s10
	s_xor_b64 exec, exec, s[6:7]
	s_cbranch_execnz .LBB1_19912
; %bb.55749:
	s_getpc_b64 s[14:15]
.Lpost_getpc13538:
	s_add_u32 s14, s14, (.LBB1_5574-.Lpost_getpc13538)&4294967295
	s_addc_u32 s15, s15, (.LBB1_5574-.Lpost_getpc13538)>>32
	s_setpc_b64 s[14:15]
.LBB1_19912:
	v_mov_b32_e32 v3, 0
	v_cmp_ne_u16_sdwa s[8:9], v4, v3 src0_sel:BYTE_0 src1_sel:DWORD
	s_andn2_b64 s[4:5], s[4:5], exec
	s_and_b64 s[8:9], s[8:9], exec
	s_or_b64 s[4:5], s[4:5], s[8:9]
	s_or_b64 exec, exec, s[6:7]
	s_and_saveexec_b64 s[6:7], s[4:5]
	s_cbranch_execz .LBB1_31459
; %bb.55751:
	s_getpc_b64 s[14:15]
.Lpost_getpc13539:
	s_add_u32 s14, s14, (.LBB1_5575-.Lpost_getpc13539)&4294967295
	s_addc_u32 s15, s15, (.LBB1_5575-.Lpost_getpc13539)>>32
	s_setpc_b64 s[14:15]
.LBB1_31459:
	s_getpc_b64 s[14:15]
.Lpost_getpc1393:
	s_add_u32 s14, s14, (.LBB1_5576-.Lpost_getpc1393)&4294967295
	s_addc_u32 s15, s15, (.LBB1_5576-.Lpost_getpc1393)>>32
	s_setpc_b64 s[14:15]
.LBB1_19913:
	s_movk_i32 s4, 0x80
	v_cmp_eq_u16_sdwa s[12:13], v3, s4 src0_sel:BYTE_0 src1_sel:DWORD
	s_mov_b64 s[4:5], -1
                                        ; implicit-def: $sgpr10
	s_and_saveexec_b64 s[8:9], s[12:13]
; %bb.19914:
	s_mov_b32 s10, 0x7f800001
	s_xor_b64 s[4:5], exec, -1
; %bb.19915:
	s_or_b64 exec, exec, s[8:9]
	s_and_b64 s[4:5], s[4:5], exec
	s_or_saveexec_b64 s[6:7], s[6:7]
	v_mov_b32_e32 v2, s10
	s_xor_b64 exec, exec, s[6:7]
	s_cbranch_execnz .LBB1_19916
; %bb.55753:
	s_getpc_b64 s[14:15]
.Lpost_getpc13540:
	s_add_u32 s14, s14, (.LBB1_5578-.Lpost_getpc13540)&4294967295
	s_addc_u32 s15, s15, (.LBB1_5578-.Lpost_getpc13540)>>32
	s_setpc_b64 s[14:15]
.LBB1_19916:
	v_mov_b32_e32 v2, 0
	v_cmp_ne_u16_sdwa s[8:9], v3, v2 src0_sel:BYTE_0 src1_sel:DWORD
	s_andn2_b64 s[4:5], s[4:5], exec
	s_and_b64 s[8:9], s[8:9], exec
	s_or_b64 s[4:5], s[4:5], s[8:9]
	s_or_b64 exec, exec, s[6:7]
	s_and_saveexec_b64 s[6:7], s[4:5]
	s_cbranch_execz .LBB1_31461
; %bb.55755:
	s_getpc_b64 s[14:15]
.Lpost_getpc13541:
	s_add_u32 s14, s14, (.LBB1_5579-.Lpost_getpc13541)&4294967295
	s_addc_u32 s15, s15, (.LBB1_5579-.Lpost_getpc13541)>>32
	s_setpc_b64 s[14:15]
.LBB1_31461:
	s_getpc_b64 s[14:15]
.Lpost_getpc1394:
	s_add_u32 s14, s14, (.LBB1_5580-.Lpost_getpc1394)&4294967295
	s_addc_u32 s15, s15, (.LBB1_5580-.Lpost_getpc1394)>>32
	s_setpc_b64 s[14:15]
.LBB1_19917:
	s_movk_i32 s4, 0x80
	v_cmp_eq_u16_sdwa s[12:13], v3, s4 src0_sel:BYTE_0 src1_sel:DWORD
	s_mov_b64 s[4:5], -1
                                        ; implicit-def: $sgpr10
	s_and_saveexec_b64 s[8:9], s[12:13]
; %bb.19918:
	s_mov_b32 s10, 0x7f800001
	s_xor_b64 s[4:5], exec, -1
; %bb.19919:
	s_or_b64 exec, exec, s[8:9]
	s_and_b64 s[4:5], s[4:5], exec
	s_or_saveexec_b64 s[6:7], s[6:7]
	v_mov_b32_e32 v6, s10
	s_xor_b64 exec, exec, s[6:7]
	s_cbranch_execnz .LBB1_19920
; %bb.55757:
	s_getpc_b64 s[14:15]
.Lpost_getpc13542:
	s_add_u32 s14, s14, (.LBB1_5582-.Lpost_getpc13542)&4294967295
	s_addc_u32 s15, s15, (.LBB1_5582-.Lpost_getpc13542)>>32
	s_setpc_b64 s[14:15]
.LBB1_19920:
	v_mov_b32_e32 v6, 0
	v_cmp_ne_u16_sdwa s[8:9], v3, v6 src0_sel:BYTE_0 src1_sel:DWORD
	s_andn2_b64 s[4:5], s[4:5], exec
	s_and_b64 s[8:9], s[8:9], exec
	s_or_b64 s[4:5], s[4:5], s[8:9]
	s_or_b64 exec, exec, s[6:7]
	s_and_saveexec_b64 s[6:7], s[4:5]
	s_cbranch_execz .LBB1_31463
; %bb.55759:
	s_getpc_b64 s[14:15]
.Lpost_getpc13543:
	s_add_u32 s14, s14, (.LBB1_5583-.Lpost_getpc13543)&4294967295
	s_addc_u32 s15, s15, (.LBB1_5583-.Lpost_getpc13543)>>32
	s_setpc_b64 s[14:15]
.LBB1_31463:
	s_getpc_b64 s[14:15]
.Lpost_getpc1395:
	s_add_u32 s14, s14, (.LBB1_5584-.Lpost_getpc1395)&4294967295
	s_addc_u32 s15, s15, (.LBB1_5584-.Lpost_getpc1395)>>32
	s_setpc_b64 s[14:15]
.LBB1_19921:
	s_movk_i32 s4, 0x80
	v_cmp_eq_u16_e32 vcc, s4, v3
	s_mov_b64 s[4:5], -1
                                        ; implicit-def: $sgpr10
	s_and_saveexec_b64 s[8:9], vcc
; %bb.19922:
	s_mov_b32 s10, 0x7f800001
	s_xor_b64 s[4:5], exec, -1
; %bb.19923:
	s_or_b64 exec, exec, s[8:9]
	s_and_b64 s[4:5], s[4:5], exec
                                        ; implicit-def: $vgpr3
	s_or_saveexec_b64 s[6:7], s[6:7]
	v_mov_b32_e32 v2, s10
	s_xor_b64 exec, exec, s[6:7]
	s_cbranch_execnz .LBB1_19924
; %bb.55761:
	s_getpc_b64 s[14:15]
.Lpost_getpc13544:
	s_add_u32 s14, s14, (.LBB1_5586-.Lpost_getpc13544)&4294967295
	s_addc_u32 s15, s15, (.LBB1_5586-.Lpost_getpc13544)>>32
	s_setpc_b64 s[14:15]
.LBB1_19924:
	v_cmp_ne_u16_e32 vcc, 0, v3
	s_andn2_b64 s[4:5], s[4:5], exec
	s_and_b64 s[8:9], vcc, exec
	v_mov_b32_e32 v2, 0
	s_or_b64 s[4:5], s[4:5], s[8:9]
	s_or_b64 exec, exec, s[6:7]
	s_and_saveexec_b64 s[6:7], s[4:5]
	s_cbranch_execz .LBB1_31465
; %bb.55763:
	s_getpc_b64 s[14:15]
.Lpost_getpc13545:
	s_add_u32 s14, s14, (.LBB1_5587-.Lpost_getpc13545)&4294967295
	s_addc_u32 s15, s15, (.LBB1_5587-.Lpost_getpc13545)>>32
	s_setpc_b64 s[14:15]
.LBB1_31465:
	s_getpc_b64 s[14:15]
.Lpost_getpc1396:
	s_add_u32 s14, s14, (.LBB1_5588-.Lpost_getpc1396)&4294967295
	s_addc_u32 s15, s15, (.LBB1_5588-.Lpost_getpc1396)>>32
	s_setpc_b64 s[14:15]
.LBB1_19925:
	s_movk_i32 s4, 0x80
	v_cmp_eq_u16_e32 vcc, s4, v3
	s_mov_b64 s[4:5], -1
                                        ; implicit-def: $sgpr10
	s_and_saveexec_b64 s[8:9], vcc
; %bb.19926:
	s_mov_b32 s10, 0x7f800001
	s_xor_b64 s[4:5], exec, -1
; %bb.19927:
	s_or_b64 exec, exec, s[8:9]
	s_and_b64 s[4:5], s[4:5], exec
                                        ; implicit-def: $vgpr3
	s_or_saveexec_b64 s[6:7], s[6:7]
	v_mov_b32_e32 v6, s10
	s_xor_b64 exec, exec, s[6:7]
	s_cbranch_execnz .LBB1_19928
; %bb.55765:
	s_getpc_b64 s[14:15]
.Lpost_getpc13546:
	s_add_u32 s14, s14, (.LBB1_5590-.Lpost_getpc13546)&4294967295
	s_addc_u32 s15, s15, (.LBB1_5590-.Lpost_getpc13546)>>32
	s_setpc_b64 s[14:15]
.LBB1_19928:
	v_cmp_ne_u16_e32 vcc, 0, v3
	s_andn2_b64 s[4:5], s[4:5], exec
	s_and_b64 s[8:9], vcc, exec
	v_mov_b32_e32 v6, 0
	s_or_b64 s[4:5], s[4:5], s[8:9]
	s_or_b64 exec, exec, s[6:7]
	s_and_saveexec_b64 s[6:7], s[4:5]
	s_cbranch_execz .LBB1_31467
; %bb.55767:
	s_getpc_b64 s[14:15]
.Lpost_getpc13547:
	s_add_u32 s14, s14, (.LBB1_5591-.Lpost_getpc13547)&4294967295
	s_addc_u32 s15, s15, (.LBB1_5591-.Lpost_getpc13547)>>32
	s_setpc_b64 s[14:15]
.LBB1_31467:
	s_getpc_b64 s[14:15]
.Lpost_getpc1397:
	s_add_u32 s14, s14, (.LBB1_5592-.Lpost_getpc1397)&4294967295
	s_addc_u32 s15, s15, (.LBB1_5592-.Lpost_getpc1397)>>32
	s_setpc_b64 s[14:15]
.LBB1_19929:
	s_movk_i32 s4, 0x80
	v_cmp_eq_u16_sdwa s[12:13], v8, s4 src0_sel:BYTE_3 src1_sel:DWORD
	s_mov_b64 s[4:5], -1
                                        ; implicit-def: $sgpr10
	s_and_saveexec_b64 s[8:9], s[12:13]
; %bb.19930:
	s_mov_b32 s10, 0x7f800001
	s_xor_b64 s[4:5], exec, -1
; %bb.19931:
	s_or_b64 exec, exec, s[8:9]
	s_and_b64 s[4:5], s[4:5], exec
	s_or_saveexec_b64 s[6:7], s[6:7]
	v_mov_b32_e32 v2, s10
	s_xor_b64 exec, exec, s[6:7]
	s_cbranch_execnz .LBB1_19932
; %bb.55769:
	s_getpc_b64 s[14:15]
.Lpost_getpc13548:
	s_add_u32 s14, s14, (.LBB1_5594-.Lpost_getpc13548)&4294967295
	s_addc_u32 s15, s15, (.LBB1_5594-.Lpost_getpc13548)>>32
	s_setpc_b64 s[14:15]
.LBB1_19932:
	v_mov_b32_e32 v2, 0
	v_cmp_ne_u16_sdwa s[8:9], v8, v2 src0_sel:BYTE_3 src1_sel:DWORD
	s_andn2_b64 s[4:5], s[4:5], exec
	s_and_b64 s[8:9], s[8:9], exec
	s_or_b64 s[4:5], s[4:5], s[8:9]
	s_or_b64 exec, exec, s[6:7]
	s_and_saveexec_b64 s[6:7], s[4:5]
	s_cbranch_execz .LBB1_31469
; %bb.55771:
	s_getpc_b64 s[14:15]
.Lpost_getpc13549:
	s_add_u32 s14, s14, (.LBB1_5595-.Lpost_getpc13549)&4294967295
	s_addc_u32 s15, s15, (.LBB1_5595-.Lpost_getpc13549)>>32
	s_setpc_b64 s[14:15]
.LBB1_31469:
	s_getpc_b64 s[14:15]
.Lpost_getpc1398:
	s_add_u32 s14, s14, (.LBB1_5596-.Lpost_getpc1398)&4294967295
	s_addc_u32 s15, s15, (.LBB1_5596-.Lpost_getpc1398)>>32
	s_setpc_b64 s[14:15]
.LBB1_19933:
	s_movk_i32 s4, 0x80
	v_cmp_eq_u16_sdwa s[12:13], v4, s4 src0_sel:BYTE_3 src1_sel:DWORD
	s_mov_b64 s[4:5], -1
                                        ; implicit-def: $sgpr10
	s_and_saveexec_b64 s[8:9], s[12:13]
; %bb.19934:
	s_mov_b32 s10, 0x7f800001
	s_xor_b64 s[4:5], exec, -1
; %bb.19935:
	s_or_b64 exec, exec, s[8:9]
	s_and_b64 s[4:5], s[4:5], exec
	s_or_saveexec_b64 s[6:7], s[6:7]
	v_mov_b32_e32 v3, s10
	s_xor_b64 exec, exec, s[6:7]
	s_cbranch_execnz .LBB1_19936
; %bb.55773:
	s_getpc_b64 s[14:15]
.Lpost_getpc13550:
	s_add_u32 s14, s14, (.LBB1_5598-.Lpost_getpc13550)&4294967295
	s_addc_u32 s15, s15, (.LBB1_5598-.Lpost_getpc13550)>>32
	s_setpc_b64 s[14:15]
.LBB1_19936:
	v_mov_b32_e32 v3, 0
	v_cmp_ne_u16_sdwa s[8:9], v4, v3 src0_sel:BYTE_3 src1_sel:DWORD
	s_andn2_b64 s[4:5], s[4:5], exec
	s_and_b64 s[8:9], s[8:9], exec
	s_or_b64 s[4:5], s[4:5], s[8:9]
	s_or_b64 exec, exec, s[6:7]
	s_and_saveexec_b64 s[6:7], s[4:5]
	s_cbranch_execz .LBB1_31471
; %bb.55775:
	s_getpc_b64 s[14:15]
.Lpost_getpc13551:
	s_add_u32 s14, s14, (.LBB1_5599-.Lpost_getpc13551)&4294967295
	s_addc_u32 s15, s15, (.LBB1_5599-.Lpost_getpc13551)>>32
	s_setpc_b64 s[14:15]
.LBB1_31471:
	s_getpc_b64 s[14:15]
.Lpost_getpc1399:
	s_add_u32 s14, s14, (.LBB1_5600-.Lpost_getpc1399)&4294967295
	s_addc_u32 s15, s15, (.LBB1_5600-.Lpost_getpc1399)>>32
	s_setpc_b64 s[14:15]
.LBB1_19937:
	s_movk_i32 s4, 0x80
	v_cmp_eq_u16_sdwa s[12:13], v9, s4 src0_sel:BYTE_0 src1_sel:DWORD
	s_mov_b64 s[4:5], -1
                                        ; implicit-def: $sgpr10
	s_and_saveexec_b64 s[8:9], s[12:13]
; %bb.19938:
	s_mov_b32 s10, 0x7f800001
	s_xor_b64 s[4:5], exec, -1
; %bb.19939:
	s_or_b64 exec, exec, s[8:9]
	s_and_b64 s[4:5], s[4:5], exec
	s_or_saveexec_b64 s[6:7], s[6:7]
	v_mov_b32_e32 v2, s10
	s_xor_b64 exec, exec, s[6:7]
	s_cbranch_execnz .LBB1_19940
; %bb.55777:
	s_getpc_b64 s[14:15]
.Lpost_getpc13552:
	s_add_u32 s14, s14, (.LBB1_5602-.Lpost_getpc13552)&4294967295
	s_addc_u32 s15, s15, (.LBB1_5602-.Lpost_getpc13552)>>32
	s_setpc_b64 s[14:15]
.LBB1_19940:
	v_mov_b32_e32 v2, 0
	v_cmp_ne_u16_sdwa s[8:9], v9, v2 src0_sel:BYTE_0 src1_sel:DWORD
	s_andn2_b64 s[4:5], s[4:5], exec
	s_and_b64 s[8:9], s[8:9], exec
	s_or_b64 s[4:5], s[4:5], s[8:9]
	s_or_b64 exec, exec, s[6:7]
	s_and_saveexec_b64 s[6:7], s[4:5]
	s_cbranch_execz .LBB1_31473
; %bb.55779:
	s_getpc_b64 s[14:15]
.Lpost_getpc13553:
	s_add_u32 s14, s14, (.LBB1_5603-.Lpost_getpc13553)&4294967295
	s_addc_u32 s15, s15, (.LBB1_5603-.Lpost_getpc13553)>>32
	s_setpc_b64 s[14:15]
.LBB1_31473:
	s_getpc_b64 s[14:15]
.Lpost_getpc1400:
	s_add_u32 s14, s14, (.LBB1_5604-.Lpost_getpc1400)&4294967295
	s_addc_u32 s15, s15, (.LBB1_5604-.Lpost_getpc1400)>>32
	s_setpc_b64 s[14:15]
.LBB1_19941:
	s_movk_i32 s4, 0x80
	v_cmp_eq_u16_sdwa s[12:13], v5, s4 src0_sel:BYTE_0 src1_sel:DWORD
	s_mov_b64 s[4:5], -1
                                        ; implicit-def: $sgpr10
	s_and_saveexec_b64 s[8:9], s[12:13]
; %bb.19942:
	s_mov_b32 s10, 0x7f800001
	s_xor_b64 s[4:5], exec, -1
; %bb.19943:
	s_or_b64 exec, exec, s[8:9]
	s_and_b64 s[4:5], s[4:5], exec
	s_or_saveexec_b64 s[6:7], s[6:7]
	v_mov_b32_e32 v3, s10
	s_xor_b64 exec, exec, s[6:7]
	s_cbranch_execnz .LBB1_19944
; %bb.55781:
	s_getpc_b64 s[14:15]
.Lpost_getpc13554:
	s_add_u32 s14, s14, (.LBB1_5606-.Lpost_getpc13554)&4294967295
	s_addc_u32 s15, s15, (.LBB1_5606-.Lpost_getpc13554)>>32
	s_setpc_b64 s[14:15]
.LBB1_19944:
	v_mov_b32_e32 v3, 0
	v_cmp_ne_u16_sdwa s[8:9], v5, v3 src0_sel:BYTE_0 src1_sel:DWORD
	s_andn2_b64 s[4:5], s[4:5], exec
	s_and_b64 s[8:9], s[8:9], exec
	s_or_b64 s[4:5], s[4:5], s[8:9]
	s_or_b64 exec, exec, s[6:7]
	s_and_saveexec_b64 s[6:7], s[4:5]
	s_cbranch_execz .LBB1_31475
; %bb.55783:
	s_getpc_b64 s[14:15]
.Lpost_getpc13555:
	s_add_u32 s14, s14, (.LBB1_5607-.Lpost_getpc13555)&4294967295
	s_addc_u32 s15, s15, (.LBB1_5607-.Lpost_getpc13555)>>32
	s_setpc_b64 s[14:15]
.LBB1_31475:
	s_getpc_b64 s[14:15]
.Lpost_getpc1401:
	s_add_u32 s14, s14, (.LBB1_5608-.Lpost_getpc1401)&4294967295
	s_addc_u32 s15, s15, (.LBB1_5608-.Lpost_getpc1401)>>32
	s_setpc_b64 s[14:15]
.LBB1_19945:
	s_movk_i32 s4, 0x80
	v_cmp_eq_u16_sdwa s[12:13], v3, s4 src0_sel:BYTE_0 src1_sel:DWORD
	s_mov_b64 s[4:5], -1
                                        ; implicit-def: $sgpr10
	s_and_saveexec_b64 s[8:9], s[12:13]
; %bb.19946:
	s_mov_b32 s10, 0x7f800001
	s_xor_b64 s[4:5], exec, -1
; %bb.19947:
	s_or_b64 exec, exec, s[8:9]
	s_and_b64 s[4:5], s[4:5], exec
	s_or_saveexec_b64 s[6:7], s[6:7]
	v_mov_b32_e32 v2, s10
	s_xor_b64 exec, exec, s[6:7]
	s_cbranch_execnz .LBB1_19948
; %bb.55785:
	s_getpc_b64 s[14:15]
.Lpost_getpc13556:
	s_add_u32 s14, s14, (.LBB1_5610-.Lpost_getpc13556)&4294967295
	s_addc_u32 s15, s15, (.LBB1_5610-.Lpost_getpc13556)>>32
	s_setpc_b64 s[14:15]
.LBB1_19948:
	v_mov_b32_e32 v2, 0
	v_cmp_ne_u16_sdwa s[8:9], v3, v2 src0_sel:BYTE_0 src1_sel:DWORD
	s_andn2_b64 s[4:5], s[4:5], exec
	s_and_b64 s[8:9], s[8:9], exec
	s_or_b64 s[4:5], s[4:5], s[8:9]
	s_or_b64 exec, exec, s[6:7]
	s_and_saveexec_b64 s[6:7], s[4:5]
	s_cbranch_execz .LBB1_31477
; %bb.55787:
	s_getpc_b64 s[14:15]
.Lpost_getpc13557:
	s_add_u32 s14, s14, (.LBB1_5611-.Lpost_getpc13557)&4294967295
	s_addc_u32 s15, s15, (.LBB1_5611-.Lpost_getpc13557)>>32
	s_setpc_b64 s[14:15]
.LBB1_31477:
	s_getpc_b64 s[14:15]
.Lpost_getpc1402:
	s_add_u32 s14, s14, (.LBB1_5612-.Lpost_getpc1402)&4294967295
	s_addc_u32 s15, s15, (.LBB1_5612-.Lpost_getpc1402)>>32
	s_setpc_b64 s[14:15]
.LBB1_19949:
	s_movk_i32 s4, 0x80
	v_cmp_eq_u16_sdwa s[12:13], v3, s4 src0_sel:BYTE_0 src1_sel:DWORD
	s_mov_b64 s[4:5], -1
                                        ; implicit-def: $sgpr10
	s_and_saveexec_b64 s[8:9], s[12:13]
; %bb.19950:
	s_mov_b32 s10, 0x7f800001
	s_xor_b64 s[4:5], exec, -1
; %bb.19951:
	s_or_b64 exec, exec, s[8:9]
	s_and_b64 s[4:5], s[4:5], exec
	s_or_saveexec_b64 s[6:7], s[6:7]
	v_mov_b32_e32 v4, s10
	s_xor_b64 exec, exec, s[6:7]
	s_cbranch_execnz .LBB1_19952
; %bb.55789:
	s_getpc_b64 s[14:15]
.Lpost_getpc13558:
	s_add_u32 s14, s14, (.LBB1_5614-.Lpost_getpc13558)&4294967295
	s_addc_u32 s15, s15, (.LBB1_5614-.Lpost_getpc13558)>>32
	s_setpc_b64 s[14:15]
.LBB1_19952:
	v_mov_b32_e32 v4, 0
	v_cmp_ne_u16_sdwa s[8:9], v3, v4 src0_sel:BYTE_0 src1_sel:DWORD
	s_andn2_b64 s[4:5], s[4:5], exec
	s_and_b64 s[8:9], s[8:9], exec
	s_or_b64 s[4:5], s[4:5], s[8:9]
	s_or_b64 exec, exec, s[6:7]
	s_and_saveexec_b64 s[6:7], s[4:5]
	s_cbranch_execz .LBB1_31479
; %bb.55791:
	s_getpc_b64 s[14:15]
.Lpost_getpc13559:
	s_add_u32 s14, s14, (.LBB1_5615-.Lpost_getpc13559)&4294967295
	s_addc_u32 s15, s15, (.LBB1_5615-.Lpost_getpc13559)>>32
	s_setpc_b64 s[14:15]
.LBB1_31479:
	s_getpc_b64 s[14:15]
.Lpost_getpc1403:
	s_add_u32 s14, s14, (.LBB1_5616-.Lpost_getpc1403)&4294967295
	s_addc_u32 s15, s15, (.LBB1_5616-.Lpost_getpc1403)>>32
	s_setpc_b64 s[14:15]
.LBB1_19953:
	s_movk_i32 s4, 0x80
	v_cmp_eq_u16_e32 vcc, s4, v3
	s_mov_b64 s[4:5], -1
                                        ; implicit-def: $sgpr10
	s_and_saveexec_b64 s[8:9], vcc
; %bb.19954:
	s_mov_b32 s10, 0x7f800001
	s_xor_b64 s[4:5], exec, -1
; %bb.19955:
	s_or_b64 exec, exec, s[8:9]
	s_and_b64 s[4:5], s[4:5], exec
                                        ; implicit-def: $vgpr3
	s_or_saveexec_b64 s[6:7], s[6:7]
	v_mov_b32_e32 v2, s10
	s_xor_b64 exec, exec, s[6:7]
	s_cbranch_execnz .LBB1_19956
; %bb.55793:
	s_getpc_b64 s[14:15]
.Lpost_getpc13560:
	s_add_u32 s14, s14, (.LBB1_5618-.Lpost_getpc13560)&4294967295
	s_addc_u32 s15, s15, (.LBB1_5618-.Lpost_getpc13560)>>32
	s_setpc_b64 s[14:15]
.LBB1_19956:
	v_cmp_ne_u16_e32 vcc, 0, v3
	s_andn2_b64 s[4:5], s[4:5], exec
	s_and_b64 s[8:9], vcc, exec
	v_mov_b32_e32 v2, 0
	s_or_b64 s[4:5], s[4:5], s[8:9]
	s_or_b64 exec, exec, s[6:7]
	s_and_saveexec_b64 s[6:7], s[4:5]
	s_cbranch_execz .LBB1_31481
; %bb.55795:
	s_getpc_b64 s[14:15]
.Lpost_getpc13561:
	s_add_u32 s14, s14, (.LBB1_5619-.Lpost_getpc13561)&4294967295
	s_addc_u32 s15, s15, (.LBB1_5619-.Lpost_getpc13561)>>32
	s_setpc_b64 s[14:15]
.LBB1_31481:
	s_getpc_b64 s[14:15]
.Lpost_getpc1404:
	s_add_u32 s14, s14, (.LBB1_5620-.Lpost_getpc1404)&4294967295
	s_addc_u32 s15, s15, (.LBB1_5620-.Lpost_getpc1404)>>32
	s_setpc_b64 s[14:15]
.LBB1_19957:
	s_movk_i32 s4, 0x80
	v_cmp_eq_u16_e32 vcc, s4, v3
	s_mov_b64 s[4:5], -1
                                        ; implicit-def: $sgpr10
	s_and_saveexec_b64 s[8:9], vcc
; %bb.19958:
	s_mov_b32 s10, 0x7f800001
	s_xor_b64 s[4:5], exec, -1
; %bb.19959:
	s_or_b64 exec, exec, s[8:9]
	s_and_b64 s[4:5], s[4:5], exec
                                        ; implicit-def: $vgpr3
	s_or_saveexec_b64 s[6:7], s[6:7]
	v_mov_b32_e32 v4, s10
	s_xor_b64 exec, exec, s[6:7]
	s_cbranch_execnz .LBB1_19960
; %bb.55797:
	s_getpc_b64 s[14:15]
.Lpost_getpc13562:
	s_add_u32 s14, s14, (.LBB1_5622-.Lpost_getpc13562)&4294967295
	s_addc_u32 s15, s15, (.LBB1_5622-.Lpost_getpc13562)>>32
	s_setpc_b64 s[14:15]
.LBB1_19960:
	v_cmp_ne_u16_e32 vcc, 0, v3
	s_andn2_b64 s[4:5], s[4:5], exec
	s_and_b64 s[8:9], vcc, exec
	v_mov_b32_e32 v4, 0
	s_or_b64 s[4:5], s[4:5], s[8:9]
	s_or_b64 exec, exec, s[6:7]
	s_and_saveexec_b64 s[6:7], s[4:5]
	s_cbranch_execz .LBB1_31483
; %bb.55799:
	s_getpc_b64 s[14:15]
.Lpost_getpc13563:
	s_add_u32 s14, s14, (.LBB1_5623-.Lpost_getpc13563)&4294967295
	s_addc_u32 s15, s15, (.LBB1_5623-.Lpost_getpc13563)>>32
	s_setpc_b64 s[14:15]
.LBB1_31483:
	s_getpc_b64 s[14:15]
.Lpost_getpc1405:
	s_add_u32 s14, s14, (.LBB1_5624-.Lpost_getpc1405)&4294967295
	s_addc_u32 s15, s15, (.LBB1_5624-.Lpost_getpc1405)>>32
	s_setpc_b64 s[14:15]
.LBB1_19961:
	s_movk_i32 s4, 0x80
	v_cmp_eq_u16_sdwa s[12:13], v9, s4 src0_sel:BYTE_3 src1_sel:DWORD
	s_mov_b64 s[4:5], -1
                                        ; implicit-def: $sgpr10
	s_and_saveexec_b64 s[8:9], s[12:13]
; %bb.19962:
	s_mov_b32 s10, 0x7f800001
	s_xor_b64 s[4:5], exec, -1
; %bb.19963:
	s_or_b64 exec, exec, s[8:9]
	s_and_b64 s[4:5], s[4:5], exec
	s_or_saveexec_b64 s[6:7], s[6:7]
	v_mov_b32_e32 v2, s10
	s_xor_b64 exec, exec, s[6:7]
	s_cbranch_execnz .LBB1_19964
; %bb.55801:
	s_getpc_b64 s[14:15]
.Lpost_getpc13564:
	s_add_u32 s14, s14, (.LBB1_5626-.Lpost_getpc13564)&4294967295
	s_addc_u32 s15, s15, (.LBB1_5626-.Lpost_getpc13564)>>32
	s_setpc_b64 s[14:15]
.LBB1_19964:
	v_mov_b32_e32 v2, 0
	v_cmp_ne_u16_sdwa s[8:9], v9, v2 src0_sel:BYTE_3 src1_sel:DWORD
	s_andn2_b64 s[4:5], s[4:5], exec
	s_and_b64 s[8:9], s[8:9], exec
	s_or_b64 s[4:5], s[4:5], s[8:9]
	s_or_b64 exec, exec, s[6:7]
	s_and_saveexec_b64 s[6:7], s[4:5]
	s_cbranch_execz .LBB1_31485
; %bb.55803:
	s_getpc_b64 s[14:15]
.Lpost_getpc13565:
	s_add_u32 s14, s14, (.LBB1_5627-.Lpost_getpc13565)&4294967295
	s_addc_u32 s15, s15, (.LBB1_5627-.Lpost_getpc13565)>>32
	s_setpc_b64 s[14:15]
.LBB1_31485:
	s_getpc_b64 s[14:15]
.Lpost_getpc1406:
	s_add_u32 s14, s14, (.LBB1_5628-.Lpost_getpc1406)&4294967295
	s_addc_u32 s15, s15, (.LBB1_5628-.Lpost_getpc1406)>>32
	s_setpc_b64 s[14:15]
.LBB1_19965:
	s_movk_i32 s4, 0x80
	v_cmp_eq_u16_sdwa s[12:13], v5, s4 src0_sel:BYTE_3 src1_sel:DWORD
	s_mov_b64 s[4:5], -1
                                        ; implicit-def: $sgpr10
	s_and_saveexec_b64 s[8:9], s[12:13]
; %bb.19966:
	s_mov_b32 s10, 0x7f800001
	s_xor_b64 s[4:5], exec, -1
; %bb.19967:
	s_or_b64 exec, exec, s[8:9]
	s_and_b64 s[4:5], s[4:5], exec
	s_or_saveexec_b64 s[6:7], s[6:7]
	v_mov_b32_e32 v3, s10
	s_xor_b64 exec, exec, s[6:7]
	s_cbranch_execnz .LBB1_19968
; %bb.55805:
	s_getpc_b64 s[14:15]
.Lpost_getpc13566:
	s_add_u32 s14, s14, (.LBB1_5630-.Lpost_getpc13566)&4294967295
	s_addc_u32 s15, s15, (.LBB1_5630-.Lpost_getpc13566)>>32
	s_setpc_b64 s[14:15]
.LBB1_19968:
	v_mov_b32_e32 v3, 0
	v_cmp_ne_u16_sdwa s[8:9], v5, v3 src0_sel:BYTE_3 src1_sel:DWORD
	s_andn2_b64 s[4:5], s[4:5], exec
	s_and_b64 s[8:9], s[8:9], exec
	s_or_b64 s[4:5], s[4:5], s[8:9]
	s_or_b64 exec, exec, s[6:7]
	s_and_saveexec_b64 s[6:7], s[4:5]
	s_cbranch_execz .LBB1_31487
; %bb.55807:
	s_getpc_b64 s[14:15]
.Lpost_getpc13567:
	s_add_u32 s14, s14, (.LBB1_5631-.Lpost_getpc13567)&4294967295
	s_addc_u32 s15, s15, (.LBB1_5631-.Lpost_getpc13567)>>32
	s_setpc_b64 s[14:15]
.LBB1_31487:
	s_getpc_b64 s[14:15]
.Lpost_getpc1407:
	s_add_u32 s14, s14, (.LBB1_5632-.Lpost_getpc1407)&4294967295
	s_addc_u32 s15, s15, (.LBB1_5632-.Lpost_getpc1407)>>32
	s_setpc_b64 s[14:15]
.LBB1_19969:
	s_movk_i32 s4, 0x80
	v_cmp_eq_u16_sdwa s[12:13], v6, s4 src0_sel:BYTE_0 src1_sel:DWORD
	s_mov_b64 s[4:5], -1
                                        ; implicit-def: $sgpr10
	s_and_saveexec_b64 s[8:9], s[12:13]
; %bb.19970:
	s_mov_b32 s10, 0x7f800001
	s_xor_b64 s[4:5], exec, -1
; %bb.19971:
	s_or_b64 exec, exec, s[8:9]
	s_and_b64 s[4:5], s[4:5], exec
	s_or_saveexec_b64 s[6:7], s[6:7]
	v_mov_b32_e32 v12, s10
	s_xor_b64 exec, exec, s[6:7]
	s_cbranch_execnz .LBB1_19972
; %bb.55809:
	s_getpc_b64 s[14:15]
.Lpost_getpc13568:
	s_add_u32 s14, s14, (.LBB1_5634-.Lpost_getpc13568)&4294967295
	s_addc_u32 s15, s15, (.LBB1_5634-.Lpost_getpc13568)>>32
	s_setpc_b64 s[14:15]
.LBB1_19972:
	v_mov_b32_e32 v12, 0
	v_cmp_ne_u16_sdwa s[8:9], v6, v12 src0_sel:BYTE_0 src1_sel:DWORD
	s_andn2_b64 s[4:5], s[4:5], exec
	s_and_b64 s[8:9], s[8:9], exec
	s_or_b64 s[4:5], s[4:5], s[8:9]
	s_or_b64 exec, exec, s[6:7]
	s_and_saveexec_b64 s[6:7], s[4:5]
	s_cbranch_execz .LBB1_31489
; %bb.55811:
	s_getpc_b64 s[14:15]
.Lpost_getpc13569:
	s_add_u32 s14, s14, (.LBB1_5635-.Lpost_getpc13569)&4294967295
	s_addc_u32 s15, s15, (.LBB1_5635-.Lpost_getpc13569)>>32
	s_setpc_b64 s[14:15]
.LBB1_31489:
	s_getpc_b64 s[14:15]
.Lpost_getpc1408:
	s_add_u32 s14, s14, (.LBB1_5636-.Lpost_getpc1408)&4294967295
	s_addc_u32 s15, s15, (.LBB1_5636-.Lpost_getpc1408)>>32
	s_setpc_b64 s[14:15]
.LBB1_19973:
	s_movk_i32 s4, 0x80
	v_cmp_eq_u16_sdwa s[12:13], v2, s4 src0_sel:BYTE_0 src1_sel:DWORD
	s_mov_b64 s[4:5], -1
                                        ; implicit-def: $sgpr10
	s_and_saveexec_b64 s[8:9], s[12:13]
; %bb.19974:
	s_mov_b32 s10, 0x7f800001
	s_xor_b64 s[4:5], exec, -1
; %bb.19975:
	s_or_b64 exec, exec, s[8:9]
	s_and_b64 s[4:5], s[4:5], exec
	s_or_saveexec_b64 s[6:7], s[6:7]
	v_mov_b32_e32 v13, s10
	s_xor_b64 exec, exec, s[6:7]
	s_cbranch_execnz .LBB1_19976
; %bb.55813:
	s_getpc_b64 s[14:15]
.Lpost_getpc13570:
	s_add_u32 s14, s14, (.LBB1_5638-.Lpost_getpc13570)&4294967295
	s_addc_u32 s15, s15, (.LBB1_5638-.Lpost_getpc13570)>>32
	s_setpc_b64 s[14:15]
.LBB1_19976:
	v_mov_b32_e32 v13, 0
	v_cmp_ne_u16_sdwa s[8:9], v2, v13 src0_sel:BYTE_0 src1_sel:DWORD
	s_andn2_b64 s[4:5], s[4:5], exec
	s_and_b64 s[8:9], s[8:9], exec
	s_or_b64 s[4:5], s[4:5], s[8:9]
	s_or_b64 exec, exec, s[6:7]
	s_and_saveexec_b64 s[6:7], s[4:5]
	s_cbranch_execz .LBB1_31491
; %bb.55815:
	s_getpc_b64 s[14:15]
.Lpost_getpc13571:
	s_add_u32 s14, s14, (.LBB1_5639-.Lpost_getpc13571)&4294967295
	s_addc_u32 s15, s15, (.LBB1_5639-.Lpost_getpc13571)>>32
	s_setpc_b64 s[14:15]
.LBB1_31491:
	s_getpc_b64 s[14:15]
.Lpost_getpc1409:
	s_add_u32 s14, s14, (.LBB1_5640-.Lpost_getpc1409)&4294967295
	s_addc_u32 s15, s15, (.LBB1_5640-.Lpost_getpc1409)>>32
	s_setpc_b64 s[14:15]
.LBB1_19977:
	s_movk_i32 s4, 0x80
	v_cmp_eq_u16_sdwa s[12:13], v13, s4 src0_sel:BYTE_0 src1_sel:DWORD
	s_mov_b64 s[4:5], -1
                                        ; implicit-def: $sgpr10
	s_and_saveexec_b64 s[8:9], s[12:13]
; %bb.19978:
	s_mov_b32 s10, 0x7f800001
	s_xor_b64 s[4:5], exec, -1
; %bb.19979:
	s_or_b64 exec, exec, s[8:9]
	s_and_b64 s[4:5], s[4:5], exec
	s_or_saveexec_b64 s[6:7], s[6:7]
	v_mov_b32_e32 v12, s10
	s_xor_b64 exec, exec, s[6:7]
	s_cbranch_execnz .LBB1_19980
; %bb.55817:
	s_getpc_b64 s[14:15]
.Lpost_getpc13572:
	s_add_u32 s14, s14, (.LBB1_5642-.Lpost_getpc13572)&4294967295
	s_addc_u32 s15, s15, (.LBB1_5642-.Lpost_getpc13572)>>32
	s_setpc_b64 s[14:15]
.LBB1_19980:
	v_mov_b32_e32 v12, 0
	v_cmp_ne_u16_sdwa s[8:9], v13, v12 src0_sel:BYTE_0 src1_sel:DWORD
	s_andn2_b64 s[4:5], s[4:5], exec
	s_and_b64 s[8:9], s[8:9], exec
	s_or_b64 s[4:5], s[4:5], s[8:9]
	s_or_b64 exec, exec, s[6:7]
	s_and_saveexec_b64 s[6:7], s[4:5]
	s_cbranch_execz .LBB1_31493
; %bb.55819:
	s_getpc_b64 s[14:15]
.Lpost_getpc13573:
	s_add_u32 s14, s14, (.LBB1_5643-.Lpost_getpc13573)&4294967295
	s_addc_u32 s15, s15, (.LBB1_5643-.Lpost_getpc13573)>>32
	s_setpc_b64 s[14:15]
.LBB1_31493:
	s_getpc_b64 s[14:15]
.Lpost_getpc1410:
	s_add_u32 s14, s14, (.LBB1_5644-.Lpost_getpc1410)&4294967295
	s_addc_u32 s15, s15, (.LBB1_5644-.Lpost_getpc1410)>>32
	s_setpc_b64 s[14:15]
.LBB1_19981:
	s_movk_i32 s4, 0x80
	v_cmp_eq_u16_sdwa s[12:13], v13, s4 src0_sel:BYTE_0 src1_sel:DWORD
	s_mov_b64 s[4:5], -1
                                        ; implicit-def: $sgpr10
	s_and_saveexec_b64 s[8:9], s[12:13]
; %bb.19982:
	s_mov_b32 s10, 0x7f800001
	s_xor_b64 s[4:5], exec, -1
; %bb.19983:
	s_or_b64 exec, exec, s[8:9]
	s_and_b64 s[4:5], s[4:5], exec
	s_or_saveexec_b64 s[6:7], s[6:7]
	v_mov_b32_e32 v14, s10
	s_xor_b64 exec, exec, s[6:7]
	s_cbranch_execnz .LBB1_19984
; %bb.55821:
	s_getpc_b64 s[14:15]
.Lpost_getpc13574:
	s_add_u32 s14, s14, (.LBB1_5646-.Lpost_getpc13574)&4294967295
	s_addc_u32 s15, s15, (.LBB1_5646-.Lpost_getpc13574)>>32
	s_setpc_b64 s[14:15]
.LBB1_19984:
	v_mov_b32_e32 v14, 0
	v_cmp_ne_u16_sdwa s[8:9], v13, v14 src0_sel:BYTE_0 src1_sel:DWORD
	s_andn2_b64 s[4:5], s[4:5], exec
	s_and_b64 s[8:9], s[8:9], exec
	s_or_b64 s[4:5], s[4:5], s[8:9]
	s_or_b64 exec, exec, s[6:7]
	s_and_saveexec_b64 s[6:7], s[4:5]
	s_cbranch_execz .LBB1_31495
; %bb.55823:
	s_getpc_b64 s[14:15]
.Lpost_getpc13575:
	s_add_u32 s14, s14, (.LBB1_5647-.Lpost_getpc13575)&4294967295
	s_addc_u32 s15, s15, (.LBB1_5647-.Lpost_getpc13575)>>32
	s_setpc_b64 s[14:15]
.LBB1_31495:
	s_getpc_b64 s[14:15]
.Lpost_getpc1411:
	s_add_u32 s14, s14, (.LBB1_5648-.Lpost_getpc1411)&4294967295
	s_addc_u32 s15, s15, (.LBB1_5648-.Lpost_getpc1411)>>32
	s_setpc_b64 s[14:15]
.LBB1_19985:
	s_movk_i32 s4, 0x80
	v_cmp_eq_u16_e32 vcc, s4, v13
	s_mov_b64 s[4:5], -1
                                        ; implicit-def: $sgpr10
	s_and_saveexec_b64 s[8:9], vcc
; %bb.19986:
	s_mov_b32 s10, 0x7f800001
	s_xor_b64 s[4:5], exec, -1
; %bb.19987:
	s_or_b64 exec, exec, s[8:9]
	s_and_b64 s[4:5], s[4:5], exec
                                        ; implicit-def: $vgpr13
	s_or_saveexec_b64 s[6:7], s[6:7]
	v_mov_b32_e32 v12, s10
	s_xor_b64 exec, exec, s[6:7]
	s_cbranch_execnz .LBB1_19988
; %bb.55825:
	s_getpc_b64 s[14:15]
.Lpost_getpc13576:
	s_add_u32 s14, s14, (.LBB1_5650-.Lpost_getpc13576)&4294967295
	s_addc_u32 s15, s15, (.LBB1_5650-.Lpost_getpc13576)>>32
	s_setpc_b64 s[14:15]
.LBB1_19988:
	v_cmp_ne_u16_e32 vcc, 0, v13
	s_andn2_b64 s[4:5], s[4:5], exec
	s_and_b64 s[8:9], vcc, exec
	v_mov_b32_e32 v12, 0
	s_or_b64 s[4:5], s[4:5], s[8:9]
	s_or_b64 exec, exec, s[6:7]
	s_and_saveexec_b64 s[6:7], s[4:5]
	s_cbranch_execz .LBB1_31497
; %bb.55827:
	s_getpc_b64 s[14:15]
.Lpost_getpc13577:
	s_add_u32 s14, s14, (.LBB1_5651-.Lpost_getpc13577)&4294967295
	s_addc_u32 s15, s15, (.LBB1_5651-.Lpost_getpc13577)>>32
	s_setpc_b64 s[14:15]
.LBB1_31497:
	s_getpc_b64 s[14:15]
.Lpost_getpc1412:
	s_add_u32 s14, s14, (.LBB1_5652-.Lpost_getpc1412)&4294967295
	s_addc_u32 s15, s15, (.LBB1_5652-.Lpost_getpc1412)>>32
	s_setpc_b64 s[14:15]
.LBB1_19989:
	s_movk_i32 s4, 0x80
	v_cmp_eq_u16_e32 vcc, s4, v13
	s_mov_b64 s[4:5], -1
                                        ; implicit-def: $sgpr10
	s_and_saveexec_b64 s[8:9], vcc
; %bb.19990:
	s_mov_b32 s10, 0x7f800001
	s_xor_b64 s[4:5], exec, -1
; %bb.19991:
	s_or_b64 exec, exec, s[8:9]
	s_and_b64 s[4:5], s[4:5], exec
                                        ; implicit-def: $vgpr13
	s_or_saveexec_b64 s[6:7], s[6:7]
	v_mov_b32_e32 v14, s10
	s_xor_b64 exec, exec, s[6:7]
	s_cbranch_execnz .LBB1_19992
; %bb.55829:
	s_getpc_b64 s[14:15]
.Lpost_getpc13578:
	s_add_u32 s14, s14, (.LBB1_5654-.Lpost_getpc13578)&4294967295
	s_addc_u32 s15, s15, (.LBB1_5654-.Lpost_getpc13578)>>32
	s_setpc_b64 s[14:15]
.LBB1_19992:
	v_cmp_ne_u16_e32 vcc, 0, v13
	s_andn2_b64 s[4:5], s[4:5], exec
	s_and_b64 s[8:9], vcc, exec
	v_mov_b32_e32 v14, 0
	s_or_b64 s[4:5], s[4:5], s[8:9]
	s_or_b64 exec, exec, s[6:7]
	s_and_saveexec_b64 s[6:7], s[4:5]
	s_cbranch_execz .LBB1_31499
; %bb.55831:
	s_getpc_b64 s[14:15]
.Lpost_getpc13579:
	s_add_u32 s14, s14, (.LBB1_5655-.Lpost_getpc13579)&4294967295
	s_addc_u32 s15, s15, (.LBB1_5655-.Lpost_getpc13579)>>32
	s_setpc_b64 s[14:15]
.LBB1_31499:
	s_getpc_b64 s[14:15]
.Lpost_getpc1413:
	s_add_u32 s14, s14, (.LBB1_5656-.Lpost_getpc1413)&4294967295
	s_addc_u32 s15, s15, (.LBB1_5656-.Lpost_getpc1413)>>32
	s_setpc_b64 s[14:15]
.LBB1_19993:
	s_movk_i32 s4, 0x80
	v_cmp_eq_u16_sdwa s[12:13], v6, s4 src0_sel:BYTE_3 src1_sel:DWORD
	s_mov_b64 s[4:5], -1
                                        ; implicit-def: $sgpr10
	s_and_saveexec_b64 s[8:9], s[12:13]
; %bb.19994:
	s_mov_b32 s10, 0x7f800001
	s_xor_b64 s[4:5], exec, -1
; %bb.19995:
	s_or_b64 exec, exec, s[8:9]
	s_and_b64 s[4:5], s[4:5], exec
	s_or_saveexec_b64 s[6:7], s[6:7]
	v_mov_b32_e32 v12, s10
	s_xor_b64 exec, exec, s[6:7]
	s_cbranch_execnz .LBB1_19996
; %bb.55833:
	s_getpc_b64 s[14:15]
.Lpost_getpc13580:
	s_add_u32 s14, s14, (.LBB1_5658-.Lpost_getpc13580)&4294967295
	s_addc_u32 s15, s15, (.LBB1_5658-.Lpost_getpc13580)>>32
	s_setpc_b64 s[14:15]
.LBB1_19996:
	v_mov_b32_e32 v12, 0
	v_cmp_ne_u16_sdwa s[8:9], v6, v12 src0_sel:BYTE_3 src1_sel:DWORD
	s_andn2_b64 s[4:5], s[4:5], exec
	s_and_b64 s[8:9], s[8:9], exec
	s_or_b64 s[4:5], s[4:5], s[8:9]
	s_or_b64 exec, exec, s[6:7]
	s_and_saveexec_b64 s[6:7], s[4:5]
	s_cbranch_execz .LBB1_31501
; %bb.55835:
	s_getpc_b64 s[14:15]
.Lpost_getpc13581:
	s_add_u32 s14, s14, (.LBB1_5659-.Lpost_getpc13581)&4294967295
	s_addc_u32 s15, s15, (.LBB1_5659-.Lpost_getpc13581)>>32
	s_setpc_b64 s[14:15]
.LBB1_31501:
	s_getpc_b64 s[14:15]
.Lpost_getpc1414:
	s_add_u32 s14, s14, (.LBB1_5660-.Lpost_getpc1414)&4294967295
	s_addc_u32 s15, s15, (.LBB1_5660-.Lpost_getpc1414)>>32
	s_setpc_b64 s[14:15]
.LBB1_19997:
	s_movk_i32 s4, 0x80
	v_cmp_eq_u16_sdwa s[12:13], v2, s4 src0_sel:BYTE_3 src1_sel:DWORD
	s_mov_b64 s[4:5], -1
                                        ; implicit-def: $sgpr10
	s_and_saveexec_b64 s[8:9], s[12:13]
; %bb.19998:
	s_mov_b32 s10, 0x7f800001
	s_xor_b64 s[4:5], exec, -1
; %bb.19999:
	s_or_b64 exec, exec, s[8:9]
	s_and_b64 s[4:5], s[4:5], exec
	s_or_saveexec_b64 s[6:7], s[6:7]
	v_mov_b32_e32 v6, s10
	s_xor_b64 exec, exec, s[6:7]
	s_cbranch_execnz .LBB1_20000
; %bb.55837:
	s_getpc_b64 s[14:15]
.Lpost_getpc13582:
	s_add_u32 s14, s14, (.LBB1_5662-.Lpost_getpc13582)&4294967295
	s_addc_u32 s15, s15, (.LBB1_5662-.Lpost_getpc13582)>>32
	s_setpc_b64 s[14:15]
.LBB1_20000:
	v_mov_b32_e32 v6, 0
	v_cmp_ne_u16_sdwa s[8:9], v2, v6 src0_sel:BYTE_3 src1_sel:DWORD
	s_andn2_b64 s[4:5], s[4:5], exec
	s_and_b64 s[8:9], s[8:9], exec
	s_or_b64 s[4:5], s[4:5], s[8:9]
	s_or_b64 exec, exec, s[6:7]
	s_and_saveexec_b64 s[6:7], s[4:5]
	s_cbranch_execz .LBB1_31503
; %bb.55839:
	s_getpc_b64 s[14:15]
.Lpost_getpc13583:
	s_add_u32 s14, s14, (.LBB1_5663-.Lpost_getpc13583)&4294967295
	s_addc_u32 s15, s15, (.LBB1_5663-.Lpost_getpc13583)>>32
	s_setpc_b64 s[14:15]
.LBB1_31503:
	s_getpc_b64 s[14:15]
.Lpost_getpc1415:
	s_add_u32 s14, s14, (.LBB1_5664-.Lpost_getpc1415)&4294967295
	s_addc_u32 s15, s15, (.LBB1_5664-.Lpost_getpc1415)>>32
	s_setpc_b64 s[14:15]
.LBB1_20001:
	s_movk_i32 s4, 0x80
	v_cmp_eq_u16_sdwa s[12:13], v7, s4 src0_sel:BYTE_0 src1_sel:DWORD
	s_mov_b64 s[4:5], -1
                                        ; implicit-def: $sgpr10
	s_and_saveexec_b64 s[8:9], s[12:13]
; %bb.20002:
	s_mov_b32 s10, 0x7f800001
	s_xor_b64 s[4:5], exec, -1
; %bb.20003:
	s_or_b64 exec, exec, s[8:9]
	s_and_b64 s[4:5], s[4:5], exec
	s_or_saveexec_b64 s[6:7], s[6:7]
	v_mov_b32_e32 v2, s10
	s_xor_b64 exec, exec, s[6:7]
	s_cbranch_execnz .LBB1_20004
; %bb.55841:
	s_getpc_b64 s[14:15]
.Lpost_getpc13584:
	s_add_u32 s14, s14, (.LBB1_5666-.Lpost_getpc13584)&4294967295
	s_addc_u32 s15, s15, (.LBB1_5666-.Lpost_getpc13584)>>32
	s_setpc_b64 s[14:15]
.LBB1_20004:
	v_mov_b32_e32 v2, 0
	v_cmp_ne_u16_sdwa s[8:9], v7, v2 src0_sel:BYTE_0 src1_sel:DWORD
	s_andn2_b64 s[4:5], s[4:5], exec
	s_and_b64 s[8:9], s[8:9], exec
	s_or_b64 s[4:5], s[4:5], s[8:9]
	s_or_b64 exec, exec, s[6:7]
	s_and_saveexec_b64 s[6:7], s[4:5]
	s_cbranch_execz .LBB1_31505
; %bb.55843:
	s_getpc_b64 s[14:15]
.Lpost_getpc13585:
	s_add_u32 s14, s14, (.LBB1_5667-.Lpost_getpc13585)&4294967295
	s_addc_u32 s15, s15, (.LBB1_5667-.Lpost_getpc13585)>>32
	s_setpc_b64 s[14:15]
.LBB1_31505:
	s_getpc_b64 s[14:15]
.Lpost_getpc1416:
	s_add_u32 s14, s14, (.LBB1_5668-.Lpost_getpc1416)&4294967295
	s_addc_u32 s15, s15, (.LBB1_5668-.Lpost_getpc1416)>>32
	s_setpc_b64 s[14:15]
.LBB1_20005:
	s_movk_i32 s4, 0x80
	v_cmp_eq_u16_sdwa s[12:13], v3, s4 src0_sel:BYTE_0 src1_sel:DWORD
	s_mov_b64 s[4:5], -1
                                        ; implicit-def: $sgpr10
	s_and_saveexec_b64 s[8:9], s[12:13]
; %bb.20006:
	s_mov_b32 s10, 0x7f800001
	s_xor_b64 s[4:5], exec, -1
; %bb.20007:
	s_or_b64 exec, exec, s[8:9]
	s_and_b64 s[4:5], s[4:5], exec
	s_or_saveexec_b64 s[6:7], s[6:7]
	v_mov_b32_e32 v6, s10
	s_xor_b64 exec, exec, s[6:7]
	s_cbranch_execnz .LBB1_20008
; %bb.55845:
	s_getpc_b64 s[14:15]
.Lpost_getpc13586:
	s_add_u32 s14, s14, (.LBB1_5670-.Lpost_getpc13586)&4294967295
	s_addc_u32 s15, s15, (.LBB1_5670-.Lpost_getpc13586)>>32
	s_setpc_b64 s[14:15]
.LBB1_20008:
	v_mov_b32_e32 v6, 0
	v_cmp_ne_u16_sdwa s[8:9], v3, v6 src0_sel:BYTE_0 src1_sel:DWORD
	s_andn2_b64 s[4:5], s[4:5], exec
	s_and_b64 s[8:9], s[8:9], exec
	s_or_b64 s[4:5], s[4:5], s[8:9]
	s_or_b64 exec, exec, s[6:7]
	s_and_saveexec_b64 s[6:7], s[4:5]
	s_cbranch_execz .LBB1_31507
; %bb.55847:
	s_getpc_b64 s[14:15]
.Lpost_getpc13587:
	s_add_u32 s14, s14, (.LBB1_5671-.Lpost_getpc13587)&4294967295
	s_addc_u32 s15, s15, (.LBB1_5671-.Lpost_getpc13587)>>32
	s_setpc_b64 s[14:15]
.LBB1_31507:
	s_getpc_b64 s[14:15]
.Lpost_getpc1417:
	s_add_u32 s14, s14, (.LBB1_5672-.Lpost_getpc1417)&4294967295
	s_addc_u32 s15, s15, (.LBB1_5672-.Lpost_getpc1417)>>32
	s_setpc_b64 s[14:15]
.LBB1_20009:
	s_movk_i32 s4, 0x80
	v_cmp_eq_u16_sdwa s[12:13], v6, s4 src0_sel:BYTE_0 src1_sel:DWORD
	s_mov_b64 s[4:5], -1
                                        ; implicit-def: $sgpr10
	s_and_saveexec_b64 s[8:9], s[12:13]
; %bb.20010:
	s_mov_b32 s10, 0x7f800001
	s_xor_b64 s[4:5], exec, -1
; %bb.20011:
	s_or_b64 exec, exec, s[8:9]
	s_and_b64 s[4:5], s[4:5], exec
	s_or_saveexec_b64 s[6:7], s[6:7]
	v_mov_b32_e32 v2, s10
	s_xor_b64 exec, exec, s[6:7]
	s_cbranch_execnz .LBB1_20012
; %bb.55849:
	s_getpc_b64 s[14:15]
.Lpost_getpc13588:
	s_add_u32 s14, s14, (.LBB1_5674-.Lpost_getpc13588)&4294967295
	s_addc_u32 s15, s15, (.LBB1_5674-.Lpost_getpc13588)>>32
	s_setpc_b64 s[14:15]
.LBB1_20012:
	v_mov_b32_e32 v2, 0
	v_cmp_ne_u16_sdwa s[8:9], v6, v2 src0_sel:BYTE_0 src1_sel:DWORD
	s_andn2_b64 s[4:5], s[4:5], exec
	s_and_b64 s[8:9], s[8:9], exec
	s_or_b64 s[4:5], s[4:5], s[8:9]
	s_or_b64 exec, exec, s[6:7]
	s_and_saveexec_b64 s[6:7], s[4:5]
	s_cbranch_execz .LBB1_31509
; %bb.55851:
	s_getpc_b64 s[14:15]
.Lpost_getpc13589:
	s_add_u32 s14, s14, (.LBB1_5675-.Lpost_getpc13589)&4294967295
	s_addc_u32 s15, s15, (.LBB1_5675-.Lpost_getpc13589)>>32
	s_setpc_b64 s[14:15]
.LBB1_31509:
	s_getpc_b64 s[14:15]
.Lpost_getpc1418:
	s_add_u32 s14, s14, (.LBB1_5676-.Lpost_getpc1418)&4294967295
	s_addc_u32 s15, s15, (.LBB1_5676-.Lpost_getpc1418)>>32
	s_setpc_b64 s[14:15]
.LBB1_20013:
	s_movk_i32 s4, 0x80
	v_cmp_eq_u16_sdwa s[12:13], v6, s4 src0_sel:BYTE_0 src1_sel:DWORD
	s_mov_b64 s[4:5], -1
                                        ; implicit-def: $sgpr10
	s_and_saveexec_b64 s[8:9], s[12:13]
; %bb.20014:
	s_mov_b32 s10, 0x7f800001
	s_xor_b64 s[4:5], exec, -1
; %bb.20015:
	s_or_b64 exec, exec, s[8:9]
	s_and_b64 s[4:5], s[4:5], exec
	s_or_saveexec_b64 s[6:7], s[6:7]
	v_mov_b32_e32 v12, s10
	s_xor_b64 exec, exec, s[6:7]
	s_cbranch_execnz .LBB1_20016
; %bb.55853:
	s_getpc_b64 s[14:15]
.Lpost_getpc13590:
	s_add_u32 s14, s14, (.LBB1_5678-.Lpost_getpc13590)&4294967295
	s_addc_u32 s15, s15, (.LBB1_5678-.Lpost_getpc13590)>>32
	s_setpc_b64 s[14:15]
.LBB1_20016:
	v_mov_b32_e32 v12, 0
	v_cmp_ne_u16_sdwa s[8:9], v6, v12 src0_sel:BYTE_0 src1_sel:DWORD
	s_andn2_b64 s[4:5], s[4:5], exec
	s_and_b64 s[8:9], s[8:9], exec
	s_or_b64 s[4:5], s[4:5], s[8:9]
	s_or_b64 exec, exec, s[6:7]
	s_and_saveexec_b64 s[6:7], s[4:5]
	s_cbranch_execz .LBB1_31511
; %bb.55855:
	s_getpc_b64 s[14:15]
.Lpost_getpc13591:
	s_add_u32 s14, s14, (.LBB1_5679-.Lpost_getpc13591)&4294967295
	s_addc_u32 s15, s15, (.LBB1_5679-.Lpost_getpc13591)>>32
	s_setpc_b64 s[14:15]
.LBB1_31511:
	s_getpc_b64 s[14:15]
.Lpost_getpc1419:
	s_add_u32 s14, s14, (.LBB1_5680-.Lpost_getpc1419)&4294967295
	s_addc_u32 s15, s15, (.LBB1_5680-.Lpost_getpc1419)>>32
	s_setpc_b64 s[14:15]
.LBB1_20017:
	s_movk_i32 s4, 0x80
	v_cmp_eq_u16_e32 vcc, s4, v6
	s_mov_b64 s[4:5], -1
                                        ; implicit-def: $sgpr10
	s_and_saveexec_b64 s[8:9], vcc
; %bb.20018:
	s_mov_b32 s10, 0x7f800001
	s_xor_b64 s[4:5], exec, -1
; %bb.20019:
	s_or_b64 exec, exec, s[8:9]
	s_and_b64 s[4:5], s[4:5], exec
                                        ; implicit-def: $vgpr6
	s_or_saveexec_b64 s[6:7], s[6:7]
	v_mov_b32_e32 v2, s10
	s_xor_b64 exec, exec, s[6:7]
	s_cbranch_execnz .LBB1_20020
; %bb.55857:
	s_getpc_b64 s[14:15]
.Lpost_getpc13592:
	s_add_u32 s14, s14, (.LBB1_5682-.Lpost_getpc13592)&4294967295
	s_addc_u32 s15, s15, (.LBB1_5682-.Lpost_getpc13592)>>32
	s_setpc_b64 s[14:15]
.LBB1_20020:
	v_cmp_ne_u16_e32 vcc, 0, v6
	s_andn2_b64 s[4:5], s[4:5], exec
	s_and_b64 s[8:9], vcc, exec
	v_mov_b32_e32 v2, 0
	s_or_b64 s[4:5], s[4:5], s[8:9]
	s_or_b64 exec, exec, s[6:7]
	s_and_saveexec_b64 s[6:7], s[4:5]
	s_cbranch_execz .LBB1_31513
; %bb.55859:
	s_getpc_b64 s[14:15]
.Lpost_getpc13593:
	s_add_u32 s14, s14, (.LBB1_5683-.Lpost_getpc13593)&4294967295
	s_addc_u32 s15, s15, (.LBB1_5683-.Lpost_getpc13593)>>32
	s_setpc_b64 s[14:15]
.LBB1_31513:
	s_getpc_b64 s[14:15]
.Lpost_getpc1420:
	s_add_u32 s14, s14, (.LBB1_5684-.Lpost_getpc1420)&4294967295
	s_addc_u32 s15, s15, (.LBB1_5684-.Lpost_getpc1420)>>32
	s_setpc_b64 s[14:15]
.LBB1_20021:
	s_movk_i32 s4, 0x80
	v_cmp_eq_u16_e32 vcc, s4, v6
	s_mov_b64 s[4:5], -1
                                        ; implicit-def: $sgpr10
	s_and_saveexec_b64 s[8:9], vcc
; %bb.20022:
	s_mov_b32 s10, 0x7f800001
	s_xor_b64 s[4:5], exec, -1
; %bb.20023:
	s_or_b64 exec, exec, s[8:9]
	s_and_b64 s[4:5], s[4:5], exec
                                        ; implicit-def: $vgpr6
	s_or_saveexec_b64 s[6:7], s[6:7]
	v_mov_b32_e32 v12, s10
	s_xor_b64 exec, exec, s[6:7]
	s_cbranch_execnz .LBB1_20024
; %bb.55861:
	s_getpc_b64 s[14:15]
.Lpost_getpc13594:
	s_add_u32 s14, s14, (.LBB1_5686-.Lpost_getpc13594)&4294967295
	s_addc_u32 s15, s15, (.LBB1_5686-.Lpost_getpc13594)>>32
	s_setpc_b64 s[14:15]
.LBB1_20024:
	v_cmp_ne_u16_e32 vcc, 0, v6
	s_andn2_b64 s[4:5], s[4:5], exec
	s_and_b64 s[8:9], vcc, exec
	v_mov_b32_e32 v12, 0
	s_or_b64 s[4:5], s[4:5], s[8:9]
	s_or_b64 exec, exec, s[6:7]
	s_and_saveexec_b64 s[6:7], s[4:5]
	s_cbranch_execz .LBB1_31515
; %bb.55863:
	s_getpc_b64 s[14:15]
.Lpost_getpc13595:
	s_add_u32 s14, s14, (.LBB1_5687-.Lpost_getpc13595)&4294967295
	s_addc_u32 s15, s15, (.LBB1_5687-.Lpost_getpc13595)>>32
	s_setpc_b64 s[14:15]
.LBB1_31515:
	s_getpc_b64 s[14:15]
.Lpost_getpc1421:
	s_add_u32 s14, s14, (.LBB1_5688-.Lpost_getpc1421)&4294967295
	s_addc_u32 s15, s15, (.LBB1_5688-.Lpost_getpc1421)>>32
	s_setpc_b64 s[14:15]
.LBB1_20025:
	s_movk_i32 s4, 0x80
	v_cmp_eq_u16_sdwa s[12:13], v7, s4 src0_sel:BYTE_3 src1_sel:DWORD
	s_mov_b64 s[4:5], -1
                                        ; implicit-def: $sgpr10
	s_and_saveexec_b64 s[8:9], s[12:13]
; %bb.20026:
	s_mov_b32 s10, 0x7f800001
	s_xor_b64 s[4:5], exec, -1
; %bb.20027:
	s_or_b64 exec, exec, s[8:9]
	s_and_b64 s[4:5], s[4:5], exec
	s_or_saveexec_b64 s[6:7], s[6:7]
	v_mov_b32_e32 v2, s10
	s_xor_b64 exec, exec, s[6:7]
	s_cbranch_execnz .LBB1_20028
; %bb.55865:
	s_getpc_b64 s[14:15]
.Lpost_getpc13596:
	s_add_u32 s14, s14, (.LBB1_5690-.Lpost_getpc13596)&4294967295
	s_addc_u32 s15, s15, (.LBB1_5690-.Lpost_getpc13596)>>32
	s_setpc_b64 s[14:15]
.LBB1_20028:
	v_mov_b32_e32 v2, 0
	v_cmp_ne_u16_sdwa s[8:9], v7, v2 src0_sel:BYTE_3 src1_sel:DWORD
	s_andn2_b64 s[4:5], s[4:5], exec
	s_and_b64 s[8:9], s[8:9], exec
	s_or_b64 s[4:5], s[4:5], s[8:9]
	s_or_b64 exec, exec, s[6:7]
	s_and_saveexec_b64 s[6:7], s[4:5]
	s_cbranch_execz .LBB1_31517
; %bb.55867:
	s_getpc_b64 s[14:15]
.Lpost_getpc13597:
	s_add_u32 s14, s14, (.LBB1_5691-.Lpost_getpc13597)&4294967295
	s_addc_u32 s15, s15, (.LBB1_5691-.Lpost_getpc13597)>>32
	s_setpc_b64 s[14:15]
.LBB1_31517:
	s_getpc_b64 s[14:15]
.Lpost_getpc1422:
	s_add_u32 s14, s14, (.LBB1_5692-.Lpost_getpc1422)&4294967295
	s_addc_u32 s15, s15, (.LBB1_5692-.Lpost_getpc1422)>>32
	s_setpc_b64 s[14:15]
.LBB1_20029:
	s_movk_i32 s4, 0x80
	v_cmp_eq_u16_sdwa s[12:13], v3, s4 src0_sel:BYTE_3 src1_sel:DWORD
	s_mov_b64 s[4:5], -1
                                        ; implicit-def: $sgpr10
	s_and_saveexec_b64 s[8:9], s[12:13]
; %bb.20030:
	s_mov_b32 s10, 0x7f800001
	s_xor_b64 s[4:5], exec, -1
; %bb.20031:
	s_or_b64 exec, exec, s[8:9]
	s_and_b64 s[4:5], s[4:5], exec
	s_or_saveexec_b64 s[6:7], s[6:7]
	v_mov_b32_e32 v6, s10
	s_xor_b64 exec, exec, s[6:7]
	s_cbranch_execnz .LBB1_20032
; %bb.55869:
	s_getpc_b64 s[14:15]
.Lpost_getpc13598:
	s_add_u32 s14, s14, (.LBB1_5694-.Lpost_getpc13598)&4294967295
	s_addc_u32 s15, s15, (.LBB1_5694-.Lpost_getpc13598)>>32
	s_setpc_b64 s[14:15]
.LBB1_20032:
	v_mov_b32_e32 v6, 0
	v_cmp_ne_u16_sdwa s[8:9], v3, v6 src0_sel:BYTE_3 src1_sel:DWORD
	s_andn2_b64 s[4:5], s[4:5], exec
	s_and_b64 s[8:9], s[8:9], exec
	s_or_b64 s[4:5], s[4:5], s[8:9]
	s_or_b64 exec, exec, s[6:7]
	s_and_saveexec_b64 s[6:7], s[4:5]
	s_cbranch_execz .LBB1_31519
; %bb.55871:
	s_getpc_b64 s[14:15]
.Lpost_getpc13599:
	s_add_u32 s14, s14, (.LBB1_5695-.Lpost_getpc13599)&4294967295
	s_addc_u32 s15, s15, (.LBB1_5695-.Lpost_getpc13599)>>32
	s_setpc_b64 s[14:15]
.LBB1_31519:
	s_getpc_b64 s[14:15]
.Lpost_getpc1423:
	s_add_u32 s14, s14, (.LBB1_5696-.Lpost_getpc1423)&4294967295
	s_addc_u32 s15, s15, (.LBB1_5696-.Lpost_getpc1423)>>32
	s_setpc_b64 s[14:15]
.LBB1_20033:
	s_movk_i32 s4, 0x80
	v_cmp_eq_u16_sdwa s[12:13], v8, s4 src0_sel:BYTE_0 src1_sel:DWORD
	s_mov_b64 s[4:5], -1
                                        ; implicit-def: $sgpr10
	s_and_saveexec_b64 s[8:9], s[12:13]
; %bb.20034:
	s_mov_b32 s10, 0x7f800001
	s_xor_b64 s[4:5], exec, -1
; %bb.20035:
	s_or_b64 exec, exec, s[8:9]
	s_and_b64 s[4:5], s[4:5], exec
	s_or_saveexec_b64 s[6:7], s[6:7]
	v_mov_b32_e32 v2, s10
	s_xor_b64 exec, exec, s[6:7]
	s_cbranch_execnz .LBB1_20036
; %bb.55873:
	s_getpc_b64 s[14:15]
.Lpost_getpc13600:
	s_add_u32 s14, s14, (.LBB1_5698-.Lpost_getpc13600)&4294967295
	s_addc_u32 s15, s15, (.LBB1_5698-.Lpost_getpc13600)>>32
	s_setpc_b64 s[14:15]
.LBB1_20036:
	v_mov_b32_e32 v2, 0
	v_cmp_ne_u16_sdwa s[8:9], v8, v2 src0_sel:BYTE_0 src1_sel:DWORD
	s_andn2_b64 s[4:5], s[4:5], exec
	s_and_b64 s[8:9], s[8:9], exec
	s_or_b64 s[4:5], s[4:5], s[8:9]
	s_or_b64 exec, exec, s[6:7]
	s_and_saveexec_b64 s[6:7], s[4:5]
	s_cbranch_execz .LBB1_31521
; %bb.55875:
	s_getpc_b64 s[14:15]
.Lpost_getpc13601:
	s_add_u32 s14, s14, (.LBB1_5699-.Lpost_getpc13601)&4294967295
	s_addc_u32 s15, s15, (.LBB1_5699-.Lpost_getpc13601)>>32
	s_setpc_b64 s[14:15]
.LBB1_31521:
	s_getpc_b64 s[14:15]
.Lpost_getpc1424:
	s_add_u32 s14, s14, (.LBB1_5700-.Lpost_getpc1424)&4294967295
	s_addc_u32 s15, s15, (.LBB1_5700-.Lpost_getpc1424)>>32
	s_setpc_b64 s[14:15]
.LBB1_20037:
	s_movk_i32 s4, 0x80
	v_cmp_eq_u16_sdwa s[12:13], v4, s4 src0_sel:BYTE_0 src1_sel:DWORD
	s_mov_b64 s[4:5], -1
                                        ; implicit-def: $sgpr10
	s_and_saveexec_b64 s[8:9], s[12:13]
; %bb.20038:
	s_mov_b32 s10, 0x7f800001
	s_xor_b64 s[4:5], exec, -1
; %bb.20039:
	s_or_b64 exec, exec, s[8:9]
	s_and_b64 s[4:5], s[4:5], exec
	s_or_saveexec_b64 s[6:7], s[6:7]
	v_mov_b32_e32 v3, s10
	s_xor_b64 exec, exec, s[6:7]
	s_cbranch_execnz .LBB1_20040
; %bb.55877:
	s_getpc_b64 s[14:15]
.Lpost_getpc13602:
	s_add_u32 s14, s14, (.LBB1_5702-.Lpost_getpc13602)&4294967295
	s_addc_u32 s15, s15, (.LBB1_5702-.Lpost_getpc13602)>>32
	s_setpc_b64 s[14:15]
.LBB1_20040:
	v_mov_b32_e32 v3, 0
	v_cmp_ne_u16_sdwa s[8:9], v4, v3 src0_sel:BYTE_0 src1_sel:DWORD
	s_andn2_b64 s[4:5], s[4:5], exec
	s_and_b64 s[8:9], s[8:9], exec
	s_or_b64 s[4:5], s[4:5], s[8:9]
	s_or_b64 exec, exec, s[6:7]
	s_and_saveexec_b64 s[6:7], s[4:5]
	s_cbranch_execz .LBB1_31523
; %bb.55879:
	s_getpc_b64 s[14:15]
.Lpost_getpc13603:
	s_add_u32 s14, s14, (.LBB1_5703-.Lpost_getpc13603)&4294967295
	s_addc_u32 s15, s15, (.LBB1_5703-.Lpost_getpc13603)>>32
	s_setpc_b64 s[14:15]
.LBB1_31523:
	s_getpc_b64 s[14:15]
.Lpost_getpc1425:
	s_add_u32 s14, s14, (.LBB1_5704-.Lpost_getpc1425)&4294967295
	s_addc_u32 s15, s15, (.LBB1_5704-.Lpost_getpc1425)>>32
	s_setpc_b64 s[14:15]
.LBB1_20041:
	s_movk_i32 s4, 0x80
	v_cmp_eq_u16_sdwa s[12:13], v3, s4 src0_sel:BYTE_0 src1_sel:DWORD
	s_mov_b64 s[4:5], -1
                                        ; implicit-def: $sgpr10
	s_and_saveexec_b64 s[8:9], s[12:13]
; %bb.20042:
	s_mov_b32 s10, 0x7f800001
	s_xor_b64 s[4:5], exec, -1
; %bb.20043:
	s_or_b64 exec, exec, s[8:9]
	s_and_b64 s[4:5], s[4:5], exec
	s_or_saveexec_b64 s[6:7], s[6:7]
	v_mov_b32_e32 v2, s10
	s_xor_b64 exec, exec, s[6:7]
	s_cbranch_execnz .LBB1_20044
; %bb.55881:
	s_getpc_b64 s[14:15]
.Lpost_getpc13604:
	s_add_u32 s14, s14, (.LBB1_5706-.Lpost_getpc13604)&4294967295
	s_addc_u32 s15, s15, (.LBB1_5706-.Lpost_getpc13604)>>32
	s_setpc_b64 s[14:15]
.LBB1_20044:
	v_mov_b32_e32 v2, 0
	v_cmp_ne_u16_sdwa s[8:9], v3, v2 src0_sel:BYTE_0 src1_sel:DWORD
	s_andn2_b64 s[4:5], s[4:5], exec
	s_and_b64 s[8:9], s[8:9], exec
	s_or_b64 s[4:5], s[4:5], s[8:9]
	s_or_b64 exec, exec, s[6:7]
	s_and_saveexec_b64 s[6:7], s[4:5]
	s_cbranch_execz .LBB1_31525
; %bb.55883:
	s_getpc_b64 s[14:15]
.Lpost_getpc13605:
	s_add_u32 s14, s14, (.LBB1_5707-.Lpost_getpc13605)&4294967295
	s_addc_u32 s15, s15, (.LBB1_5707-.Lpost_getpc13605)>>32
	s_setpc_b64 s[14:15]
.LBB1_31525:
	s_getpc_b64 s[14:15]
.Lpost_getpc1426:
	s_add_u32 s14, s14, (.LBB1_5708-.Lpost_getpc1426)&4294967295
	s_addc_u32 s15, s15, (.LBB1_5708-.Lpost_getpc1426)>>32
	s_setpc_b64 s[14:15]
.LBB1_20045:
	s_movk_i32 s4, 0x80
	v_cmp_eq_u16_sdwa s[12:13], v3, s4 src0_sel:BYTE_0 src1_sel:DWORD
	s_mov_b64 s[4:5], -1
                                        ; implicit-def: $sgpr10
	s_and_saveexec_b64 s[8:9], s[12:13]
; %bb.20046:
	s_mov_b32 s10, 0x7f800001
	s_xor_b64 s[4:5], exec, -1
; %bb.20047:
	s_or_b64 exec, exec, s[8:9]
	s_and_b64 s[4:5], s[4:5], exec
	s_or_saveexec_b64 s[6:7], s[6:7]
	v_mov_b32_e32 v6, s10
	s_xor_b64 exec, exec, s[6:7]
	s_cbranch_execnz .LBB1_20048
; %bb.55885:
	s_getpc_b64 s[14:15]
.Lpost_getpc13606:
	s_add_u32 s14, s14, (.LBB1_5710-.Lpost_getpc13606)&4294967295
	s_addc_u32 s15, s15, (.LBB1_5710-.Lpost_getpc13606)>>32
	s_setpc_b64 s[14:15]
.LBB1_20048:
	v_mov_b32_e32 v6, 0
	v_cmp_ne_u16_sdwa s[8:9], v3, v6 src0_sel:BYTE_0 src1_sel:DWORD
	s_andn2_b64 s[4:5], s[4:5], exec
	s_and_b64 s[8:9], s[8:9], exec
	s_or_b64 s[4:5], s[4:5], s[8:9]
	s_or_b64 exec, exec, s[6:7]
	s_and_saveexec_b64 s[6:7], s[4:5]
	s_cbranch_execz .LBB1_31527
; %bb.55887:
	s_getpc_b64 s[14:15]
.Lpost_getpc13607:
	s_add_u32 s14, s14, (.LBB1_5711-.Lpost_getpc13607)&4294967295
	s_addc_u32 s15, s15, (.LBB1_5711-.Lpost_getpc13607)>>32
	s_setpc_b64 s[14:15]
.LBB1_31527:
	s_getpc_b64 s[14:15]
.Lpost_getpc1427:
	s_add_u32 s14, s14, (.LBB1_5712-.Lpost_getpc1427)&4294967295
	s_addc_u32 s15, s15, (.LBB1_5712-.Lpost_getpc1427)>>32
	s_setpc_b64 s[14:15]
.LBB1_20049:
	s_movk_i32 s4, 0x80
	v_cmp_eq_u16_e32 vcc, s4, v3
	s_mov_b64 s[4:5], -1
                                        ; implicit-def: $sgpr10
	s_and_saveexec_b64 s[8:9], vcc
; %bb.20050:
	s_mov_b32 s10, 0x7f800001
	s_xor_b64 s[4:5], exec, -1
; %bb.20051:
	s_or_b64 exec, exec, s[8:9]
	s_and_b64 s[4:5], s[4:5], exec
                                        ; implicit-def: $vgpr3
	s_or_saveexec_b64 s[6:7], s[6:7]
	v_mov_b32_e32 v2, s10
	s_xor_b64 exec, exec, s[6:7]
	s_cbranch_execnz .LBB1_20052
; %bb.55889:
	s_getpc_b64 s[14:15]
.Lpost_getpc13608:
	s_add_u32 s14, s14, (.LBB1_5714-.Lpost_getpc13608)&4294967295
	s_addc_u32 s15, s15, (.LBB1_5714-.Lpost_getpc13608)>>32
	s_setpc_b64 s[14:15]
.LBB1_20052:
	v_cmp_ne_u16_e32 vcc, 0, v3
	s_andn2_b64 s[4:5], s[4:5], exec
	s_and_b64 s[8:9], vcc, exec
	v_mov_b32_e32 v2, 0
	s_or_b64 s[4:5], s[4:5], s[8:9]
	s_or_b64 exec, exec, s[6:7]
	s_and_saveexec_b64 s[6:7], s[4:5]
	s_cbranch_execz .LBB1_31529
; %bb.55891:
	s_getpc_b64 s[14:15]
.Lpost_getpc13609:
	s_add_u32 s14, s14, (.LBB1_5715-.Lpost_getpc13609)&4294967295
	s_addc_u32 s15, s15, (.LBB1_5715-.Lpost_getpc13609)>>32
	s_setpc_b64 s[14:15]
.LBB1_31529:
	s_getpc_b64 s[14:15]
.Lpost_getpc1428:
	s_add_u32 s14, s14, (.LBB1_5716-.Lpost_getpc1428)&4294967295
	s_addc_u32 s15, s15, (.LBB1_5716-.Lpost_getpc1428)>>32
	s_setpc_b64 s[14:15]
.LBB1_20053:
	s_movk_i32 s4, 0x80
	v_cmp_eq_u16_e32 vcc, s4, v3
	s_mov_b64 s[4:5], -1
                                        ; implicit-def: $sgpr10
	s_and_saveexec_b64 s[8:9], vcc
; %bb.20054:
	s_mov_b32 s10, 0x7f800001
	s_xor_b64 s[4:5], exec, -1
; %bb.20055:
	s_or_b64 exec, exec, s[8:9]
	s_and_b64 s[4:5], s[4:5], exec
                                        ; implicit-def: $vgpr3
	s_or_saveexec_b64 s[6:7], s[6:7]
	v_mov_b32_e32 v6, s10
	s_xor_b64 exec, exec, s[6:7]
	s_cbranch_execnz .LBB1_20056
; %bb.55893:
	s_getpc_b64 s[14:15]
.Lpost_getpc13610:
	s_add_u32 s14, s14, (.LBB1_5718-.Lpost_getpc13610)&4294967295
	s_addc_u32 s15, s15, (.LBB1_5718-.Lpost_getpc13610)>>32
	s_setpc_b64 s[14:15]
.LBB1_20056:
	v_cmp_ne_u16_e32 vcc, 0, v3
	s_andn2_b64 s[4:5], s[4:5], exec
	s_and_b64 s[8:9], vcc, exec
	v_mov_b32_e32 v6, 0
	s_or_b64 s[4:5], s[4:5], s[8:9]
	s_or_b64 exec, exec, s[6:7]
	s_and_saveexec_b64 s[6:7], s[4:5]
	s_cbranch_execz .LBB1_31531
; %bb.55895:
	s_getpc_b64 s[14:15]
.Lpost_getpc13611:
	s_add_u32 s14, s14, (.LBB1_5719-.Lpost_getpc13611)&4294967295
	s_addc_u32 s15, s15, (.LBB1_5719-.Lpost_getpc13611)>>32
	s_setpc_b64 s[14:15]
.LBB1_31531:
	s_getpc_b64 s[14:15]
.Lpost_getpc1429:
	s_add_u32 s14, s14, (.LBB1_5720-.Lpost_getpc1429)&4294967295
	s_addc_u32 s15, s15, (.LBB1_5720-.Lpost_getpc1429)>>32
	s_setpc_b64 s[14:15]
.LBB1_20057:
	s_movk_i32 s4, 0x80
	v_cmp_eq_u16_sdwa s[12:13], v8, s4 src0_sel:BYTE_3 src1_sel:DWORD
	s_mov_b64 s[4:5], -1
                                        ; implicit-def: $sgpr10
	s_and_saveexec_b64 s[8:9], s[12:13]
; %bb.20058:
	s_mov_b32 s10, 0x7f800001
	s_xor_b64 s[4:5], exec, -1
; %bb.20059:
	s_or_b64 exec, exec, s[8:9]
	s_and_b64 s[4:5], s[4:5], exec
	s_or_saveexec_b64 s[6:7], s[6:7]
	v_mov_b32_e32 v2, s10
	s_xor_b64 exec, exec, s[6:7]
	s_cbranch_execnz .LBB1_20060
; %bb.55897:
	s_getpc_b64 s[14:15]
.Lpost_getpc13612:
	s_add_u32 s14, s14, (.LBB1_5722-.Lpost_getpc13612)&4294967295
	s_addc_u32 s15, s15, (.LBB1_5722-.Lpost_getpc13612)>>32
	s_setpc_b64 s[14:15]
.LBB1_20060:
	v_mov_b32_e32 v2, 0
	v_cmp_ne_u16_sdwa s[8:9], v8, v2 src0_sel:BYTE_3 src1_sel:DWORD
	s_andn2_b64 s[4:5], s[4:5], exec
	s_and_b64 s[8:9], s[8:9], exec
	s_or_b64 s[4:5], s[4:5], s[8:9]
	s_or_b64 exec, exec, s[6:7]
	s_and_saveexec_b64 s[6:7], s[4:5]
	s_cbranch_execz .LBB1_31533
; %bb.55899:
	s_getpc_b64 s[14:15]
.Lpost_getpc13613:
	s_add_u32 s14, s14, (.LBB1_5723-.Lpost_getpc13613)&4294967295
	s_addc_u32 s15, s15, (.LBB1_5723-.Lpost_getpc13613)>>32
	s_setpc_b64 s[14:15]
.LBB1_31533:
	s_getpc_b64 s[14:15]
.Lpost_getpc1430:
	s_add_u32 s14, s14, (.LBB1_5724-.Lpost_getpc1430)&4294967295
	s_addc_u32 s15, s15, (.LBB1_5724-.Lpost_getpc1430)>>32
	s_setpc_b64 s[14:15]
.LBB1_20061:
	s_movk_i32 s4, 0x80
	v_cmp_eq_u16_sdwa s[12:13], v4, s4 src0_sel:BYTE_3 src1_sel:DWORD
	s_mov_b64 s[4:5], -1
                                        ; implicit-def: $sgpr10
	s_and_saveexec_b64 s[8:9], s[12:13]
; %bb.20062:
	s_mov_b32 s10, 0x7f800001
	s_xor_b64 s[4:5], exec, -1
; %bb.20063:
	s_or_b64 exec, exec, s[8:9]
	s_and_b64 s[4:5], s[4:5], exec
	s_or_saveexec_b64 s[6:7], s[6:7]
	v_mov_b32_e32 v3, s10
	s_xor_b64 exec, exec, s[6:7]
	s_cbranch_execnz .LBB1_20064
; %bb.55901:
	s_getpc_b64 s[14:15]
.Lpost_getpc13614:
	s_add_u32 s14, s14, (.LBB1_5726-.Lpost_getpc13614)&4294967295
	s_addc_u32 s15, s15, (.LBB1_5726-.Lpost_getpc13614)>>32
	s_setpc_b64 s[14:15]
.LBB1_20064:
	v_mov_b32_e32 v3, 0
	v_cmp_ne_u16_sdwa s[8:9], v4, v3 src0_sel:BYTE_3 src1_sel:DWORD
	s_andn2_b64 s[4:5], s[4:5], exec
	s_and_b64 s[8:9], s[8:9], exec
	s_or_b64 s[4:5], s[4:5], s[8:9]
	s_or_b64 exec, exec, s[6:7]
	s_and_saveexec_b64 s[6:7], s[4:5]
	s_cbranch_execz .LBB1_31535
; %bb.55903:
	s_getpc_b64 s[14:15]
.Lpost_getpc13615:
	s_add_u32 s14, s14, (.LBB1_5727-.Lpost_getpc13615)&4294967295
	s_addc_u32 s15, s15, (.LBB1_5727-.Lpost_getpc13615)>>32
	s_setpc_b64 s[14:15]
.LBB1_31535:
	s_getpc_b64 s[14:15]
.Lpost_getpc1431:
	s_add_u32 s14, s14, (.LBB1_5728-.Lpost_getpc1431)&4294967295
	s_addc_u32 s15, s15, (.LBB1_5728-.Lpost_getpc1431)>>32
	s_setpc_b64 s[14:15]
.LBB1_20065:
	s_movk_i32 s4, 0x80
	v_cmp_eq_u16_sdwa s[12:13], v9, s4 src0_sel:BYTE_0 src1_sel:DWORD
	s_mov_b64 s[4:5], -1
                                        ; implicit-def: $sgpr10
	s_and_saveexec_b64 s[8:9], s[12:13]
; %bb.20066:
	s_mov_b32 s10, 0x7f800001
	s_xor_b64 s[4:5], exec, -1
; %bb.20067:
	s_or_b64 exec, exec, s[8:9]
	s_and_b64 s[4:5], s[4:5], exec
	s_or_saveexec_b64 s[6:7], s[6:7]
	v_mov_b32_e32 v2, s10
	s_xor_b64 exec, exec, s[6:7]
	s_cbranch_execnz .LBB1_20068
; %bb.55905:
	s_getpc_b64 s[14:15]
.Lpost_getpc13616:
	s_add_u32 s14, s14, (.LBB1_5730-.Lpost_getpc13616)&4294967295
	s_addc_u32 s15, s15, (.LBB1_5730-.Lpost_getpc13616)>>32
	s_setpc_b64 s[14:15]
.LBB1_20068:
	v_mov_b32_e32 v2, 0
	v_cmp_ne_u16_sdwa s[8:9], v9, v2 src0_sel:BYTE_0 src1_sel:DWORD
	s_andn2_b64 s[4:5], s[4:5], exec
	s_and_b64 s[8:9], s[8:9], exec
	s_or_b64 s[4:5], s[4:5], s[8:9]
	s_or_b64 exec, exec, s[6:7]
	s_and_saveexec_b64 s[6:7], s[4:5]
	s_cbranch_execz .LBB1_31537
; %bb.55907:
	s_getpc_b64 s[14:15]
.Lpost_getpc13617:
	s_add_u32 s14, s14, (.LBB1_5731-.Lpost_getpc13617)&4294967295
	s_addc_u32 s15, s15, (.LBB1_5731-.Lpost_getpc13617)>>32
	s_setpc_b64 s[14:15]
.LBB1_31537:
	s_getpc_b64 s[14:15]
.Lpost_getpc1432:
	s_add_u32 s14, s14, (.LBB1_5732-.Lpost_getpc1432)&4294967295
	s_addc_u32 s15, s15, (.LBB1_5732-.Lpost_getpc1432)>>32
	s_setpc_b64 s[14:15]
.LBB1_20069:
	s_movk_i32 s4, 0x80
	v_cmp_eq_u16_sdwa s[12:13], v5, s4 src0_sel:BYTE_0 src1_sel:DWORD
	s_mov_b64 s[4:5], -1
                                        ; implicit-def: $sgpr10
	s_and_saveexec_b64 s[8:9], s[12:13]
; %bb.20070:
	s_mov_b32 s10, 0x7f800001
	s_xor_b64 s[4:5], exec, -1
; %bb.20071:
	s_or_b64 exec, exec, s[8:9]
	s_and_b64 s[4:5], s[4:5], exec
	s_or_saveexec_b64 s[6:7], s[6:7]
	v_mov_b32_e32 v3, s10
	s_xor_b64 exec, exec, s[6:7]
	s_cbranch_execnz .LBB1_20072
; %bb.55909:
	s_getpc_b64 s[14:15]
.Lpost_getpc13618:
	s_add_u32 s14, s14, (.LBB1_5734-.Lpost_getpc13618)&4294967295
	s_addc_u32 s15, s15, (.LBB1_5734-.Lpost_getpc13618)>>32
	s_setpc_b64 s[14:15]
.LBB1_20072:
	v_mov_b32_e32 v3, 0
	v_cmp_ne_u16_sdwa s[8:9], v5, v3 src0_sel:BYTE_0 src1_sel:DWORD
	s_andn2_b64 s[4:5], s[4:5], exec
	s_and_b64 s[8:9], s[8:9], exec
	s_or_b64 s[4:5], s[4:5], s[8:9]
	s_or_b64 exec, exec, s[6:7]
	s_and_saveexec_b64 s[6:7], s[4:5]
	s_cbranch_execz .LBB1_31539
; %bb.55911:
	s_getpc_b64 s[14:15]
.Lpost_getpc13619:
	s_add_u32 s14, s14, (.LBB1_5735-.Lpost_getpc13619)&4294967295
	s_addc_u32 s15, s15, (.LBB1_5735-.Lpost_getpc13619)>>32
	s_setpc_b64 s[14:15]
.LBB1_31539:
	s_getpc_b64 s[14:15]
.Lpost_getpc1433:
	s_add_u32 s14, s14, (.LBB1_5736-.Lpost_getpc1433)&4294967295
	s_addc_u32 s15, s15, (.LBB1_5736-.Lpost_getpc1433)>>32
	s_setpc_b64 s[14:15]
.LBB1_20073:
	s_movk_i32 s4, 0x80
	v_cmp_eq_u16_sdwa s[12:13], v3, s4 src0_sel:BYTE_0 src1_sel:DWORD
	s_mov_b64 s[4:5], -1
                                        ; implicit-def: $sgpr10
	s_and_saveexec_b64 s[8:9], s[12:13]
; %bb.20074:
	s_mov_b32 s10, 0x7f800001
	s_xor_b64 s[4:5], exec, -1
; %bb.20075:
	s_or_b64 exec, exec, s[8:9]
	s_and_b64 s[4:5], s[4:5], exec
	s_or_saveexec_b64 s[6:7], s[6:7]
	v_mov_b32_e32 v2, s10
	s_xor_b64 exec, exec, s[6:7]
	s_cbranch_execnz .LBB1_20076
; %bb.55913:
	s_getpc_b64 s[14:15]
.Lpost_getpc13620:
	s_add_u32 s14, s14, (.LBB1_5738-.Lpost_getpc13620)&4294967295
	s_addc_u32 s15, s15, (.LBB1_5738-.Lpost_getpc13620)>>32
	s_setpc_b64 s[14:15]
.LBB1_20076:
	v_mov_b32_e32 v2, 0
	v_cmp_ne_u16_sdwa s[8:9], v3, v2 src0_sel:BYTE_0 src1_sel:DWORD
	s_andn2_b64 s[4:5], s[4:5], exec
	s_and_b64 s[8:9], s[8:9], exec
	s_or_b64 s[4:5], s[4:5], s[8:9]
	s_or_b64 exec, exec, s[6:7]
	s_and_saveexec_b64 s[6:7], s[4:5]
	s_cbranch_execz .LBB1_31541
; %bb.55915:
	s_getpc_b64 s[14:15]
.Lpost_getpc13621:
	s_add_u32 s14, s14, (.LBB1_5739-.Lpost_getpc13621)&4294967295
	s_addc_u32 s15, s15, (.LBB1_5739-.Lpost_getpc13621)>>32
	s_setpc_b64 s[14:15]
.LBB1_31541:
	s_getpc_b64 s[14:15]
.Lpost_getpc1434:
	s_add_u32 s14, s14, (.LBB1_5740-.Lpost_getpc1434)&4294967295
	s_addc_u32 s15, s15, (.LBB1_5740-.Lpost_getpc1434)>>32
	s_setpc_b64 s[14:15]
.LBB1_20077:
	s_movk_i32 s4, 0x80
	v_cmp_eq_u16_sdwa s[12:13], v3, s4 src0_sel:BYTE_0 src1_sel:DWORD
	s_mov_b64 s[4:5], -1
                                        ; implicit-def: $sgpr10
	s_and_saveexec_b64 s[8:9], s[12:13]
; %bb.20078:
	s_mov_b32 s10, 0x7f800001
	s_xor_b64 s[4:5], exec, -1
; %bb.20079:
	s_or_b64 exec, exec, s[8:9]
	s_and_b64 s[4:5], s[4:5], exec
	s_or_saveexec_b64 s[6:7], s[6:7]
	v_mov_b32_e32 v4, s10
	s_xor_b64 exec, exec, s[6:7]
	s_cbranch_execnz .LBB1_20080
; %bb.55917:
	s_getpc_b64 s[14:15]
.Lpost_getpc13622:
	s_add_u32 s14, s14, (.LBB1_5742-.Lpost_getpc13622)&4294967295
	s_addc_u32 s15, s15, (.LBB1_5742-.Lpost_getpc13622)>>32
	s_setpc_b64 s[14:15]
.LBB1_20080:
	v_mov_b32_e32 v4, 0
	v_cmp_ne_u16_sdwa s[8:9], v3, v4 src0_sel:BYTE_0 src1_sel:DWORD
	s_andn2_b64 s[4:5], s[4:5], exec
	s_and_b64 s[8:9], s[8:9], exec
	s_or_b64 s[4:5], s[4:5], s[8:9]
	s_or_b64 exec, exec, s[6:7]
	s_and_saveexec_b64 s[6:7], s[4:5]
	s_cbranch_execz .LBB1_31543
; %bb.55919:
	s_getpc_b64 s[14:15]
.Lpost_getpc13623:
	s_add_u32 s14, s14, (.LBB1_5743-.Lpost_getpc13623)&4294967295
	s_addc_u32 s15, s15, (.LBB1_5743-.Lpost_getpc13623)>>32
	s_setpc_b64 s[14:15]
.LBB1_31543:
	s_getpc_b64 s[14:15]
.Lpost_getpc1435:
	s_add_u32 s14, s14, (.LBB1_5744-.Lpost_getpc1435)&4294967295
	s_addc_u32 s15, s15, (.LBB1_5744-.Lpost_getpc1435)>>32
	s_setpc_b64 s[14:15]
.LBB1_20081:
	s_movk_i32 s4, 0x80
	v_cmp_eq_u16_e32 vcc, s4, v3
	s_mov_b64 s[4:5], -1
                                        ; implicit-def: $sgpr10
	s_and_saveexec_b64 s[8:9], vcc
; %bb.20082:
	s_mov_b32 s10, 0x7f800001
	s_xor_b64 s[4:5], exec, -1
; %bb.20083:
	s_or_b64 exec, exec, s[8:9]
	s_and_b64 s[4:5], s[4:5], exec
                                        ; implicit-def: $vgpr3
	s_or_saveexec_b64 s[6:7], s[6:7]
	v_mov_b32_e32 v2, s10
	s_xor_b64 exec, exec, s[6:7]
	s_cbranch_execnz .LBB1_20084
; %bb.55921:
	s_getpc_b64 s[14:15]
.Lpost_getpc13624:
	s_add_u32 s14, s14, (.LBB1_5746-.Lpost_getpc13624)&4294967295
	s_addc_u32 s15, s15, (.LBB1_5746-.Lpost_getpc13624)>>32
	s_setpc_b64 s[14:15]
.LBB1_20084:
	v_cmp_ne_u16_e32 vcc, 0, v3
	s_andn2_b64 s[4:5], s[4:5], exec
	s_and_b64 s[8:9], vcc, exec
	v_mov_b32_e32 v2, 0
	s_or_b64 s[4:5], s[4:5], s[8:9]
	s_or_b64 exec, exec, s[6:7]
	s_and_saveexec_b64 s[6:7], s[4:5]
	s_cbranch_execz .LBB1_31545
; %bb.55923:
	s_getpc_b64 s[14:15]
.Lpost_getpc13625:
	s_add_u32 s14, s14, (.LBB1_5747-.Lpost_getpc13625)&4294967295
	s_addc_u32 s15, s15, (.LBB1_5747-.Lpost_getpc13625)>>32
	s_setpc_b64 s[14:15]
.LBB1_31545:
	s_getpc_b64 s[14:15]
.Lpost_getpc1436:
	s_add_u32 s14, s14, (.LBB1_5748-.Lpost_getpc1436)&4294967295
	s_addc_u32 s15, s15, (.LBB1_5748-.Lpost_getpc1436)>>32
	s_setpc_b64 s[14:15]
.LBB1_20085:
	s_movk_i32 s4, 0x80
	v_cmp_eq_u16_e32 vcc, s4, v3
	s_mov_b64 s[4:5], -1
                                        ; implicit-def: $sgpr10
	s_and_saveexec_b64 s[8:9], vcc
; %bb.20086:
	s_mov_b32 s10, 0x7f800001
	s_xor_b64 s[4:5], exec, -1
; %bb.20087:
	s_or_b64 exec, exec, s[8:9]
	s_and_b64 s[4:5], s[4:5], exec
                                        ; implicit-def: $vgpr3
	s_or_saveexec_b64 s[6:7], s[6:7]
	v_mov_b32_e32 v4, s10
	s_xor_b64 exec, exec, s[6:7]
	s_cbranch_execnz .LBB1_20088
; %bb.55925:
	s_getpc_b64 s[14:15]
.Lpost_getpc13626:
	s_add_u32 s14, s14, (.LBB1_5750-.Lpost_getpc13626)&4294967295
	s_addc_u32 s15, s15, (.LBB1_5750-.Lpost_getpc13626)>>32
	s_setpc_b64 s[14:15]
.LBB1_20088:
	v_cmp_ne_u16_e32 vcc, 0, v3
	s_andn2_b64 s[4:5], s[4:5], exec
	s_and_b64 s[8:9], vcc, exec
	v_mov_b32_e32 v4, 0
	s_or_b64 s[4:5], s[4:5], s[8:9]
	s_or_b64 exec, exec, s[6:7]
	s_and_saveexec_b64 s[6:7], s[4:5]
	s_cbranch_execz .LBB1_31547
; %bb.55927:
	s_getpc_b64 s[14:15]
.Lpost_getpc13627:
	s_add_u32 s14, s14, (.LBB1_5751-.Lpost_getpc13627)&4294967295
	s_addc_u32 s15, s15, (.LBB1_5751-.Lpost_getpc13627)>>32
	s_setpc_b64 s[14:15]
.LBB1_31547:
	s_getpc_b64 s[14:15]
.Lpost_getpc1437:
	s_add_u32 s14, s14, (.LBB1_5752-.Lpost_getpc1437)&4294967295
	s_addc_u32 s15, s15, (.LBB1_5752-.Lpost_getpc1437)>>32
	s_setpc_b64 s[14:15]
.LBB1_20089:
	s_movk_i32 s4, 0x80
	v_cmp_eq_u16_sdwa s[12:13], v9, s4 src0_sel:BYTE_3 src1_sel:DWORD
	s_mov_b64 s[4:5], -1
                                        ; implicit-def: $sgpr10
	s_and_saveexec_b64 s[8:9], s[12:13]
; %bb.20090:
	s_mov_b32 s10, 0x7f800001
	s_xor_b64 s[4:5], exec, -1
; %bb.20091:
	s_or_b64 exec, exec, s[8:9]
	s_and_b64 s[4:5], s[4:5], exec
	s_or_saveexec_b64 s[6:7], s[6:7]
	v_mov_b32_e32 v2, s10
	s_xor_b64 exec, exec, s[6:7]
	s_cbranch_execnz .LBB1_20092
; %bb.55929:
	s_getpc_b64 s[14:15]
.Lpost_getpc13628:
	s_add_u32 s14, s14, (.LBB1_5754-.Lpost_getpc13628)&4294967295
	s_addc_u32 s15, s15, (.LBB1_5754-.Lpost_getpc13628)>>32
	s_setpc_b64 s[14:15]
.LBB1_20092:
	v_mov_b32_e32 v2, 0
	v_cmp_ne_u16_sdwa s[8:9], v9, v2 src0_sel:BYTE_3 src1_sel:DWORD
	s_andn2_b64 s[4:5], s[4:5], exec
	s_and_b64 s[8:9], s[8:9], exec
	s_or_b64 s[4:5], s[4:5], s[8:9]
	s_or_b64 exec, exec, s[6:7]
	s_and_saveexec_b64 s[6:7], s[4:5]
	s_cbranch_execz .LBB1_31549
; %bb.55931:
	s_getpc_b64 s[14:15]
.Lpost_getpc13629:
	s_add_u32 s14, s14, (.LBB1_5755-.Lpost_getpc13629)&4294967295
	s_addc_u32 s15, s15, (.LBB1_5755-.Lpost_getpc13629)>>32
	s_setpc_b64 s[14:15]
.LBB1_31549:
	s_getpc_b64 s[14:15]
.Lpost_getpc1438:
	s_add_u32 s14, s14, (.LBB1_5756-.Lpost_getpc1438)&4294967295
	s_addc_u32 s15, s15, (.LBB1_5756-.Lpost_getpc1438)>>32
	s_setpc_b64 s[14:15]
.LBB1_20093:
	s_movk_i32 s4, 0x80
	v_cmp_eq_u16_sdwa s[12:13], v5, s4 src0_sel:BYTE_3 src1_sel:DWORD
	s_mov_b64 s[4:5], -1
                                        ; implicit-def: $sgpr10
	s_and_saveexec_b64 s[8:9], s[12:13]
; %bb.20094:
	s_mov_b32 s10, 0x7f800001
	s_xor_b64 s[4:5], exec, -1
; %bb.20095:
	s_or_b64 exec, exec, s[8:9]
	s_and_b64 s[4:5], s[4:5], exec
	s_or_saveexec_b64 s[6:7], s[6:7]
	v_mov_b32_e32 v3, s10
	s_xor_b64 exec, exec, s[6:7]
	s_cbranch_execnz .LBB1_20096
; %bb.55933:
	s_getpc_b64 s[14:15]
.Lpost_getpc13630:
	s_add_u32 s14, s14, (.LBB1_5758-.Lpost_getpc13630)&4294967295
	s_addc_u32 s15, s15, (.LBB1_5758-.Lpost_getpc13630)>>32
	s_setpc_b64 s[14:15]
.LBB1_20096:
	v_mov_b32_e32 v3, 0
	v_cmp_ne_u16_sdwa s[8:9], v5, v3 src0_sel:BYTE_3 src1_sel:DWORD
	s_andn2_b64 s[4:5], s[4:5], exec
	s_and_b64 s[8:9], s[8:9], exec
	s_or_b64 s[4:5], s[4:5], s[8:9]
	s_or_b64 exec, exec, s[6:7]
	s_and_saveexec_b64 s[6:7], s[4:5]
	s_cbranch_execz .LBB1_31551
; %bb.55935:
	s_getpc_b64 s[14:15]
.Lpost_getpc13631:
	s_add_u32 s14, s14, (.LBB1_5759-.Lpost_getpc13631)&4294967295
	s_addc_u32 s15, s15, (.LBB1_5759-.Lpost_getpc13631)>>32
	s_setpc_b64 s[14:15]
.LBB1_31551:
	s_getpc_b64 s[14:15]
.Lpost_getpc1439:
	s_add_u32 s14, s14, (.LBB1_5760-.Lpost_getpc1439)&4294967295
	s_addc_u32 s15, s15, (.LBB1_5760-.Lpost_getpc1439)>>32
	s_setpc_b64 s[14:15]
.LBB1_20097:
	s_movk_i32 s4, 0x80
	v_cmp_eq_u16_sdwa s[12:13], v6, s4 src0_sel:BYTE_0 src1_sel:DWORD
	s_mov_b64 s[4:5], -1
                                        ; implicit-def: $sgpr10
	s_and_saveexec_b64 s[8:9], s[12:13]
; %bb.20098:
	s_mov_b32 s10, 0x7f800001
	s_xor_b64 s[4:5], exec, -1
; %bb.20099:
	s_or_b64 exec, exec, s[8:9]
	s_and_b64 s[4:5], s[4:5], exec
	s_or_saveexec_b64 s[6:7], s[6:7]
	v_mov_b32_e32 v12, s10
	s_xor_b64 exec, exec, s[6:7]
	s_cbranch_execnz .LBB1_20100
; %bb.55937:
	s_getpc_b64 s[14:15]
.Lpost_getpc13632:
	s_add_u32 s14, s14, (.LBB1_5762-.Lpost_getpc13632)&4294967295
	s_addc_u32 s15, s15, (.LBB1_5762-.Lpost_getpc13632)>>32
	s_setpc_b64 s[14:15]
.LBB1_20100:
	v_mov_b32_e32 v12, 0
	v_cmp_ne_u16_sdwa s[8:9], v6, v12 src0_sel:BYTE_0 src1_sel:DWORD
	s_andn2_b64 s[4:5], s[4:5], exec
	s_and_b64 s[8:9], s[8:9], exec
	s_or_b64 s[4:5], s[4:5], s[8:9]
	s_or_b64 exec, exec, s[6:7]
	s_and_saveexec_b64 s[6:7], s[4:5]
	s_cbranch_execz .LBB1_31553
; %bb.55939:
	s_getpc_b64 s[14:15]
.Lpost_getpc13633:
	s_add_u32 s14, s14, (.LBB1_5763-.Lpost_getpc13633)&4294967295
	s_addc_u32 s15, s15, (.LBB1_5763-.Lpost_getpc13633)>>32
	s_setpc_b64 s[14:15]
.LBB1_31553:
	s_getpc_b64 s[14:15]
.Lpost_getpc1440:
	s_add_u32 s14, s14, (.LBB1_5764-.Lpost_getpc1440)&4294967295
	s_addc_u32 s15, s15, (.LBB1_5764-.Lpost_getpc1440)>>32
	s_setpc_b64 s[14:15]
.LBB1_20101:
	s_movk_i32 s4, 0x80
	v_cmp_eq_u16_sdwa s[12:13], v2, s4 src0_sel:BYTE_0 src1_sel:DWORD
	s_mov_b64 s[4:5], -1
                                        ; implicit-def: $sgpr10
	s_and_saveexec_b64 s[8:9], s[12:13]
; %bb.20102:
	s_mov_b32 s10, 0x7f800001
	s_xor_b64 s[4:5], exec, -1
; %bb.20103:
	s_or_b64 exec, exec, s[8:9]
	s_and_b64 s[4:5], s[4:5], exec
	s_or_saveexec_b64 s[6:7], s[6:7]
	v_mov_b32_e32 v13, s10
	s_xor_b64 exec, exec, s[6:7]
	s_cbranch_execnz .LBB1_20104
; %bb.55941:
	s_getpc_b64 s[14:15]
.Lpost_getpc13634:
	s_add_u32 s14, s14, (.LBB1_5766-.Lpost_getpc13634)&4294967295
	s_addc_u32 s15, s15, (.LBB1_5766-.Lpost_getpc13634)>>32
	s_setpc_b64 s[14:15]
.LBB1_20104:
	v_mov_b32_e32 v13, 0
	v_cmp_ne_u16_sdwa s[8:9], v2, v13 src0_sel:BYTE_0 src1_sel:DWORD
	s_andn2_b64 s[4:5], s[4:5], exec
	s_and_b64 s[8:9], s[8:9], exec
	s_or_b64 s[4:5], s[4:5], s[8:9]
	s_or_b64 exec, exec, s[6:7]
	s_and_saveexec_b64 s[6:7], s[4:5]
	s_cbranch_execz .LBB1_31555
; %bb.55943:
	s_getpc_b64 s[14:15]
.Lpost_getpc13635:
	s_add_u32 s14, s14, (.LBB1_5767-.Lpost_getpc13635)&4294967295
	s_addc_u32 s15, s15, (.LBB1_5767-.Lpost_getpc13635)>>32
	s_setpc_b64 s[14:15]
.LBB1_31555:
	s_getpc_b64 s[14:15]
.Lpost_getpc1441:
	s_add_u32 s14, s14, (.LBB1_5768-.Lpost_getpc1441)&4294967295
	s_addc_u32 s15, s15, (.LBB1_5768-.Lpost_getpc1441)>>32
	s_setpc_b64 s[14:15]
.LBB1_20105:
	s_movk_i32 s4, 0x80
	v_cmp_eq_u16_sdwa s[12:13], v13, s4 src0_sel:BYTE_0 src1_sel:DWORD
	s_mov_b64 s[4:5], -1
                                        ; implicit-def: $sgpr10
	s_and_saveexec_b64 s[8:9], s[12:13]
; %bb.20106:
	s_mov_b32 s10, 0x7f800001
	s_xor_b64 s[4:5], exec, -1
; %bb.20107:
	s_or_b64 exec, exec, s[8:9]
	s_and_b64 s[4:5], s[4:5], exec
	s_or_saveexec_b64 s[6:7], s[6:7]
	v_mov_b32_e32 v12, s10
	s_xor_b64 exec, exec, s[6:7]
	s_cbranch_execnz .LBB1_20108
; %bb.55945:
	s_getpc_b64 s[14:15]
.Lpost_getpc13636:
	s_add_u32 s14, s14, (.LBB1_5770-.Lpost_getpc13636)&4294967295
	s_addc_u32 s15, s15, (.LBB1_5770-.Lpost_getpc13636)>>32
	s_setpc_b64 s[14:15]
.LBB1_20108:
	v_mov_b32_e32 v12, 0
	v_cmp_ne_u16_sdwa s[8:9], v13, v12 src0_sel:BYTE_0 src1_sel:DWORD
	s_andn2_b64 s[4:5], s[4:5], exec
	s_and_b64 s[8:9], s[8:9], exec
	s_or_b64 s[4:5], s[4:5], s[8:9]
	s_or_b64 exec, exec, s[6:7]
	s_and_saveexec_b64 s[6:7], s[4:5]
	s_cbranch_execz .LBB1_31557
; %bb.55947:
	s_getpc_b64 s[14:15]
.Lpost_getpc13637:
	s_add_u32 s14, s14, (.LBB1_5771-.Lpost_getpc13637)&4294967295
	s_addc_u32 s15, s15, (.LBB1_5771-.Lpost_getpc13637)>>32
	s_setpc_b64 s[14:15]
.LBB1_31557:
	s_getpc_b64 s[14:15]
.Lpost_getpc1442:
	s_add_u32 s14, s14, (.LBB1_5772-.Lpost_getpc1442)&4294967295
	s_addc_u32 s15, s15, (.LBB1_5772-.Lpost_getpc1442)>>32
	s_setpc_b64 s[14:15]
.LBB1_20109:
	s_movk_i32 s4, 0x80
	v_cmp_eq_u16_sdwa s[12:13], v13, s4 src0_sel:BYTE_0 src1_sel:DWORD
	s_mov_b64 s[4:5], -1
                                        ; implicit-def: $sgpr10
	s_and_saveexec_b64 s[8:9], s[12:13]
; %bb.20110:
	s_mov_b32 s10, 0x7f800001
	s_xor_b64 s[4:5], exec, -1
; %bb.20111:
	s_or_b64 exec, exec, s[8:9]
	s_and_b64 s[4:5], s[4:5], exec
	s_or_saveexec_b64 s[6:7], s[6:7]
	v_mov_b32_e32 v14, s10
	s_xor_b64 exec, exec, s[6:7]
	s_cbranch_execnz .LBB1_20112
; %bb.55949:
	s_getpc_b64 s[14:15]
.Lpost_getpc13638:
	s_add_u32 s14, s14, (.LBB1_5774-.Lpost_getpc13638)&4294967295
	s_addc_u32 s15, s15, (.LBB1_5774-.Lpost_getpc13638)>>32
	s_setpc_b64 s[14:15]
.LBB1_20112:
	v_mov_b32_e32 v14, 0
	v_cmp_ne_u16_sdwa s[8:9], v13, v14 src0_sel:BYTE_0 src1_sel:DWORD
	s_andn2_b64 s[4:5], s[4:5], exec
	s_and_b64 s[8:9], s[8:9], exec
	s_or_b64 s[4:5], s[4:5], s[8:9]
	s_or_b64 exec, exec, s[6:7]
	s_and_saveexec_b64 s[6:7], s[4:5]
	s_cbranch_execz .LBB1_31559
; %bb.55951:
	s_getpc_b64 s[14:15]
.Lpost_getpc13639:
	s_add_u32 s14, s14, (.LBB1_5775-.Lpost_getpc13639)&4294967295
	s_addc_u32 s15, s15, (.LBB1_5775-.Lpost_getpc13639)>>32
	s_setpc_b64 s[14:15]
.LBB1_31559:
	s_getpc_b64 s[14:15]
.Lpost_getpc1443:
	s_add_u32 s14, s14, (.LBB1_5776-.Lpost_getpc1443)&4294967295
	s_addc_u32 s15, s15, (.LBB1_5776-.Lpost_getpc1443)>>32
	s_setpc_b64 s[14:15]
.LBB1_20113:
	s_movk_i32 s4, 0x80
	v_cmp_eq_u16_e32 vcc, s4, v13
	s_mov_b64 s[4:5], -1
                                        ; implicit-def: $sgpr10
	s_and_saveexec_b64 s[8:9], vcc
; %bb.20114:
	s_mov_b32 s10, 0x7f800001
	s_xor_b64 s[4:5], exec, -1
; %bb.20115:
	s_or_b64 exec, exec, s[8:9]
	s_and_b64 s[4:5], s[4:5], exec
                                        ; implicit-def: $vgpr13
	s_or_saveexec_b64 s[6:7], s[6:7]
	v_mov_b32_e32 v12, s10
	s_xor_b64 exec, exec, s[6:7]
	s_cbranch_execnz .LBB1_20116
; %bb.55953:
	s_getpc_b64 s[14:15]
.Lpost_getpc13640:
	s_add_u32 s14, s14, (.LBB1_5778-.Lpost_getpc13640)&4294967295
	s_addc_u32 s15, s15, (.LBB1_5778-.Lpost_getpc13640)>>32
	s_setpc_b64 s[14:15]
.LBB1_20116:
	v_cmp_ne_u16_e32 vcc, 0, v13
	s_andn2_b64 s[4:5], s[4:5], exec
	s_and_b64 s[8:9], vcc, exec
	v_mov_b32_e32 v12, 0
	s_or_b64 s[4:5], s[4:5], s[8:9]
	s_or_b64 exec, exec, s[6:7]
	s_and_saveexec_b64 s[6:7], s[4:5]
	s_cbranch_execz .LBB1_31561
; %bb.55955:
	s_getpc_b64 s[14:15]
.Lpost_getpc13641:
	s_add_u32 s14, s14, (.LBB1_5779-.Lpost_getpc13641)&4294967295
	s_addc_u32 s15, s15, (.LBB1_5779-.Lpost_getpc13641)>>32
	s_setpc_b64 s[14:15]
.LBB1_31561:
	s_getpc_b64 s[14:15]
.Lpost_getpc1444:
	s_add_u32 s14, s14, (.LBB1_5780-.Lpost_getpc1444)&4294967295
	s_addc_u32 s15, s15, (.LBB1_5780-.Lpost_getpc1444)>>32
	s_setpc_b64 s[14:15]
.LBB1_20117:
	s_movk_i32 s4, 0x80
	v_cmp_eq_u16_e32 vcc, s4, v13
	s_mov_b64 s[4:5], -1
                                        ; implicit-def: $sgpr10
	s_and_saveexec_b64 s[8:9], vcc
; %bb.20118:
	s_mov_b32 s10, 0x7f800001
	s_xor_b64 s[4:5], exec, -1
; %bb.20119:
	s_or_b64 exec, exec, s[8:9]
	s_and_b64 s[4:5], s[4:5], exec
                                        ; implicit-def: $vgpr13
	s_or_saveexec_b64 s[6:7], s[6:7]
	v_mov_b32_e32 v14, s10
	s_xor_b64 exec, exec, s[6:7]
	s_cbranch_execnz .LBB1_20120
; %bb.55957:
	s_getpc_b64 s[14:15]
.Lpost_getpc13642:
	s_add_u32 s14, s14, (.LBB1_5782-.Lpost_getpc13642)&4294967295
	s_addc_u32 s15, s15, (.LBB1_5782-.Lpost_getpc13642)>>32
	s_setpc_b64 s[14:15]
.LBB1_20120:
	v_cmp_ne_u16_e32 vcc, 0, v13
	s_andn2_b64 s[4:5], s[4:5], exec
	s_and_b64 s[8:9], vcc, exec
	v_mov_b32_e32 v14, 0
	s_or_b64 s[4:5], s[4:5], s[8:9]
	s_or_b64 exec, exec, s[6:7]
	s_and_saveexec_b64 s[6:7], s[4:5]
	s_cbranch_execz .LBB1_31563
; %bb.55959:
	s_getpc_b64 s[14:15]
.Lpost_getpc13643:
	s_add_u32 s14, s14, (.LBB1_5783-.Lpost_getpc13643)&4294967295
	s_addc_u32 s15, s15, (.LBB1_5783-.Lpost_getpc13643)>>32
	s_setpc_b64 s[14:15]
.LBB1_31563:
	s_getpc_b64 s[14:15]
.Lpost_getpc1445:
	s_add_u32 s14, s14, (.LBB1_5784-.Lpost_getpc1445)&4294967295
	s_addc_u32 s15, s15, (.LBB1_5784-.Lpost_getpc1445)>>32
	s_setpc_b64 s[14:15]
.LBB1_20121:
	s_movk_i32 s4, 0x80
	v_cmp_eq_u16_sdwa s[12:13], v6, s4 src0_sel:BYTE_3 src1_sel:DWORD
	s_mov_b64 s[4:5], -1
                                        ; implicit-def: $sgpr10
	s_and_saveexec_b64 s[8:9], s[12:13]
; %bb.20122:
	s_mov_b32 s10, 0x7f800001
	s_xor_b64 s[4:5], exec, -1
; %bb.20123:
	s_or_b64 exec, exec, s[8:9]
	s_and_b64 s[4:5], s[4:5], exec
	s_or_saveexec_b64 s[6:7], s[6:7]
	v_mov_b32_e32 v12, s10
	s_xor_b64 exec, exec, s[6:7]
	s_cbranch_execnz .LBB1_20124
; %bb.55961:
	s_getpc_b64 s[14:15]
.Lpost_getpc13644:
	s_add_u32 s14, s14, (.LBB1_5786-.Lpost_getpc13644)&4294967295
	s_addc_u32 s15, s15, (.LBB1_5786-.Lpost_getpc13644)>>32
	s_setpc_b64 s[14:15]
.LBB1_20124:
	v_mov_b32_e32 v12, 0
	v_cmp_ne_u16_sdwa s[8:9], v6, v12 src0_sel:BYTE_3 src1_sel:DWORD
	s_andn2_b64 s[4:5], s[4:5], exec
	s_and_b64 s[8:9], s[8:9], exec
	s_or_b64 s[4:5], s[4:5], s[8:9]
	s_or_b64 exec, exec, s[6:7]
	s_and_saveexec_b64 s[6:7], s[4:5]
	s_cbranch_execz .LBB1_31565
; %bb.55963:
	s_getpc_b64 s[14:15]
.Lpost_getpc13645:
	s_add_u32 s14, s14, (.LBB1_5787-.Lpost_getpc13645)&4294967295
	s_addc_u32 s15, s15, (.LBB1_5787-.Lpost_getpc13645)>>32
	s_setpc_b64 s[14:15]
.LBB1_31565:
	s_getpc_b64 s[14:15]
.Lpost_getpc1446:
	s_add_u32 s14, s14, (.LBB1_5788-.Lpost_getpc1446)&4294967295
	s_addc_u32 s15, s15, (.LBB1_5788-.Lpost_getpc1446)>>32
	s_setpc_b64 s[14:15]
.LBB1_20125:
	s_movk_i32 s4, 0x80
	v_cmp_eq_u16_sdwa s[12:13], v2, s4 src0_sel:BYTE_3 src1_sel:DWORD
	s_mov_b64 s[4:5], -1
                                        ; implicit-def: $sgpr10
	s_and_saveexec_b64 s[8:9], s[12:13]
; %bb.20126:
	s_mov_b32 s10, 0x7f800001
	s_xor_b64 s[4:5], exec, -1
; %bb.20127:
	s_or_b64 exec, exec, s[8:9]
	s_and_b64 s[4:5], s[4:5], exec
	s_or_saveexec_b64 s[6:7], s[6:7]
	v_mov_b32_e32 v6, s10
	s_xor_b64 exec, exec, s[6:7]
	s_cbranch_execnz .LBB1_20128
; %bb.55965:
	s_getpc_b64 s[14:15]
.Lpost_getpc13646:
	s_add_u32 s14, s14, (.LBB1_5790-.Lpost_getpc13646)&4294967295
	s_addc_u32 s15, s15, (.LBB1_5790-.Lpost_getpc13646)>>32
	s_setpc_b64 s[14:15]
.LBB1_20128:
	v_mov_b32_e32 v6, 0
	v_cmp_ne_u16_sdwa s[8:9], v2, v6 src0_sel:BYTE_3 src1_sel:DWORD
	s_andn2_b64 s[4:5], s[4:5], exec
	s_and_b64 s[8:9], s[8:9], exec
	s_or_b64 s[4:5], s[4:5], s[8:9]
	s_or_b64 exec, exec, s[6:7]
	s_and_saveexec_b64 s[6:7], s[4:5]
	s_cbranch_execz .LBB1_31567
; %bb.55967:
	s_getpc_b64 s[14:15]
.Lpost_getpc13647:
	s_add_u32 s14, s14, (.LBB1_5791-.Lpost_getpc13647)&4294967295
	s_addc_u32 s15, s15, (.LBB1_5791-.Lpost_getpc13647)>>32
	s_setpc_b64 s[14:15]
.LBB1_31567:
	s_getpc_b64 s[14:15]
.Lpost_getpc1447:
	s_add_u32 s14, s14, (.LBB1_5792-.Lpost_getpc1447)&4294967295
	s_addc_u32 s15, s15, (.LBB1_5792-.Lpost_getpc1447)>>32
	s_setpc_b64 s[14:15]
.LBB1_20129:
	s_movk_i32 s4, 0x80
	v_cmp_eq_u16_sdwa s[12:13], v7, s4 src0_sel:BYTE_0 src1_sel:DWORD
	s_mov_b64 s[4:5], -1
                                        ; implicit-def: $sgpr10
	s_and_saveexec_b64 s[8:9], s[12:13]
; %bb.20130:
	s_mov_b32 s10, 0x7f800001
	s_xor_b64 s[4:5], exec, -1
; %bb.20131:
	s_or_b64 exec, exec, s[8:9]
	s_and_b64 s[4:5], s[4:5], exec
	s_or_saveexec_b64 s[6:7], s[6:7]
	v_mov_b32_e32 v2, s10
	s_xor_b64 exec, exec, s[6:7]
	s_cbranch_execnz .LBB1_20132
; %bb.55969:
	s_getpc_b64 s[14:15]
.Lpost_getpc13648:
	s_add_u32 s14, s14, (.LBB1_5794-.Lpost_getpc13648)&4294967295
	s_addc_u32 s15, s15, (.LBB1_5794-.Lpost_getpc13648)>>32
	s_setpc_b64 s[14:15]
.LBB1_20132:
	v_mov_b32_e32 v2, 0
	v_cmp_ne_u16_sdwa s[8:9], v7, v2 src0_sel:BYTE_0 src1_sel:DWORD
	s_andn2_b64 s[4:5], s[4:5], exec
	s_and_b64 s[8:9], s[8:9], exec
	s_or_b64 s[4:5], s[4:5], s[8:9]
	s_or_b64 exec, exec, s[6:7]
	s_and_saveexec_b64 s[6:7], s[4:5]
	s_cbranch_execz .LBB1_31569
; %bb.55971:
	s_getpc_b64 s[14:15]
.Lpost_getpc13649:
	s_add_u32 s14, s14, (.LBB1_5795-.Lpost_getpc13649)&4294967295
	s_addc_u32 s15, s15, (.LBB1_5795-.Lpost_getpc13649)>>32
	s_setpc_b64 s[14:15]
.LBB1_31569:
	s_getpc_b64 s[14:15]
.Lpost_getpc1448:
	s_add_u32 s14, s14, (.LBB1_5796-.Lpost_getpc1448)&4294967295
	s_addc_u32 s15, s15, (.LBB1_5796-.Lpost_getpc1448)>>32
	s_setpc_b64 s[14:15]
.LBB1_20133:
	s_movk_i32 s4, 0x80
	v_cmp_eq_u16_sdwa s[12:13], v3, s4 src0_sel:BYTE_0 src1_sel:DWORD
	s_mov_b64 s[4:5], -1
                                        ; implicit-def: $sgpr10
	s_and_saveexec_b64 s[8:9], s[12:13]
; %bb.20134:
	s_mov_b32 s10, 0x7f800001
	s_xor_b64 s[4:5], exec, -1
; %bb.20135:
	s_or_b64 exec, exec, s[8:9]
	s_and_b64 s[4:5], s[4:5], exec
	s_or_saveexec_b64 s[6:7], s[6:7]
	v_mov_b32_e32 v6, s10
	s_xor_b64 exec, exec, s[6:7]
	s_cbranch_execnz .LBB1_20136
; %bb.55973:
	s_getpc_b64 s[14:15]
.Lpost_getpc13650:
	s_add_u32 s14, s14, (.LBB1_5798-.Lpost_getpc13650)&4294967295
	s_addc_u32 s15, s15, (.LBB1_5798-.Lpost_getpc13650)>>32
	s_setpc_b64 s[14:15]
.LBB1_20136:
	v_mov_b32_e32 v6, 0
	v_cmp_ne_u16_sdwa s[8:9], v3, v6 src0_sel:BYTE_0 src1_sel:DWORD
	s_andn2_b64 s[4:5], s[4:5], exec
	s_and_b64 s[8:9], s[8:9], exec
	s_or_b64 s[4:5], s[4:5], s[8:9]
	s_or_b64 exec, exec, s[6:7]
	s_and_saveexec_b64 s[6:7], s[4:5]
	s_cbranch_execz .LBB1_31571
; %bb.55975:
	s_getpc_b64 s[14:15]
.Lpost_getpc13651:
	s_add_u32 s14, s14, (.LBB1_5799-.Lpost_getpc13651)&4294967295
	s_addc_u32 s15, s15, (.LBB1_5799-.Lpost_getpc13651)>>32
	s_setpc_b64 s[14:15]
.LBB1_31571:
	s_getpc_b64 s[14:15]
.Lpost_getpc1449:
	s_add_u32 s14, s14, (.LBB1_5800-.Lpost_getpc1449)&4294967295
	s_addc_u32 s15, s15, (.LBB1_5800-.Lpost_getpc1449)>>32
	s_setpc_b64 s[14:15]
.LBB1_20137:
	s_movk_i32 s4, 0x80
	v_cmp_eq_u16_sdwa s[12:13], v6, s4 src0_sel:BYTE_0 src1_sel:DWORD
	s_mov_b64 s[4:5], -1
                                        ; implicit-def: $sgpr10
	s_and_saveexec_b64 s[8:9], s[12:13]
; %bb.20138:
	s_mov_b32 s10, 0x7f800001
	s_xor_b64 s[4:5], exec, -1
; %bb.20139:
	s_or_b64 exec, exec, s[8:9]
	s_and_b64 s[4:5], s[4:5], exec
	s_or_saveexec_b64 s[6:7], s[6:7]
	v_mov_b32_e32 v2, s10
	s_xor_b64 exec, exec, s[6:7]
	s_cbranch_execnz .LBB1_20140
; %bb.55977:
	s_getpc_b64 s[14:15]
.Lpost_getpc13652:
	s_add_u32 s14, s14, (.LBB1_5802-.Lpost_getpc13652)&4294967295
	s_addc_u32 s15, s15, (.LBB1_5802-.Lpost_getpc13652)>>32
	s_setpc_b64 s[14:15]
.LBB1_20140:
	v_mov_b32_e32 v2, 0
	v_cmp_ne_u16_sdwa s[8:9], v6, v2 src0_sel:BYTE_0 src1_sel:DWORD
	s_andn2_b64 s[4:5], s[4:5], exec
	s_and_b64 s[8:9], s[8:9], exec
	s_or_b64 s[4:5], s[4:5], s[8:9]
	s_or_b64 exec, exec, s[6:7]
	s_and_saveexec_b64 s[6:7], s[4:5]
	s_cbranch_execz .LBB1_31573
; %bb.55979:
	s_getpc_b64 s[14:15]
.Lpost_getpc13653:
	s_add_u32 s14, s14, (.LBB1_5803-.Lpost_getpc13653)&4294967295
	s_addc_u32 s15, s15, (.LBB1_5803-.Lpost_getpc13653)>>32
	s_setpc_b64 s[14:15]
.LBB1_31573:
	s_getpc_b64 s[14:15]
.Lpost_getpc1450:
	s_add_u32 s14, s14, (.LBB1_5804-.Lpost_getpc1450)&4294967295
	s_addc_u32 s15, s15, (.LBB1_5804-.Lpost_getpc1450)>>32
	s_setpc_b64 s[14:15]
.LBB1_20141:
	s_movk_i32 s4, 0x80
	v_cmp_eq_u16_sdwa s[12:13], v6, s4 src0_sel:BYTE_0 src1_sel:DWORD
	s_mov_b64 s[4:5], -1
                                        ; implicit-def: $sgpr10
	s_and_saveexec_b64 s[8:9], s[12:13]
; %bb.20142:
	s_mov_b32 s10, 0x7f800001
	s_xor_b64 s[4:5], exec, -1
; %bb.20143:
	s_or_b64 exec, exec, s[8:9]
	s_and_b64 s[4:5], s[4:5], exec
	s_or_saveexec_b64 s[6:7], s[6:7]
	v_mov_b32_e32 v12, s10
	s_xor_b64 exec, exec, s[6:7]
	s_cbranch_execnz .LBB1_20144
; %bb.55981:
	s_getpc_b64 s[14:15]
.Lpost_getpc13654:
	s_add_u32 s14, s14, (.LBB1_5806-.Lpost_getpc13654)&4294967295
	s_addc_u32 s15, s15, (.LBB1_5806-.Lpost_getpc13654)>>32
	s_setpc_b64 s[14:15]
.LBB1_20144:
	v_mov_b32_e32 v12, 0
	v_cmp_ne_u16_sdwa s[8:9], v6, v12 src0_sel:BYTE_0 src1_sel:DWORD
	s_andn2_b64 s[4:5], s[4:5], exec
	s_and_b64 s[8:9], s[8:9], exec
	s_or_b64 s[4:5], s[4:5], s[8:9]
	s_or_b64 exec, exec, s[6:7]
	s_and_saveexec_b64 s[6:7], s[4:5]
	s_cbranch_execz .LBB1_31575
; %bb.55983:
	s_getpc_b64 s[14:15]
.Lpost_getpc13655:
	s_add_u32 s14, s14, (.LBB1_5807-.Lpost_getpc13655)&4294967295
	s_addc_u32 s15, s15, (.LBB1_5807-.Lpost_getpc13655)>>32
	s_setpc_b64 s[14:15]
.LBB1_31575:
	s_getpc_b64 s[14:15]
.Lpost_getpc1451:
	s_add_u32 s14, s14, (.LBB1_5808-.Lpost_getpc1451)&4294967295
	s_addc_u32 s15, s15, (.LBB1_5808-.Lpost_getpc1451)>>32
	s_setpc_b64 s[14:15]
.LBB1_20145:
	s_movk_i32 s4, 0x80
	v_cmp_eq_u16_e32 vcc, s4, v6
	s_mov_b64 s[4:5], -1
                                        ; implicit-def: $sgpr10
	s_and_saveexec_b64 s[8:9], vcc
; %bb.20146:
	s_mov_b32 s10, 0x7f800001
	s_xor_b64 s[4:5], exec, -1
; %bb.20147:
	s_or_b64 exec, exec, s[8:9]
	s_and_b64 s[4:5], s[4:5], exec
                                        ; implicit-def: $vgpr6
	s_or_saveexec_b64 s[6:7], s[6:7]
	v_mov_b32_e32 v2, s10
	s_xor_b64 exec, exec, s[6:7]
	s_cbranch_execnz .LBB1_20148
; %bb.55985:
	s_getpc_b64 s[14:15]
.Lpost_getpc13656:
	s_add_u32 s14, s14, (.LBB1_5810-.Lpost_getpc13656)&4294967295
	s_addc_u32 s15, s15, (.LBB1_5810-.Lpost_getpc13656)>>32
	s_setpc_b64 s[14:15]
.LBB1_20148:
	v_cmp_ne_u16_e32 vcc, 0, v6
	s_andn2_b64 s[4:5], s[4:5], exec
	s_and_b64 s[8:9], vcc, exec
	v_mov_b32_e32 v2, 0
	s_or_b64 s[4:5], s[4:5], s[8:9]
	s_or_b64 exec, exec, s[6:7]
	s_and_saveexec_b64 s[6:7], s[4:5]
	s_cbranch_execz .LBB1_31577
; %bb.55987:
	s_getpc_b64 s[14:15]
.Lpost_getpc13657:
	s_add_u32 s14, s14, (.LBB1_5811-.Lpost_getpc13657)&4294967295
	s_addc_u32 s15, s15, (.LBB1_5811-.Lpost_getpc13657)>>32
	s_setpc_b64 s[14:15]
.LBB1_31577:
	s_getpc_b64 s[14:15]
.Lpost_getpc1452:
	s_add_u32 s14, s14, (.LBB1_5812-.Lpost_getpc1452)&4294967295
	s_addc_u32 s15, s15, (.LBB1_5812-.Lpost_getpc1452)>>32
	s_setpc_b64 s[14:15]
.LBB1_20149:
	s_movk_i32 s4, 0x80
	v_cmp_eq_u16_e32 vcc, s4, v6
	s_mov_b64 s[4:5], -1
                                        ; implicit-def: $sgpr10
	s_and_saveexec_b64 s[8:9], vcc
; %bb.20150:
	s_mov_b32 s10, 0x7f800001
	s_xor_b64 s[4:5], exec, -1
; %bb.20151:
	s_or_b64 exec, exec, s[8:9]
	s_and_b64 s[4:5], s[4:5], exec
                                        ; implicit-def: $vgpr6
	s_or_saveexec_b64 s[6:7], s[6:7]
	v_mov_b32_e32 v12, s10
	s_xor_b64 exec, exec, s[6:7]
	s_cbranch_execnz .LBB1_20152
; %bb.55989:
	s_getpc_b64 s[14:15]
.Lpost_getpc13658:
	s_add_u32 s14, s14, (.LBB1_5814-.Lpost_getpc13658)&4294967295
	s_addc_u32 s15, s15, (.LBB1_5814-.Lpost_getpc13658)>>32
	s_setpc_b64 s[14:15]
.LBB1_20152:
	v_cmp_ne_u16_e32 vcc, 0, v6
	s_andn2_b64 s[4:5], s[4:5], exec
	s_and_b64 s[8:9], vcc, exec
	v_mov_b32_e32 v12, 0
	s_or_b64 s[4:5], s[4:5], s[8:9]
	s_or_b64 exec, exec, s[6:7]
	s_and_saveexec_b64 s[6:7], s[4:5]
	s_cbranch_execz .LBB1_31579
; %bb.55991:
	s_getpc_b64 s[14:15]
.Lpost_getpc13659:
	s_add_u32 s14, s14, (.LBB1_5815-.Lpost_getpc13659)&4294967295
	s_addc_u32 s15, s15, (.LBB1_5815-.Lpost_getpc13659)>>32
	s_setpc_b64 s[14:15]
.LBB1_31579:
	s_getpc_b64 s[14:15]
.Lpost_getpc1453:
	s_add_u32 s14, s14, (.LBB1_5816-.Lpost_getpc1453)&4294967295
	s_addc_u32 s15, s15, (.LBB1_5816-.Lpost_getpc1453)>>32
	s_setpc_b64 s[14:15]
.LBB1_20153:
	s_movk_i32 s4, 0x80
	v_cmp_eq_u16_sdwa s[12:13], v7, s4 src0_sel:BYTE_3 src1_sel:DWORD
	s_mov_b64 s[4:5], -1
                                        ; implicit-def: $sgpr10
	s_and_saveexec_b64 s[8:9], s[12:13]
; %bb.20154:
	s_mov_b32 s10, 0x7f800001
	s_xor_b64 s[4:5], exec, -1
; %bb.20155:
	s_or_b64 exec, exec, s[8:9]
	s_and_b64 s[4:5], s[4:5], exec
	s_or_saveexec_b64 s[6:7], s[6:7]
	v_mov_b32_e32 v2, s10
	s_xor_b64 exec, exec, s[6:7]
	s_cbranch_execnz .LBB1_20156
; %bb.55993:
	s_getpc_b64 s[14:15]
.Lpost_getpc13660:
	s_add_u32 s14, s14, (.LBB1_5818-.Lpost_getpc13660)&4294967295
	s_addc_u32 s15, s15, (.LBB1_5818-.Lpost_getpc13660)>>32
	s_setpc_b64 s[14:15]
.LBB1_20156:
	v_mov_b32_e32 v2, 0
	v_cmp_ne_u16_sdwa s[8:9], v7, v2 src0_sel:BYTE_3 src1_sel:DWORD
	s_andn2_b64 s[4:5], s[4:5], exec
	s_and_b64 s[8:9], s[8:9], exec
	s_or_b64 s[4:5], s[4:5], s[8:9]
	s_or_b64 exec, exec, s[6:7]
	s_and_saveexec_b64 s[6:7], s[4:5]
	s_cbranch_execz .LBB1_31581
; %bb.55995:
	s_getpc_b64 s[14:15]
.Lpost_getpc13661:
	s_add_u32 s14, s14, (.LBB1_5819-.Lpost_getpc13661)&4294967295
	s_addc_u32 s15, s15, (.LBB1_5819-.Lpost_getpc13661)>>32
	s_setpc_b64 s[14:15]
.LBB1_31581:
	s_getpc_b64 s[14:15]
.Lpost_getpc1454:
	s_add_u32 s14, s14, (.LBB1_5820-.Lpost_getpc1454)&4294967295
	s_addc_u32 s15, s15, (.LBB1_5820-.Lpost_getpc1454)>>32
	s_setpc_b64 s[14:15]
.LBB1_20157:
	s_movk_i32 s4, 0x80
	v_cmp_eq_u16_sdwa s[12:13], v3, s4 src0_sel:BYTE_3 src1_sel:DWORD
	s_mov_b64 s[4:5], -1
                                        ; implicit-def: $sgpr10
	s_and_saveexec_b64 s[8:9], s[12:13]
; %bb.20158:
	s_mov_b32 s10, 0x7f800001
	s_xor_b64 s[4:5], exec, -1
; %bb.20159:
	s_or_b64 exec, exec, s[8:9]
	s_and_b64 s[4:5], s[4:5], exec
	s_or_saveexec_b64 s[6:7], s[6:7]
	v_mov_b32_e32 v6, s10
	s_xor_b64 exec, exec, s[6:7]
	s_cbranch_execnz .LBB1_20160
; %bb.55997:
	s_getpc_b64 s[14:15]
.Lpost_getpc13662:
	s_add_u32 s14, s14, (.LBB1_5822-.Lpost_getpc13662)&4294967295
	s_addc_u32 s15, s15, (.LBB1_5822-.Lpost_getpc13662)>>32
	s_setpc_b64 s[14:15]
.LBB1_20160:
	v_mov_b32_e32 v6, 0
	v_cmp_ne_u16_sdwa s[8:9], v3, v6 src0_sel:BYTE_3 src1_sel:DWORD
	s_andn2_b64 s[4:5], s[4:5], exec
	s_and_b64 s[8:9], s[8:9], exec
	s_or_b64 s[4:5], s[4:5], s[8:9]
	s_or_b64 exec, exec, s[6:7]
	s_and_saveexec_b64 s[6:7], s[4:5]
	s_cbranch_execz .LBB1_31583
; %bb.55999:
	s_getpc_b64 s[14:15]
.Lpost_getpc13663:
	s_add_u32 s14, s14, (.LBB1_5823-.Lpost_getpc13663)&4294967295
	s_addc_u32 s15, s15, (.LBB1_5823-.Lpost_getpc13663)>>32
	s_setpc_b64 s[14:15]
.LBB1_31583:
	s_getpc_b64 s[14:15]
.Lpost_getpc1455:
	s_add_u32 s14, s14, (.LBB1_5824-.Lpost_getpc1455)&4294967295
	s_addc_u32 s15, s15, (.LBB1_5824-.Lpost_getpc1455)>>32
	s_setpc_b64 s[14:15]
.LBB1_20161:
	s_movk_i32 s4, 0x80
	v_cmp_eq_u16_sdwa s[12:13], v8, s4 src0_sel:BYTE_0 src1_sel:DWORD
	s_mov_b64 s[4:5], -1
                                        ; implicit-def: $sgpr10
	s_and_saveexec_b64 s[8:9], s[12:13]
; %bb.20162:
	s_mov_b32 s10, 0x7f800001
	s_xor_b64 s[4:5], exec, -1
; %bb.20163:
	s_or_b64 exec, exec, s[8:9]
	s_and_b64 s[4:5], s[4:5], exec
	s_or_saveexec_b64 s[6:7], s[6:7]
	v_mov_b32_e32 v2, s10
	s_xor_b64 exec, exec, s[6:7]
	s_cbranch_execnz .LBB1_20164
; %bb.56001:
	s_getpc_b64 s[14:15]
.Lpost_getpc13664:
	s_add_u32 s14, s14, (.LBB1_5826-.Lpost_getpc13664)&4294967295
	s_addc_u32 s15, s15, (.LBB1_5826-.Lpost_getpc13664)>>32
	s_setpc_b64 s[14:15]
.LBB1_20164:
	v_mov_b32_e32 v2, 0
	v_cmp_ne_u16_sdwa s[8:9], v8, v2 src0_sel:BYTE_0 src1_sel:DWORD
	s_andn2_b64 s[4:5], s[4:5], exec
	s_and_b64 s[8:9], s[8:9], exec
	s_or_b64 s[4:5], s[4:5], s[8:9]
	s_or_b64 exec, exec, s[6:7]
	s_and_saveexec_b64 s[6:7], s[4:5]
	s_cbranch_execz .LBB1_31585
; %bb.56003:
	s_getpc_b64 s[14:15]
.Lpost_getpc13665:
	s_add_u32 s14, s14, (.LBB1_5827-.Lpost_getpc13665)&4294967295
	s_addc_u32 s15, s15, (.LBB1_5827-.Lpost_getpc13665)>>32
	s_setpc_b64 s[14:15]
.LBB1_31585:
	s_getpc_b64 s[14:15]
.Lpost_getpc1456:
	s_add_u32 s14, s14, (.LBB1_5828-.Lpost_getpc1456)&4294967295
	s_addc_u32 s15, s15, (.LBB1_5828-.Lpost_getpc1456)>>32
	s_setpc_b64 s[14:15]
.LBB1_20165:
	s_movk_i32 s4, 0x80
	v_cmp_eq_u16_sdwa s[12:13], v4, s4 src0_sel:BYTE_0 src1_sel:DWORD
	s_mov_b64 s[4:5], -1
                                        ; implicit-def: $sgpr10
	s_and_saveexec_b64 s[8:9], s[12:13]
; %bb.20166:
	s_mov_b32 s10, 0x7f800001
	s_xor_b64 s[4:5], exec, -1
; %bb.20167:
	s_or_b64 exec, exec, s[8:9]
	s_and_b64 s[4:5], s[4:5], exec
	s_or_saveexec_b64 s[6:7], s[6:7]
	v_mov_b32_e32 v3, s10
	s_xor_b64 exec, exec, s[6:7]
	s_cbranch_execnz .LBB1_20168
; %bb.56005:
	s_getpc_b64 s[14:15]
.Lpost_getpc13666:
	s_add_u32 s14, s14, (.LBB1_5830-.Lpost_getpc13666)&4294967295
	s_addc_u32 s15, s15, (.LBB1_5830-.Lpost_getpc13666)>>32
	s_setpc_b64 s[14:15]
.LBB1_20168:
	v_mov_b32_e32 v3, 0
	v_cmp_ne_u16_sdwa s[8:9], v4, v3 src0_sel:BYTE_0 src1_sel:DWORD
	s_andn2_b64 s[4:5], s[4:5], exec
	s_and_b64 s[8:9], s[8:9], exec
	s_or_b64 s[4:5], s[4:5], s[8:9]
	s_or_b64 exec, exec, s[6:7]
	s_and_saveexec_b64 s[6:7], s[4:5]
	s_cbranch_execz .LBB1_31587
; %bb.56007:
	s_getpc_b64 s[14:15]
.Lpost_getpc13667:
	s_add_u32 s14, s14, (.LBB1_5831-.Lpost_getpc13667)&4294967295
	s_addc_u32 s15, s15, (.LBB1_5831-.Lpost_getpc13667)>>32
	s_setpc_b64 s[14:15]
.LBB1_31587:
	s_getpc_b64 s[14:15]
.Lpost_getpc1457:
	s_add_u32 s14, s14, (.LBB1_5832-.Lpost_getpc1457)&4294967295
	s_addc_u32 s15, s15, (.LBB1_5832-.Lpost_getpc1457)>>32
	s_setpc_b64 s[14:15]
.LBB1_20169:
	s_movk_i32 s4, 0x80
	v_cmp_eq_u16_sdwa s[12:13], v3, s4 src0_sel:BYTE_0 src1_sel:DWORD
	s_mov_b64 s[4:5], -1
                                        ; implicit-def: $sgpr10
	s_and_saveexec_b64 s[8:9], s[12:13]
; %bb.20170:
	s_mov_b32 s10, 0x7f800001
	s_xor_b64 s[4:5], exec, -1
; %bb.20171:
	s_or_b64 exec, exec, s[8:9]
	s_and_b64 s[4:5], s[4:5], exec
	s_or_saveexec_b64 s[6:7], s[6:7]
	v_mov_b32_e32 v2, s10
	s_xor_b64 exec, exec, s[6:7]
	s_cbranch_execnz .LBB1_20172
; %bb.56009:
	s_getpc_b64 s[14:15]
.Lpost_getpc13668:
	s_add_u32 s14, s14, (.LBB1_5834-.Lpost_getpc13668)&4294967295
	s_addc_u32 s15, s15, (.LBB1_5834-.Lpost_getpc13668)>>32
	s_setpc_b64 s[14:15]
.LBB1_20172:
	v_mov_b32_e32 v2, 0
	v_cmp_ne_u16_sdwa s[8:9], v3, v2 src0_sel:BYTE_0 src1_sel:DWORD
	s_andn2_b64 s[4:5], s[4:5], exec
	s_and_b64 s[8:9], s[8:9], exec
	s_or_b64 s[4:5], s[4:5], s[8:9]
	s_or_b64 exec, exec, s[6:7]
	s_and_saveexec_b64 s[6:7], s[4:5]
	s_cbranch_execz .LBB1_31589
; %bb.56011:
	s_getpc_b64 s[14:15]
.Lpost_getpc13669:
	s_add_u32 s14, s14, (.LBB1_5835-.Lpost_getpc13669)&4294967295
	s_addc_u32 s15, s15, (.LBB1_5835-.Lpost_getpc13669)>>32
	s_setpc_b64 s[14:15]
.LBB1_31589:
	s_getpc_b64 s[14:15]
.Lpost_getpc1458:
	s_add_u32 s14, s14, (.LBB1_5836-.Lpost_getpc1458)&4294967295
	s_addc_u32 s15, s15, (.LBB1_5836-.Lpost_getpc1458)>>32
	s_setpc_b64 s[14:15]
.LBB1_20173:
	s_movk_i32 s4, 0x80
	v_cmp_eq_u16_sdwa s[12:13], v3, s4 src0_sel:BYTE_0 src1_sel:DWORD
	s_mov_b64 s[4:5], -1
                                        ; implicit-def: $sgpr10
	s_and_saveexec_b64 s[8:9], s[12:13]
; %bb.20174:
	s_mov_b32 s10, 0x7f800001
	s_xor_b64 s[4:5], exec, -1
; %bb.20175:
	s_or_b64 exec, exec, s[8:9]
	s_and_b64 s[4:5], s[4:5], exec
	s_or_saveexec_b64 s[6:7], s[6:7]
	v_mov_b32_e32 v6, s10
	s_xor_b64 exec, exec, s[6:7]
	s_cbranch_execnz .LBB1_20176
; %bb.56013:
	s_getpc_b64 s[14:15]
.Lpost_getpc13670:
	s_add_u32 s14, s14, (.LBB1_5838-.Lpost_getpc13670)&4294967295
	s_addc_u32 s15, s15, (.LBB1_5838-.Lpost_getpc13670)>>32
	s_setpc_b64 s[14:15]
.LBB1_20176:
	v_mov_b32_e32 v6, 0
	v_cmp_ne_u16_sdwa s[8:9], v3, v6 src0_sel:BYTE_0 src1_sel:DWORD
	s_andn2_b64 s[4:5], s[4:5], exec
	s_and_b64 s[8:9], s[8:9], exec
	s_or_b64 s[4:5], s[4:5], s[8:9]
	s_or_b64 exec, exec, s[6:7]
	s_and_saveexec_b64 s[6:7], s[4:5]
	s_cbranch_execz .LBB1_31591
; %bb.56015:
	s_getpc_b64 s[14:15]
.Lpost_getpc13671:
	s_add_u32 s14, s14, (.LBB1_5839-.Lpost_getpc13671)&4294967295
	s_addc_u32 s15, s15, (.LBB1_5839-.Lpost_getpc13671)>>32
	s_setpc_b64 s[14:15]
.LBB1_31591:
	s_getpc_b64 s[14:15]
.Lpost_getpc1459:
	s_add_u32 s14, s14, (.LBB1_5840-.Lpost_getpc1459)&4294967295
	s_addc_u32 s15, s15, (.LBB1_5840-.Lpost_getpc1459)>>32
	s_setpc_b64 s[14:15]
.LBB1_20177:
	s_movk_i32 s4, 0x80
	v_cmp_eq_u16_e32 vcc, s4, v3
	s_mov_b64 s[4:5], -1
                                        ; implicit-def: $sgpr10
	s_and_saveexec_b64 s[8:9], vcc
; %bb.20178:
	s_mov_b32 s10, 0x7f800001
	s_xor_b64 s[4:5], exec, -1
; %bb.20179:
	s_or_b64 exec, exec, s[8:9]
	s_and_b64 s[4:5], s[4:5], exec
                                        ; implicit-def: $vgpr3
	s_or_saveexec_b64 s[6:7], s[6:7]
	v_mov_b32_e32 v2, s10
	s_xor_b64 exec, exec, s[6:7]
	s_cbranch_execnz .LBB1_20180
; %bb.56017:
	s_getpc_b64 s[14:15]
.Lpost_getpc13672:
	s_add_u32 s14, s14, (.LBB1_5842-.Lpost_getpc13672)&4294967295
	s_addc_u32 s15, s15, (.LBB1_5842-.Lpost_getpc13672)>>32
	s_setpc_b64 s[14:15]
.LBB1_20180:
	v_cmp_ne_u16_e32 vcc, 0, v3
	s_andn2_b64 s[4:5], s[4:5], exec
	s_and_b64 s[8:9], vcc, exec
	v_mov_b32_e32 v2, 0
	s_or_b64 s[4:5], s[4:5], s[8:9]
	s_or_b64 exec, exec, s[6:7]
	s_and_saveexec_b64 s[6:7], s[4:5]
	s_cbranch_execz .LBB1_31593
; %bb.56019:
	s_getpc_b64 s[14:15]
.Lpost_getpc13673:
	s_add_u32 s14, s14, (.LBB1_5843-.Lpost_getpc13673)&4294967295
	s_addc_u32 s15, s15, (.LBB1_5843-.Lpost_getpc13673)>>32
	s_setpc_b64 s[14:15]
.LBB1_31593:
	s_getpc_b64 s[14:15]
.Lpost_getpc1460:
	s_add_u32 s14, s14, (.LBB1_5844-.Lpost_getpc1460)&4294967295
	s_addc_u32 s15, s15, (.LBB1_5844-.Lpost_getpc1460)>>32
	s_setpc_b64 s[14:15]
.LBB1_20181:
	s_movk_i32 s4, 0x80
	v_cmp_eq_u16_e32 vcc, s4, v3
	s_mov_b64 s[4:5], -1
                                        ; implicit-def: $sgpr10
	s_and_saveexec_b64 s[8:9], vcc
; %bb.20182:
	s_mov_b32 s10, 0x7f800001
	s_xor_b64 s[4:5], exec, -1
; %bb.20183:
	s_or_b64 exec, exec, s[8:9]
	s_and_b64 s[4:5], s[4:5], exec
                                        ; implicit-def: $vgpr3
	s_or_saveexec_b64 s[6:7], s[6:7]
	v_mov_b32_e32 v6, s10
	s_xor_b64 exec, exec, s[6:7]
	s_cbranch_execnz .LBB1_20184
; %bb.56021:
	s_getpc_b64 s[14:15]
.Lpost_getpc13674:
	s_add_u32 s14, s14, (.LBB1_5846-.Lpost_getpc13674)&4294967295
	s_addc_u32 s15, s15, (.LBB1_5846-.Lpost_getpc13674)>>32
	s_setpc_b64 s[14:15]
.LBB1_20184:
	v_cmp_ne_u16_e32 vcc, 0, v3
	s_andn2_b64 s[4:5], s[4:5], exec
	s_and_b64 s[8:9], vcc, exec
	v_mov_b32_e32 v6, 0
	s_or_b64 s[4:5], s[4:5], s[8:9]
	s_or_b64 exec, exec, s[6:7]
	s_and_saveexec_b64 s[6:7], s[4:5]
	s_cbranch_execz .LBB1_31595
; %bb.56023:
	s_getpc_b64 s[14:15]
.Lpost_getpc13675:
	s_add_u32 s14, s14, (.LBB1_5847-.Lpost_getpc13675)&4294967295
	s_addc_u32 s15, s15, (.LBB1_5847-.Lpost_getpc13675)>>32
	s_setpc_b64 s[14:15]
.LBB1_31595:
	s_getpc_b64 s[14:15]
.Lpost_getpc1461:
	s_add_u32 s14, s14, (.LBB1_5848-.Lpost_getpc1461)&4294967295
	s_addc_u32 s15, s15, (.LBB1_5848-.Lpost_getpc1461)>>32
	s_setpc_b64 s[14:15]
.LBB1_20185:
	s_movk_i32 s4, 0x80
	v_cmp_eq_u16_sdwa s[12:13], v8, s4 src0_sel:BYTE_3 src1_sel:DWORD
	s_mov_b64 s[4:5], -1
                                        ; implicit-def: $sgpr10
	s_and_saveexec_b64 s[8:9], s[12:13]
; %bb.20186:
	s_mov_b32 s10, 0x7f800001
	s_xor_b64 s[4:5], exec, -1
; %bb.20187:
	s_or_b64 exec, exec, s[8:9]
	s_and_b64 s[4:5], s[4:5], exec
	s_or_saveexec_b64 s[6:7], s[6:7]
	v_mov_b32_e32 v2, s10
	s_xor_b64 exec, exec, s[6:7]
	s_cbranch_execnz .LBB1_20188
; %bb.56025:
	s_getpc_b64 s[14:15]
.Lpost_getpc13676:
	s_add_u32 s14, s14, (.LBB1_5850-.Lpost_getpc13676)&4294967295
	s_addc_u32 s15, s15, (.LBB1_5850-.Lpost_getpc13676)>>32
	s_setpc_b64 s[14:15]
.LBB1_20188:
	v_mov_b32_e32 v2, 0
	v_cmp_ne_u16_sdwa s[8:9], v8, v2 src0_sel:BYTE_3 src1_sel:DWORD
	s_andn2_b64 s[4:5], s[4:5], exec
	s_and_b64 s[8:9], s[8:9], exec
	s_or_b64 s[4:5], s[4:5], s[8:9]
	s_or_b64 exec, exec, s[6:7]
	s_and_saveexec_b64 s[6:7], s[4:5]
	s_cbranch_execz .LBB1_31597
; %bb.56027:
	s_getpc_b64 s[14:15]
.Lpost_getpc13677:
	s_add_u32 s14, s14, (.LBB1_5851-.Lpost_getpc13677)&4294967295
	s_addc_u32 s15, s15, (.LBB1_5851-.Lpost_getpc13677)>>32
	s_setpc_b64 s[14:15]
.LBB1_31597:
	s_getpc_b64 s[14:15]
.Lpost_getpc1462:
	s_add_u32 s14, s14, (.LBB1_5852-.Lpost_getpc1462)&4294967295
	s_addc_u32 s15, s15, (.LBB1_5852-.Lpost_getpc1462)>>32
	s_setpc_b64 s[14:15]
.LBB1_20189:
	s_movk_i32 s4, 0x80
	v_cmp_eq_u16_sdwa s[12:13], v4, s4 src0_sel:BYTE_3 src1_sel:DWORD
	s_mov_b64 s[4:5], -1
                                        ; implicit-def: $sgpr10
	s_and_saveexec_b64 s[8:9], s[12:13]
; %bb.20190:
	s_mov_b32 s10, 0x7f800001
	s_xor_b64 s[4:5], exec, -1
; %bb.20191:
	s_or_b64 exec, exec, s[8:9]
	s_and_b64 s[4:5], s[4:5], exec
	s_or_saveexec_b64 s[6:7], s[6:7]
	v_mov_b32_e32 v3, s10
	s_xor_b64 exec, exec, s[6:7]
	s_cbranch_execnz .LBB1_20192
; %bb.56029:
	s_getpc_b64 s[14:15]
.Lpost_getpc13678:
	s_add_u32 s14, s14, (.LBB1_5854-.Lpost_getpc13678)&4294967295
	s_addc_u32 s15, s15, (.LBB1_5854-.Lpost_getpc13678)>>32
	s_setpc_b64 s[14:15]
.LBB1_20192:
	v_mov_b32_e32 v3, 0
	v_cmp_ne_u16_sdwa s[8:9], v4, v3 src0_sel:BYTE_3 src1_sel:DWORD
	s_andn2_b64 s[4:5], s[4:5], exec
	s_and_b64 s[8:9], s[8:9], exec
	s_or_b64 s[4:5], s[4:5], s[8:9]
	s_or_b64 exec, exec, s[6:7]
	s_and_saveexec_b64 s[6:7], s[4:5]
	s_cbranch_execz .LBB1_31599
; %bb.56031:
	s_getpc_b64 s[14:15]
.Lpost_getpc13679:
	s_add_u32 s14, s14, (.LBB1_5855-.Lpost_getpc13679)&4294967295
	s_addc_u32 s15, s15, (.LBB1_5855-.Lpost_getpc13679)>>32
	s_setpc_b64 s[14:15]
.LBB1_31599:
	s_getpc_b64 s[14:15]
.Lpost_getpc1463:
	s_add_u32 s14, s14, (.LBB1_5856-.Lpost_getpc1463)&4294967295
	s_addc_u32 s15, s15, (.LBB1_5856-.Lpost_getpc1463)>>32
	s_setpc_b64 s[14:15]
.LBB1_20193:
	s_movk_i32 s4, 0x80
	v_cmp_eq_u16_sdwa s[12:13], v9, s4 src0_sel:BYTE_0 src1_sel:DWORD
	s_mov_b64 s[4:5], -1
                                        ; implicit-def: $sgpr10
	s_and_saveexec_b64 s[8:9], s[12:13]
; %bb.20194:
	s_mov_b32 s10, 0x7f800001
	s_xor_b64 s[4:5], exec, -1
; %bb.20195:
	s_or_b64 exec, exec, s[8:9]
	s_and_b64 s[4:5], s[4:5], exec
	s_or_saveexec_b64 s[6:7], s[6:7]
	v_mov_b32_e32 v2, s10
	s_xor_b64 exec, exec, s[6:7]
	s_cbranch_execnz .LBB1_20196
; %bb.56033:
	s_getpc_b64 s[14:15]
.Lpost_getpc13680:
	s_add_u32 s14, s14, (.LBB1_5858-.Lpost_getpc13680)&4294967295
	s_addc_u32 s15, s15, (.LBB1_5858-.Lpost_getpc13680)>>32
	s_setpc_b64 s[14:15]
.LBB1_20196:
	v_mov_b32_e32 v2, 0
	v_cmp_ne_u16_sdwa s[8:9], v9, v2 src0_sel:BYTE_0 src1_sel:DWORD
	s_andn2_b64 s[4:5], s[4:5], exec
	s_and_b64 s[8:9], s[8:9], exec
	s_or_b64 s[4:5], s[4:5], s[8:9]
	s_or_b64 exec, exec, s[6:7]
	s_and_saveexec_b64 s[6:7], s[4:5]
	s_cbranch_execz .LBB1_31601
; %bb.56035:
	s_getpc_b64 s[14:15]
.Lpost_getpc13681:
	s_add_u32 s14, s14, (.LBB1_5859-.Lpost_getpc13681)&4294967295
	s_addc_u32 s15, s15, (.LBB1_5859-.Lpost_getpc13681)>>32
	s_setpc_b64 s[14:15]
.LBB1_31601:
	s_getpc_b64 s[14:15]
.Lpost_getpc1464:
	s_add_u32 s14, s14, (.LBB1_5860-.Lpost_getpc1464)&4294967295
	s_addc_u32 s15, s15, (.LBB1_5860-.Lpost_getpc1464)>>32
	s_setpc_b64 s[14:15]
.LBB1_20197:
	s_movk_i32 s4, 0x80
	v_cmp_eq_u16_sdwa s[12:13], v5, s4 src0_sel:BYTE_0 src1_sel:DWORD
	s_mov_b64 s[4:5], -1
                                        ; implicit-def: $sgpr10
	s_and_saveexec_b64 s[8:9], s[12:13]
; %bb.20198:
	s_mov_b32 s10, 0x7f800001
	s_xor_b64 s[4:5], exec, -1
; %bb.20199:
	s_or_b64 exec, exec, s[8:9]
	s_and_b64 s[4:5], s[4:5], exec
	s_or_saveexec_b64 s[6:7], s[6:7]
	v_mov_b32_e32 v3, s10
	s_xor_b64 exec, exec, s[6:7]
	s_cbranch_execnz .LBB1_20200
; %bb.56037:
	s_getpc_b64 s[14:15]
.Lpost_getpc13682:
	s_add_u32 s14, s14, (.LBB1_5862-.Lpost_getpc13682)&4294967295
	s_addc_u32 s15, s15, (.LBB1_5862-.Lpost_getpc13682)>>32
	s_setpc_b64 s[14:15]
.LBB1_20200:
	v_mov_b32_e32 v3, 0
	v_cmp_ne_u16_sdwa s[8:9], v5, v3 src0_sel:BYTE_0 src1_sel:DWORD
	s_andn2_b64 s[4:5], s[4:5], exec
	s_and_b64 s[8:9], s[8:9], exec
	s_or_b64 s[4:5], s[4:5], s[8:9]
	s_or_b64 exec, exec, s[6:7]
	s_and_saveexec_b64 s[6:7], s[4:5]
	s_cbranch_execz .LBB1_31603
; %bb.56039:
	s_getpc_b64 s[14:15]
.Lpost_getpc13683:
	s_add_u32 s14, s14, (.LBB1_5863-.Lpost_getpc13683)&4294967295
	s_addc_u32 s15, s15, (.LBB1_5863-.Lpost_getpc13683)>>32
	s_setpc_b64 s[14:15]
.LBB1_31603:
	s_getpc_b64 s[14:15]
.Lpost_getpc1465:
	s_add_u32 s14, s14, (.LBB1_5864-.Lpost_getpc1465)&4294967295
	s_addc_u32 s15, s15, (.LBB1_5864-.Lpost_getpc1465)>>32
	s_setpc_b64 s[14:15]
.LBB1_20201:
	s_movk_i32 s4, 0x80
	v_cmp_eq_u16_sdwa s[12:13], v3, s4 src0_sel:BYTE_0 src1_sel:DWORD
	s_mov_b64 s[4:5], -1
                                        ; implicit-def: $sgpr10
	s_and_saveexec_b64 s[8:9], s[12:13]
; %bb.20202:
	s_mov_b32 s10, 0x7f800001
	s_xor_b64 s[4:5], exec, -1
; %bb.20203:
	s_or_b64 exec, exec, s[8:9]
	s_and_b64 s[4:5], s[4:5], exec
	s_or_saveexec_b64 s[6:7], s[6:7]
	v_mov_b32_e32 v2, s10
	s_xor_b64 exec, exec, s[6:7]
	s_cbranch_execnz .LBB1_20204
; %bb.56041:
	s_getpc_b64 s[14:15]
.Lpost_getpc13684:
	s_add_u32 s14, s14, (.LBB1_5866-.Lpost_getpc13684)&4294967295
	s_addc_u32 s15, s15, (.LBB1_5866-.Lpost_getpc13684)>>32
	s_setpc_b64 s[14:15]
.LBB1_20204:
	v_mov_b32_e32 v2, 0
	v_cmp_ne_u16_sdwa s[8:9], v3, v2 src0_sel:BYTE_0 src1_sel:DWORD
	s_andn2_b64 s[4:5], s[4:5], exec
	s_and_b64 s[8:9], s[8:9], exec
	s_or_b64 s[4:5], s[4:5], s[8:9]
	s_or_b64 exec, exec, s[6:7]
	s_and_saveexec_b64 s[6:7], s[4:5]
	s_cbranch_execz .LBB1_31605
; %bb.56043:
	s_getpc_b64 s[14:15]
.Lpost_getpc13685:
	s_add_u32 s14, s14, (.LBB1_5867-.Lpost_getpc13685)&4294967295
	s_addc_u32 s15, s15, (.LBB1_5867-.Lpost_getpc13685)>>32
	s_setpc_b64 s[14:15]
.LBB1_31605:
	s_getpc_b64 s[14:15]
.Lpost_getpc1466:
	s_add_u32 s14, s14, (.LBB1_5868-.Lpost_getpc1466)&4294967295
	s_addc_u32 s15, s15, (.LBB1_5868-.Lpost_getpc1466)>>32
	s_setpc_b64 s[14:15]
.LBB1_20205:
	s_movk_i32 s4, 0x80
	v_cmp_eq_u16_sdwa s[12:13], v3, s4 src0_sel:BYTE_0 src1_sel:DWORD
	s_mov_b64 s[4:5], -1
                                        ; implicit-def: $sgpr10
	s_and_saveexec_b64 s[8:9], s[12:13]
; %bb.20206:
	s_mov_b32 s10, 0x7f800001
	s_xor_b64 s[4:5], exec, -1
; %bb.20207:
	s_or_b64 exec, exec, s[8:9]
	s_and_b64 s[4:5], s[4:5], exec
	s_or_saveexec_b64 s[6:7], s[6:7]
	v_mov_b32_e32 v4, s10
	s_xor_b64 exec, exec, s[6:7]
	s_cbranch_execnz .LBB1_20208
; %bb.56045:
	s_getpc_b64 s[14:15]
.Lpost_getpc13686:
	s_add_u32 s14, s14, (.LBB1_5870-.Lpost_getpc13686)&4294967295
	s_addc_u32 s15, s15, (.LBB1_5870-.Lpost_getpc13686)>>32
	s_setpc_b64 s[14:15]
.LBB1_20208:
	v_mov_b32_e32 v4, 0
	v_cmp_ne_u16_sdwa s[8:9], v3, v4 src0_sel:BYTE_0 src1_sel:DWORD
	s_andn2_b64 s[4:5], s[4:5], exec
	s_and_b64 s[8:9], s[8:9], exec
	s_or_b64 s[4:5], s[4:5], s[8:9]
	s_or_b64 exec, exec, s[6:7]
	s_and_saveexec_b64 s[6:7], s[4:5]
	s_cbranch_execz .LBB1_31607
; %bb.56047:
	s_getpc_b64 s[14:15]
.Lpost_getpc13687:
	s_add_u32 s14, s14, (.LBB1_5871-.Lpost_getpc13687)&4294967295
	s_addc_u32 s15, s15, (.LBB1_5871-.Lpost_getpc13687)>>32
	s_setpc_b64 s[14:15]
.LBB1_31607:
	s_getpc_b64 s[14:15]
.Lpost_getpc1467:
	s_add_u32 s14, s14, (.LBB1_5872-.Lpost_getpc1467)&4294967295
	s_addc_u32 s15, s15, (.LBB1_5872-.Lpost_getpc1467)>>32
	s_setpc_b64 s[14:15]
.LBB1_20209:
	s_movk_i32 s4, 0x80
	v_cmp_eq_u16_e32 vcc, s4, v3
	s_mov_b64 s[4:5], -1
                                        ; implicit-def: $sgpr10
	s_and_saveexec_b64 s[8:9], vcc
; %bb.20210:
	s_mov_b32 s10, 0x7f800001
	s_xor_b64 s[4:5], exec, -1
; %bb.20211:
	s_or_b64 exec, exec, s[8:9]
	s_and_b64 s[4:5], s[4:5], exec
                                        ; implicit-def: $vgpr3
	s_or_saveexec_b64 s[6:7], s[6:7]
	v_mov_b32_e32 v2, s10
	s_xor_b64 exec, exec, s[6:7]
	s_cbranch_execnz .LBB1_20212
; %bb.56049:
	s_getpc_b64 s[14:15]
.Lpost_getpc13688:
	s_add_u32 s14, s14, (.LBB1_5874-.Lpost_getpc13688)&4294967295
	s_addc_u32 s15, s15, (.LBB1_5874-.Lpost_getpc13688)>>32
	s_setpc_b64 s[14:15]
.LBB1_20212:
	v_cmp_ne_u16_e32 vcc, 0, v3
	s_andn2_b64 s[4:5], s[4:5], exec
	s_and_b64 s[8:9], vcc, exec
	v_mov_b32_e32 v2, 0
	s_or_b64 s[4:5], s[4:5], s[8:9]
	s_or_b64 exec, exec, s[6:7]
	s_and_saveexec_b64 s[6:7], s[4:5]
	s_cbranch_execz .LBB1_31609
; %bb.56051:
	s_getpc_b64 s[14:15]
.Lpost_getpc13689:
	s_add_u32 s14, s14, (.LBB1_5875-.Lpost_getpc13689)&4294967295
	s_addc_u32 s15, s15, (.LBB1_5875-.Lpost_getpc13689)>>32
	s_setpc_b64 s[14:15]
.LBB1_31609:
	s_getpc_b64 s[14:15]
.Lpost_getpc1468:
	s_add_u32 s14, s14, (.LBB1_5876-.Lpost_getpc1468)&4294967295
	s_addc_u32 s15, s15, (.LBB1_5876-.Lpost_getpc1468)>>32
	s_setpc_b64 s[14:15]
.LBB1_20213:
	s_movk_i32 s4, 0x80
	v_cmp_eq_u16_e32 vcc, s4, v3
	s_mov_b64 s[4:5], -1
                                        ; implicit-def: $sgpr10
	s_and_saveexec_b64 s[8:9], vcc
; %bb.20214:
	s_mov_b32 s10, 0x7f800001
	s_xor_b64 s[4:5], exec, -1
; %bb.20215:
	s_or_b64 exec, exec, s[8:9]
	s_and_b64 s[4:5], s[4:5], exec
                                        ; implicit-def: $vgpr3
	s_or_saveexec_b64 s[6:7], s[6:7]
	v_mov_b32_e32 v4, s10
	s_xor_b64 exec, exec, s[6:7]
	s_cbranch_execnz .LBB1_20216
; %bb.56053:
	s_getpc_b64 s[14:15]
.Lpost_getpc13690:
	s_add_u32 s14, s14, (.LBB1_5878-.Lpost_getpc13690)&4294967295
	s_addc_u32 s15, s15, (.LBB1_5878-.Lpost_getpc13690)>>32
	s_setpc_b64 s[14:15]
.LBB1_20216:
	v_cmp_ne_u16_e32 vcc, 0, v3
	s_andn2_b64 s[4:5], s[4:5], exec
	s_and_b64 s[8:9], vcc, exec
	v_mov_b32_e32 v4, 0
	s_or_b64 s[4:5], s[4:5], s[8:9]
	s_or_b64 exec, exec, s[6:7]
	s_and_saveexec_b64 s[6:7], s[4:5]
	s_cbranch_execz .LBB1_31611
; %bb.56055:
	s_getpc_b64 s[14:15]
.Lpost_getpc13691:
	s_add_u32 s14, s14, (.LBB1_5879-.Lpost_getpc13691)&4294967295
	s_addc_u32 s15, s15, (.LBB1_5879-.Lpost_getpc13691)>>32
	s_setpc_b64 s[14:15]
.LBB1_31611:
	s_getpc_b64 s[14:15]
.Lpost_getpc1469:
	s_add_u32 s14, s14, (.LBB1_5880-.Lpost_getpc1469)&4294967295
	s_addc_u32 s15, s15, (.LBB1_5880-.Lpost_getpc1469)>>32
	s_setpc_b64 s[14:15]
.LBB1_20217:
	s_movk_i32 s4, 0x80
	v_cmp_eq_u16_sdwa s[12:13], v9, s4 src0_sel:BYTE_3 src1_sel:DWORD
	s_mov_b64 s[4:5], -1
                                        ; implicit-def: $sgpr10
	s_and_saveexec_b64 s[8:9], s[12:13]
; %bb.20218:
	s_mov_b32 s10, 0x7f800001
	s_xor_b64 s[4:5], exec, -1
; %bb.20219:
	s_or_b64 exec, exec, s[8:9]
	s_and_b64 s[4:5], s[4:5], exec
	s_or_saveexec_b64 s[6:7], s[6:7]
	v_mov_b32_e32 v2, s10
	s_xor_b64 exec, exec, s[6:7]
	s_cbranch_execnz .LBB1_20220
; %bb.56057:
	s_getpc_b64 s[14:15]
.Lpost_getpc13692:
	s_add_u32 s14, s14, (.LBB1_5882-.Lpost_getpc13692)&4294967295
	s_addc_u32 s15, s15, (.LBB1_5882-.Lpost_getpc13692)>>32
	s_setpc_b64 s[14:15]
.LBB1_20220:
	v_mov_b32_e32 v2, 0
	v_cmp_ne_u16_sdwa s[8:9], v9, v2 src0_sel:BYTE_3 src1_sel:DWORD
	s_andn2_b64 s[4:5], s[4:5], exec
	s_and_b64 s[8:9], s[8:9], exec
	s_or_b64 s[4:5], s[4:5], s[8:9]
	s_or_b64 exec, exec, s[6:7]
	s_and_saveexec_b64 s[6:7], s[4:5]
	s_cbranch_execz .LBB1_31613
; %bb.56059:
	s_getpc_b64 s[14:15]
.Lpost_getpc13693:
	s_add_u32 s14, s14, (.LBB1_5883-.Lpost_getpc13693)&4294967295
	s_addc_u32 s15, s15, (.LBB1_5883-.Lpost_getpc13693)>>32
	s_setpc_b64 s[14:15]
.LBB1_31613:
	s_getpc_b64 s[14:15]
.Lpost_getpc1470:
	s_add_u32 s14, s14, (.LBB1_5884-.Lpost_getpc1470)&4294967295
	s_addc_u32 s15, s15, (.LBB1_5884-.Lpost_getpc1470)>>32
	s_setpc_b64 s[14:15]
.LBB1_20221:
	s_movk_i32 s4, 0x80
	v_cmp_eq_u16_sdwa s[12:13], v5, s4 src0_sel:BYTE_3 src1_sel:DWORD
	s_mov_b64 s[4:5], -1
                                        ; implicit-def: $sgpr10
	s_and_saveexec_b64 s[8:9], s[12:13]
; %bb.20222:
	s_mov_b32 s10, 0x7f800001
	s_xor_b64 s[4:5], exec, -1
; %bb.20223:
	s_or_b64 exec, exec, s[8:9]
	s_and_b64 s[4:5], s[4:5], exec
	s_or_saveexec_b64 s[6:7], s[6:7]
	v_mov_b32_e32 v3, s10
	s_xor_b64 exec, exec, s[6:7]
	s_cbranch_execnz .LBB1_20224
; %bb.56061:
	s_getpc_b64 s[14:15]
.Lpost_getpc13694:
	s_add_u32 s14, s14, (.LBB1_5886-.Lpost_getpc13694)&4294967295
	s_addc_u32 s15, s15, (.LBB1_5886-.Lpost_getpc13694)>>32
	s_setpc_b64 s[14:15]
.LBB1_20224:
	v_mov_b32_e32 v3, 0
	v_cmp_ne_u16_sdwa s[8:9], v5, v3 src0_sel:BYTE_3 src1_sel:DWORD
	s_andn2_b64 s[4:5], s[4:5], exec
	s_and_b64 s[8:9], s[8:9], exec
	s_or_b64 s[4:5], s[4:5], s[8:9]
	s_or_b64 exec, exec, s[6:7]
	s_and_saveexec_b64 s[6:7], s[4:5]
	s_cbranch_execz .LBB1_31615
; %bb.56063:
	s_getpc_b64 s[14:15]
.Lpost_getpc13695:
	s_add_u32 s14, s14, (.LBB1_5887-.Lpost_getpc13695)&4294967295
	s_addc_u32 s15, s15, (.LBB1_5887-.Lpost_getpc13695)>>32
	s_setpc_b64 s[14:15]
.LBB1_31615:
	s_getpc_b64 s[14:15]
.Lpost_getpc1471:
	s_add_u32 s14, s14, (.LBB1_5888-.Lpost_getpc1471)&4294967295
	s_addc_u32 s15, s15, (.LBB1_5888-.Lpost_getpc1471)>>32
	s_setpc_b64 s[14:15]
.LBB1_20225:
	s_movk_i32 s4, 0x80
	v_cmp_eq_u16_sdwa s[12:13], v6, s4 src0_sel:BYTE_0 src1_sel:DWORD
	s_mov_b64 s[4:5], -1
                                        ; implicit-def: $sgpr10
	s_and_saveexec_b64 s[8:9], s[12:13]
; %bb.20226:
	s_mov_b32 s10, 0x7f800001
	s_xor_b64 s[4:5], exec, -1
; %bb.20227:
	s_or_b64 exec, exec, s[8:9]
	s_and_b64 s[4:5], s[4:5], exec
	s_or_saveexec_b64 s[6:7], s[6:7]
	v_mov_b32_e32 v12, s10
	s_xor_b64 exec, exec, s[6:7]
	s_cbranch_execnz .LBB1_20228
; %bb.56065:
	s_getpc_b64 s[14:15]
.Lpost_getpc13696:
	s_add_u32 s14, s14, (.LBB1_5890-.Lpost_getpc13696)&4294967295
	s_addc_u32 s15, s15, (.LBB1_5890-.Lpost_getpc13696)>>32
	s_setpc_b64 s[14:15]
.LBB1_20228:
	v_mov_b32_e32 v12, 0
	v_cmp_ne_u16_sdwa s[8:9], v6, v12 src0_sel:BYTE_0 src1_sel:DWORD
	s_andn2_b64 s[4:5], s[4:5], exec
	s_and_b64 s[8:9], s[8:9], exec
	s_or_b64 s[4:5], s[4:5], s[8:9]
	s_or_b64 exec, exec, s[6:7]
	s_and_saveexec_b64 s[6:7], s[4:5]
	s_cbranch_execz .LBB1_31617
; %bb.56067:
	s_getpc_b64 s[14:15]
.Lpost_getpc13697:
	s_add_u32 s14, s14, (.LBB1_5891-.Lpost_getpc13697)&4294967295
	s_addc_u32 s15, s15, (.LBB1_5891-.Lpost_getpc13697)>>32
	s_setpc_b64 s[14:15]
.LBB1_31617:
	s_getpc_b64 s[14:15]
.Lpost_getpc1472:
	s_add_u32 s14, s14, (.LBB1_5892-.Lpost_getpc1472)&4294967295
	s_addc_u32 s15, s15, (.LBB1_5892-.Lpost_getpc1472)>>32
	s_setpc_b64 s[14:15]
.LBB1_20229:
	s_movk_i32 s4, 0x80
	v_cmp_eq_u16_sdwa s[12:13], v2, s4 src0_sel:BYTE_0 src1_sel:DWORD
	s_mov_b64 s[4:5], -1
                                        ; implicit-def: $sgpr10
	s_and_saveexec_b64 s[8:9], s[12:13]
; %bb.20230:
	s_mov_b32 s10, 0x7f800001
	s_xor_b64 s[4:5], exec, -1
; %bb.20231:
	s_or_b64 exec, exec, s[8:9]
	s_and_b64 s[4:5], s[4:5], exec
	s_or_saveexec_b64 s[6:7], s[6:7]
	v_mov_b32_e32 v13, s10
	s_xor_b64 exec, exec, s[6:7]
	s_cbranch_execnz .LBB1_20232
; %bb.56069:
	s_getpc_b64 s[14:15]
.Lpost_getpc13698:
	s_add_u32 s14, s14, (.LBB1_5894-.Lpost_getpc13698)&4294967295
	s_addc_u32 s15, s15, (.LBB1_5894-.Lpost_getpc13698)>>32
	s_setpc_b64 s[14:15]
.LBB1_20232:
	v_mov_b32_e32 v13, 0
	v_cmp_ne_u16_sdwa s[8:9], v2, v13 src0_sel:BYTE_0 src1_sel:DWORD
	s_andn2_b64 s[4:5], s[4:5], exec
	s_and_b64 s[8:9], s[8:9], exec
	s_or_b64 s[4:5], s[4:5], s[8:9]
	s_or_b64 exec, exec, s[6:7]
	s_and_saveexec_b64 s[6:7], s[4:5]
	s_cbranch_execz .LBB1_31619
; %bb.56071:
	s_getpc_b64 s[14:15]
.Lpost_getpc13699:
	s_add_u32 s14, s14, (.LBB1_5895-.Lpost_getpc13699)&4294967295
	s_addc_u32 s15, s15, (.LBB1_5895-.Lpost_getpc13699)>>32
	s_setpc_b64 s[14:15]
.LBB1_31619:
	s_getpc_b64 s[14:15]
.Lpost_getpc1473:
	s_add_u32 s14, s14, (.LBB1_5896-.Lpost_getpc1473)&4294967295
	s_addc_u32 s15, s15, (.LBB1_5896-.Lpost_getpc1473)>>32
	s_setpc_b64 s[14:15]
.LBB1_20233:
	s_movk_i32 s4, 0x80
	v_cmp_eq_u16_sdwa s[12:13], v13, s4 src0_sel:BYTE_0 src1_sel:DWORD
	s_mov_b64 s[4:5], -1
                                        ; implicit-def: $sgpr10
	s_and_saveexec_b64 s[8:9], s[12:13]
; %bb.20234:
	s_mov_b32 s10, 0x7f800001
	s_xor_b64 s[4:5], exec, -1
; %bb.20235:
	s_or_b64 exec, exec, s[8:9]
	s_and_b64 s[4:5], s[4:5], exec
	s_or_saveexec_b64 s[6:7], s[6:7]
	v_mov_b32_e32 v12, s10
	s_xor_b64 exec, exec, s[6:7]
	s_cbranch_execnz .LBB1_20236
; %bb.56073:
	s_getpc_b64 s[14:15]
.Lpost_getpc13700:
	s_add_u32 s14, s14, (.LBB1_5898-.Lpost_getpc13700)&4294967295
	s_addc_u32 s15, s15, (.LBB1_5898-.Lpost_getpc13700)>>32
	s_setpc_b64 s[14:15]
.LBB1_20236:
	v_mov_b32_e32 v12, 0
	v_cmp_ne_u16_sdwa s[8:9], v13, v12 src0_sel:BYTE_0 src1_sel:DWORD
	s_andn2_b64 s[4:5], s[4:5], exec
	s_and_b64 s[8:9], s[8:9], exec
	s_or_b64 s[4:5], s[4:5], s[8:9]
	s_or_b64 exec, exec, s[6:7]
	s_and_saveexec_b64 s[6:7], s[4:5]
	s_cbranch_execz .LBB1_31621
; %bb.56075:
	s_getpc_b64 s[14:15]
.Lpost_getpc13701:
	s_add_u32 s14, s14, (.LBB1_5899-.Lpost_getpc13701)&4294967295
	s_addc_u32 s15, s15, (.LBB1_5899-.Lpost_getpc13701)>>32
	s_setpc_b64 s[14:15]
.LBB1_31621:
	s_getpc_b64 s[14:15]
.Lpost_getpc1474:
	s_add_u32 s14, s14, (.LBB1_5900-.Lpost_getpc1474)&4294967295
	s_addc_u32 s15, s15, (.LBB1_5900-.Lpost_getpc1474)>>32
	s_setpc_b64 s[14:15]
.LBB1_20237:
	s_movk_i32 s4, 0x80
	v_cmp_eq_u16_sdwa s[12:13], v13, s4 src0_sel:BYTE_0 src1_sel:DWORD
	s_mov_b64 s[4:5], -1
                                        ; implicit-def: $sgpr10
	s_and_saveexec_b64 s[8:9], s[12:13]
; %bb.20238:
	s_mov_b32 s10, 0x7f800001
	s_xor_b64 s[4:5], exec, -1
; %bb.20239:
	s_or_b64 exec, exec, s[8:9]
	s_and_b64 s[4:5], s[4:5], exec
	s_or_saveexec_b64 s[6:7], s[6:7]
	v_mov_b32_e32 v14, s10
	s_xor_b64 exec, exec, s[6:7]
	s_cbranch_execnz .LBB1_20240
; %bb.56077:
	s_getpc_b64 s[14:15]
.Lpost_getpc13702:
	s_add_u32 s14, s14, (.LBB1_5902-.Lpost_getpc13702)&4294967295
	s_addc_u32 s15, s15, (.LBB1_5902-.Lpost_getpc13702)>>32
	s_setpc_b64 s[14:15]
.LBB1_20240:
	v_mov_b32_e32 v14, 0
	v_cmp_ne_u16_sdwa s[8:9], v13, v14 src0_sel:BYTE_0 src1_sel:DWORD
	s_andn2_b64 s[4:5], s[4:5], exec
	s_and_b64 s[8:9], s[8:9], exec
	s_or_b64 s[4:5], s[4:5], s[8:9]
	s_or_b64 exec, exec, s[6:7]
	s_and_saveexec_b64 s[6:7], s[4:5]
	s_cbranch_execz .LBB1_31623
; %bb.56079:
	s_getpc_b64 s[14:15]
.Lpost_getpc13703:
	s_add_u32 s14, s14, (.LBB1_5903-.Lpost_getpc13703)&4294967295
	s_addc_u32 s15, s15, (.LBB1_5903-.Lpost_getpc13703)>>32
	s_setpc_b64 s[14:15]
.LBB1_31623:
	s_getpc_b64 s[14:15]
.Lpost_getpc1475:
	s_add_u32 s14, s14, (.LBB1_5904-.Lpost_getpc1475)&4294967295
	s_addc_u32 s15, s15, (.LBB1_5904-.Lpost_getpc1475)>>32
	s_setpc_b64 s[14:15]
.LBB1_20241:
	s_movk_i32 s4, 0x80
	v_cmp_eq_u16_e32 vcc, s4, v13
	s_mov_b64 s[4:5], -1
                                        ; implicit-def: $sgpr10
	s_and_saveexec_b64 s[8:9], vcc
; %bb.20242:
	s_mov_b32 s10, 0x7f800001
	s_xor_b64 s[4:5], exec, -1
; %bb.20243:
	s_or_b64 exec, exec, s[8:9]
	s_and_b64 s[4:5], s[4:5], exec
                                        ; implicit-def: $vgpr13
	s_or_saveexec_b64 s[6:7], s[6:7]
	v_mov_b32_e32 v12, s10
	s_xor_b64 exec, exec, s[6:7]
	s_cbranch_execnz .LBB1_20244
; %bb.56081:
	s_getpc_b64 s[14:15]
.Lpost_getpc13704:
	s_add_u32 s14, s14, (.LBB1_5906-.Lpost_getpc13704)&4294967295
	s_addc_u32 s15, s15, (.LBB1_5906-.Lpost_getpc13704)>>32
	s_setpc_b64 s[14:15]
.LBB1_20244:
	v_cmp_ne_u16_e32 vcc, 0, v13
	s_andn2_b64 s[4:5], s[4:5], exec
	s_and_b64 s[8:9], vcc, exec
	v_mov_b32_e32 v12, 0
	s_or_b64 s[4:5], s[4:5], s[8:9]
	s_or_b64 exec, exec, s[6:7]
	s_and_saveexec_b64 s[6:7], s[4:5]
	s_cbranch_execz .LBB1_31625
; %bb.56083:
	s_getpc_b64 s[14:15]
.Lpost_getpc13705:
	s_add_u32 s14, s14, (.LBB1_5907-.Lpost_getpc13705)&4294967295
	s_addc_u32 s15, s15, (.LBB1_5907-.Lpost_getpc13705)>>32
	s_setpc_b64 s[14:15]
.LBB1_31625:
	s_getpc_b64 s[14:15]
.Lpost_getpc1476:
	s_add_u32 s14, s14, (.LBB1_5908-.Lpost_getpc1476)&4294967295
	s_addc_u32 s15, s15, (.LBB1_5908-.Lpost_getpc1476)>>32
	s_setpc_b64 s[14:15]
.LBB1_20245:
	s_movk_i32 s4, 0x80
	v_cmp_eq_u16_e32 vcc, s4, v13
	s_mov_b64 s[4:5], -1
                                        ; implicit-def: $sgpr10
	s_and_saveexec_b64 s[8:9], vcc
; %bb.20246:
	s_mov_b32 s10, 0x7f800001
	s_xor_b64 s[4:5], exec, -1
; %bb.20247:
	s_or_b64 exec, exec, s[8:9]
	s_and_b64 s[4:5], s[4:5], exec
                                        ; implicit-def: $vgpr13
	s_or_saveexec_b64 s[6:7], s[6:7]
	v_mov_b32_e32 v14, s10
	s_xor_b64 exec, exec, s[6:7]
	s_cbranch_execnz .LBB1_20248
; %bb.56085:
	s_getpc_b64 s[14:15]
.Lpost_getpc13706:
	s_add_u32 s14, s14, (.LBB1_5910-.Lpost_getpc13706)&4294967295
	s_addc_u32 s15, s15, (.LBB1_5910-.Lpost_getpc13706)>>32
	s_setpc_b64 s[14:15]
.LBB1_20248:
	v_cmp_ne_u16_e32 vcc, 0, v13
	s_andn2_b64 s[4:5], s[4:5], exec
	s_and_b64 s[8:9], vcc, exec
	v_mov_b32_e32 v14, 0
	s_or_b64 s[4:5], s[4:5], s[8:9]
	s_or_b64 exec, exec, s[6:7]
	s_and_saveexec_b64 s[6:7], s[4:5]
	s_cbranch_execz .LBB1_31627
; %bb.56087:
	s_getpc_b64 s[14:15]
.Lpost_getpc13707:
	s_add_u32 s14, s14, (.LBB1_5911-.Lpost_getpc13707)&4294967295
	s_addc_u32 s15, s15, (.LBB1_5911-.Lpost_getpc13707)>>32
	s_setpc_b64 s[14:15]
.LBB1_31627:
	s_getpc_b64 s[14:15]
.Lpost_getpc1477:
	s_add_u32 s14, s14, (.LBB1_5912-.Lpost_getpc1477)&4294967295
	s_addc_u32 s15, s15, (.LBB1_5912-.Lpost_getpc1477)>>32
	s_setpc_b64 s[14:15]
.LBB1_20249:
	s_movk_i32 s4, 0x80
	v_cmp_eq_u16_sdwa s[12:13], v6, s4 src0_sel:BYTE_3 src1_sel:DWORD
	s_mov_b64 s[4:5], -1
                                        ; implicit-def: $sgpr10
	s_and_saveexec_b64 s[8:9], s[12:13]
; %bb.20250:
	s_mov_b32 s10, 0x7f800001
	s_xor_b64 s[4:5], exec, -1
; %bb.20251:
	s_or_b64 exec, exec, s[8:9]
	s_and_b64 s[4:5], s[4:5], exec
	s_or_saveexec_b64 s[6:7], s[6:7]
	v_mov_b32_e32 v12, s10
	s_xor_b64 exec, exec, s[6:7]
	s_cbranch_execnz .LBB1_20252
; %bb.56089:
	s_getpc_b64 s[14:15]
.Lpost_getpc13708:
	s_add_u32 s14, s14, (.LBB1_5914-.Lpost_getpc13708)&4294967295
	s_addc_u32 s15, s15, (.LBB1_5914-.Lpost_getpc13708)>>32
	s_setpc_b64 s[14:15]
.LBB1_20252:
	v_mov_b32_e32 v12, 0
	v_cmp_ne_u16_sdwa s[8:9], v6, v12 src0_sel:BYTE_3 src1_sel:DWORD
	s_andn2_b64 s[4:5], s[4:5], exec
	s_and_b64 s[8:9], s[8:9], exec
	s_or_b64 s[4:5], s[4:5], s[8:9]
	s_or_b64 exec, exec, s[6:7]
	s_and_saveexec_b64 s[6:7], s[4:5]
	s_cbranch_execz .LBB1_31629
; %bb.56091:
	s_getpc_b64 s[14:15]
.Lpost_getpc13709:
	s_add_u32 s14, s14, (.LBB1_5915-.Lpost_getpc13709)&4294967295
	s_addc_u32 s15, s15, (.LBB1_5915-.Lpost_getpc13709)>>32
	s_setpc_b64 s[14:15]
.LBB1_31629:
	s_getpc_b64 s[14:15]
.Lpost_getpc1478:
	s_add_u32 s14, s14, (.LBB1_5916-.Lpost_getpc1478)&4294967295
	s_addc_u32 s15, s15, (.LBB1_5916-.Lpost_getpc1478)>>32
	s_setpc_b64 s[14:15]
.LBB1_20253:
	s_movk_i32 s4, 0x80
	v_cmp_eq_u16_sdwa s[12:13], v2, s4 src0_sel:BYTE_3 src1_sel:DWORD
	s_mov_b64 s[4:5], -1
                                        ; implicit-def: $sgpr10
	s_and_saveexec_b64 s[8:9], s[12:13]
; %bb.20254:
	s_mov_b32 s10, 0x7f800001
	s_xor_b64 s[4:5], exec, -1
; %bb.20255:
	s_or_b64 exec, exec, s[8:9]
	s_and_b64 s[4:5], s[4:5], exec
	s_or_saveexec_b64 s[6:7], s[6:7]
	v_mov_b32_e32 v6, s10
	s_xor_b64 exec, exec, s[6:7]
	s_cbranch_execnz .LBB1_20256
; %bb.56093:
	s_getpc_b64 s[14:15]
.Lpost_getpc13710:
	s_add_u32 s14, s14, (.LBB1_5918-.Lpost_getpc13710)&4294967295
	s_addc_u32 s15, s15, (.LBB1_5918-.Lpost_getpc13710)>>32
	s_setpc_b64 s[14:15]
.LBB1_20256:
	v_mov_b32_e32 v6, 0
	v_cmp_ne_u16_sdwa s[8:9], v2, v6 src0_sel:BYTE_3 src1_sel:DWORD
	s_andn2_b64 s[4:5], s[4:5], exec
	s_and_b64 s[8:9], s[8:9], exec
	s_or_b64 s[4:5], s[4:5], s[8:9]
	s_or_b64 exec, exec, s[6:7]
	s_and_saveexec_b64 s[6:7], s[4:5]
	s_cbranch_execz .LBB1_31631
; %bb.56095:
	s_getpc_b64 s[14:15]
.Lpost_getpc13711:
	s_add_u32 s14, s14, (.LBB1_5919-.Lpost_getpc13711)&4294967295
	s_addc_u32 s15, s15, (.LBB1_5919-.Lpost_getpc13711)>>32
	s_setpc_b64 s[14:15]
.LBB1_31631:
	s_getpc_b64 s[14:15]
.Lpost_getpc1479:
	s_add_u32 s14, s14, (.LBB1_5920-.Lpost_getpc1479)&4294967295
	s_addc_u32 s15, s15, (.LBB1_5920-.Lpost_getpc1479)>>32
	s_setpc_b64 s[14:15]
.LBB1_20257:
	s_movk_i32 s4, 0x80
	v_cmp_eq_u16_sdwa s[12:13], v7, s4 src0_sel:BYTE_0 src1_sel:DWORD
	s_mov_b64 s[4:5], -1
                                        ; implicit-def: $sgpr10
	s_and_saveexec_b64 s[8:9], s[12:13]
; %bb.20258:
	s_mov_b32 s10, 0x7f800001
	s_xor_b64 s[4:5], exec, -1
; %bb.20259:
	s_or_b64 exec, exec, s[8:9]
	s_and_b64 s[4:5], s[4:5], exec
	s_or_saveexec_b64 s[6:7], s[6:7]
	v_mov_b32_e32 v2, s10
	s_xor_b64 exec, exec, s[6:7]
	s_cbranch_execnz .LBB1_20260
; %bb.56097:
	s_getpc_b64 s[14:15]
.Lpost_getpc13712:
	s_add_u32 s14, s14, (.LBB1_5922-.Lpost_getpc13712)&4294967295
	s_addc_u32 s15, s15, (.LBB1_5922-.Lpost_getpc13712)>>32
	s_setpc_b64 s[14:15]
.LBB1_20260:
	v_mov_b32_e32 v2, 0
	v_cmp_ne_u16_sdwa s[8:9], v7, v2 src0_sel:BYTE_0 src1_sel:DWORD
	s_andn2_b64 s[4:5], s[4:5], exec
	s_and_b64 s[8:9], s[8:9], exec
	s_or_b64 s[4:5], s[4:5], s[8:9]
	s_or_b64 exec, exec, s[6:7]
	s_and_saveexec_b64 s[6:7], s[4:5]
	s_cbranch_execz .LBB1_31633
; %bb.56099:
	s_getpc_b64 s[14:15]
.Lpost_getpc13713:
	s_add_u32 s14, s14, (.LBB1_5923-.Lpost_getpc13713)&4294967295
	s_addc_u32 s15, s15, (.LBB1_5923-.Lpost_getpc13713)>>32
	s_setpc_b64 s[14:15]
.LBB1_31633:
	s_getpc_b64 s[14:15]
.Lpost_getpc1480:
	s_add_u32 s14, s14, (.LBB1_5924-.Lpost_getpc1480)&4294967295
	s_addc_u32 s15, s15, (.LBB1_5924-.Lpost_getpc1480)>>32
	s_setpc_b64 s[14:15]
.LBB1_20261:
	s_movk_i32 s4, 0x80
	v_cmp_eq_u16_sdwa s[12:13], v3, s4 src0_sel:BYTE_0 src1_sel:DWORD
	s_mov_b64 s[4:5], -1
                                        ; implicit-def: $sgpr10
	s_and_saveexec_b64 s[8:9], s[12:13]
; %bb.20262:
	s_mov_b32 s10, 0x7f800001
	s_xor_b64 s[4:5], exec, -1
; %bb.20263:
	s_or_b64 exec, exec, s[8:9]
	s_and_b64 s[4:5], s[4:5], exec
	s_or_saveexec_b64 s[6:7], s[6:7]
	v_mov_b32_e32 v6, s10
	s_xor_b64 exec, exec, s[6:7]
	s_cbranch_execnz .LBB1_20264
; %bb.56101:
	s_getpc_b64 s[14:15]
.Lpost_getpc13714:
	s_add_u32 s14, s14, (.LBB1_5926-.Lpost_getpc13714)&4294967295
	s_addc_u32 s15, s15, (.LBB1_5926-.Lpost_getpc13714)>>32
	s_setpc_b64 s[14:15]
.LBB1_20264:
	v_mov_b32_e32 v6, 0
	v_cmp_ne_u16_sdwa s[8:9], v3, v6 src0_sel:BYTE_0 src1_sel:DWORD
	s_andn2_b64 s[4:5], s[4:5], exec
	s_and_b64 s[8:9], s[8:9], exec
	s_or_b64 s[4:5], s[4:5], s[8:9]
	s_or_b64 exec, exec, s[6:7]
	s_and_saveexec_b64 s[6:7], s[4:5]
	s_cbranch_execz .LBB1_31635
; %bb.56103:
	s_getpc_b64 s[14:15]
.Lpost_getpc13715:
	s_add_u32 s14, s14, (.LBB1_5927-.Lpost_getpc13715)&4294967295
	s_addc_u32 s15, s15, (.LBB1_5927-.Lpost_getpc13715)>>32
	s_setpc_b64 s[14:15]
.LBB1_31635:
	s_getpc_b64 s[14:15]
.Lpost_getpc1481:
	s_add_u32 s14, s14, (.LBB1_5928-.Lpost_getpc1481)&4294967295
	s_addc_u32 s15, s15, (.LBB1_5928-.Lpost_getpc1481)>>32
	s_setpc_b64 s[14:15]
.LBB1_20265:
	s_movk_i32 s4, 0x80
	v_cmp_eq_u16_sdwa s[12:13], v6, s4 src0_sel:BYTE_0 src1_sel:DWORD
	s_mov_b64 s[4:5], -1
                                        ; implicit-def: $sgpr10
	s_and_saveexec_b64 s[8:9], s[12:13]
; %bb.20266:
	s_mov_b32 s10, 0x7f800001
	s_xor_b64 s[4:5], exec, -1
; %bb.20267:
	s_or_b64 exec, exec, s[8:9]
	s_and_b64 s[4:5], s[4:5], exec
	s_or_saveexec_b64 s[6:7], s[6:7]
	v_mov_b32_e32 v2, s10
	s_xor_b64 exec, exec, s[6:7]
	s_cbranch_execnz .LBB1_20268
; %bb.56105:
	s_getpc_b64 s[14:15]
.Lpost_getpc13716:
	s_add_u32 s14, s14, (.LBB1_5930-.Lpost_getpc13716)&4294967295
	s_addc_u32 s15, s15, (.LBB1_5930-.Lpost_getpc13716)>>32
	s_setpc_b64 s[14:15]
.LBB1_20268:
	v_mov_b32_e32 v2, 0
	v_cmp_ne_u16_sdwa s[8:9], v6, v2 src0_sel:BYTE_0 src1_sel:DWORD
	s_andn2_b64 s[4:5], s[4:5], exec
	s_and_b64 s[8:9], s[8:9], exec
	s_or_b64 s[4:5], s[4:5], s[8:9]
	s_or_b64 exec, exec, s[6:7]
	s_and_saveexec_b64 s[6:7], s[4:5]
	s_cbranch_execz .LBB1_31637
; %bb.56107:
	s_getpc_b64 s[14:15]
.Lpost_getpc13717:
	s_add_u32 s14, s14, (.LBB1_5931-.Lpost_getpc13717)&4294967295
	s_addc_u32 s15, s15, (.LBB1_5931-.Lpost_getpc13717)>>32
	s_setpc_b64 s[14:15]
.LBB1_31637:
	s_getpc_b64 s[14:15]
.Lpost_getpc1482:
	s_add_u32 s14, s14, (.LBB1_5932-.Lpost_getpc1482)&4294967295
	s_addc_u32 s15, s15, (.LBB1_5932-.Lpost_getpc1482)>>32
	s_setpc_b64 s[14:15]
.LBB1_20269:
	s_movk_i32 s4, 0x80
	v_cmp_eq_u16_sdwa s[12:13], v6, s4 src0_sel:BYTE_0 src1_sel:DWORD
	s_mov_b64 s[4:5], -1
                                        ; implicit-def: $sgpr10
	s_and_saveexec_b64 s[8:9], s[12:13]
; %bb.20270:
	s_mov_b32 s10, 0x7f800001
	s_xor_b64 s[4:5], exec, -1
; %bb.20271:
	s_or_b64 exec, exec, s[8:9]
	s_and_b64 s[4:5], s[4:5], exec
	s_or_saveexec_b64 s[6:7], s[6:7]
	v_mov_b32_e32 v12, s10
	s_xor_b64 exec, exec, s[6:7]
	s_cbranch_execnz .LBB1_20272
; %bb.56109:
	s_getpc_b64 s[14:15]
.Lpost_getpc13718:
	s_add_u32 s14, s14, (.LBB1_5934-.Lpost_getpc13718)&4294967295
	s_addc_u32 s15, s15, (.LBB1_5934-.Lpost_getpc13718)>>32
	s_setpc_b64 s[14:15]
.LBB1_20272:
	v_mov_b32_e32 v12, 0
	v_cmp_ne_u16_sdwa s[8:9], v6, v12 src0_sel:BYTE_0 src1_sel:DWORD
	s_andn2_b64 s[4:5], s[4:5], exec
	s_and_b64 s[8:9], s[8:9], exec
	s_or_b64 s[4:5], s[4:5], s[8:9]
	s_or_b64 exec, exec, s[6:7]
	s_and_saveexec_b64 s[6:7], s[4:5]
	s_cbranch_execz .LBB1_31639
; %bb.56111:
	s_getpc_b64 s[14:15]
.Lpost_getpc13719:
	s_add_u32 s14, s14, (.LBB1_5935-.Lpost_getpc13719)&4294967295
	s_addc_u32 s15, s15, (.LBB1_5935-.Lpost_getpc13719)>>32
	s_setpc_b64 s[14:15]
.LBB1_31639:
	s_getpc_b64 s[14:15]
.Lpost_getpc1483:
	s_add_u32 s14, s14, (.LBB1_5936-.Lpost_getpc1483)&4294967295
	s_addc_u32 s15, s15, (.LBB1_5936-.Lpost_getpc1483)>>32
	s_setpc_b64 s[14:15]
.LBB1_20273:
	s_movk_i32 s4, 0x80
	v_cmp_eq_u16_e32 vcc, s4, v6
	s_mov_b64 s[4:5], -1
                                        ; implicit-def: $sgpr10
	s_and_saveexec_b64 s[8:9], vcc
; %bb.20274:
	s_mov_b32 s10, 0x7f800001
	s_xor_b64 s[4:5], exec, -1
; %bb.20275:
	s_or_b64 exec, exec, s[8:9]
	s_and_b64 s[4:5], s[4:5], exec
                                        ; implicit-def: $vgpr6
	s_or_saveexec_b64 s[6:7], s[6:7]
	v_mov_b32_e32 v2, s10
	s_xor_b64 exec, exec, s[6:7]
	s_cbranch_execnz .LBB1_20276
; %bb.56113:
	s_getpc_b64 s[14:15]
.Lpost_getpc13720:
	s_add_u32 s14, s14, (.LBB1_5938-.Lpost_getpc13720)&4294967295
	s_addc_u32 s15, s15, (.LBB1_5938-.Lpost_getpc13720)>>32
	s_setpc_b64 s[14:15]
.LBB1_20276:
	v_cmp_ne_u16_e32 vcc, 0, v6
	s_andn2_b64 s[4:5], s[4:5], exec
	s_and_b64 s[8:9], vcc, exec
	v_mov_b32_e32 v2, 0
	s_or_b64 s[4:5], s[4:5], s[8:9]
	s_or_b64 exec, exec, s[6:7]
	s_and_saveexec_b64 s[6:7], s[4:5]
	s_cbranch_execz .LBB1_31641
; %bb.56115:
	s_getpc_b64 s[14:15]
.Lpost_getpc13721:
	s_add_u32 s14, s14, (.LBB1_5939-.Lpost_getpc13721)&4294967295
	s_addc_u32 s15, s15, (.LBB1_5939-.Lpost_getpc13721)>>32
	s_setpc_b64 s[14:15]
.LBB1_31641:
	s_getpc_b64 s[14:15]
.Lpost_getpc1484:
	s_add_u32 s14, s14, (.LBB1_5940-.Lpost_getpc1484)&4294967295
	s_addc_u32 s15, s15, (.LBB1_5940-.Lpost_getpc1484)>>32
	s_setpc_b64 s[14:15]
.LBB1_20277:
	s_movk_i32 s4, 0x80
	v_cmp_eq_u16_e32 vcc, s4, v6
	s_mov_b64 s[4:5], -1
                                        ; implicit-def: $sgpr10
	s_and_saveexec_b64 s[8:9], vcc
; %bb.20278:
	s_mov_b32 s10, 0x7f800001
	s_xor_b64 s[4:5], exec, -1
; %bb.20279:
	s_or_b64 exec, exec, s[8:9]
	s_and_b64 s[4:5], s[4:5], exec
                                        ; implicit-def: $vgpr6
	s_or_saveexec_b64 s[6:7], s[6:7]
	v_mov_b32_e32 v12, s10
	s_xor_b64 exec, exec, s[6:7]
	s_cbranch_execnz .LBB1_20280
; %bb.56117:
	s_getpc_b64 s[14:15]
.Lpost_getpc13722:
	s_add_u32 s14, s14, (.LBB1_5942-.Lpost_getpc13722)&4294967295
	s_addc_u32 s15, s15, (.LBB1_5942-.Lpost_getpc13722)>>32
	s_setpc_b64 s[14:15]
.LBB1_20280:
	v_cmp_ne_u16_e32 vcc, 0, v6
	s_andn2_b64 s[4:5], s[4:5], exec
	s_and_b64 s[8:9], vcc, exec
	v_mov_b32_e32 v12, 0
	s_or_b64 s[4:5], s[4:5], s[8:9]
	s_or_b64 exec, exec, s[6:7]
	s_and_saveexec_b64 s[6:7], s[4:5]
	s_cbranch_execz .LBB1_31643
; %bb.56119:
	s_getpc_b64 s[14:15]
.Lpost_getpc13723:
	s_add_u32 s14, s14, (.LBB1_5943-.Lpost_getpc13723)&4294967295
	s_addc_u32 s15, s15, (.LBB1_5943-.Lpost_getpc13723)>>32
	s_setpc_b64 s[14:15]
.LBB1_31643:
	s_getpc_b64 s[14:15]
.Lpost_getpc1485:
	s_add_u32 s14, s14, (.LBB1_5944-.Lpost_getpc1485)&4294967295
	s_addc_u32 s15, s15, (.LBB1_5944-.Lpost_getpc1485)>>32
	s_setpc_b64 s[14:15]
.LBB1_20281:
	s_movk_i32 s4, 0x80
	v_cmp_eq_u16_sdwa s[12:13], v7, s4 src0_sel:BYTE_3 src1_sel:DWORD
	s_mov_b64 s[4:5], -1
                                        ; implicit-def: $sgpr10
	s_and_saveexec_b64 s[8:9], s[12:13]
; %bb.20282:
	s_mov_b32 s10, 0x7f800001
	s_xor_b64 s[4:5], exec, -1
; %bb.20283:
	s_or_b64 exec, exec, s[8:9]
	s_and_b64 s[4:5], s[4:5], exec
	s_or_saveexec_b64 s[6:7], s[6:7]
	v_mov_b32_e32 v2, s10
	s_xor_b64 exec, exec, s[6:7]
	s_cbranch_execnz .LBB1_20284
; %bb.56121:
	s_getpc_b64 s[14:15]
.Lpost_getpc13724:
	s_add_u32 s14, s14, (.LBB1_5946-.Lpost_getpc13724)&4294967295
	s_addc_u32 s15, s15, (.LBB1_5946-.Lpost_getpc13724)>>32
	s_setpc_b64 s[14:15]
.LBB1_20284:
	v_mov_b32_e32 v2, 0
	v_cmp_ne_u16_sdwa s[8:9], v7, v2 src0_sel:BYTE_3 src1_sel:DWORD
	s_andn2_b64 s[4:5], s[4:5], exec
	s_and_b64 s[8:9], s[8:9], exec
	s_or_b64 s[4:5], s[4:5], s[8:9]
	s_or_b64 exec, exec, s[6:7]
	s_and_saveexec_b64 s[6:7], s[4:5]
	s_cbranch_execz .LBB1_31645
; %bb.56123:
	s_getpc_b64 s[14:15]
.Lpost_getpc13725:
	s_add_u32 s14, s14, (.LBB1_5947-.Lpost_getpc13725)&4294967295
	s_addc_u32 s15, s15, (.LBB1_5947-.Lpost_getpc13725)>>32
	s_setpc_b64 s[14:15]
.LBB1_31645:
	s_getpc_b64 s[14:15]
.Lpost_getpc1486:
	s_add_u32 s14, s14, (.LBB1_5948-.Lpost_getpc1486)&4294967295
	s_addc_u32 s15, s15, (.LBB1_5948-.Lpost_getpc1486)>>32
	s_setpc_b64 s[14:15]
.LBB1_20285:
	s_movk_i32 s4, 0x80
	v_cmp_eq_u16_sdwa s[12:13], v3, s4 src0_sel:BYTE_3 src1_sel:DWORD
	s_mov_b64 s[4:5], -1
                                        ; implicit-def: $sgpr10
	s_and_saveexec_b64 s[8:9], s[12:13]
; %bb.20286:
	s_mov_b32 s10, 0x7f800001
	s_xor_b64 s[4:5], exec, -1
; %bb.20287:
	s_or_b64 exec, exec, s[8:9]
	s_and_b64 s[4:5], s[4:5], exec
	s_or_saveexec_b64 s[6:7], s[6:7]
	v_mov_b32_e32 v6, s10
	s_xor_b64 exec, exec, s[6:7]
	s_cbranch_execnz .LBB1_20288
; %bb.56125:
	s_getpc_b64 s[14:15]
.Lpost_getpc13726:
	s_add_u32 s14, s14, (.LBB1_5950-.Lpost_getpc13726)&4294967295
	s_addc_u32 s15, s15, (.LBB1_5950-.Lpost_getpc13726)>>32
	s_setpc_b64 s[14:15]
.LBB1_20288:
	v_mov_b32_e32 v6, 0
	v_cmp_ne_u16_sdwa s[8:9], v3, v6 src0_sel:BYTE_3 src1_sel:DWORD
	s_andn2_b64 s[4:5], s[4:5], exec
	s_and_b64 s[8:9], s[8:9], exec
	s_or_b64 s[4:5], s[4:5], s[8:9]
	s_or_b64 exec, exec, s[6:7]
	s_and_saveexec_b64 s[6:7], s[4:5]
	s_cbranch_execz .LBB1_31647
; %bb.56127:
	s_getpc_b64 s[14:15]
.Lpost_getpc13727:
	s_add_u32 s14, s14, (.LBB1_5951-.Lpost_getpc13727)&4294967295
	s_addc_u32 s15, s15, (.LBB1_5951-.Lpost_getpc13727)>>32
	s_setpc_b64 s[14:15]
.LBB1_31647:
	s_getpc_b64 s[14:15]
.Lpost_getpc1487:
	s_add_u32 s14, s14, (.LBB1_5952-.Lpost_getpc1487)&4294967295
	s_addc_u32 s15, s15, (.LBB1_5952-.Lpost_getpc1487)>>32
	s_setpc_b64 s[14:15]
.LBB1_20289:
	s_movk_i32 s4, 0x80
	v_cmp_eq_u16_sdwa s[12:13], v8, s4 src0_sel:BYTE_0 src1_sel:DWORD
	s_mov_b64 s[4:5], -1
                                        ; implicit-def: $sgpr10
	s_and_saveexec_b64 s[8:9], s[12:13]
; %bb.20290:
	s_mov_b32 s10, 0x7f800001
	s_xor_b64 s[4:5], exec, -1
; %bb.20291:
	s_or_b64 exec, exec, s[8:9]
	s_and_b64 s[4:5], s[4:5], exec
	s_or_saveexec_b64 s[6:7], s[6:7]
	v_mov_b32_e32 v2, s10
	s_xor_b64 exec, exec, s[6:7]
	s_cbranch_execnz .LBB1_20292
; %bb.56129:
	s_getpc_b64 s[14:15]
.Lpost_getpc13728:
	s_add_u32 s14, s14, (.LBB1_5954-.Lpost_getpc13728)&4294967295
	s_addc_u32 s15, s15, (.LBB1_5954-.Lpost_getpc13728)>>32
	s_setpc_b64 s[14:15]
.LBB1_20292:
	v_mov_b32_e32 v2, 0
	v_cmp_ne_u16_sdwa s[8:9], v8, v2 src0_sel:BYTE_0 src1_sel:DWORD
	s_andn2_b64 s[4:5], s[4:5], exec
	s_and_b64 s[8:9], s[8:9], exec
	s_or_b64 s[4:5], s[4:5], s[8:9]
	s_or_b64 exec, exec, s[6:7]
	s_and_saveexec_b64 s[6:7], s[4:5]
	s_cbranch_execz .LBB1_31649
; %bb.56131:
	s_getpc_b64 s[14:15]
.Lpost_getpc13729:
	s_add_u32 s14, s14, (.LBB1_5955-.Lpost_getpc13729)&4294967295
	s_addc_u32 s15, s15, (.LBB1_5955-.Lpost_getpc13729)>>32
	s_setpc_b64 s[14:15]
.LBB1_31649:
	s_getpc_b64 s[14:15]
.Lpost_getpc1488:
	s_add_u32 s14, s14, (.LBB1_5956-.Lpost_getpc1488)&4294967295
	s_addc_u32 s15, s15, (.LBB1_5956-.Lpost_getpc1488)>>32
	s_setpc_b64 s[14:15]
.LBB1_20293:
	s_movk_i32 s4, 0x80
	v_cmp_eq_u16_sdwa s[12:13], v4, s4 src0_sel:BYTE_0 src1_sel:DWORD
	s_mov_b64 s[4:5], -1
                                        ; implicit-def: $sgpr10
	s_and_saveexec_b64 s[8:9], s[12:13]
; %bb.20294:
	s_mov_b32 s10, 0x7f800001
	s_xor_b64 s[4:5], exec, -1
; %bb.20295:
	s_or_b64 exec, exec, s[8:9]
	s_and_b64 s[4:5], s[4:5], exec
	s_or_saveexec_b64 s[6:7], s[6:7]
	v_mov_b32_e32 v3, s10
	s_xor_b64 exec, exec, s[6:7]
	s_cbranch_execnz .LBB1_20296
; %bb.56133:
	s_getpc_b64 s[14:15]
.Lpost_getpc13730:
	s_add_u32 s14, s14, (.LBB1_5958-.Lpost_getpc13730)&4294967295
	s_addc_u32 s15, s15, (.LBB1_5958-.Lpost_getpc13730)>>32
	s_setpc_b64 s[14:15]
.LBB1_20296:
	v_mov_b32_e32 v3, 0
	v_cmp_ne_u16_sdwa s[8:9], v4, v3 src0_sel:BYTE_0 src1_sel:DWORD
	s_andn2_b64 s[4:5], s[4:5], exec
	s_and_b64 s[8:9], s[8:9], exec
	s_or_b64 s[4:5], s[4:5], s[8:9]
	s_or_b64 exec, exec, s[6:7]
	s_and_saveexec_b64 s[6:7], s[4:5]
	s_cbranch_execz .LBB1_31651
; %bb.56135:
	s_getpc_b64 s[14:15]
.Lpost_getpc13731:
	s_add_u32 s14, s14, (.LBB1_5959-.Lpost_getpc13731)&4294967295
	s_addc_u32 s15, s15, (.LBB1_5959-.Lpost_getpc13731)>>32
	s_setpc_b64 s[14:15]
.LBB1_31651:
	s_getpc_b64 s[14:15]
.Lpost_getpc1489:
	s_add_u32 s14, s14, (.LBB1_5960-.Lpost_getpc1489)&4294967295
	s_addc_u32 s15, s15, (.LBB1_5960-.Lpost_getpc1489)>>32
	s_setpc_b64 s[14:15]
.LBB1_20297:
	s_movk_i32 s4, 0x80
	v_cmp_eq_u16_sdwa s[12:13], v3, s4 src0_sel:BYTE_0 src1_sel:DWORD
	s_mov_b64 s[4:5], -1
                                        ; implicit-def: $sgpr10
	s_and_saveexec_b64 s[8:9], s[12:13]
; %bb.20298:
	s_mov_b32 s10, 0x7f800001
	s_xor_b64 s[4:5], exec, -1
; %bb.20299:
	s_or_b64 exec, exec, s[8:9]
	s_and_b64 s[4:5], s[4:5], exec
	s_or_saveexec_b64 s[6:7], s[6:7]
	v_mov_b32_e32 v2, s10
	s_xor_b64 exec, exec, s[6:7]
	s_cbranch_execnz .LBB1_20300
; %bb.56137:
	s_getpc_b64 s[14:15]
.Lpost_getpc13732:
	s_add_u32 s14, s14, (.LBB1_5962-.Lpost_getpc13732)&4294967295
	s_addc_u32 s15, s15, (.LBB1_5962-.Lpost_getpc13732)>>32
	s_setpc_b64 s[14:15]
.LBB1_20300:
	v_mov_b32_e32 v2, 0
	v_cmp_ne_u16_sdwa s[8:9], v3, v2 src0_sel:BYTE_0 src1_sel:DWORD
	s_andn2_b64 s[4:5], s[4:5], exec
	s_and_b64 s[8:9], s[8:9], exec
	s_or_b64 s[4:5], s[4:5], s[8:9]
	s_or_b64 exec, exec, s[6:7]
	s_and_saveexec_b64 s[6:7], s[4:5]
	s_cbranch_execz .LBB1_31653
; %bb.56139:
	s_getpc_b64 s[14:15]
.Lpost_getpc13733:
	s_add_u32 s14, s14, (.LBB1_5963-.Lpost_getpc13733)&4294967295
	s_addc_u32 s15, s15, (.LBB1_5963-.Lpost_getpc13733)>>32
	s_setpc_b64 s[14:15]
.LBB1_31653:
	s_getpc_b64 s[14:15]
.Lpost_getpc1490:
	s_add_u32 s14, s14, (.LBB1_5964-.Lpost_getpc1490)&4294967295
	s_addc_u32 s15, s15, (.LBB1_5964-.Lpost_getpc1490)>>32
	s_setpc_b64 s[14:15]
.LBB1_20301:
	s_movk_i32 s4, 0x80
	v_cmp_eq_u16_sdwa s[12:13], v3, s4 src0_sel:BYTE_0 src1_sel:DWORD
	s_mov_b64 s[4:5], -1
                                        ; implicit-def: $sgpr10
	s_and_saveexec_b64 s[8:9], s[12:13]
; %bb.20302:
	s_mov_b32 s10, 0x7f800001
	s_xor_b64 s[4:5], exec, -1
; %bb.20303:
	s_or_b64 exec, exec, s[8:9]
	s_and_b64 s[4:5], s[4:5], exec
	s_or_saveexec_b64 s[6:7], s[6:7]
	v_mov_b32_e32 v6, s10
	s_xor_b64 exec, exec, s[6:7]
	s_cbranch_execnz .LBB1_20304
; %bb.56141:
	s_getpc_b64 s[14:15]
.Lpost_getpc13734:
	s_add_u32 s14, s14, (.LBB1_5966-.Lpost_getpc13734)&4294967295
	s_addc_u32 s15, s15, (.LBB1_5966-.Lpost_getpc13734)>>32
	s_setpc_b64 s[14:15]
.LBB1_20304:
	v_mov_b32_e32 v6, 0
	v_cmp_ne_u16_sdwa s[8:9], v3, v6 src0_sel:BYTE_0 src1_sel:DWORD
	s_andn2_b64 s[4:5], s[4:5], exec
	s_and_b64 s[8:9], s[8:9], exec
	s_or_b64 s[4:5], s[4:5], s[8:9]
	s_or_b64 exec, exec, s[6:7]
	s_and_saveexec_b64 s[6:7], s[4:5]
	s_cbranch_execz .LBB1_31655
; %bb.56143:
	s_getpc_b64 s[14:15]
.Lpost_getpc13735:
	s_add_u32 s14, s14, (.LBB1_5967-.Lpost_getpc13735)&4294967295
	s_addc_u32 s15, s15, (.LBB1_5967-.Lpost_getpc13735)>>32
	s_setpc_b64 s[14:15]
.LBB1_31655:
	s_getpc_b64 s[14:15]
.Lpost_getpc1491:
	s_add_u32 s14, s14, (.LBB1_5968-.Lpost_getpc1491)&4294967295
	s_addc_u32 s15, s15, (.LBB1_5968-.Lpost_getpc1491)>>32
	s_setpc_b64 s[14:15]
.LBB1_20305:
	s_movk_i32 s4, 0x80
	v_cmp_eq_u16_e32 vcc, s4, v3
	s_mov_b64 s[4:5], -1
                                        ; implicit-def: $sgpr10
	s_and_saveexec_b64 s[8:9], vcc
; %bb.20306:
	s_mov_b32 s10, 0x7f800001
	s_xor_b64 s[4:5], exec, -1
; %bb.20307:
	s_or_b64 exec, exec, s[8:9]
	s_and_b64 s[4:5], s[4:5], exec
                                        ; implicit-def: $vgpr3
	s_or_saveexec_b64 s[6:7], s[6:7]
	v_mov_b32_e32 v2, s10
	s_xor_b64 exec, exec, s[6:7]
	s_cbranch_execnz .LBB1_20308
; %bb.56145:
	s_getpc_b64 s[14:15]
.Lpost_getpc13736:
	s_add_u32 s14, s14, (.LBB1_5970-.Lpost_getpc13736)&4294967295
	s_addc_u32 s15, s15, (.LBB1_5970-.Lpost_getpc13736)>>32
	s_setpc_b64 s[14:15]
.LBB1_20308:
	v_cmp_ne_u16_e32 vcc, 0, v3
	s_andn2_b64 s[4:5], s[4:5], exec
	s_and_b64 s[8:9], vcc, exec
	v_mov_b32_e32 v2, 0
	s_or_b64 s[4:5], s[4:5], s[8:9]
	s_or_b64 exec, exec, s[6:7]
	s_and_saveexec_b64 s[6:7], s[4:5]
	s_cbranch_execz .LBB1_31657
; %bb.56147:
	s_getpc_b64 s[14:15]
.Lpost_getpc13737:
	s_add_u32 s14, s14, (.LBB1_5971-.Lpost_getpc13737)&4294967295
	s_addc_u32 s15, s15, (.LBB1_5971-.Lpost_getpc13737)>>32
	s_setpc_b64 s[14:15]
.LBB1_31657:
	s_getpc_b64 s[14:15]
.Lpost_getpc1492:
	s_add_u32 s14, s14, (.LBB1_5972-.Lpost_getpc1492)&4294967295
	s_addc_u32 s15, s15, (.LBB1_5972-.Lpost_getpc1492)>>32
	s_setpc_b64 s[14:15]
.LBB1_20309:
	s_movk_i32 s4, 0x80
	v_cmp_eq_u16_e32 vcc, s4, v3
	s_mov_b64 s[4:5], -1
                                        ; implicit-def: $sgpr10
	s_and_saveexec_b64 s[8:9], vcc
; %bb.20310:
	s_mov_b32 s10, 0x7f800001
	s_xor_b64 s[4:5], exec, -1
; %bb.20311:
	s_or_b64 exec, exec, s[8:9]
	s_and_b64 s[4:5], s[4:5], exec
                                        ; implicit-def: $vgpr3
	s_or_saveexec_b64 s[6:7], s[6:7]
	v_mov_b32_e32 v6, s10
	s_xor_b64 exec, exec, s[6:7]
	s_cbranch_execnz .LBB1_20312
; %bb.56149:
	s_getpc_b64 s[14:15]
.Lpost_getpc13738:
	s_add_u32 s14, s14, (.LBB1_5974-.Lpost_getpc13738)&4294967295
	s_addc_u32 s15, s15, (.LBB1_5974-.Lpost_getpc13738)>>32
	s_setpc_b64 s[14:15]
.LBB1_20312:
	v_cmp_ne_u16_e32 vcc, 0, v3
	s_andn2_b64 s[4:5], s[4:5], exec
	s_and_b64 s[8:9], vcc, exec
	v_mov_b32_e32 v6, 0
	s_or_b64 s[4:5], s[4:5], s[8:9]
	s_or_b64 exec, exec, s[6:7]
	s_and_saveexec_b64 s[6:7], s[4:5]
	s_cbranch_execz .LBB1_31659
; %bb.56151:
	s_getpc_b64 s[14:15]
.Lpost_getpc13739:
	s_add_u32 s14, s14, (.LBB1_5975-.Lpost_getpc13739)&4294967295
	s_addc_u32 s15, s15, (.LBB1_5975-.Lpost_getpc13739)>>32
	s_setpc_b64 s[14:15]
.LBB1_31659:
	s_getpc_b64 s[14:15]
.Lpost_getpc1493:
	s_add_u32 s14, s14, (.LBB1_5976-.Lpost_getpc1493)&4294967295
	s_addc_u32 s15, s15, (.LBB1_5976-.Lpost_getpc1493)>>32
	s_setpc_b64 s[14:15]
.LBB1_20313:
	s_movk_i32 s4, 0x80
	v_cmp_eq_u16_sdwa s[12:13], v8, s4 src0_sel:BYTE_3 src1_sel:DWORD
	s_mov_b64 s[4:5], -1
                                        ; implicit-def: $sgpr10
	s_and_saveexec_b64 s[8:9], s[12:13]
; %bb.20314:
	s_mov_b32 s10, 0x7f800001
	s_xor_b64 s[4:5], exec, -1
; %bb.20315:
	s_or_b64 exec, exec, s[8:9]
	s_and_b64 s[4:5], s[4:5], exec
	s_or_saveexec_b64 s[6:7], s[6:7]
	v_mov_b32_e32 v2, s10
	s_xor_b64 exec, exec, s[6:7]
	s_cbranch_execnz .LBB1_20316
; %bb.56153:
	s_getpc_b64 s[14:15]
.Lpost_getpc13740:
	s_add_u32 s14, s14, (.LBB1_5978-.Lpost_getpc13740)&4294967295
	s_addc_u32 s15, s15, (.LBB1_5978-.Lpost_getpc13740)>>32
	s_setpc_b64 s[14:15]
.LBB1_20316:
	v_mov_b32_e32 v2, 0
	v_cmp_ne_u16_sdwa s[8:9], v8, v2 src0_sel:BYTE_3 src1_sel:DWORD
	s_andn2_b64 s[4:5], s[4:5], exec
	s_and_b64 s[8:9], s[8:9], exec
	s_or_b64 s[4:5], s[4:5], s[8:9]
	s_or_b64 exec, exec, s[6:7]
	s_and_saveexec_b64 s[6:7], s[4:5]
	s_cbranch_execz .LBB1_31661
; %bb.56155:
	s_getpc_b64 s[14:15]
.Lpost_getpc13741:
	s_add_u32 s14, s14, (.LBB1_5979-.Lpost_getpc13741)&4294967295
	s_addc_u32 s15, s15, (.LBB1_5979-.Lpost_getpc13741)>>32
	s_setpc_b64 s[14:15]
.LBB1_31661:
	s_getpc_b64 s[14:15]
.Lpost_getpc1494:
	s_add_u32 s14, s14, (.LBB1_5980-.Lpost_getpc1494)&4294967295
	s_addc_u32 s15, s15, (.LBB1_5980-.Lpost_getpc1494)>>32
	s_setpc_b64 s[14:15]
.LBB1_20317:
	s_movk_i32 s4, 0x80
	v_cmp_eq_u16_sdwa s[12:13], v4, s4 src0_sel:BYTE_3 src1_sel:DWORD
	s_mov_b64 s[4:5], -1
                                        ; implicit-def: $sgpr10
	s_and_saveexec_b64 s[8:9], s[12:13]
; %bb.20318:
	s_mov_b32 s10, 0x7f800001
	s_xor_b64 s[4:5], exec, -1
; %bb.20319:
	s_or_b64 exec, exec, s[8:9]
	s_and_b64 s[4:5], s[4:5], exec
	s_or_saveexec_b64 s[6:7], s[6:7]
	v_mov_b32_e32 v3, s10
	s_xor_b64 exec, exec, s[6:7]
	s_cbranch_execnz .LBB1_20320
; %bb.56157:
	s_getpc_b64 s[14:15]
.Lpost_getpc13742:
	s_add_u32 s14, s14, (.LBB1_5982-.Lpost_getpc13742)&4294967295
	s_addc_u32 s15, s15, (.LBB1_5982-.Lpost_getpc13742)>>32
	s_setpc_b64 s[14:15]
.LBB1_20320:
	v_mov_b32_e32 v3, 0
	v_cmp_ne_u16_sdwa s[8:9], v4, v3 src0_sel:BYTE_3 src1_sel:DWORD
	s_andn2_b64 s[4:5], s[4:5], exec
	s_and_b64 s[8:9], s[8:9], exec
	s_or_b64 s[4:5], s[4:5], s[8:9]
	s_or_b64 exec, exec, s[6:7]
	s_and_saveexec_b64 s[6:7], s[4:5]
	s_cbranch_execz .LBB1_31663
; %bb.56159:
	s_getpc_b64 s[14:15]
.Lpost_getpc13743:
	s_add_u32 s14, s14, (.LBB1_5983-.Lpost_getpc13743)&4294967295
	s_addc_u32 s15, s15, (.LBB1_5983-.Lpost_getpc13743)>>32
	s_setpc_b64 s[14:15]
.LBB1_31663:
	s_getpc_b64 s[14:15]
.Lpost_getpc1495:
	s_add_u32 s14, s14, (.LBB1_5984-.Lpost_getpc1495)&4294967295
	s_addc_u32 s15, s15, (.LBB1_5984-.Lpost_getpc1495)>>32
	s_setpc_b64 s[14:15]
.LBB1_20321:
	s_movk_i32 s4, 0x80
	v_cmp_eq_u16_sdwa s[12:13], v9, s4 src0_sel:BYTE_0 src1_sel:DWORD
	s_mov_b64 s[4:5], -1
                                        ; implicit-def: $sgpr10
	s_and_saveexec_b64 s[8:9], s[12:13]
; %bb.20322:
	s_mov_b32 s10, 0x7f800001
	s_xor_b64 s[4:5], exec, -1
; %bb.20323:
	s_or_b64 exec, exec, s[8:9]
	s_and_b64 s[4:5], s[4:5], exec
	s_or_saveexec_b64 s[6:7], s[6:7]
	v_mov_b32_e32 v2, s10
	s_xor_b64 exec, exec, s[6:7]
	s_cbranch_execnz .LBB1_20324
; %bb.56161:
	s_getpc_b64 s[14:15]
.Lpost_getpc13744:
	s_add_u32 s14, s14, (.LBB1_5986-.Lpost_getpc13744)&4294967295
	s_addc_u32 s15, s15, (.LBB1_5986-.Lpost_getpc13744)>>32
	s_setpc_b64 s[14:15]
.LBB1_20324:
	v_mov_b32_e32 v2, 0
	v_cmp_ne_u16_sdwa s[8:9], v9, v2 src0_sel:BYTE_0 src1_sel:DWORD
	s_andn2_b64 s[4:5], s[4:5], exec
	s_and_b64 s[8:9], s[8:9], exec
	s_or_b64 s[4:5], s[4:5], s[8:9]
	s_or_b64 exec, exec, s[6:7]
	s_and_saveexec_b64 s[6:7], s[4:5]
	s_cbranch_execz .LBB1_31665
; %bb.56163:
	s_getpc_b64 s[14:15]
.Lpost_getpc13745:
	s_add_u32 s14, s14, (.LBB1_5987-.Lpost_getpc13745)&4294967295
	s_addc_u32 s15, s15, (.LBB1_5987-.Lpost_getpc13745)>>32
	s_setpc_b64 s[14:15]
.LBB1_31665:
	s_getpc_b64 s[14:15]
.Lpost_getpc1496:
	s_add_u32 s14, s14, (.LBB1_5988-.Lpost_getpc1496)&4294967295
	s_addc_u32 s15, s15, (.LBB1_5988-.Lpost_getpc1496)>>32
	s_setpc_b64 s[14:15]
.LBB1_20325:
	s_movk_i32 s4, 0x80
	v_cmp_eq_u16_sdwa s[12:13], v5, s4 src0_sel:BYTE_0 src1_sel:DWORD
	s_mov_b64 s[4:5], -1
                                        ; implicit-def: $sgpr10
	s_and_saveexec_b64 s[8:9], s[12:13]
; %bb.20326:
	s_mov_b32 s10, 0x7f800001
	s_xor_b64 s[4:5], exec, -1
; %bb.20327:
	s_or_b64 exec, exec, s[8:9]
	s_and_b64 s[4:5], s[4:5], exec
	s_or_saveexec_b64 s[6:7], s[6:7]
	v_mov_b32_e32 v3, s10
	s_xor_b64 exec, exec, s[6:7]
	s_cbranch_execnz .LBB1_20328
; %bb.56165:
	s_getpc_b64 s[14:15]
.Lpost_getpc13746:
	s_add_u32 s14, s14, (.LBB1_5990-.Lpost_getpc13746)&4294967295
	s_addc_u32 s15, s15, (.LBB1_5990-.Lpost_getpc13746)>>32
	s_setpc_b64 s[14:15]
.LBB1_20328:
	v_mov_b32_e32 v3, 0
	v_cmp_ne_u16_sdwa s[8:9], v5, v3 src0_sel:BYTE_0 src1_sel:DWORD
	s_andn2_b64 s[4:5], s[4:5], exec
	s_and_b64 s[8:9], s[8:9], exec
	s_or_b64 s[4:5], s[4:5], s[8:9]
	s_or_b64 exec, exec, s[6:7]
	s_and_saveexec_b64 s[6:7], s[4:5]
	s_cbranch_execz .LBB1_31667
; %bb.56167:
	s_getpc_b64 s[14:15]
.Lpost_getpc13747:
	s_add_u32 s14, s14, (.LBB1_5991-.Lpost_getpc13747)&4294967295
	s_addc_u32 s15, s15, (.LBB1_5991-.Lpost_getpc13747)>>32
	s_setpc_b64 s[14:15]
.LBB1_31667:
	s_getpc_b64 s[14:15]
.Lpost_getpc1497:
	s_add_u32 s14, s14, (.LBB1_5992-.Lpost_getpc1497)&4294967295
	s_addc_u32 s15, s15, (.LBB1_5992-.Lpost_getpc1497)>>32
	s_setpc_b64 s[14:15]
.LBB1_20329:
	s_movk_i32 s4, 0x80
	v_cmp_eq_u16_sdwa s[12:13], v3, s4 src0_sel:BYTE_0 src1_sel:DWORD
	s_mov_b64 s[4:5], -1
                                        ; implicit-def: $sgpr10
	s_and_saveexec_b64 s[8:9], s[12:13]
; %bb.20330:
	s_mov_b32 s10, 0x7f800001
	s_xor_b64 s[4:5], exec, -1
; %bb.20331:
	s_or_b64 exec, exec, s[8:9]
	s_and_b64 s[4:5], s[4:5], exec
	s_or_saveexec_b64 s[6:7], s[6:7]
	v_mov_b32_e32 v2, s10
	s_xor_b64 exec, exec, s[6:7]
	s_cbranch_execnz .LBB1_20332
; %bb.56169:
	s_getpc_b64 s[14:15]
.Lpost_getpc13748:
	s_add_u32 s14, s14, (.LBB1_5994-.Lpost_getpc13748)&4294967295
	s_addc_u32 s15, s15, (.LBB1_5994-.Lpost_getpc13748)>>32
	s_setpc_b64 s[14:15]
.LBB1_20332:
	v_mov_b32_e32 v2, 0
	v_cmp_ne_u16_sdwa s[8:9], v3, v2 src0_sel:BYTE_0 src1_sel:DWORD
	s_andn2_b64 s[4:5], s[4:5], exec
	s_and_b64 s[8:9], s[8:9], exec
	s_or_b64 s[4:5], s[4:5], s[8:9]
	s_or_b64 exec, exec, s[6:7]
	s_and_saveexec_b64 s[6:7], s[4:5]
	s_cbranch_execz .LBB1_31669
; %bb.56171:
	s_getpc_b64 s[14:15]
.Lpost_getpc13749:
	s_add_u32 s14, s14, (.LBB1_5995-.Lpost_getpc13749)&4294967295
	s_addc_u32 s15, s15, (.LBB1_5995-.Lpost_getpc13749)>>32
	s_setpc_b64 s[14:15]
.LBB1_31669:
	s_getpc_b64 s[14:15]
.Lpost_getpc1498:
	s_add_u32 s14, s14, (.LBB1_5996-.Lpost_getpc1498)&4294967295
	s_addc_u32 s15, s15, (.LBB1_5996-.Lpost_getpc1498)>>32
	s_setpc_b64 s[14:15]
.LBB1_20333:
	s_movk_i32 s4, 0x80
	v_cmp_eq_u16_sdwa s[12:13], v3, s4 src0_sel:BYTE_0 src1_sel:DWORD
	s_mov_b64 s[4:5], -1
                                        ; implicit-def: $sgpr10
	s_and_saveexec_b64 s[8:9], s[12:13]
; %bb.20334:
	s_mov_b32 s10, 0x7f800001
	s_xor_b64 s[4:5], exec, -1
; %bb.20335:
	s_or_b64 exec, exec, s[8:9]
	s_and_b64 s[4:5], s[4:5], exec
	s_or_saveexec_b64 s[6:7], s[6:7]
	v_mov_b32_e32 v4, s10
	s_xor_b64 exec, exec, s[6:7]
	s_cbranch_execnz .LBB1_20336
; %bb.56173:
	s_getpc_b64 s[14:15]
.Lpost_getpc13750:
	s_add_u32 s14, s14, (.LBB1_5998-.Lpost_getpc13750)&4294967295
	s_addc_u32 s15, s15, (.LBB1_5998-.Lpost_getpc13750)>>32
	s_setpc_b64 s[14:15]
.LBB1_20336:
	v_mov_b32_e32 v4, 0
	v_cmp_ne_u16_sdwa s[8:9], v3, v4 src0_sel:BYTE_0 src1_sel:DWORD
	s_andn2_b64 s[4:5], s[4:5], exec
	s_and_b64 s[8:9], s[8:9], exec
	s_or_b64 s[4:5], s[4:5], s[8:9]
	s_or_b64 exec, exec, s[6:7]
	s_and_saveexec_b64 s[6:7], s[4:5]
	s_cbranch_execz .LBB1_31671
; %bb.56175:
	s_getpc_b64 s[14:15]
.Lpost_getpc13751:
	s_add_u32 s14, s14, (.LBB1_5999-.Lpost_getpc13751)&4294967295
	s_addc_u32 s15, s15, (.LBB1_5999-.Lpost_getpc13751)>>32
	s_setpc_b64 s[14:15]
.LBB1_31671:
	s_getpc_b64 s[14:15]
.Lpost_getpc1499:
	s_add_u32 s14, s14, (.LBB1_6000-.Lpost_getpc1499)&4294967295
	s_addc_u32 s15, s15, (.LBB1_6000-.Lpost_getpc1499)>>32
	s_setpc_b64 s[14:15]
.LBB1_20337:
	s_movk_i32 s4, 0x80
	v_cmp_eq_u16_e32 vcc, s4, v3
	s_mov_b64 s[4:5], -1
                                        ; implicit-def: $sgpr10
	s_and_saveexec_b64 s[8:9], vcc
; %bb.20338:
	s_mov_b32 s10, 0x7f800001
	s_xor_b64 s[4:5], exec, -1
; %bb.20339:
	s_or_b64 exec, exec, s[8:9]
	s_and_b64 s[4:5], s[4:5], exec
                                        ; implicit-def: $vgpr3
	s_or_saveexec_b64 s[6:7], s[6:7]
	v_mov_b32_e32 v2, s10
	s_xor_b64 exec, exec, s[6:7]
	s_cbranch_execnz .LBB1_20340
; %bb.56177:
	s_getpc_b64 s[14:15]
.Lpost_getpc13752:
	s_add_u32 s14, s14, (.LBB1_6002-.Lpost_getpc13752)&4294967295
	s_addc_u32 s15, s15, (.LBB1_6002-.Lpost_getpc13752)>>32
	s_setpc_b64 s[14:15]
.LBB1_20340:
	v_cmp_ne_u16_e32 vcc, 0, v3
	s_andn2_b64 s[4:5], s[4:5], exec
	s_and_b64 s[8:9], vcc, exec
	v_mov_b32_e32 v2, 0
	s_or_b64 s[4:5], s[4:5], s[8:9]
	s_or_b64 exec, exec, s[6:7]
	s_and_saveexec_b64 s[6:7], s[4:5]
	s_cbranch_execz .LBB1_31673
; %bb.56179:
	s_getpc_b64 s[14:15]
.Lpost_getpc13753:
	s_add_u32 s14, s14, (.LBB1_6003-.Lpost_getpc13753)&4294967295
	s_addc_u32 s15, s15, (.LBB1_6003-.Lpost_getpc13753)>>32
	s_setpc_b64 s[14:15]
.LBB1_31673:
	s_getpc_b64 s[14:15]
.Lpost_getpc1500:
	s_add_u32 s14, s14, (.LBB1_6004-.Lpost_getpc1500)&4294967295
	s_addc_u32 s15, s15, (.LBB1_6004-.Lpost_getpc1500)>>32
	s_setpc_b64 s[14:15]
.LBB1_20341:
	s_movk_i32 s4, 0x80
	v_cmp_eq_u16_e32 vcc, s4, v3
	s_mov_b64 s[4:5], -1
                                        ; implicit-def: $sgpr10
	s_and_saveexec_b64 s[8:9], vcc
; %bb.20342:
	s_mov_b32 s10, 0x7f800001
	s_xor_b64 s[4:5], exec, -1
; %bb.20343:
	s_or_b64 exec, exec, s[8:9]
	s_and_b64 s[4:5], s[4:5], exec
                                        ; implicit-def: $vgpr3
	s_or_saveexec_b64 s[6:7], s[6:7]
	v_mov_b32_e32 v4, s10
	s_xor_b64 exec, exec, s[6:7]
	s_cbranch_execnz .LBB1_20344
; %bb.56181:
	s_getpc_b64 s[14:15]
.Lpost_getpc13754:
	s_add_u32 s14, s14, (.LBB1_6006-.Lpost_getpc13754)&4294967295
	s_addc_u32 s15, s15, (.LBB1_6006-.Lpost_getpc13754)>>32
	s_setpc_b64 s[14:15]
.LBB1_20344:
	v_cmp_ne_u16_e32 vcc, 0, v3
	s_andn2_b64 s[4:5], s[4:5], exec
	s_and_b64 s[8:9], vcc, exec
	v_mov_b32_e32 v4, 0
	s_or_b64 s[4:5], s[4:5], s[8:9]
	s_or_b64 exec, exec, s[6:7]
	s_and_saveexec_b64 s[6:7], s[4:5]
	s_cbranch_execz .LBB1_31675
; %bb.56183:
	s_getpc_b64 s[14:15]
.Lpost_getpc13755:
	s_add_u32 s14, s14, (.LBB1_6007-.Lpost_getpc13755)&4294967295
	s_addc_u32 s15, s15, (.LBB1_6007-.Lpost_getpc13755)>>32
	s_setpc_b64 s[14:15]
.LBB1_31675:
	s_getpc_b64 s[14:15]
.Lpost_getpc1501:
	s_add_u32 s14, s14, (.LBB1_6008-.Lpost_getpc1501)&4294967295
	s_addc_u32 s15, s15, (.LBB1_6008-.Lpost_getpc1501)>>32
	s_setpc_b64 s[14:15]
.LBB1_20345:
	s_movk_i32 s4, 0x80
	v_cmp_eq_u16_sdwa s[12:13], v9, s4 src0_sel:BYTE_3 src1_sel:DWORD
	s_mov_b64 s[4:5], -1
                                        ; implicit-def: $sgpr10
	s_and_saveexec_b64 s[8:9], s[12:13]
; %bb.20346:
	s_mov_b32 s10, 0x7f800001
	s_xor_b64 s[4:5], exec, -1
; %bb.20347:
	s_or_b64 exec, exec, s[8:9]
	s_and_b64 s[4:5], s[4:5], exec
	s_or_saveexec_b64 s[6:7], s[6:7]
	v_mov_b32_e32 v2, s10
	s_xor_b64 exec, exec, s[6:7]
	s_cbranch_execnz .LBB1_20348
; %bb.56185:
	s_getpc_b64 s[14:15]
.Lpost_getpc13756:
	s_add_u32 s14, s14, (.LBB1_6010-.Lpost_getpc13756)&4294967295
	s_addc_u32 s15, s15, (.LBB1_6010-.Lpost_getpc13756)>>32
	s_setpc_b64 s[14:15]
.LBB1_20348:
	v_mov_b32_e32 v2, 0
	v_cmp_ne_u16_sdwa s[8:9], v9, v2 src0_sel:BYTE_3 src1_sel:DWORD
	s_andn2_b64 s[4:5], s[4:5], exec
	s_and_b64 s[8:9], s[8:9], exec
	s_or_b64 s[4:5], s[4:5], s[8:9]
	s_or_b64 exec, exec, s[6:7]
	s_and_saveexec_b64 s[6:7], s[4:5]
	s_cbranch_execz .LBB1_31677
; %bb.56187:
	s_getpc_b64 s[14:15]
.Lpost_getpc13757:
	s_add_u32 s14, s14, (.LBB1_6011-.Lpost_getpc13757)&4294967295
	s_addc_u32 s15, s15, (.LBB1_6011-.Lpost_getpc13757)>>32
	s_setpc_b64 s[14:15]
.LBB1_31677:
	s_getpc_b64 s[14:15]
.Lpost_getpc1502:
	s_add_u32 s14, s14, (.LBB1_6012-.Lpost_getpc1502)&4294967295
	s_addc_u32 s15, s15, (.LBB1_6012-.Lpost_getpc1502)>>32
	s_setpc_b64 s[14:15]
.LBB1_20349:
	s_movk_i32 s4, 0x80
	v_cmp_eq_u16_sdwa s[12:13], v5, s4 src0_sel:BYTE_3 src1_sel:DWORD
	s_mov_b64 s[4:5], -1
                                        ; implicit-def: $sgpr10
	s_and_saveexec_b64 s[8:9], s[12:13]
; %bb.20350:
	s_mov_b32 s10, 0x7f800001
	s_xor_b64 s[4:5], exec, -1
; %bb.20351:
	s_or_b64 exec, exec, s[8:9]
	s_and_b64 s[4:5], s[4:5], exec
	s_or_saveexec_b64 s[6:7], s[6:7]
	v_mov_b32_e32 v3, s10
	s_xor_b64 exec, exec, s[6:7]
	s_cbranch_execnz .LBB1_20352
; %bb.56189:
	s_getpc_b64 s[14:15]
.Lpost_getpc13758:
	s_add_u32 s14, s14, (.LBB1_6014-.Lpost_getpc13758)&4294967295
	s_addc_u32 s15, s15, (.LBB1_6014-.Lpost_getpc13758)>>32
	s_setpc_b64 s[14:15]
.LBB1_20352:
	v_mov_b32_e32 v3, 0
	v_cmp_ne_u16_sdwa s[8:9], v5, v3 src0_sel:BYTE_3 src1_sel:DWORD
	s_andn2_b64 s[4:5], s[4:5], exec
	s_and_b64 s[8:9], s[8:9], exec
	s_or_b64 s[4:5], s[4:5], s[8:9]
	s_or_b64 exec, exec, s[6:7]
	s_and_saveexec_b64 s[6:7], s[4:5]
	s_cbranch_execz .LBB1_31679
; %bb.56191:
	s_getpc_b64 s[14:15]
.Lpost_getpc13759:
	s_add_u32 s14, s14, (.LBB1_6015-.Lpost_getpc13759)&4294967295
	s_addc_u32 s15, s15, (.LBB1_6015-.Lpost_getpc13759)>>32
	s_setpc_b64 s[14:15]
.LBB1_31679:
	s_getpc_b64 s[14:15]
.Lpost_getpc1503:
	s_add_u32 s14, s14, (.LBB1_6016-.Lpost_getpc1503)&4294967295
	s_addc_u32 s15, s15, (.LBB1_6016-.Lpost_getpc1503)>>32
	s_setpc_b64 s[14:15]
.LBB1_20353:
	s_movk_i32 s4, 0x80
	v_cmp_eq_u16_sdwa s[12:13], v6, s4 src0_sel:BYTE_0 src1_sel:DWORD
	s_mov_b64 s[4:5], -1
                                        ; implicit-def: $sgpr10
	s_and_saveexec_b64 s[8:9], s[12:13]
; %bb.20354:
	s_mov_b32 s10, 0x7f800001
	s_xor_b64 s[4:5], exec, -1
; %bb.20355:
	s_or_b64 exec, exec, s[8:9]
	s_and_b64 s[4:5], s[4:5], exec
	s_or_saveexec_b64 s[6:7], s[6:7]
	v_mov_b32_e32 v12, s10
	s_xor_b64 exec, exec, s[6:7]
	s_cbranch_execnz .LBB1_20356
; %bb.56193:
	s_getpc_b64 s[14:15]
.Lpost_getpc13760:
	s_add_u32 s14, s14, (.LBB1_6018-.Lpost_getpc13760)&4294967295
	s_addc_u32 s15, s15, (.LBB1_6018-.Lpost_getpc13760)>>32
	s_setpc_b64 s[14:15]
.LBB1_20356:
	v_mov_b32_e32 v12, 0
	v_cmp_ne_u16_sdwa s[8:9], v6, v12 src0_sel:BYTE_0 src1_sel:DWORD
	s_andn2_b64 s[4:5], s[4:5], exec
	s_and_b64 s[8:9], s[8:9], exec
	s_or_b64 s[4:5], s[4:5], s[8:9]
	s_or_b64 exec, exec, s[6:7]
	s_and_saveexec_b64 s[6:7], s[4:5]
	s_cbranch_execz .LBB1_31681
; %bb.56195:
	s_getpc_b64 s[14:15]
.Lpost_getpc13761:
	s_add_u32 s14, s14, (.LBB1_6019-.Lpost_getpc13761)&4294967295
	s_addc_u32 s15, s15, (.LBB1_6019-.Lpost_getpc13761)>>32
	s_setpc_b64 s[14:15]
.LBB1_31681:
	s_getpc_b64 s[14:15]
.Lpost_getpc1504:
	s_add_u32 s14, s14, (.LBB1_6020-.Lpost_getpc1504)&4294967295
	s_addc_u32 s15, s15, (.LBB1_6020-.Lpost_getpc1504)>>32
	s_setpc_b64 s[14:15]
.LBB1_20357:
	s_movk_i32 s4, 0x80
	v_cmp_eq_u16_sdwa s[12:13], v2, s4 src0_sel:BYTE_0 src1_sel:DWORD
	s_mov_b64 s[4:5], -1
                                        ; implicit-def: $sgpr10
	s_and_saveexec_b64 s[8:9], s[12:13]
; %bb.20358:
	s_mov_b32 s10, 0x7f800001
	s_xor_b64 s[4:5], exec, -1
; %bb.20359:
	s_or_b64 exec, exec, s[8:9]
	s_and_b64 s[4:5], s[4:5], exec
	s_or_saveexec_b64 s[6:7], s[6:7]
	v_mov_b32_e32 v13, s10
	s_xor_b64 exec, exec, s[6:7]
	s_cbranch_execnz .LBB1_20360
; %bb.56197:
	s_getpc_b64 s[14:15]
.Lpost_getpc13762:
	s_add_u32 s14, s14, (.LBB1_6022-.Lpost_getpc13762)&4294967295
	s_addc_u32 s15, s15, (.LBB1_6022-.Lpost_getpc13762)>>32
	s_setpc_b64 s[14:15]
.LBB1_20360:
	v_mov_b32_e32 v13, 0
	v_cmp_ne_u16_sdwa s[8:9], v2, v13 src0_sel:BYTE_0 src1_sel:DWORD
	s_andn2_b64 s[4:5], s[4:5], exec
	s_and_b64 s[8:9], s[8:9], exec
	s_or_b64 s[4:5], s[4:5], s[8:9]
	s_or_b64 exec, exec, s[6:7]
	s_and_saveexec_b64 s[6:7], s[4:5]
	s_cbranch_execz .LBB1_31683
; %bb.56199:
	s_getpc_b64 s[14:15]
.Lpost_getpc13763:
	s_add_u32 s14, s14, (.LBB1_6023-.Lpost_getpc13763)&4294967295
	s_addc_u32 s15, s15, (.LBB1_6023-.Lpost_getpc13763)>>32
	s_setpc_b64 s[14:15]
.LBB1_31683:
	s_getpc_b64 s[14:15]
.Lpost_getpc1505:
	s_add_u32 s14, s14, (.LBB1_6024-.Lpost_getpc1505)&4294967295
	s_addc_u32 s15, s15, (.LBB1_6024-.Lpost_getpc1505)>>32
	s_setpc_b64 s[14:15]
.LBB1_20361:
	s_movk_i32 s4, 0x80
	v_cmp_eq_u16_sdwa s[12:13], v13, s4 src0_sel:BYTE_0 src1_sel:DWORD
	s_mov_b64 s[4:5], -1
                                        ; implicit-def: $sgpr10
	s_and_saveexec_b64 s[8:9], s[12:13]
; %bb.20362:
	s_mov_b32 s10, 0x7f800001
	s_xor_b64 s[4:5], exec, -1
; %bb.20363:
	s_or_b64 exec, exec, s[8:9]
	s_and_b64 s[4:5], s[4:5], exec
	s_or_saveexec_b64 s[6:7], s[6:7]
	v_mov_b32_e32 v12, s10
	s_xor_b64 exec, exec, s[6:7]
	s_cbranch_execnz .LBB1_20364
; %bb.56201:
	s_getpc_b64 s[14:15]
.Lpost_getpc13764:
	s_add_u32 s14, s14, (.LBB1_6026-.Lpost_getpc13764)&4294967295
	s_addc_u32 s15, s15, (.LBB1_6026-.Lpost_getpc13764)>>32
	s_setpc_b64 s[14:15]
.LBB1_20364:
	v_mov_b32_e32 v12, 0
	v_cmp_ne_u16_sdwa s[8:9], v13, v12 src0_sel:BYTE_0 src1_sel:DWORD
	s_andn2_b64 s[4:5], s[4:5], exec
	s_and_b64 s[8:9], s[8:9], exec
	s_or_b64 s[4:5], s[4:5], s[8:9]
	s_or_b64 exec, exec, s[6:7]
	s_and_saveexec_b64 s[6:7], s[4:5]
	s_cbranch_execz .LBB1_31685
; %bb.56203:
	s_getpc_b64 s[14:15]
.Lpost_getpc13765:
	s_add_u32 s14, s14, (.LBB1_6027-.Lpost_getpc13765)&4294967295
	s_addc_u32 s15, s15, (.LBB1_6027-.Lpost_getpc13765)>>32
	s_setpc_b64 s[14:15]
.LBB1_31685:
	s_getpc_b64 s[14:15]
.Lpost_getpc1506:
	s_add_u32 s14, s14, (.LBB1_6028-.Lpost_getpc1506)&4294967295
	s_addc_u32 s15, s15, (.LBB1_6028-.Lpost_getpc1506)>>32
	s_setpc_b64 s[14:15]
.LBB1_20365:
	s_movk_i32 s4, 0x80
	v_cmp_eq_u16_sdwa s[12:13], v13, s4 src0_sel:BYTE_0 src1_sel:DWORD
	s_mov_b64 s[4:5], -1
                                        ; implicit-def: $sgpr10
	s_and_saveexec_b64 s[8:9], s[12:13]
; %bb.20366:
	s_mov_b32 s10, 0x7f800001
	s_xor_b64 s[4:5], exec, -1
; %bb.20367:
	s_or_b64 exec, exec, s[8:9]
	s_and_b64 s[4:5], s[4:5], exec
	s_or_saveexec_b64 s[6:7], s[6:7]
	v_mov_b32_e32 v14, s10
	s_xor_b64 exec, exec, s[6:7]
	s_cbranch_execnz .LBB1_20368
; %bb.56205:
	s_getpc_b64 s[14:15]
.Lpost_getpc13766:
	s_add_u32 s14, s14, (.LBB1_6030-.Lpost_getpc13766)&4294967295
	s_addc_u32 s15, s15, (.LBB1_6030-.Lpost_getpc13766)>>32
	s_setpc_b64 s[14:15]
.LBB1_20368:
	v_mov_b32_e32 v14, 0
	v_cmp_ne_u16_sdwa s[8:9], v13, v14 src0_sel:BYTE_0 src1_sel:DWORD
	s_andn2_b64 s[4:5], s[4:5], exec
	s_and_b64 s[8:9], s[8:9], exec
	s_or_b64 s[4:5], s[4:5], s[8:9]
	s_or_b64 exec, exec, s[6:7]
	s_and_saveexec_b64 s[6:7], s[4:5]
	s_cbranch_execz .LBB1_31687
; %bb.56207:
	s_getpc_b64 s[14:15]
.Lpost_getpc13767:
	s_add_u32 s14, s14, (.LBB1_6031-.Lpost_getpc13767)&4294967295
	s_addc_u32 s15, s15, (.LBB1_6031-.Lpost_getpc13767)>>32
	s_setpc_b64 s[14:15]
.LBB1_31687:
	s_getpc_b64 s[14:15]
.Lpost_getpc1507:
	s_add_u32 s14, s14, (.LBB1_6032-.Lpost_getpc1507)&4294967295
	s_addc_u32 s15, s15, (.LBB1_6032-.Lpost_getpc1507)>>32
	s_setpc_b64 s[14:15]
.LBB1_20369:
	s_movk_i32 s4, 0x80
	v_cmp_eq_u16_e32 vcc, s4, v13
	s_mov_b64 s[4:5], -1
                                        ; implicit-def: $sgpr10
	s_and_saveexec_b64 s[8:9], vcc
; %bb.20370:
	s_mov_b32 s10, 0x7f800001
	s_xor_b64 s[4:5], exec, -1
; %bb.20371:
	s_or_b64 exec, exec, s[8:9]
	s_and_b64 s[4:5], s[4:5], exec
                                        ; implicit-def: $vgpr13
	s_or_saveexec_b64 s[6:7], s[6:7]
	v_mov_b32_e32 v12, s10
	s_xor_b64 exec, exec, s[6:7]
	s_cbranch_execnz .LBB1_20372
; %bb.56209:
	s_getpc_b64 s[14:15]
.Lpost_getpc13768:
	s_add_u32 s14, s14, (.LBB1_6034-.Lpost_getpc13768)&4294967295
	s_addc_u32 s15, s15, (.LBB1_6034-.Lpost_getpc13768)>>32
	s_setpc_b64 s[14:15]
.LBB1_20372:
	v_cmp_ne_u16_e32 vcc, 0, v13
	s_andn2_b64 s[4:5], s[4:5], exec
	s_and_b64 s[8:9], vcc, exec
	v_mov_b32_e32 v12, 0
	s_or_b64 s[4:5], s[4:5], s[8:9]
	s_or_b64 exec, exec, s[6:7]
	s_and_saveexec_b64 s[6:7], s[4:5]
	s_cbranch_execz .LBB1_31689
; %bb.56211:
	s_getpc_b64 s[14:15]
.Lpost_getpc13769:
	s_add_u32 s14, s14, (.LBB1_6035-.Lpost_getpc13769)&4294967295
	s_addc_u32 s15, s15, (.LBB1_6035-.Lpost_getpc13769)>>32
	s_setpc_b64 s[14:15]
.LBB1_31689:
	s_getpc_b64 s[14:15]
.Lpost_getpc1508:
	s_add_u32 s14, s14, (.LBB1_6036-.Lpost_getpc1508)&4294967295
	s_addc_u32 s15, s15, (.LBB1_6036-.Lpost_getpc1508)>>32
	s_setpc_b64 s[14:15]
.LBB1_20373:
	s_movk_i32 s4, 0x80
	v_cmp_eq_u16_e32 vcc, s4, v13
	s_mov_b64 s[4:5], -1
                                        ; implicit-def: $sgpr10
	s_and_saveexec_b64 s[8:9], vcc
; %bb.20374:
	s_mov_b32 s10, 0x7f800001
	s_xor_b64 s[4:5], exec, -1
; %bb.20375:
	s_or_b64 exec, exec, s[8:9]
	s_and_b64 s[4:5], s[4:5], exec
                                        ; implicit-def: $vgpr13
	s_or_saveexec_b64 s[6:7], s[6:7]
	v_mov_b32_e32 v14, s10
	s_xor_b64 exec, exec, s[6:7]
	s_cbranch_execnz .LBB1_20376
; %bb.56213:
	s_getpc_b64 s[14:15]
.Lpost_getpc13770:
	s_add_u32 s14, s14, (.LBB1_6038-.Lpost_getpc13770)&4294967295
	s_addc_u32 s15, s15, (.LBB1_6038-.Lpost_getpc13770)>>32
	s_setpc_b64 s[14:15]
.LBB1_20376:
	v_cmp_ne_u16_e32 vcc, 0, v13
	s_andn2_b64 s[4:5], s[4:5], exec
	s_and_b64 s[8:9], vcc, exec
	v_mov_b32_e32 v14, 0
	s_or_b64 s[4:5], s[4:5], s[8:9]
	s_or_b64 exec, exec, s[6:7]
	s_and_saveexec_b64 s[6:7], s[4:5]
	s_cbranch_execz .LBB1_31691
; %bb.56215:
	s_getpc_b64 s[14:15]
.Lpost_getpc13771:
	s_add_u32 s14, s14, (.LBB1_6039-.Lpost_getpc13771)&4294967295
	s_addc_u32 s15, s15, (.LBB1_6039-.Lpost_getpc13771)>>32
	s_setpc_b64 s[14:15]
.LBB1_31691:
	s_getpc_b64 s[14:15]
.Lpost_getpc1509:
	s_add_u32 s14, s14, (.LBB1_6040-.Lpost_getpc1509)&4294967295
	s_addc_u32 s15, s15, (.LBB1_6040-.Lpost_getpc1509)>>32
	s_setpc_b64 s[14:15]
.LBB1_20377:
	s_movk_i32 s4, 0x80
	v_cmp_eq_u16_sdwa s[12:13], v6, s4 src0_sel:BYTE_3 src1_sel:DWORD
	s_mov_b64 s[4:5], -1
                                        ; implicit-def: $sgpr10
	s_and_saveexec_b64 s[8:9], s[12:13]
; %bb.20378:
	s_mov_b32 s10, 0x7f800001
	s_xor_b64 s[4:5], exec, -1
; %bb.20379:
	s_or_b64 exec, exec, s[8:9]
	s_and_b64 s[4:5], s[4:5], exec
	s_or_saveexec_b64 s[6:7], s[6:7]
	v_mov_b32_e32 v12, s10
	s_xor_b64 exec, exec, s[6:7]
	s_cbranch_execnz .LBB1_20380
; %bb.56217:
	s_getpc_b64 s[14:15]
.Lpost_getpc13772:
	s_add_u32 s14, s14, (.LBB1_6042-.Lpost_getpc13772)&4294967295
	s_addc_u32 s15, s15, (.LBB1_6042-.Lpost_getpc13772)>>32
	s_setpc_b64 s[14:15]
.LBB1_20380:
	v_mov_b32_e32 v12, 0
	v_cmp_ne_u16_sdwa s[8:9], v6, v12 src0_sel:BYTE_3 src1_sel:DWORD
	s_andn2_b64 s[4:5], s[4:5], exec
	s_and_b64 s[8:9], s[8:9], exec
	s_or_b64 s[4:5], s[4:5], s[8:9]
	s_or_b64 exec, exec, s[6:7]
	s_and_saveexec_b64 s[6:7], s[4:5]
	s_cbranch_execz .LBB1_31693
; %bb.56219:
	s_getpc_b64 s[14:15]
.Lpost_getpc13773:
	s_add_u32 s14, s14, (.LBB1_6043-.Lpost_getpc13773)&4294967295
	s_addc_u32 s15, s15, (.LBB1_6043-.Lpost_getpc13773)>>32
	s_setpc_b64 s[14:15]
.LBB1_31693:
	s_getpc_b64 s[14:15]
.Lpost_getpc1510:
	s_add_u32 s14, s14, (.LBB1_6044-.Lpost_getpc1510)&4294967295
	s_addc_u32 s15, s15, (.LBB1_6044-.Lpost_getpc1510)>>32
	s_setpc_b64 s[14:15]
.LBB1_20381:
	s_movk_i32 s4, 0x80
	v_cmp_eq_u16_sdwa s[12:13], v2, s4 src0_sel:BYTE_3 src1_sel:DWORD
	s_mov_b64 s[4:5], -1
                                        ; implicit-def: $sgpr10
	s_and_saveexec_b64 s[8:9], s[12:13]
; %bb.20382:
	s_mov_b32 s10, 0x7f800001
	s_xor_b64 s[4:5], exec, -1
; %bb.20383:
	s_or_b64 exec, exec, s[8:9]
	s_and_b64 s[4:5], s[4:5], exec
	s_or_saveexec_b64 s[6:7], s[6:7]
	v_mov_b32_e32 v6, s10
	s_xor_b64 exec, exec, s[6:7]
	s_cbranch_execnz .LBB1_20384
; %bb.56221:
	s_getpc_b64 s[14:15]
.Lpost_getpc13774:
	s_add_u32 s14, s14, (.LBB1_6046-.Lpost_getpc13774)&4294967295
	s_addc_u32 s15, s15, (.LBB1_6046-.Lpost_getpc13774)>>32
	s_setpc_b64 s[14:15]
.LBB1_20384:
	v_mov_b32_e32 v6, 0
	v_cmp_ne_u16_sdwa s[8:9], v2, v6 src0_sel:BYTE_3 src1_sel:DWORD
	s_andn2_b64 s[4:5], s[4:5], exec
	s_and_b64 s[8:9], s[8:9], exec
	s_or_b64 s[4:5], s[4:5], s[8:9]
	s_or_b64 exec, exec, s[6:7]
	s_and_saveexec_b64 s[6:7], s[4:5]
	s_cbranch_execz .LBB1_31695
; %bb.56223:
	s_getpc_b64 s[14:15]
.Lpost_getpc13775:
	s_add_u32 s14, s14, (.LBB1_6047-.Lpost_getpc13775)&4294967295
	s_addc_u32 s15, s15, (.LBB1_6047-.Lpost_getpc13775)>>32
	s_setpc_b64 s[14:15]
.LBB1_31695:
	s_getpc_b64 s[14:15]
.Lpost_getpc1511:
	s_add_u32 s14, s14, (.LBB1_6048-.Lpost_getpc1511)&4294967295
	s_addc_u32 s15, s15, (.LBB1_6048-.Lpost_getpc1511)>>32
	s_setpc_b64 s[14:15]
.LBB1_20385:
	s_movk_i32 s4, 0x80
	v_cmp_eq_u16_sdwa s[12:13], v7, s4 src0_sel:BYTE_0 src1_sel:DWORD
	s_mov_b64 s[4:5], -1
                                        ; implicit-def: $sgpr10
	s_and_saveexec_b64 s[8:9], s[12:13]
; %bb.20386:
	s_mov_b32 s10, 0x7f800001
	s_xor_b64 s[4:5], exec, -1
; %bb.20387:
	s_or_b64 exec, exec, s[8:9]
	s_and_b64 s[4:5], s[4:5], exec
	s_or_saveexec_b64 s[6:7], s[6:7]
	v_mov_b32_e32 v2, s10
	s_xor_b64 exec, exec, s[6:7]
	s_cbranch_execnz .LBB1_20388
; %bb.56225:
	s_getpc_b64 s[14:15]
.Lpost_getpc13776:
	s_add_u32 s14, s14, (.LBB1_6050-.Lpost_getpc13776)&4294967295
	s_addc_u32 s15, s15, (.LBB1_6050-.Lpost_getpc13776)>>32
	s_setpc_b64 s[14:15]
.LBB1_20388:
	v_mov_b32_e32 v2, 0
	v_cmp_ne_u16_sdwa s[8:9], v7, v2 src0_sel:BYTE_0 src1_sel:DWORD
	s_andn2_b64 s[4:5], s[4:5], exec
	s_and_b64 s[8:9], s[8:9], exec
	s_or_b64 s[4:5], s[4:5], s[8:9]
	s_or_b64 exec, exec, s[6:7]
	s_and_saveexec_b64 s[6:7], s[4:5]
	s_cbranch_execz .LBB1_31697
; %bb.56227:
	s_getpc_b64 s[14:15]
.Lpost_getpc13777:
	s_add_u32 s14, s14, (.LBB1_6051-.Lpost_getpc13777)&4294967295
	s_addc_u32 s15, s15, (.LBB1_6051-.Lpost_getpc13777)>>32
	s_setpc_b64 s[14:15]
.LBB1_31697:
	s_getpc_b64 s[14:15]
.Lpost_getpc1512:
	s_add_u32 s14, s14, (.LBB1_6052-.Lpost_getpc1512)&4294967295
	s_addc_u32 s15, s15, (.LBB1_6052-.Lpost_getpc1512)>>32
	s_setpc_b64 s[14:15]
.LBB1_20389:
	s_movk_i32 s4, 0x80
	v_cmp_eq_u16_sdwa s[12:13], v3, s4 src0_sel:BYTE_0 src1_sel:DWORD
	s_mov_b64 s[4:5], -1
                                        ; implicit-def: $sgpr10
	s_and_saveexec_b64 s[8:9], s[12:13]
; %bb.20390:
	s_mov_b32 s10, 0x7f800001
	s_xor_b64 s[4:5], exec, -1
; %bb.20391:
	s_or_b64 exec, exec, s[8:9]
	s_and_b64 s[4:5], s[4:5], exec
	s_or_saveexec_b64 s[6:7], s[6:7]
	v_mov_b32_e32 v6, s10
	s_xor_b64 exec, exec, s[6:7]
	s_cbranch_execnz .LBB1_20392
; %bb.56229:
	s_getpc_b64 s[14:15]
.Lpost_getpc13778:
	s_add_u32 s14, s14, (.LBB1_6054-.Lpost_getpc13778)&4294967295
	s_addc_u32 s15, s15, (.LBB1_6054-.Lpost_getpc13778)>>32
	s_setpc_b64 s[14:15]
.LBB1_20392:
	v_mov_b32_e32 v6, 0
	v_cmp_ne_u16_sdwa s[8:9], v3, v6 src0_sel:BYTE_0 src1_sel:DWORD
	s_andn2_b64 s[4:5], s[4:5], exec
	s_and_b64 s[8:9], s[8:9], exec
	s_or_b64 s[4:5], s[4:5], s[8:9]
	s_or_b64 exec, exec, s[6:7]
	s_and_saveexec_b64 s[6:7], s[4:5]
	s_cbranch_execz .LBB1_31699
; %bb.56231:
	s_getpc_b64 s[14:15]
.Lpost_getpc13779:
	s_add_u32 s14, s14, (.LBB1_6055-.Lpost_getpc13779)&4294967295
	s_addc_u32 s15, s15, (.LBB1_6055-.Lpost_getpc13779)>>32
	s_setpc_b64 s[14:15]
.LBB1_31699:
	s_getpc_b64 s[14:15]
.Lpost_getpc1513:
	s_add_u32 s14, s14, (.LBB1_6056-.Lpost_getpc1513)&4294967295
	s_addc_u32 s15, s15, (.LBB1_6056-.Lpost_getpc1513)>>32
	s_setpc_b64 s[14:15]
.LBB1_20393:
	s_movk_i32 s4, 0x80
	v_cmp_eq_u16_sdwa s[12:13], v6, s4 src0_sel:BYTE_0 src1_sel:DWORD
	s_mov_b64 s[4:5], -1
                                        ; implicit-def: $sgpr10
	s_and_saveexec_b64 s[8:9], s[12:13]
; %bb.20394:
	s_mov_b32 s10, 0x7f800001
	s_xor_b64 s[4:5], exec, -1
; %bb.20395:
	s_or_b64 exec, exec, s[8:9]
	s_and_b64 s[4:5], s[4:5], exec
	s_or_saveexec_b64 s[6:7], s[6:7]
	v_mov_b32_e32 v2, s10
	s_xor_b64 exec, exec, s[6:7]
	s_cbranch_execnz .LBB1_20396
; %bb.56233:
	s_getpc_b64 s[14:15]
.Lpost_getpc13780:
	s_add_u32 s14, s14, (.LBB1_6058-.Lpost_getpc13780)&4294967295
	s_addc_u32 s15, s15, (.LBB1_6058-.Lpost_getpc13780)>>32
	s_setpc_b64 s[14:15]
.LBB1_20396:
	v_mov_b32_e32 v2, 0
	v_cmp_ne_u16_sdwa s[8:9], v6, v2 src0_sel:BYTE_0 src1_sel:DWORD
	s_andn2_b64 s[4:5], s[4:5], exec
	s_and_b64 s[8:9], s[8:9], exec
	s_or_b64 s[4:5], s[4:5], s[8:9]
	s_or_b64 exec, exec, s[6:7]
	s_and_saveexec_b64 s[6:7], s[4:5]
	s_cbranch_execz .LBB1_31701
; %bb.56235:
	s_getpc_b64 s[14:15]
.Lpost_getpc13781:
	s_add_u32 s14, s14, (.LBB1_6059-.Lpost_getpc13781)&4294967295
	s_addc_u32 s15, s15, (.LBB1_6059-.Lpost_getpc13781)>>32
	s_setpc_b64 s[14:15]
.LBB1_31701:
	s_getpc_b64 s[14:15]
.Lpost_getpc1514:
	s_add_u32 s14, s14, (.LBB1_6060-.Lpost_getpc1514)&4294967295
	s_addc_u32 s15, s15, (.LBB1_6060-.Lpost_getpc1514)>>32
	s_setpc_b64 s[14:15]
.LBB1_20397:
	s_movk_i32 s4, 0x80
	v_cmp_eq_u16_sdwa s[12:13], v6, s4 src0_sel:BYTE_0 src1_sel:DWORD
	s_mov_b64 s[4:5], -1
                                        ; implicit-def: $sgpr10
	s_and_saveexec_b64 s[8:9], s[12:13]
; %bb.20398:
	s_mov_b32 s10, 0x7f800001
	s_xor_b64 s[4:5], exec, -1
; %bb.20399:
	s_or_b64 exec, exec, s[8:9]
	s_and_b64 s[4:5], s[4:5], exec
	s_or_saveexec_b64 s[6:7], s[6:7]
	v_mov_b32_e32 v12, s10
	s_xor_b64 exec, exec, s[6:7]
	s_cbranch_execnz .LBB1_20400
; %bb.56237:
	s_getpc_b64 s[14:15]
.Lpost_getpc13782:
	s_add_u32 s14, s14, (.LBB1_6062-.Lpost_getpc13782)&4294967295
	s_addc_u32 s15, s15, (.LBB1_6062-.Lpost_getpc13782)>>32
	s_setpc_b64 s[14:15]
.LBB1_20400:
	v_mov_b32_e32 v12, 0
	v_cmp_ne_u16_sdwa s[8:9], v6, v12 src0_sel:BYTE_0 src1_sel:DWORD
	s_andn2_b64 s[4:5], s[4:5], exec
	s_and_b64 s[8:9], s[8:9], exec
	s_or_b64 s[4:5], s[4:5], s[8:9]
	s_or_b64 exec, exec, s[6:7]
	s_and_saveexec_b64 s[6:7], s[4:5]
	s_cbranch_execz .LBB1_31703
; %bb.56239:
	s_getpc_b64 s[14:15]
.Lpost_getpc13783:
	s_add_u32 s14, s14, (.LBB1_6063-.Lpost_getpc13783)&4294967295
	s_addc_u32 s15, s15, (.LBB1_6063-.Lpost_getpc13783)>>32
	s_setpc_b64 s[14:15]
.LBB1_31703:
	s_getpc_b64 s[14:15]
.Lpost_getpc1515:
	s_add_u32 s14, s14, (.LBB1_6064-.Lpost_getpc1515)&4294967295
	s_addc_u32 s15, s15, (.LBB1_6064-.Lpost_getpc1515)>>32
	s_setpc_b64 s[14:15]
.LBB1_20401:
	s_movk_i32 s4, 0x80
	v_cmp_eq_u16_e32 vcc, s4, v6
	s_mov_b64 s[4:5], -1
                                        ; implicit-def: $sgpr10
	s_and_saveexec_b64 s[8:9], vcc
; %bb.20402:
	s_mov_b32 s10, 0x7f800001
	s_xor_b64 s[4:5], exec, -1
; %bb.20403:
	s_or_b64 exec, exec, s[8:9]
	s_and_b64 s[4:5], s[4:5], exec
                                        ; implicit-def: $vgpr6
	s_or_saveexec_b64 s[6:7], s[6:7]
	v_mov_b32_e32 v2, s10
	s_xor_b64 exec, exec, s[6:7]
	s_cbranch_execnz .LBB1_20404
; %bb.56241:
	s_getpc_b64 s[14:15]
.Lpost_getpc13784:
	s_add_u32 s14, s14, (.LBB1_6066-.Lpost_getpc13784)&4294967295
	s_addc_u32 s15, s15, (.LBB1_6066-.Lpost_getpc13784)>>32
	s_setpc_b64 s[14:15]
.LBB1_20404:
	v_cmp_ne_u16_e32 vcc, 0, v6
	s_andn2_b64 s[4:5], s[4:5], exec
	s_and_b64 s[8:9], vcc, exec
	v_mov_b32_e32 v2, 0
	s_or_b64 s[4:5], s[4:5], s[8:9]
	s_or_b64 exec, exec, s[6:7]
	s_and_saveexec_b64 s[6:7], s[4:5]
	s_cbranch_execz .LBB1_31705
; %bb.56243:
	s_getpc_b64 s[14:15]
.Lpost_getpc13785:
	s_add_u32 s14, s14, (.LBB1_6067-.Lpost_getpc13785)&4294967295
	s_addc_u32 s15, s15, (.LBB1_6067-.Lpost_getpc13785)>>32
	s_setpc_b64 s[14:15]
.LBB1_31705:
	s_getpc_b64 s[14:15]
.Lpost_getpc1516:
	s_add_u32 s14, s14, (.LBB1_6068-.Lpost_getpc1516)&4294967295
	s_addc_u32 s15, s15, (.LBB1_6068-.Lpost_getpc1516)>>32
	s_setpc_b64 s[14:15]
.LBB1_20405:
	s_movk_i32 s4, 0x80
	v_cmp_eq_u16_e32 vcc, s4, v6
	s_mov_b64 s[4:5], -1
                                        ; implicit-def: $sgpr10
	s_and_saveexec_b64 s[8:9], vcc
; %bb.20406:
	s_mov_b32 s10, 0x7f800001
	s_xor_b64 s[4:5], exec, -1
; %bb.20407:
	s_or_b64 exec, exec, s[8:9]
	s_and_b64 s[4:5], s[4:5], exec
                                        ; implicit-def: $vgpr6
	s_or_saveexec_b64 s[6:7], s[6:7]
	v_mov_b32_e32 v12, s10
	s_xor_b64 exec, exec, s[6:7]
	s_cbranch_execnz .LBB1_20408
; %bb.56245:
	s_getpc_b64 s[14:15]
.Lpost_getpc13786:
	s_add_u32 s14, s14, (.LBB1_6070-.Lpost_getpc13786)&4294967295
	s_addc_u32 s15, s15, (.LBB1_6070-.Lpost_getpc13786)>>32
	s_setpc_b64 s[14:15]
.LBB1_20408:
	v_cmp_ne_u16_e32 vcc, 0, v6
	s_andn2_b64 s[4:5], s[4:5], exec
	s_and_b64 s[8:9], vcc, exec
	v_mov_b32_e32 v12, 0
	s_or_b64 s[4:5], s[4:5], s[8:9]
	s_or_b64 exec, exec, s[6:7]
	s_and_saveexec_b64 s[6:7], s[4:5]
	s_cbranch_execz .LBB1_31707
; %bb.56247:
	s_getpc_b64 s[14:15]
.Lpost_getpc13787:
	s_add_u32 s14, s14, (.LBB1_6071-.Lpost_getpc13787)&4294967295
	s_addc_u32 s15, s15, (.LBB1_6071-.Lpost_getpc13787)>>32
	s_setpc_b64 s[14:15]
.LBB1_31707:
	s_getpc_b64 s[14:15]
.Lpost_getpc1517:
	s_add_u32 s14, s14, (.LBB1_6072-.Lpost_getpc1517)&4294967295
	s_addc_u32 s15, s15, (.LBB1_6072-.Lpost_getpc1517)>>32
	s_setpc_b64 s[14:15]
.LBB1_20409:
	s_movk_i32 s4, 0x80
	v_cmp_eq_u16_sdwa s[12:13], v7, s4 src0_sel:BYTE_3 src1_sel:DWORD
	s_mov_b64 s[4:5], -1
                                        ; implicit-def: $sgpr10
	s_and_saveexec_b64 s[8:9], s[12:13]
; %bb.20410:
	s_mov_b32 s10, 0x7f800001
	s_xor_b64 s[4:5], exec, -1
; %bb.20411:
	s_or_b64 exec, exec, s[8:9]
	s_and_b64 s[4:5], s[4:5], exec
	s_or_saveexec_b64 s[6:7], s[6:7]
	v_mov_b32_e32 v2, s10
	s_xor_b64 exec, exec, s[6:7]
	s_cbranch_execnz .LBB1_20412
; %bb.56249:
	s_getpc_b64 s[14:15]
.Lpost_getpc13788:
	s_add_u32 s14, s14, (.LBB1_6074-.Lpost_getpc13788)&4294967295
	s_addc_u32 s15, s15, (.LBB1_6074-.Lpost_getpc13788)>>32
	s_setpc_b64 s[14:15]
.LBB1_20412:
	v_mov_b32_e32 v2, 0
	v_cmp_ne_u16_sdwa s[8:9], v7, v2 src0_sel:BYTE_3 src1_sel:DWORD
	s_andn2_b64 s[4:5], s[4:5], exec
	s_and_b64 s[8:9], s[8:9], exec
	s_or_b64 s[4:5], s[4:5], s[8:9]
	s_or_b64 exec, exec, s[6:7]
	s_and_saveexec_b64 s[6:7], s[4:5]
	s_cbranch_execz .LBB1_31709
; %bb.56251:
	s_getpc_b64 s[14:15]
.Lpost_getpc13789:
	s_add_u32 s14, s14, (.LBB1_6075-.Lpost_getpc13789)&4294967295
	s_addc_u32 s15, s15, (.LBB1_6075-.Lpost_getpc13789)>>32
	s_setpc_b64 s[14:15]
.LBB1_31709:
	s_getpc_b64 s[14:15]
.Lpost_getpc1518:
	s_add_u32 s14, s14, (.LBB1_6076-.Lpost_getpc1518)&4294967295
	s_addc_u32 s15, s15, (.LBB1_6076-.Lpost_getpc1518)>>32
	s_setpc_b64 s[14:15]
.LBB1_20413:
	s_movk_i32 s4, 0x80
	v_cmp_eq_u16_sdwa s[12:13], v3, s4 src0_sel:BYTE_3 src1_sel:DWORD
	s_mov_b64 s[4:5], -1
                                        ; implicit-def: $sgpr10
	s_and_saveexec_b64 s[8:9], s[12:13]
; %bb.20414:
	s_mov_b32 s10, 0x7f800001
	s_xor_b64 s[4:5], exec, -1
; %bb.20415:
	s_or_b64 exec, exec, s[8:9]
	s_and_b64 s[4:5], s[4:5], exec
	s_or_saveexec_b64 s[6:7], s[6:7]
	v_mov_b32_e32 v6, s10
	s_xor_b64 exec, exec, s[6:7]
	s_cbranch_execnz .LBB1_20416
; %bb.56253:
	s_getpc_b64 s[14:15]
.Lpost_getpc13790:
	s_add_u32 s14, s14, (.LBB1_6078-.Lpost_getpc13790)&4294967295
	s_addc_u32 s15, s15, (.LBB1_6078-.Lpost_getpc13790)>>32
	s_setpc_b64 s[14:15]
.LBB1_20416:
	v_mov_b32_e32 v6, 0
	v_cmp_ne_u16_sdwa s[8:9], v3, v6 src0_sel:BYTE_3 src1_sel:DWORD
	s_andn2_b64 s[4:5], s[4:5], exec
	s_and_b64 s[8:9], s[8:9], exec
	s_or_b64 s[4:5], s[4:5], s[8:9]
	s_or_b64 exec, exec, s[6:7]
	s_and_saveexec_b64 s[6:7], s[4:5]
	s_cbranch_execz .LBB1_31711
; %bb.56255:
	s_getpc_b64 s[14:15]
.Lpost_getpc13791:
	s_add_u32 s14, s14, (.LBB1_6079-.Lpost_getpc13791)&4294967295
	s_addc_u32 s15, s15, (.LBB1_6079-.Lpost_getpc13791)>>32
	s_setpc_b64 s[14:15]
.LBB1_31711:
	s_getpc_b64 s[14:15]
.Lpost_getpc1519:
	s_add_u32 s14, s14, (.LBB1_6080-.Lpost_getpc1519)&4294967295
	s_addc_u32 s15, s15, (.LBB1_6080-.Lpost_getpc1519)>>32
	s_setpc_b64 s[14:15]
.LBB1_20417:
	s_movk_i32 s4, 0x80
	v_cmp_eq_u16_sdwa s[12:13], v8, s4 src0_sel:BYTE_0 src1_sel:DWORD
	s_mov_b64 s[4:5], -1
                                        ; implicit-def: $sgpr10
	s_and_saveexec_b64 s[8:9], s[12:13]
; %bb.20418:
	s_mov_b32 s10, 0x7f800001
	s_xor_b64 s[4:5], exec, -1
; %bb.20419:
	s_or_b64 exec, exec, s[8:9]
	s_and_b64 s[4:5], s[4:5], exec
	s_or_saveexec_b64 s[6:7], s[6:7]
	v_mov_b32_e32 v2, s10
	s_xor_b64 exec, exec, s[6:7]
	s_cbranch_execnz .LBB1_20420
; %bb.56257:
	s_getpc_b64 s[14:15]
.Lpost_getpc13792:
	s_add_u32 s14, s14, (.LBB1_6082-.Lpost_getpc13792)&4294967295
	s_addc_u32 s15, s15, (.LBB1_6082-.Lpost_getpc13792)>>32
	s_setpc_b64 s[14:15]
.LBB1_20420:
	v_mov_b32_e32 v2, 0
	v_cmp_ne_u16_sdwa s[8:9], v8, v2 src0_sel:BYTE_0 src1_sel:DWORD
	s_andn2_b64 s[4:5], s[4:5], exec
	s_and_b64 s[8:9], s[8:9], exec
	s_or_b64 s[4:5], s[4:5], s[8:9]
	s_or_b64 exec, exec, s[6:7]
	s_and_saveexec_b64 s[6:7], s[4:5]
	s_cbranch_execz .LBB1_31713
; %bb.56259:
	s_getpc_b64 s[14:15]
.Lpost_getpc13793:
	s_add_u32 s14, s14, (.LBB1_6083-.Lpost_getpc13793)&4294967295
	s_addc_u32 s15, s15, (.LBB1_6083-.Lpost_getpc13793)>>32
	s_setpc_b64 s[14:15]
.LBB1_31713:
	s_getpc_b64 s[14:15]
.Lpost_getpc1520:
	s_add_u32 s14, s14, (.LBB1_6084-.Lpost_getpc1520)&4294967295
	s_addc_u32 s15, s15, (.LBB1_6084-.Lpost_getpc1520)>>32
	s_setpc_b64 s[14:15]
.LBB1_20421:
	s_movk_i32 s4, 0x80
	v_cmp_eq_u16_sdwa s[12:13], v4, s4 src0_sel:BYTE_0 src1_sel:DWORD
	s_mov_b64 s[4:5], -1
                                        ; implicit-def: $sgpr10
	s_and_saveexec_b64 s[8:9], s[12:13]
; %bb.20422:
	s_mov_b32 s10, 0x7f800001
	s_xor_b64 s[4:5], exec, -1
; %bb.20423:
	s_or_b64 exec, exec, s[8:9]
	s_and_b64 s[4:5], s[4:5], exec
	s_or_saveexec_b64 s[6:7], s[6:7]
	v_mov_b32_e32 v3, s10
	s_xor_b64 exec, exec, s[6:7]
	s_cbranch_execnz .LBB1_20424
; %bb.56261:
	s_getpc_b64 s[14:15]
.Lpost_getpc13794:
	s_add_u32 s14, s14, (.LBB1_6086-.Lpost_getpc13794)&4294967295
	s_addc_u32 s15, s15, (.LBB1_6086-.Lpost_getpc13794)>>32
	s_setpc_b64 s[14:15]
.LBB1_20424:
	v_mov_b32_e32 v3, 0
	v_cmp_ne_u16_sdwa s[8:9], v4, v3 src0_sel:BYTE_0 src1_sel:DWORD
	s_andn2_b64 s[4:5], s[4:5], exec
	s_and_b64 s[8:9], s[8:9], exec
	s_or_b64 s[4:5], s[4:5], s[8:9]
	s_or_b64 exec, exec, s[6:7]
	s_and_saveexec_b64 s[6:7], s[4:5]
	s_cbranch_execz .LBB1_31715
; %bb.56263:
	s_getpc_b64 s[14:15]
.Lpost_getpc13795:
	s_add_u32 s14, s14, (.LBB1_6087-.Lpost_getpc13795)&4294967295
	s_addc_u32 s15, s15, (.LBB1_6087-.Lpost_getpc13795)>>32
	s_setpc_b64 s[14:15]
.LBB1_31715:
	s_getpc_b64 s[14:15]
.Lpost_getpc1521:
	s_add_u32 s14, s14, (.LBB1_6088-.Lpost_getpc1521)&4294967295
	s_addc_u32 s15, s15, (.LBB1_6088-.Lpost_getpc1521)>>32
	s_setpc_b64 s[14:15]
.LBB1_20425:
	s_movk_i32 s4, 0x80
	v_cmp_eq_u16_sdwa s[12:13], v3, s4 src0_sel:BYTE_0 src1_sel:DWORD
	s_mov_b64 s[4:5], -1
                                        ; implicit-def: $sgpr10
	s_and_saveexec_b64 s[8:9], s[12:13]
; %bb.20426:
	s_mov_b32 s10, 0x7f800001
	s_xor_b64 s[4:5], exec, -1
; %bb.20427:
	s_or_b64 exec, exec, s[8:9]
	s_and_b64 s[4:5], s[4:5], exec
	s_or_saveexec_b64 s[6:7], s[6:7]
	v_mov_b32_e32 v2, s10
	s_xor_b64 exec, exec, s[6:7]
	s_cbranch_execnz .LBB1_20428
; %bb.56265:
	s_getpc_b64 s[14:15]
.Lpost_getpc13796:
	s_add_u32 s14, s14, (.LBB1_6090-.Lpost_getpc13796)&4294967295
	s_addc_u32 s15, s15, (.LBB1_6090-.Lpost_getpc13796)>>32
	s_setpc_b64 s[14:15]
.LBB1_20428:
	v_mov_b32_e32 v2, 0
	v_cmp_ne_u16_sdwa s[8:9], v3, v2 src0_sel:BYTE_0 src1_sel:DWORD
	s_andn2_b64 s[4:5], s[4:5], exec
	s_and_b64 s[8:9], s[8:9], exec
	s_or_b64 s[4:5], s[4:5], s[8:9]
	s_or_b64 exec, exec, s[6:7]
	s_and_saveexec_b64 s[6:7], s[4:5]
	s_cbranch_execz .LBB1_31717
; %bb.56267:
	s_getpc_b64 s[14:15]
.Lpost_getpc13797:
	s_add_u32 s14, s14, (.LBB1_6091-.Lpost_getpc13797)&4294967295
	s_addc_u32 s15, s15, (.LBB1_6091-.Lpost_getpc13797)>>32
	s_setpc_b64 s[14:15]
.LBB1_31717:
	s_getpc_b64 s[14:15]
.Lpost_getpc1522:
	s_add_u32 s14, s14, (.LBB1_6092-.Lpost_getpc1522)&4294967295
	s_addc_u32 s15, s15, (.LBB1_6092-.Lpost_getpc1522)>>32
	s_setpc_b64 s[14:15]
.LBB1_20429:
	s_movk_i32 s4, 0x80
	v_cmp_eq_u16_sdwa s[12:13], v3, s4 src0_sel:BYTE_0 src1_sel:DWORD
	s_mov_b64 s[4:5], -1
                                        ; implicit-def: $sgpr10
	s_and_saveexec_b64 s[8:9], s[12:13]
; %bb.20430:
	s_mov_b32 s10, 0x7f800001
	s_xor_b64 s[4:5], exec, -1
; %bb.20431:
	s_or_b64 exec, exec, s[8:9]
	s_and_b64 s[4:5], s[4:5], exec
	s_or_saveexec_b64 s[6:7], s[6:7]
	v_mov_b32_e32 v6, s10
	s_xor_b64 exec, exec, s[6:7]
	s_cbranch_execnz .LBB1_20432
; %bb.56269:
	s_getpc_b64 s[14:15]
.Lpost_getpc13798:
	s_add_u32 s14, s14, (.LBB1_6094-.Lpost_getpc13798)&4294967295
	s_addc_u32 s15, s15, (.LBB1_6094-.Lpost_getpc13798)>>32
	s_setpc_b64 s[14:15]
.LBB1_20432:
	v_mov_b32_e32 v6, 0
	v_cmp_ne_u16_sdwa s[8:9], v3, v6 src0_sel:BYTE_0 src1_sel:DWORD
	s_andn2_b64 s[4:5], s[4:5], exec
	s_and_b64 s[8:9], s[8:9], exec
	s_or_b64 s[4:5], s[4:5], s[8:9]
	s_or_b64 exec, exec, s[6:7]
	s_and_saveexec_b64 s[6:7], s[4:5]
	s_cbranch_execz .LBB1_31719
; %bb.56271:
	s_getpc_b64 s[14:15]
.Lpost_getpc13799:
	s_add_u32 s14, s14, (.LBB1_6095-.Lpost_getpc13799)&4294967295
	s_addc_u32 s15, s15, (.LBB1_6095-.Lpost_getpc13799)>>32
	s_setpc_b64 s[14:15]
.LBB1_31719:
	s_getpc_b64 s[14:15]
.Lpost_getpc1523:
	s_add_u32 s14, s14, (.LBB1_6096-.Lpost_getpc1523)&4294967295
	s_addc_u32 s15, s15, (.LBB1_6096-.Lpost_getpc1523)>>32
	s_setpc_b64 s[14:15]
.LBB1_20433:
	s_movk_i32 s4, 0x80
	v_cmp_eq_u16_e32 vcc, s4, v3
	s_mov_b64 s[4:5], -1
                                        ; implicit-def: $sgpr10
	s_and_saveexec_b64 s[8:9], vcc
; %bb.20434:
	s_mov_b32 s10, 0x7f800001
	s_xor_b64 s[4:5], exec, -1
; %bb.20435:
	s_or_b64 exec, exec, s[8:9]
	s_and_b64 s[4:5], s[4:5], exec
                                        ; implicit-def: $vgpr3
	s_or_saveexec_b64 s[6:7], s[6:7]
	v_mov_b32_e32 v2, s10
	s_xor_b64 exec, exec, s[6:7]
	s_cbranch_execnz .LBB1_20436
; %bb.56273:
	s_getpc_b64 s[14:15]
.Lpost_getpc13800:
	s_add_u32 s14, s14, (.LBB1_6098-.Lpost_getpc13800)&4294967295
	s_addc_u32 s15, s15, (.LBB1_6098-.Lpost_getpc13800)>>32
	s_setpc_b64 s[14:15]
.LBB1_20436:
	v_cmp_ne_u16_e32 vcc, 0, v3
	s_andn2_b64 s[4:5], s[4:5], exec
	s_and_b64 s[8:9], vcc, exec
	v_mov_b32_e32 v2, 0
	s_or_b64 s[4:5], s[4:5], s[8:9]
	s_or_b64 exec, exec, s[6:7]
	s_and_saveexec_b64 s[6:7], s[4:5]
	s_cbranch_execz .LBB1_31721
; %bb.56275:
	s_getpc_b64 s[14:15]
.Lpost_getpc13801:
	s_add_u32 s14, s14, (.LBB1_6099-.Lpost_getpc13801)&4294967295
	s_addc_u32 s15, s15, (.LBB1_6099-.Lpost_getpc13801)>>32
	s_setpc_b64 s[14:15]
.LBB1_31721:
	s_getpc_b64 s[14:15]
.Lpost_getpc1524:
	s_add_u32 s14, s14, (.LBB1_6100-.Lpost_getpc1524)&4294967295
	s_addc_u32 s15, s15, (.LBB1_6100-.Lpost_getpc1524)>>32
	s_setpc_b64 s[14:15]
.LBB1_20437:
	s_movk_i32 s4, 0x80
	v_cmp_eq_u16_e32 vcc, s4, v3
	s_mov_b64 s[4:5], -1
                                        ; implicit-def: $sgpr10
	s_and_saveexec_b64 s[8:9], vcc
; %bb.20438:
	s_mov_b32 s10, 0x7f800001
	s_xor_b64 s[4:5], exec, -1
; %bb.20439:
	s_or_b64 exec, exec, s[8:9]
	s_and_b64 s[4:5], s[4:5], exec
                                        ; implicit-def: $vgpr3
	s_or_saveexec_b64 s[6:7], s[6:7]
	v_mov_b32_e32 v6, s10
	s_xor_b64 exec, exec, s[6:7]
	s_cbranch_execnz .LBB1_20440
; %bb.56277:
	s_getpc_b64 s[14:15]
.Lpost_getpc13802:
	s_add_u32 s14, s14, (.LBB1_6102-.Lpost_getpc13802)&4294967295
	s_addc_u32 s15, s15, (.LBB1_6102-.Lpost_getpc13802)>>32
	s_setpc_b64 s[14:15]
.LBB1_20440:
	v_cmp_ne_u16_e32 vcc, 0, v3
	s_andn2_b64 s[4:5], s[4:5], exec
	s_and_b64 s[8:9], vcc, exec
	v_mov_b32_e32 v6, 0
	s_or_b64 s[4:5], s[4:5], s[8:9]
	s_or_b64 exec, exec, s[6:7]
	s_and_saveexec_b64 s[6:7], s[4:5]
	s_cbranch_execz .LBB1_31723
; %bb.56279:
	s_getpc_b64 s[14:15]
.Lpost_getpc13803:
	s_add_u32 s14, s14, (.LBB1_6103-.Lpost_getpc13803)&4294967295
	s_addc_u32 s15, s15, (.LBB1_6103-.Lpost_getpc13803)>>32
	s_setpc_b64 s[14:15]
.LBB1_31723:
	s_getpc_b64 s[14:15]
.Lpost_getpc1525:
	s_add_u32 s14, s14, (.LBB1_6104-.Lpost_getpc1525)&4294967295
	s_addc_u32 s15, s15, (.LBB1_6104-.Lpost_getpc1525)>>32
	s_setpc_b64 s[14:15]
.LBB1_20441:
	s_movk_i32 s4, 0x80
	v_cmp_eq_u16_sdwa s[12:13], v8, s4 src0_sel:BYTE_3 src1_sel:DWORD
	s_mov_b64 s[4:5], -1
                                        ; implicit-def: $sgpr10
	s_and_saveexec_b64 s[8:9], s[12:13]
; %bb.20442:
	s_mov_b32 s10, 0x7f800001
	s_xor_b64 s[4:5], exec, -1
; %bb.20443:
	s_or_b64 exec, exec, s[8:9]
	s_and_b64 s[4:5], s[4:5], exec
	s_or_saveexec_b64 s[6:7], s[6:7]
	v_mov_b32_e32 v2, s10
	s_xor_b64 exec, exec, s[6:7]
	s_cbranch_execnz .LBB1_20444
; %bb.56281:
	s_getpc_b64 s[14:15]
.Lpost_getpc13804:
	s_add_u32 s14, s14, (.LBB1_6106-.Lpost_getpc13804)&4294967295
	s_addc_u32 s15, s15, (.LBB1_6106-.Lpost_getpc13804)>>32
	s_setpc_b64 s[14:15]
.LBB1_20444:
	v_mov_b32_e32 v2, 0
	v_cmp_ne_u16_sdwa s[8:9], v8, v2 src0_sel:BYTE_3 src1_sel:DWORD
	s_andn2_b64 s[4:5], s[4:5], exec
	s_and_b64 s[8:9], s[8:9], exec
	s_or_b64 s[4:5], s[4:5], s[8:9]
	s_or_b64 exec, exec, s[6:7]
	s_and_saveexec_b64 s[6:7], s[4:5]
	s_cbranch_execz .LBB1_31725
; %bb.56283:
	s_getpc_b64 s[14:15]
.Lpost_getpc13805:
	s_add_u32 s14, s14, (.LBB1_6107-.Lpost_getpc13805)&4294967295
	s_addc_u32 s15, s15, (.LBB1_6107-.Lpost_getpc13805)>>32
	s_setpc_b64 s[14:15]
.LBB1_31725:
	s_getpc_b64 s[14:15]
.Lpost_getpc1526:
	s_add_u32 s14, s14, (.LBB1_6108-.Lpost_getpc1526)&4294967295
	s_addc_u32 s15, s15, (.LBB1_6108-.Lpost_getpc1526)>>32
	s_setpc_b64 s[14:15]
.LBB1_20445:
	s_movk_i32 s4, 0x80
	v_cmp_eq_u16_sdwa s[12:13], v4, s4 src0_sel:BYTE_3 src1_sel:DWORD
	s_mov_b64 s[4:5], -1
                                        ; implicit-def: $sgpr10
	s_and_saveexec_b64 s[8:9], s[12:13]
; %bb.20446:
	s_mov_b32 s10, 0x7f800001
	s_xor_b64 s[4:5], exec, -1
; %bb.20447:
	s_or_b64 exec, exec, s[8:9]
	s_and_b64 s[4:5], s[4:5], exec
	s_or_saveexec_b64 s[6:7], s[6:7]
	v_mov_b32_e32 v3, s10
	s_xor_b64 exec, exec, s[6:7]
	s_cbranch_execnz .LBB1_20448
; %bb.56285:
	s_getpc_b64 s[14:15]
.Lpost_getpc13806:
	s_add_u32 s14, s14, (.LBB1_6110-.Lpost_getpc13806)&4294967295
	s_addc_u32 s15, s15, (.LBB1_6110-.Lpost_getpc13806)>>32
	s_setpc_b64 s[14:15]
.LBB1_20448:
	v_mov_b32_e32 v3, 0
	v_cmp_ne_u16_sdwa s[8:9], v4, v3 src0_sel:BYTE_3 src1_sel:DWORD
	s_andn2_b64 s[4:5], s[4:5], exec
	s_and_b64 s[8:9], s[8:9], exec
	s_or_b64 s[4:5], s[4:5], s[8:9]
	s_or_b64 exec, exec, s[6:7]
	s_and_saveexec_b64 s[6:7], s[4:5]
	s_cbranch_execz .LBB1_31727
; %bb.56287:
	s_getpc_b64 s[14:15]
.Lpost_getpc13807:
	s_add_u32 s14, s14, (.LBB1_6111-.Lpost_getpc13807)&4294967295
	s_addc_u32 s15, s15, (.LBB1_6111-.Lpost_getpc13807)>>32
	s_setpc_b64 s[14:15]
.LBB1_31727:
	s_getpc_b64 s[14:15]
.Lpost_getpc1527:
	s_add_u32 s14, s14, (.LBB1_6112-.Lpost_getpc1527)&4294967295
	s_addc_u32 s15, s15, (.LBB1_6112-.Lpost_getpc1527)>>32
	s_setpc_b64 s[14:15]
.LBB1_20449:
	s_movk_i32 s4, 0x80
	v_cmp_eq_u16_sdwa s[12:13], v9, s4 src0_sel:BYTE_0 src1_sel:DWORD
	s_mov_b64 s[4:5], -1
                                        ; implicit-def: $sgpr10
	s_and_saveexec_b64 s[8:9], s[12:13]
; %bb.20450:
	s_mov_b32 s10, 0x7f800001
	s_xor_b64 s[4:5], exec, -1
; %bb.20451:
	s_or_b64 exec, exec, s[8:9]
	s_and_b64 s[4:5], s[4:5], exec
	s_or_saveexec_b64 s[6:7], s[6:7]
	v_mov_b32_e32 v2, s10
	s_xor_b64 exec, exec, s[6:7]
	s_cbranch_execnz .LBB1_20452
; %bb.56289:
	s_getpc_b64 s[14:15]
.Lpost_getpc13808:
	s_add_u32 s14, s14, (.LBB1_6114-.Lpost_getpc13808)&4294967295
	s_addc_u32 s15, s15, (.LBB1_6114-.Lpost_getpc13808)>>32
	s_setpc_b64 s[14:15]
.LBB1_20452:
	v_mov_b32_e32 v2, 0
	v_cmp_ne_u16_sdwa s[8:9], v9, v2 src0_sel:BYTE_0 src1_sel:DWORD
	s_andn2_b64 s[4:5], s[4:5], exec
	s_and_b64 s[8:9], s[8:9], exec
	s_or_b64 s[4:5], s[4:5], s[8:9]
	s_or_b64 exec, exec, s[6:7]
	s_and_saveexec_b64 s[6:7], s[4:5]
	s_cbranch_execz .LBB1_31729
; %bb.56291:
	s_getpc_b64 s[14:15]
.Lpost_getpc13809:
	s_add_u32 s14, s14, (.LBB1_6115-.Lpost_getpc13809)&4294967295
	s_addc_u32 s15, s15, (.LBB1_6115-.Lpost_getpc13809)>>32
	s_setpc_b64 s[14:15]
.LBB1_31729:
	s_getpc_b64 s[14:15]
.Lpost_getpc1528:
	s_add_u32 s14, s14, (.LBB1_6116-.Lpost_getpc1528)&4294967295
	s_addc_u32 s15, s15, (.LBB1_6116-.Lpost_getpc1528)>>32
	s_setpc_b64 s[14:15]
.LBB1_20453:
	s_movk_i32 s4, 0x80
	v_cmp_eq_u16_sdwa s[12:13], v5, s4 src0_sel:BYTE_0 src1_sel:DWORD
	s_mov_b64 s[4:5], -1
                                        ; implicit-def: $sgpr10
	s_and_saveexec_b64 s[8:9], s[12:13]
; %bb.20454:
	s_mov_b32 s10, 0x7f800001
	s_xor_b64 s[4:5], exec, -1
; %bb.20455:
	s_or_b64 exec, exec, s[8:9]
	s_and_b64 s[4:5], s[4:5], exec
	s_or_saveexec_b64 s[6:7], s[6:7]
	v_mov_b32_e32 v3, s10
	s_xor_b64 exec, exec, s[6:7]
	s_cbranch_execnz .LBB1_20456
; %bb.56293:
	s_getpc_b64 s[14:15]
.Lpost_getpc13810:
	s_add_u32 s14, s14, (.LBB1_6118-.Lpost_getpc13810)&4294967295
	s_addc_u32 s15, s15, (.LBB1_6118-.Lpost_getpc13810)>>32
	s_setpc_b64 s[14:15]
.LBB1_20456:
	v_mov_b32_e32 v3, 0
	v_cmp_ne_u16_sdwa s[8:9], v5, v3 src0_sel:BYTE_0 src1_sel:DWORD
	s_andn2_b64 s[4:5], s[4:5], exec
	s_and_b64 s[8:9], s[8:9], exec
	s_or_b64 s[4:5], s[4:5], s[8:9]
	s_or_b64 exec, exec, s[6:7]
	s_and_saveexec_b64 s[6:7], s[4:5]
	s_cbranch_execz .LBB1_31731
; %bb.56295:
	s_getpc_b64 s[14:15]
.Lpost_getpc13811:
	s_add_u32 s14, s14, (.LBB1_6119-.Lpost_getpc13811)&4294967295
	s_addc_u32 s15, s15, (.LBB1_6119-.Lpost_getpc13811)>>32
	s_setpc_b64 s[14:15]
.LBB1_31731:
	s_getpc_b64 s[14:15]
.Lpost_getpc1529:
	s_add_u32 s14, s14, (.LBB1_6120-.Lpost_getpc1529)&4294967295
	s_addc_u32 s15, s15, (.LBB1_6120-.Lpost_getpc1529)>>32
	s_setpc_b64 s[14:15]
.LBB1_20457:
	s_movk_i32 s4, 0x80
	v_cmp_eq_u16_sdwa s[12:13], v3, s4 src0_sel:BYTE_0 src1_sel:DWORD
	s_mov_b64 s[4:5], -1
                                        ; implicit-def: $sgpr10
	s_and_saveexec_b64 s[8:9], s[12:13]
; %bb.20458:
	s_mov_b32 s10, 0x7f800001
	s_xor_b64 s[4:5], exec, -1
; %bb.20459:
	s_or_b64 exec, exec, s[8:9]
	s_and_b64 s[4:5], s[4:5], exec
	s_or_saveexec_b64 s[6:7], s[6:7]
	v_mov_b32_e32 v2, s10
	s_xor_b64 exec, exec, s[6:7]
	s_cbranch_execnz .LBB1_20460
; %bb.56297:
	s_getpc_b64 s[14:15]
.Lpost_getpc13812:
	s_add_u32 s14, s14, (.LBB1_6122-.Lpost_getpc13812)&4294967295
	s_addc_u32 s15, s15, (.LBB1_6122-.Lpost_getpc13812)>>32
	s_setpc_b64 s[14:15]
.LBB1_20460:
	v_mov_b32_e32 v2, 0
	v_cmp_ne_u16_sdwa s[8:9], v3, v2 src0_sel:BYTE_0 src1_sel:DWORD
	s_andn2_b64 s[4:5], s[4:5], exec
	s_and_b64 s[8:9], s[8:9], exec
	s_or_b64 s[4:5], s[4:5], s[8:9]
	s_or_b64 exec, exec, s[6:7]
	s_and_saveexec_b64 s[6:7], s[4:5]
	s_cbranch_execz .LBB1_31733
; %bb.56299:
	s_getpc_b64 s[14:15]
.Lpost_getpc13813:
	s_add_u32 s14, s14, (.LBB1_6123-.Lpost_getpc13813)&4294967295
	s_addc_u32 s15, s15, (.LBB1_6123-.Lpost_getpc13813)>>32
	s_setpc_b64 s[14:15]
.LBB1_31733:
	s_getpc_b64 s[14:15]
.Lpost_getpc1530:
	s_add_u32 s14, s14, (.LBB1_6124-.Lpost_getpc1530)&4294967295
	s_addc_u32 s15, s15, (.LBB1_6124-.Lpost_getpc1530)>>32
	s_setpc_b64 s[14:15]
.LBB1_20461:
	s_movk_i32 s4, 0x80
	v_cmp_eq_u16_sdwa s[12:13], v3, s4 src0_sel:BYTE_0 src1_sel:DWORD
	s_mov_b64 s[4:5], -1
                                        ; implicit-def: $sgpr10
	s_and_saveexec_b64 s[8:9], s[12:13]
; %bb.20462:
	s_mov_b32 s10, 0x7f800001
	s_xor_b64 s[4:5], exec, -1
; %bb.20463:
	s_or_b64 exec, exec, s[8:9]
	s_and_b64 s[4:5], s[4:5], exec
	s_or_saveexec_b64 s[6:7], s[6:7]
	v_mov_b32_e32 v4, s10
	s_xor_b64 exec, exec, s[6:7]
	s_cbranch_execnz .LBB1_20464
; %bb.56301:
	s_getpc_b64 s[14:15]
.Lpost_getpc13814:
	s_add_u32 s14, s14, (.LBB1_6126-.Lpost_getpc13814)&4294967295
	s_addc_u32 s15, s15, (.LBB1_6126-.Lpost_getpc13814)>>32
	s_setpc_b64 s[14:15]
.LBB1_20464:
	v_mov_b32_e32 v4, 0
	v_cmp_ne_u16_sdwa s[8:9], v3, v4 src0_sel:BYTE_0 src1_sel:DWORD
	s_andn2_b64 s[4:5], s[4:5], exec
	s_and_b64 s[8:9], s[8:9], exec
	s_or_b64 s[4:5], s[4:5], s[8:9]
	s_or_b64 exec, exec, s[6:7]
	s_and_saveexec_b64 s[6:7], s[4:5]
	s_cbranch_execz .LBB1_31735
; %bb.56303:
	s_getpc_b64 s[14:15]
.Lpost_getpc13815:
	s_add_u32 s14, s14, (.LBB1_6127-.Lpost_getpc13815)&4294967295
	s_addc_u32 s15, s15, (.LBB1_6127-.Lpost_getpc13815)>>32
	s_setpc_b64 s[14:15]
.LBB1_31735:
	s_getpc_b64 s[14:15]
.Lpost_getpc1531:
	s_add_u32 s14, s14, (.LBB1_6128-.Lpost_getpc1531)&4294967295
	s_addc_u32 s15, s15, (.LBB1_6128-.Lpost_getpc1531)>>32
	s_setpc_b64 s[14:15]
.LBB1_20465:
	s_movk_i32 s4, 0x80
	v_cmp_eq_u16_e32 vcc, s4, v3
	s_mov_b64 s[4:5], -1
                                        ; implicit-def: $sgpr10
	s_and_saveexec_b64 s[8:9], vcc
; %bb.20466:
	s_mov_b32 s10, 0x7f800001
	s_xor_b64 s[4:5], exec, -1
; %bb.20467:
	s_or_b64 exec, exec, s[8:9]
	s_and_b64 s[4:5], s[4:5], exec
                                        ; implicit-def: $vgpr3
	s_or_saveexec_b64 s[6:7], s[6:7]
	v_mov_b32_e32 v2, s10
	s_xor_b64 exec, exec, s[6:7]
	s_cbranch_execnz .LBB1_20468
; %bb.56305:
	s_getpc_b64 s[14:15]
.Lpost_getpc13816:
	s_add_u32 s14, s14, (.LBB1_6130-.Lpost_getpc13816)&4294967295
	s_addc_u32 s15, s15, (.LBB1_6130-.Lpost_getpc13816)>>32
	s_setpc_b64 s[14:15]
.LBB1_20468:
	v_cmp_ne_u16_e32 vcc, 0, v3
	s_andn2_b64 s[4:5], s[4:5], exec
	s_and_b64 s[8:9], vcc, exec
	v_mov_b32_e32 v2, 0
	s_or_b64 s[4:5], s[4:5], s[8:9]
	s_or_b64 exec, exec, s[6:7]
	s_and_saveexec_b64 s[6:7], s[4:5]
	s_cbranch_execz .LBB1_31737
; %bb.56307:
	s_getpc_b64 s[14:15]
.Lpost_getpc13817:
	s_add_u32 s14, s14, (.LBB1_6131-.Lpost_getpc13817)&4294967295
	s_addc_u32 s15, s15, (.LBB1_6131-.Lpost_getpc13817)>>32
	s_setpc_b64 s[14:15]
.LBB1_31737:
	s_getpc_b64 s[14:15]
.Lpost_getpc1532:
	s_add_u32 s14, s14, (.LBB1_6132-.Lpost_getpc1532)&4294967295
	s_addc_u32 s15, s15, (.LBB1_6132-.Lpost_getpc1532)>>32
	s_setpc_b64 s[14:15]
.LBB1_20469:
	s_movk_i32 s4, 0x80
	v_cmp_eq_u16_e32 vcc, s4, v3
	s_mov_b64 s[4:5], -1
                                        ; implicit-def: $sgpr10
	s_and_saveexec_b64 s[8:9], vcc
; %bb.20470:
	s_mov_b32 s10, 0x7f800001
	s_xor_b64 s[4:5], exec, -1
; %bb.20471:
	s_or_b64 exec, exec, s[8:9]
	s_and_b64 s[4:5], s[4:5], exec
                                        ; implicit-def: $vgpr3
	s_or_saveexec_b64 s[6:7], s[6:7]
	v_mov_b32_e32 v4, s10
	s_xor_b64 exec, exec, s[6:7]
	s_cbranch_execnz .LBB1_20472
; %bb.56309:
	s_getpc_b64 s[14:15]
.Lpost_getpc13818:
	s_add_u32 s14, s14, (.LBB1_6134-.Lpost_getpc13818)&4294967295
	s_addc_u32 s15, s15, (.LBB1_6134-.Lpost_getpc13818)>>32
	s_setpc_b64 s[14:15]
.LBB1_20472:
	v_cmp_ne_u16_e32 vcc, 0, v3
	s_andn2_b64 s[4:5], s[4:5], exec
	s_and_b64 s[8:9], vcc, exec
	v_mov_b32_e32 v4, 0
	s_or_b64 s[4:5], s[4:5], s[8:9]
	s_or_b64 exec, exec, s[6:7]
	s_and_saveexec_b64 s[6:7], s[4:5]
	s_cbranch_execz .LBB1_31739
; %bb.56311:
	s_getpc_b64 s[14:15]
.Lpost_getpc13819:
	s_add_u32 s14, s14, (.LBB1_6135-.Lpost_getpc13819)&4294967295
	s_addc_u32 s15, s15, (.LBB1_6135-.Lpost_getpc13819)>>32
	s_setpc_b64 s[14:15]
.LBB1_31739:
	s_getpc_b64 s[14:15]
.Lpost_getpc1533:
	s_add_u32 s14, s14, (.LBB1_6136-.Lpost_getpc1533)&4294967295
	s_addc_u32 s15, s15, (.LBB1_6136-.Lpost_getpc1533)>>32
	s_setpc_b64 s[14:15]
.LBB1_20473:
	s_movk_i32 s4, 0x80
	v_cmp_eq_u16_sdwa s[12:13], v9, s4 src0_sel:BYTE_3 src1_sel:DWORD
	s_mov_b64 s[4:5], -1
                                        ; implicit-def: $sgpr10
	s_and_saveexec_b64 s[8:9], s[12:13]
; %bb.20474:
	s_mov_b32 s10, 0x7f800001
	s_xor_b64 s[4:5], exec, -1
; %bb.20475:
	s_or_b64 exec, exec, s[8:9]
	s_and_b64 s[4:5], s[4:5], exec
	s_or_saveexec_b64 s[6:7], s[6:7]
	v_mov_b32_e32 v2, s10
	s_xor_b64 exec, exec, s[6:7]
	s_cbranch_execnz .LBB1_20476
; %bb.56313:
	s_getpc_b64 s[14:15]
.Lpost_getpc13820:
	s_add_u32 s14, s14, (.LBB1_6138-.Lpost_getpc13820)&4294967295
	s_addc_u32 s15, s15, (.LBB1_6138-.Lpost_getpc13820)>>32
	s_setpc_b64 s[14:15]
.LBB1_20476:
	v_mov_b32_e32 v2, 0
	v_cmp_ne_u16_sdwa s[8:9], v9, v2 src0_sel:BYTE_3 src1_sel:DWORD
	s_andn2_b64 s[4:5], s[4:5], exec
	s_and_b64 s[8:9], s[8:9], exec
	s_or_b64 s[4:5], s[4:5], s[8:9]
	s_or_b64 exec, exec, s[6:7]
	s_and_saveexec_b64 s[6:7], s[4:5]
	s_cbranch_execz .LBB1_31741
; %bb.56315:
	s_getpc_b64 s[14:15]
.Lpost_getpc13821:
	s_add_u32 s14, s14, (.LBB1_6139-.Lpost_getpc13821)&4294967295
	s_addc_u32 s15, s15, (.LBB1_6139-.Lpost_getpc13821)>>32
	s_setpc_b64 s[14:15]
.LBB1_31741:
	s_getpc_b64 s[14:15]
.Lpost_getpc1534:
	s_add_u32 s14, s14, (.LBB1_6140-.Lpost_getpc1534)&4294967295
	s_addc_u32 s15, s15, (.LBB1_6140-.Lpost_getpc1534)>>32
	s_setpc_b64 s[14:15]
.LBB1_20477:
	s_movk_i32 s4, 0x80
	v_cmp_eq_u16_sdwa s[12:13], v5, s4 src0_sel:BYTE_3 src1_sel:DWORD
	s_mov_b64 s[4:5], -1
                                        ; implicit-def: $sgpr10
	s_and_saveexec_b64 s[8:9], s[12:13]
; %bb.20478:
	s_mov_b32 s10, 0x7f800001
	s_xor_b64 s[4:5], exec, -1
; %bb.20479:
	s_or_b64 exec, exec, s[8:9]
	s_and_b64 s[4:5], s[4:5], exec
	s_or_saveexec_b64 s[6:7], s[6:7]
	v_mov_b32_e32 v3, s10
	s_xor_b64 exec, exec, s[6:7]
	s_cbranch_execnz .LBB1_20480
; %bb.56317:
	s_getpc_b64 s[14:15]
.Lpost_getpc13822:
	s_add_u32 s14, s14, (.LBB1_6142-.Lpost_getpc13822)&4294967295
	s_addc_u32 s15, s15, (.LBB1_6142-.Lpost_getpc13822)>>32
	s_setpc_b64 s[14:15]
.LBB1_20480:
	v_mov_b32_e32 v3, 0
	v_cmp_ne_u16_sdwa s[8:9], v5, v3 src0_sel:BYTE_3 src1_sel:DWORD
	s_andn2_b64 s[4:5], s[4:5], exec
	s_and_b64 s[8:9], s[8:9], exec
	s_or_b64 s[4:5], s[4:5], s[8:9]
	s_or_b64 exec, exec, s[6:7]
	s_and_saveexec_b64 s[6:7], s[4:5]
	s_cbranch_execz .LBB1_31743
; %bb.56319:
	s_getpc_b64 s[14:15]
.Lpost_getpc13823:
	s_add_u32 s14, s14, (.LBB1_6143-.Lpost_getpc13823)&4294967295
	s_addc_u32 s15, s15, (.LBB1_6143-.Lpost_getpc13823)>>32
	s_setpc_b64 s[14:15]
.LBB1_31743:
	s_getpc_b64 s[14:15]
.Lpost_getpc1535:
	s_add_u32 s14, s14, (.LBB1_6144-.Lpost_getpc1535)&4294967295
	s_addc_u32 s15, s15, (.LBB1_6144-.Lpost_getpc1535)>>32
	s_setpc_b64 s[14:15]
.LBB1_20481:
	s_movk_i32 s4, 0x80
	v_cmp_eq_u16_sdwa s[12:13], v6, s4 src0_sel:BYTE_0 src1_sel:DWORD
	s_mov_b64 s[4:5], -1
                                        ; implicit-def: $sgpr10
	s_and_saveexec_b64 s[8:9], s[12:13]
; %bb.20482:
	s_mov_b32 s10, 0x7f800001
	s_xor_b64 s[4:5], exec, -1
; %bb.20483:
	s_or_b64 exec, exec, s[8:9]
	s_and_b64 s[4:5], s[4:5], exec
	s_or_saveexec_b64 s[6:7], s[6:7]
	v_mov_b32_e32 v12, s10
	s_xor_b64 exec, exec, s[6:7]
	s_cbranch_execnz .LBB1_20484
; %bb.56321:
	s_getpc_b64 s[14:15]
.Lpost_getpc13824:
	s_add_u32 s14, s14, (.LBB1_6146-.Lpost_getpc13824)&4294967295
	s_addc_u32 s15, s15, (.LBB1_6146-.Lpost_getpc13824)>>32
	s_setpc_b64 s[14:15]
.LBB1_20484:
	v_mov_b32_e32 v12, 0
	v_cmp_ne_u16_sdwa s[8:9], v6, v12 src0_sel:BYTE_0 src1_sel:DWORD
	s_andn2_b64 s[4:5], s[4:5], exec
	s_and_b64 s[8:9], s[8:9], exec
	s_or_b64 s[4:5], s[4:5], s[8:9]
	s_or_b64 exec, exec, s[6:7]
	s_and_saveexec_b64 s[6:7], s[4:5]
	s_cbranch_execz .LBB1_31745
; %bb.56323:
	s_getpc_b64 s[14:15]
.Lpost_getpc13825:
	s_add_u32 s14, s14, (.LBB1_6147-.Lpost_getpc13825)&4294967295
	s_addc_u32 s15, s15, (.LBB1_6147-.Lpost_getpc13825)>>32
	s_setpc_b64 s[14:15]
.LBB1_31745:
	s_getpc_b64 s[14:15]
.Lpost_getpc1536:
	s_add_u32 s14, s14, (.LBB1_6148-.Lpost_getpc1536)&4294967295
	s_addc_u32 s15, s15, (.LBB1_6148-.Lpost_getpc1536)>>32
	s_setpc_b64 s[14:15]
.LBB1_20485:
	s_movk_i32 s4, 0x80
	v_cmp_eq_u16_sdwa s[12:13], v2, s4 src0_sel:BYTE_0 src1_sel:DWORD
	s_mov_b64 s[4:5], -1
                                        ; implicit-def: $sgpr10
	s_and_saveexec_b64 s[8:9], s[12:13]
; %bb.20486:
	s_mov_b32 s10, 0x7f800001
	s_xor_b64 s[4:5], exec, -1
; %bb.20487:
	s_or_b64 exec, exec, s[8:9]
	s_and_b64 s[4:5], s[4:5], exec
	s_or_saveexec_b64 s[6:7], s[6:7]
	v_mov_b32_e32 v13, s10
	s_xor_b64 exec, exec, s[6:7]
	s_cbranch_execnz .LBB1_20488
; %bb.56325:
	s_getpc_b64 s[14:15]
.Lpost_getpc13826:
	s_add_u32 s14, s14, (.LBB1_6150-.Lpost_getpc13826)&4294967295
	s_addc_u32 s15, s15, (.LBB1_6150-.Lpost_getpc13826)>>32
	s_setpc_b64 s[14:15]
.LBB1_20488:
	v_mov_b32_e32 v13, 0
	v_cmp_ne_u16_sdwa s[8:9], v2, v13 src0_sel:BYTE_0 src1_sel:DWORD
	s_andn2_b64 s[4:5], s[4:5], exec
	s_and_b64 s[8:9], s[8:9], exec
	s_or_b64 s[4:5], s[4:5], s[8:9]
	s_or_b64 exec, exec, s[6:7]
	s_and_saveexec_b64 s[6:7], s[4:5]
	s_cbranch_execz .LBB1_31747
; %bb.56327:
	s_getpc_b64 s[14:15]
.Lpost_getpc13827:
	s_add_u32 s14, s14, (.LBB1_6151-.Lpost_getpc13827)&4294967295
	s_addc_u32 s15, s15, (.LBB1_6151-.Lpost_getpc13827)>>32
	s_setpc_b64 s[14:15]
.LBB1_31747:
	s_getpc_b64 s[14:15]
.Lpost_getpc1537:
	s_add_u32 s14, s14, (.LBB1_6152-.Lpost_getpc1537)&4294967295
	s_addc_u32 s15, s15, (.LBB1_6152-.Lpost_getpc1537)>>32
	s_setpc_b64 s[14:15]
.LBB1_20489:
	s_movk_i32 s4, 0x80
	v_cmp_eq_u16_sdwa s[12:13], v13, s4 src0_sel:BYTE_0 src1_sel:DWORD
	s_mov_b64 s[4:5], -1
                                        ; implicit-def: $sgpr10
	s_and_saveexec_b64 s[8:9], s[12:13]
; %bb.20490:
	s_mov_b32 s10, 0x7f800001
	s_xor_b64 s[4:5], exec, -1
; %bb.20491:
	s_or_b64 exec, exec, s[8:9]
	s_and_b64 s[4:5], s[4:5], exec
	s_or_saveexec_b64 s[6:7], s[6:7]
	v_mov_b32_e32 v12, s10
	s_xor_b64 exec, exec, s[6:7]
	s_cbranch_execnz .LBB1_20492
; %bb.56329:
	s_getpc_b64 s[14:15]
.Lpost_getpc13828:
	s_add_u32 s14, s14, (.LBB1_6154-.Lpost_getpc13828)&4294967295
	s_addc_u32 s15, s15, (.LBB1_6154-.Lpost_getpc13828)>>32
	s_setpc_b64 s[14:15]
.LBB1_20492:
	v_mov_b32_e32 v12, 0
	v_cmp_ne_u16_sdwa s[8:9], v13, v12 src0_sel:BYTE_0 src1_sel:DWORD
	s_andn2_b64 s[4:5], s[4:5], exec
	s_and_b64 s[8:9], s[8:9], exec
	s_or_b64 s[4:5], s[4:5], s[8:9]
	s_or_b64 exec, exec, s[6:7]
	s_and_saveexec_b64 s[6:7], s[4:5]
	s_cbranch_execz .LBB1_31749
; %bb.56331:
	s_getpc_b64 s[14:15]
.Lpost_getpc13829:
	s_add_u32 s14, s14, (.LBB1_6155-.Lpost_getpc13829)&4294967295
	s_addc_u32 s15, s15, (.LBB1_6155-.Lpost_getpc13829)>>32
	s_setpc_b64 s[14:15]
.LBB1_31749:
	s_getpc_b64 s[14:15]
.Lpost_getpc1538:
	s_add_u32 s14, s14, (.LBB1_6156-.Lpost_getpc1538)&4294967295
	s_addc_u32 s15, s15, (.LBB1_6156-.Lpost_getpc1538)>>32
	s_setpc_b64 s[14:15]
.LBB1_20493:
	s_movk_i32 s4, 0x80
	v_cmp_eq_u16_sdwa s[12:13], v13, s4 src0_sel:BYTE_0 src1_sel:DWORD
	s_mov_b64 s[4:5], -1
                                        ; implicit-def: $sgpr10
	s_and_saveexec_b64 s[8:9], s[12:13]
; %bb.20494:
	s_mov_b32 s10, 0x7f800001
	s_xor_b64 s[4:5], exec, -1
; %bb.20495:
	s_or_b64 exec, exec, s[8:9]
	s_and_b64 s[4:5], s[4:5], exec
	s_or_saveexec_b64 s[6:7], s[6:7]
	v_mov_b32_e32 v14, s10
	s_xor_b64 exec, exec, s[6:7]
	s_cbranch_execnz .LBB1_20496
; %bb.56333:
	s_getpc_b64 s[14:15]
.Lpost_getpc13830:
	s_add_u32 s14, s14, (.LBB1_6158-.Lpost_getpc13830)&4294967295
	s_addc_u32 s15, s15, (.LBB1_6158-.Lpost_getpc13830)>>32
	s_setpc_b64 s[14:15]
.LBB1_20496:
	v_mov_b32_e32 v14, 0
	v_cmp_ne_u16_sdwa s[8:9], v13, v14 src0_sel:BYTE_0 src1_sel:DWORD
	s_andn2_b64 s[4:5], s[4:5], exec
	s_and_b64 s[8:9], s[8:9], exec
	s_or_b64 s[4:5], s[4:5], s[8:9]
	s_or_b64 exec, exec, s[6:7]
	s_and_saveexec_b64 s[6:7], s[4:5]
	s_cbranch_execz .LBB1_31751
; %bb.56335:
	s_getpc_b64 s[14:15]
.Lpost_getpc13831:
	s_add_u32 s14, s14, (.LBB1_6159-.Lpost_getpc13831)&4294967295
	s_addc_u32 s15, s15, (.LBB1_6159-.Lpost_getpc13831)>>32
	s_setpc_b64 s[14:15]
.LBB1_31751:
	s_getpc_b64 s[14:15]
.Lpost_getpc1539:
	s_add_u32 s14, s14, (.LBB1_6160-.Lpost_getpc1539)&4294967295
	s_addc_u32 s15, s15, (.LBB1_6160-.Lpost_getpc1539)>>32
	s_setpc_b64 s[14:15]
.LBB1_20497:
	s_movk_i32 s4, 0x80
	v_cmp_eq_u16_e32 vcc, s4, v13
	s_mov_b64 s[4:5], -1
                                        ; implicit-def: $sgpr10
	s_and_saveexec_b64 s[8:9], vcc
; %bb.20498:
	s_mov_b32 s10, 0x7f800001
	s_xor_b64 s[4:5], exec, -1
; %bb.20499:
	s_or_b64 exec, exec, s[8:9]
	s_and_b64 s[4:5], s[4:5], exec
                                        ; implicit-def: $vgpr13
	s_or_saveexec_b64 s[6:7], s[6:7]
	v_mov_b32_e32 v12, s10
	s_xor_b64 exec, exec, s[6:7]
	s_cbranch_execnz .LBB1_20500
; %bb.56337:
	s_getpc_b64 s[14:15]
.Lpost_getpc13832:
	s_add_u32 s14, s14, (.LBB1_6162-.Lpost_getpc13832)&4294967295
	s_addc_u32 s15, s15, (.LBB1_6162-.Lpost_getpc13832)>>32
	s_setpc_b64 s[14:15]
.LBB1_20500:
	v_cmp_ne_u16_e32 vcc, 0, v13
	s_andn2_b64 s[4:5], s[4:5], exec
	s_and_b64 s[8:9], vcc, exec
	v_mov_b32_e32 v12, 0
	s_or_b64 s[4:5], s[4:5], s[8:9]
	s_or_b64 exec, exec, s[6:7]
	s_and_saveexec_b64 s[6:7], s[4:5]
	s_cbranch_execz .LBB1_31753
; %bb.56339:
	s_getpc_b64 s[14:15]
.Lpost_getpc13833:
	s_add_u32 s14, s14, (.LBB1_6163-.Lpost_getpc13833)&4294967295
	s_addc_u32 s15, s15, (.LBB1_6163-.Lpost_getpc13833)>>32
	s_setpc_b64 s[14:15]
.LBB1_31753:
	s_getpc_b64 s[14:15]
.Lpost_getpc1540:
	s_add_u32 s14, s14, (.LBB1_6164-.Lpost_getpc1540)&4294967295
	s_addc_u32 s15, s15, (.LBB1_6164-.Lpost_getpc1540)>>32
	s_setpc_b64 s[14:15]
.LBB1_20501:
	s_movk_i32 s4, 0x80
	v_cmp_eq_u16_e32 vcc, s4, v13
	s_mov_b64 s[4:5], -1
                                        ; implicit-def: $sgpr10
	s_and_saveexec_b64 s[8:9], vcc
; %bb.20502:
	s_mov_b32 s10, 0x7f800001
	s_xor_b64 s[4:5], exec, -1
; %bb.20503:
	s_or_b64 exec, exec, s[8:9]
	s_and_b64 s[4:5], s[4:5], exec
                                        ; implicit-def: $vgpr13
	s_or_saveexec_b64 s[6:7], s[6:7]
	v_mov_b32_e32 v14, s10
	s_xor_b64 exec, exec, s[6:7]
	s_cbranch_execnz .LBB1_20504
; %bb.56341:
	s_getpc_b64 s[14:15]
.Lpost_getpc13834:
	s_add_u32 s14, s14, (.LBB1_6166-.Lpost_getpc13834)&4294967295
	s_addc_u32 s15, s15, (.LBB1_6166-.Lpost_getpc13834)>>32
	s_setpc_b64 s[14:15]
.LBB1_20504:
	v_cmp_ne_u16_e32 vcc, 0, v13
	s_andn2_b64 s[4:5], s[4:5], exec
	s_and_b64 s[8:9], vcc, exec
	v_mov_b32_e32 v14, 0
	s_or_b64 s[4:5], s[4:5], s[8:9]
	s_or_b64 exec, exec, s[6:7]
	s_and_saveexec_b64 s[6:7], s[4:5]
	s_cbranch_execz .LBB1_31755
; %bb.56343:
	s_getpc_b64 s[14:15]
.Lpost_getpc13835:
	s_add_u32 s14, s14, (.LBB1_6167-.Lpost_getpc13835)&4294967295
	s_addc_u32 s15, s15, (.LBB1_6167-.Lpost_getpc13835)>>32
	s_setpc_b64 s[14:15]
.LBB1_31755:
	s_getpc_b64 s[14:15]
.Lpost_getpc1541:
	s_add_u32 s14, s14, (.LBB1_6168-.Lpost_getpc1541)&4294967295
	s_addc_u32 s15, s15, (.LBB1_6168-.Lpost_getpc1541)>>32
	s_setpc_b64 s[14:15]
.LBB1_20505:
	s_movk_i32 s4, 0x80
	v_cmp_eq_u16_sdwa s[12:13], v6, s4 src0_sel:BYTE_3 src1_sel:DWORD
	s_mov_b64 s[4:5], -1
                                        ; implicit-def: $sgpr10
	s_and_saveexec_b64 s[8:9], s[12:13]
; %bb.20506:
	s_mov_b32 s10, 0x7f800001
	s_xor_b64 s[4:5], exec, -1
; %bb.20507:
	s_or_b64 exec, exec, s[8:9]
	s_and_b64 s[4:5], s[4:5], exec
	s_or_saveexec_b64 s[6:7], s[6:7]
	v_mov_b32_e32 v12, s10
	s_xor_b64 exec, exec, s[6:7]
	s_cbranch_execnz .LBB1_20508
; %bb.56345:
	s_getpc_b64 s[14:15]
.Lpost_getpc13836:
	s_add_u32 s14, s14, (.LBB1_6170-.Lpost_getpc13836)&4294967295
	s_addc_u32 s15, s15, (.LBB1_6170-.Lpost_getpc13836)>>32
	s_setpc_b64 s[14:15]
.LBB1_20508:
	v_mov_b32_e32 v12, 0
	v_cmp_ne_u16_sdwa s[8:9], v6, v12 src0_sel:BYTE_3 src1_sel:DWORD
	s_andn2_b64 s[4:5], s[4:5], exec
	s_and_b64 s[8:9], s[8:9], exec
	s_or_b64 s[4:5], s[4:5], s[8:9]
	s_or_b64 exec, exec, s[6:7]
	s_and_saveexec_b64 s[6:7], s[4:5]
	s_cbranch_execz .LBB1_31757
; %bb.56347:
	s_getpc_b64 s[14:15]
.Lpost_getpc13837:
	s_add_u32 s14, s14, (.LBB1_6171-.Lpost_getpc13837)&4294967295
	s_addc_u32 s15, s15, (.LBB1_6171-.Lpost_getpc13837)>>32
	s_setpc_b64 s[14:15]
.LBB1_31757:
	s_getpc_b64 s[14:15]
.Lpost_getpc1542:
	s_add_u32 s14, s14, (.LBB1_6172-.Lpost_getpc1542)&4294967295
	s_addc_u32 s15, s15, (.LBB1_6172-.Lpost_getpc1542)>>32
	s_setpc_b64 s[14:15]
.LBB1_20509:
	s_movk_i32 s4, 0x80
	v_cmp_eq_u16_sdwa s[12:13], v2, s4 src0_sel:BYTE_3 src1_sel:DWORD
	s_mov_b64 s[4:5], -1
                                        ; implicit-def: $sgpr10
	s_and_saveexec_b64 s[8:9], s[12:13]
; %bb.20510:
	s_mov_b32 s10, 0x7f800001
	s_xor_b64 s[4:5], exec, -1
; %bb.20511:
	s_or_b64 exec, exec, s[8:9]
	s_and_b64 s[4:5], s[4:5], exec
	s_or_saveexec_b64 s[6:7], s[6:7]
	v_mov_b32_e32 v6, s10
	s_xor_b64 exec, exec, s[6:7]
	s_cbranch_execnz .LBB1_20512
; %bb.56349:
	s_getpc_b64 s[14:15]
.Lpost_getpc13838:
	s_add_u32 s14, s14, (.LBB1_6174-.Lpost_getpc13838)&4294967295
	s_addc_u32 s15, s15, (.LBB1_6174-.Lpost_getpc13838)>>32
	s_setpc_b64 s[14:15]
.LBB1_20512:
	v_mov_b32_e32 v6, 0
	v_cmp_ne_u16_sdwa s[8:9], v2, v6 src0_sel:BYTE_3 src1_sel:DWORD
	s_andn2_b64 s[4:5], s[4:5], exec
	s_and_b64 s[8:9], s[8:9], exec
	s_or_b64 s[4:5], s[4:5], s[8:9]
	s_or_b64 exec, exec, s[6:7]
	s_and_saveexec_b64 s[6:7], s[4:5]
	s_cbranch_execz .LBB1_31759
; %bb.56351:
	s_getpc_b64 s[14:15]
.Lpost_getpc13839:
	s_add_u32 s14, s14, (.LBB1_6175-.Lpost_getpc13839)&4294967295
	s_addc_u32 s15, s15, (.LBB1_6175-.Lpost_getpc13839)>>32
	s_setpc_b64 s[14:15]
.LBB1_31759:
	s_getpc_b64 s[14:15]
.Lpost_getpc1543:
	s_add_u32 s14, s14, (.LBB1_6176-.Lpost_getpc1543)&4294967295
	s_addc_u32 s15, s15, (.LBB1_6176-.Lpost_getpc1543)>>32
	s_setpc_b64 s[14:15]
.LBB1_20513:
	s_movk_i32 s4, 0x80
	v_cmp_eq_u16_sdwa s[12:13], v7, s4 src0_sel:BYTE_0 src1_sel:DWORD
	s_mov_b64 s[4:5], -1
                                        ; implicit-def: $sgpr10
	s_and_saveexec_b64 s[8:9], s[12:13]
; %bb.20514:
	s_mov_b32 s10, 0x7f800001
	s_xor_b64 s[4:5], exec, -1
; %bb.20515:
	s_or_b64 exec, exec, s[8:9]
	s_and_b64 s[4:5], s[4:5], exec
	s_or_saveexec_b64 s[6:7], s[6:7]
	v_mov_b32_e32 v2, s10
	s_xor_b64 exec, exec, s[6:7]
	s_cbranch_execnz .LBB1_20516
; %bb.56353:
	s_getpc_b64 s[14:15]
.Lpost_getpc13840:
	s_add_u32 s14, s14, (.LBB1_6178-.Lpost_getpc13840)&4294967295
	s_addc_u32 s15, s15, (.LBB1_6178-.Lpost_getpc13840)>>32
	s_setpc_b64 s[14:15]
.LBB1_20516:
	v_mov_b32_e32 v2, 0
	v_cmp_ne_u16_sdwa s[8:9], v7, v2 src0_sel:BYTE_0 src1_sel:DWORD
	s_andn2_b64 s[4:5], s[4:5], exec
	s_and_b64 s[8:9], s[8:9], exec
	s_or_b64 s[4:5], s[4:5], s[8:9]
	s_or_b64 exec, exec, s[6:7]
	s_and_saveexec_b64 s[6:7], s[4:5]
	s_cbranch_execz .LBB1_31761
; %bb.56355:
	s_getpc_b64 s[14:15]
.Lpost_getpc13841:
	s_add_u32 s14, s14, (.LBB1_6179-.Lpost_getpc13841)&4294967295
	s_addc_u32 s15, s15, (.LBB1_6179-.Lpost_getpc13841)>>32
	s_setpc_b64 s[14:15]
.LBB1_31761:
	s_getpc_b64 s[14:15]
.Lpost_getpc1544:
	s_add_u32 s14, s14, (.LBB1_6180-.Lpost_getpc1544)&4294967295
	s_addc_u32 s15, s15, (.LBB1_6180-.Lpost_getpc1544)>>32
	s_setpc_b64 s[14:15]
.LBB1_20517:
	s_movk_i32 s4, 0x80
	v_cmp_eq_u16_sdwa s[12:13], v3, s4 src0_sel:BYTE_0 src1_sel:DWORD
	s_mov_b64 s[4:5], -1
                                        ; implicit-def: $sgpr10
	s_and_saveexec_b64 s[8:9], s[12:13]
; %bb.20518:
	s_mov_b32 s10, 0x7f800001
	s_xor_b64 s[4:5], exec, -1
; %bb.20519:
	s_or_b64 exec, exec, s[8:9]
	s_and_b64 s[4:5], s[4:5], exec
	s_or_saveexec_b64 s[6:7], s[6:7]
	v_mov_b32_e32 v6, s10
	s_xor_b64 exec, exec, s[6:7]
	s_cbranch_execnz .LBB1_20520
; %bb.56357:
	s_getpc_b64 s[14:15]
.Lpost_getpc13842:
	s_add_u32 s14, s14, (.LBB1_6182-.Lpost_getpc13842)&4294967295
	s_addc_u32 s15, s15, (.LBB1_6182-.Lpost_getpc13842)>>32
	s_setpc_b64 s[14:15]
.LBB1_20520:
	v_mov_b32_e32 v6, 0
	v_cmp_ne_u16_sdwa s[8:9], v3, v6 src0_sel:BYTE_0 src1_sel:DWORD
	s_andn2_b64 s[4:5], s[4:5], exec
	s_and_b64 s[8:9], s[8:9], exec
	s_or_b64 s[4:5], s[4:5], s[8:9]
	s_or_b64 exec, exec, s[6:7]
	s_and_saveexec_b64 s[6:7], s[4:5]
	s_cbranch_execz .LBB1_31763
; %bb.56359:
	s_getpc_b64 s[14:15]
.Lpost_getpc13843:
	s_add_u32 s14, s14, (.LBB1_6183-.Lpost_getpc13843)&4294967295
	s_addc_u32 s15, s15, (.LBB1_6183-.Lpost_getpc13843)>>32
	s_setpc_b64 s[14:15]
.LBB1_31763:
	s_getpc_b64 s[14:15]
.Lpost_getpc1545:
	s_add_u32 s14, s14, (.LBB1_6184-.Lpost_getpc1545)&4294967295
	s_addc_u32 s15, s15, (.LBB1_6184-.Lpost_getpc1545)>>32
	s_setpc_b64 s[14:15]
.LBB1_20521:
	s_movk_i32 s4, 0x80
	v_cmp_eq_u16_sdwa s[12:13], v6, s4 src0_sel:BYTE_0 src1_sel:DWORD
	s_mov_b64 s[4:5], -1
                                        ; implicit-def: $sgpr10
	s_and_saveexec_b64 s[8:9], s[12:13]
; %bb.20522:
	s_mov_b32 s10, 0x7f800001
	s_xor_b64 s[4:5], exec, -1
; %bb.20523:
	s_or_b64 exec, exec, s[8:9]
	s_and_b64 s[4:5], s[4:5], exec
	s_or_saveexec_b64 s[6:7], s[6:7]
	v_mov_b32_e32 v2, s10
	s_xor_b64 exec, exec, s[6:7]
	s_cbranch_execnz .LBB1_20524
; %bb.56361:
	s_getpc_b64 s[14:15]
.Lpost_getpc13844:
	s_add_u32 s14, s14, (.LBB1_6186-.Lpost_getpc13844)&4294967295
	s_addc_u32 s15, s15, (.LBB1_6186-.Lpost_getpc13844)>>32
	s_setpc_b64 s[14:15]
.LBB1_20524:
	v_mov_b32_e32 v2, 0
	v_cmp_ne_u16_sdwa s[8:9], v6, v2 src0_sel:BYTE_0 src1_sel:DWORD
	s_andn2_b64 s[4:5], s[4:5], exec
	s_and_b64 s[8:9], s[8:9], exec
	s_or_b64 s[4:5], s[4:5], s[8:9]
	s_or_b64 exec, exec, s[6:7]
	s_and_saveexec_b64 s[6:7], s[4:5]
	s_cbranch_execz .LBB1_31765
; %bb.56363:
	s_getpc_b64 s[14:15]
.Lpost_getpc13845:
	s_add_u32 s14, s14, (.LBB1_6187-.Lpost_getpc13845)&4294967295
	s_addc_u32 s15, s15, (.LBB1_6187-.Lpost_getpc13845)>>32
	s_setpc_b64 s[14:15]
.LBB1_31765:
	s_getpc_b64 s[14:15]
.Lpost_getpc1546:
	s_add_u32 s14, s14, (.LBB1_6188-.Lpost_getpc1546)&4294967295
	s_addc_u32 s15, s15, (.LBB1_6188-.Lpost_getpc1546)>>32
	s_setpc_b64 s[14:15]
.LBB1_20525:
	s_movk_i32 s4, 0x80
	v_cmp_eq_u16_sdwa s[12:13], v6, s4 src0_sel:BYTE_0 src1_sel:DWORD
	s_mov_b64 s[4:5], -1
                                        ; implicit-def: $sgpr10
	s_and_saveexec_b64 s[8:9], s[12:13]
; %bb.20526:
	s_mov_b32 s10, 0x7f800001
	s_xor_b64 s[4:5], exec, -1
; %bb.20527:
	s_or_b64 exec, exec, s[8:9]
	s_and_b64 s[4:5], s[4:5], exec
	s_or_saveexec_b64 s[6:7], s[6:7]
	v_mov_b32_e32 v12, s10
	s_xor_b64 exec, exec, s[6:7]
	s_cbranch_execnz .LBB1_20528
; %bb.56365:
	s_getpc_b64 s[14:15]
.Lpost_getpc13846:
	s_add_u32 s14, s14, (.LBB1_6190-.Lpost_getpc13846)&4294967295
	s_addc_u32 s15, s15, (.LBB1_6190-.Lpost_getpc13846)>>32
	s_setpc_b64 s[14:15]
.LBB1_20528:
	v_mov_b32_e32 v12, 0
	v_cmp_ne_u16_sdwa s[8:9], v6, v12 src0_sel:BYTE_0 src1_sel:DWORD
	s_andn2_b64 s[4:5], s[4:5], exec
	s_and_b64 s[8:9], s[8:9], exec
	s_or_b64 s[4:5], s[4:5], s[8:9]
	s_or_b64 exec, exec, s[6:7]
	s_and_saveexec_b64 s[6:7], s[4:5]
	s_cbranch_execz .LBB1_31767
; %bb.56367:
	s_getpc_b64 s[14:15]
.Lpost_getpc13847:
	s_add_u32 s14, s14, (.LBB1_6191-.Lpost_getpc13847)&4294967295
	s_addc_u32 s15, s15, (.LBB1_6191-.Lpost_getpc13847)>>32
	s_setpc_b64 s[14:15]
.LBB1_31767:
	s_getpc_b64 s[14:15]
.Lpost_getpc1547:
	s_add_u32 s14, s14, (.LBB1_6192-.Lpost_getpc1547)&4294967295
	s_addc_u32 s15, s15, (.LBB1_6192-.Lpost_getpc1547)>>32
	s_setpc_b64 s[14:15]
.LBB1_20529:
	s_movk_i32 s4, 0x80
	v_cmp_eq_u16_e32 vcc, s4, v6
	s_mov_b64 s[4:5], -1
                                        ; implicit-def: $sgpr10
	s_and_saveexec_b64 s[8:9], vcc
; %bb.20530:
	s_mov_b32 s10, 0x7f800001
	s_xor_b64 s[4:5], exec, -1
; %bb.20531:
	s_or_b64 exec, exec, s[8:9]
	s_and_b64 s[4:5], s[4:5], exec
                                        ; implicit-def: $vgpr6
	s_or_saveexec_b64 s[6:7], s[6:7]
	v_mov_b32_e32 v2, s10
	s_xor_b64 exec, exec, s[6:7]
	s_cbranch_execnz .LBB1_20532
; %bb.56369:
	s_getpc_b64 s[14:15]
.Lpost_getpc13848:
	s_add_u32 s14, s14, (.LBB1_6194-.Lpost_getpc13848)&4294967295
	s_addc_u32 s15, s15, (.LBB1_6194-.Lpost_getpc13848)>>32
	s_setpc_b64 s[14:15]
.LBB1_20532:
	v_cmp_ne_u16_e32 vcc, 0, v6
	s_andn2_b64 s[4:5], s[4:5], exec
	s_and_b64 s[8:9], vcc, exec
	v_mov_b32_e32 v2, 0
	s_or_b64 s[4:5], s[4:5], s[8:9]
	s_or_b64 exec, exec, s[6:7]
	s_and_saveexec_b64 s[6:7], s[4:5]
	s_cbranch_execz .LBB1_31769
; %bb.56371:
	s_getpc_b64 s[14:15]
.Lpost_getpc13849:
	s_add_u32 s14, s14, (.LBB1_6195-.Lpost_getpc13849)&4294967295
	s_addc_u32 s15, s15, (.LBB1_6195-.Lpost_getpc13849)>>32
	s_setpc_b64 s[14:15]
.LBB1_31769:
	s_getpc_b64 s[14:15]
.Lpost_getpc1548:
	s_add_u32 s14, s14, (.LBB1_6196-.Lpost_getpc1548)&4294967295
	s_addc_u32 s15, s15, (.LBB1_6196-.Lpost_getpc1548)>>32
	s_setpc_b64 s[14:15]
.LBB1_20533:
	s_movk_i32 s4, 0x80
	v_cmp_eq_u16_e32 vcc, s4, v6
	s_mov_b64 s[4:5], -1
                                        ; implicit-def: $sgpr10
	s_and_saveexec_b64 s[8:9], vcc
; %bb.20534:
	s_mov_b32 s10, 0x7f800001
	s_xor_b64 s[4:5], exec, -1
; %bb.20535:
	s_or_b64 exec, exec, s[8:9]
	s_and_b64 s[4:5], s[4:5], exec
                                        ; implicit-def: $vgpr6
	s_or_saveexec_b64 s[6:7], s[6:7]
	v_mov_b32_e32 v12, s10
	s_xor_b64 exec, exec, s[6:7]
	s_cbranch_execnz .LBB1_20536
; %bb.56373:
	s_getpc_b64 s[14:15]
.Lpost_getpc13850:
	s_add_u32 s14, s14, (.LBB1_6198-.Lpost_getpc13850)&4294967295
	s_addc_u32 s15, s15, (.LBB1_6198-.Lpost_getpc13850)>>32
	s_setpc_b64 s[14:15]
.LBB1_20536:
	v_cmp_ne_u16_e32 vcc, 0, v6
	s_andn2_b64 s[4:5], s[4:5], exec
	s_and_b64 s[8:9], vcc, exec
	v_mov_b32_e32 v12, 0
	s_or_b64 s[4:5], s[4:5], s[8:9]
	s_or_b64 exec, exec, s[6:7]
	s_and_saveexec_b64 s[6:7], s[4:5]
	s_cbranch_execz .LBB1_31771
; %bb.56375:
	s_getpc_b64 s[14:15]
.Lpost_getpc13851:
	s_add_u32 s14, s14, (.LBB1_6199-.Lpost_getpc13851)&4294967295
	s_addc_u32 s15, s15, (.LBB1_6199-.Lpost_getpc13851)>>32
	s_setpc_b64 s[14:15]
.LBB1_31771:
	s_getpc_b64 s[14:15]
.Lpost_getpc1549:
	s_add_u32 s14, s14, (.LBB1_6200-.Lpost_getpc1549)&4294967295
	s_addc_u32 s15, s15, (.LBB1_6200-.Lpost_getpc1549)>>32
	s_setpc_b64 s[14:15]
.LBB1_20537:
	s_movk_i32 s4, 0x80
	v_cmp_eq_u16_sdwa s[12:13], v7, s4 src0_sel:BYTE_3 src1_sel:DWORD
	s_mov_b64 s[4:5], -1
                                        ; implicit-def: $sgpr10
	s_and_saveexec_b64 s[8:9], s[12:13]
; %bb.20538:
	s_mov_b32 s10, 0x7f800001
	s_xor_b64 s[4:5], exec, -1
; %bb.20539:
	s_or_b64 exec, exec, s[8:9]
	s_and_b64 s[4:5], s[4:5], exec
	s_or_saveexec_b64 s[6:7], s[6:7]
	v_mov_b32_e32 v2, s10
	s_xor_b64 exec, exec, s[6:7]
	s_cbranch_execnz .LBB1_20540
; %bb.56377:
	s_getpc_b64 s[14:15]
.Lpost_getpc13852:
	s_add_u32 s14, s14, (.LBB1_6202-.Lpost_getpc13852)&4294967295
	s_addc_u32 s15, s15, (.LBB1_6202-.Lpost_getpc13852)>>32
	s_setpc_b64 s[14:15]
.LBB1_20540:
	v_mov_b32_e32 v2, 0
	v_cmp_ne_u16_sdwa s[8:9], v7, v2 src0_sel:BYTE_3 src1_sel:DWORD
	s_andn2_b64 s[4:5], s[4:5], exec
	s_and_b64 s[8:9], s[8:9], exec
	s_or_b64 s[4:5], s[4:5], s[8:9]
	s_or_b64 exec, exec, s[6:7]
	s_and_saveexec_b64 s[6:7], s[4:5]
	s_cbranch_execz .LBB1_31773
; %bb.56379:
	s_getpc_b64 s[14:15]
.Lpost_getpc13853:
	s_add_u32 s14, s14, (.LBB1_6203-.Lpost_getpc13853)&4294967295
	s_addc_u32 s15, s15, (.LBB1_6203-.Lpost_getpc13853)>>32
	s_setpc_b64 s[14:15]
.LBB1_31773:
	s_getpc_b64 s[14:15]
.Lpost_getpc1550:
	s_add_u32 s14, s14, (.LBB1_6204-.Lpost_getpc1550)&4294967295
	s_addc_u32 s15, s15, (.LBB1_6204-.Lpost_getpc1550)>>32
	s_setpc_b64 s[14:15]
.LBB1_20541:
	s_movk_i32 s4, 0x80
	v_cmp_eq_u16_sdwa s[12:13], v3, s4 src0_sel:BYTE_3 src1_sel:DWORD
	s_mov_b64 s[4:5], -1
                                        ; implicit-def: $sgpr10
	s_and_saveexec_b64 s[8:9], s[12:13]
; %bb.20542:
	s_mov_b32 s10, 0x7f800001
	s_xor_b64 s[4:5], exec, -1
; %bb.20543:
	s_or_b64 exec, exec, s[8:9]
	s_and_b64 s[4:5], s[4:5], exec
	s_or_saveexec_b64 s[6:7], s[6:7]
	v_mov_b32_e32 v6, s10
	s_xor_b64 exec, exec, s[6:7]
	s_cbranch_execnz .LBB1_20544
; %bb.56381:
	s_getpc_b64 s[14:15]
.Lpost_getpc13854:
	s_add_u32 s14, s14, (.LBB1_6206-.Lpost_getpc13854)&4294967295
	s_addc_u32 s15, s15, (.LBB1_6206-.Lpost_getpc13854)>>32
	s_setpc_b64 s[14:15]
.LBB1_20544:
	v_mov_b32_e32 v6, 0
	v_cmp_ne_u16_sdwa s[8:9], v3, v6 src0_sel:BYTE_3 src1_sel:DWORD
	s_andn2_b64 s[4:5], s[4:5], exec
	s_and_b64 s[8:9], s[8:9], exec
	s_or_b64 s[4:5], s[4:5], s[8:9]
	s_or_b64 exec, exec, s[6:7]
	s_and_saveexec_b64 s[6:7], s[4:5]
	s_cbranch_execz .LBB1_31775
; %bb.56383:
	s_getpc_b64 s[14:15]
.Lpost_getpc13855:
	s_add_u32 s14, s14, (.LBB1_6207-.Lpost_getpc13855)&4294967295
	s_addc_u32 s15, s15, (.LBB1_6207-.Lpost_getpc13855)>>32
	s_setpc_b64 s[14:15]
.LBB1_31775:
	s_getpc_b64 s[14:15]
.Lpost_getpc1551:
	s_add_u32 s14, s14, (.LBB1_6208-.Lpost_getpc1551)&4294967295
	s_addc_u32 s15, s15, (.LBB1_6208-.Lpost_getpc1551)>>32
	s_setpc_b64 s[14:15]
.LBB1_20545:
	s_movk_i32 s4, 0x80
	v_cmp_eq_u16_sdwa s[12:13], v8, s4 src0_sel:BYTE_0 src1_sel:DWORD
	s_mov_b64 s[4:5], -1
                                        ; implicit-def: $sgpr10
	s_and_saveexec_b64 s[8:9], s[12:13]
; %bb.20546:
	s_mov_b32 s10, 0x7f800001
	s_xor_b64 s[4:5], exec, -1
; %bb.20547:
	s_or_b64 exec, exec, s[8:9]
	s_and_b64 s[4:5], s[4:5], exec
	s_or_saveexec_b64 s[6:7], s[6:7]
	v_mov_b32_e32 v2, s10
	s_xor_b64 exec, exec, s[6:7]
	s_cbranch_execnz .LBB1_20548
; %bb.56385:
	s_getpc_b64 s[14:15]
.Lpost_getpc13856:
	s_add_u32 s14, s14, (.LBB1_6210-.Lpost_getpc13856)&4294967295
	s_addc_u32 s15, s15, (.LBB1_6210-.Lpost_getpc13856)>>32
	s_setpc_b64 s[14:15]
.LBB1_20548:
	v_mov_b32_e32 v2, 0
	v_cmp_ne_u16_sdwa s[8:9], v8, v2 src0_sel:BYTE_0 src1_sel:DWORD
	s_andn2_b64 s[4:5], s[4:5], exec
	s_and_b64 s[8:9], s[8:9], exec
	s_or_b64 s[4:5], s[4:5], s[8:9]
	s_or_b64 exec, exec, s[6:7]
	s_and_saveexec_b64 s[6:7], s[4:5]
	s_cbranch_execz .LBB1_31777
; %bb.56387:
	s_getpc_b64 s[14:15]
.Lpost_getpc13857:
	s_add_u32 s14, s14, (.LBB1_6211-.Lpost_getpc13857)&4294967295
	s_addc_u32 s15, s15, (.LBB1_6211-.Lpost_getpc13857)>>32
	s_setpc_b64 s[14:15]
.LBB1_31777:
	s_getpc_b64 s[14:15]
.Lpost_getpc1552:
	s_add_u32 s14, s14, (.LBB1_6212-.Lpost_getpc1552)&4294967295
	s_addc_u32 s15, s15, (.LBB1_6212-.Lpost_getpc1552)>>32
	s_setpc_b64 s[14:15]
.LBB1_20549:
	s_movk_i32 s4, 0x80
	v_cmp_eq_u16_sdwa s[12:13], v4, s4 src0_sel:BYTE_0 src1_sel:DWORD
	s_mov_b64 s[4:5], -1
                                        ; implicit-def: $sgpr10
	s_and_saveexec_b64 s[8:9], s[12:13]
; %bb.20550:
	s_mov_b32 s10, 0x7f800001
	s_xor_b64 s[4:5], exec, -1
; %bb.20551:
	s_or_b64 exec, exec, s[8:9]
	s_and_b64 s[4:5], s[4:5], exec
	s_or_saveexec_b64 s[6:7], s[6:7]
	v_mov_b32_e32 v3, s10
	s_xor_b64 exec, exec, s[6:7]
	s_cbranch_execnz .LBB1_20552
; %bb.56389:
	s_getpc_b64 s[14:15]
.Lpost_getpc13858:
	s_add_u32 s14, s14, (.LBB1_6214-.Lpost_getpc13858)&4294967295
	s_addc_u32 s15, s15, (.LBB1_6214-.Lpost_getpc13858)>>32
	s_setpc_b64 s[14:15]
.LBB1_20552:
	v_mov_b32_e32 v3, 0
	v_cmp_ne_u16_sdwa s[8:9], v4, v3 src0_sel:BYTE_0 src1_sel:DWORD
	s_andn2_b64 s[4:5], s[4:5], exec
	s_and_b64 s[8:9], s[8:9], exec
	s_or_b64 s[4:5], s[4:5], s[8:9]
	s_or_b64 exec, exec, s[6:7]
	s_and_saveexec_b64 s[6:7], s[4:5]
	s_cbranch_execz .LBB1_31779
; %bb.56391:
	s_getpc_b64 s[14:15]
.Lpost_getpc13859:
	s_add_u32 s14, s14, (.LBB1_6215-.Lpost_getpc13859)&4294967295
	s_addc_u32 s15, s15, (.LBB1_6215-.Lpost_getpc13859)>>32
	s_setpc_b64 s[14:15]
.LBB1_31779:
	s_getpc_b64 s[14:15]
.Lpost_getpc1553:
	s_add_u32 s14, s14, (.LBB1_6216-.Lpost_getpc1553)&4294967295
	s_addc_u32 s15, s15, (.LBB1_6216-.Lpost_getpc1553)>>32
	s_setpc_b64 s[14:15]
.LBB1_20553:
	s_movk_i32 s4, 0x80
	v_cmp_eq_u16_sdwa s[12:13], v3, s4 src0_sel:BYTE_0 src1_sel:DWORD
	s_mov_b64 s[4:5], -1
                                        ; implicit-def: $sgpr10
	s_and_saveexec_b64 s[8:9], s[12:13]
; %bb.20554:
	s_mov_b32 s10, 0x7f800001
	s_xor_b64 s[4:5], exec, -1
; %bb.20555:
	s_or_b64 exec, exec, s[8:9]
	s_and_b64 s[4:5], s[4:5], exec
	s_or_saveexec_b64 s[6:7], s[6:7]
	v_mov_b32_e32 v2, s10
	s_xor_b64 exec, exec, s[6:7]
	s_cbranch_execnz .LBB1_20556
; %bb.56393:
	s_getpc_b64 s[14:15]
.Lpost_getpc13860:
	s_add_u32 s14, s14, (.LBB1_6218-.Lpost_getpc13860)&4294967295
	s_addc_u32 s15, s15, (.LBB1_6218-.Lpost_getpc13860)>>32
	s_setpc_b64 s[14:15]
.LBB1_20556:
	v_mov_b32_e32 v2, 0
	v_cmp_ne_u16_sdwa s[8:9], v3, v2 src0_sel:BYTE_0 src1_sel:DWORD
	s_andn2_b64 s[4:5], s[4:5], exec
	s_and_b64 s[8:9], s[8:9], exec
	s_or_b64 s[4:5], s[4:5], s[8:9]
	s_or_b64 exec, exec, s[6:7]
	s_and_saveexec_b64 s[6:7], s[4:5]
	s_cbranch_execz .LBB1_31781
; %bb.56395:
	s_getpc_b64 s[14:15]
.Lpost_getpc13861:
	s_add_u32 s14, s14, (.LBB1_6219-.Lpost_getpc13861)&4294967295
	s_addc_u32 s15, s15, (.LBB1_6219-.Lpost_getpc13861)>>32
	s_setpc_b64 s[14:15]
.LBB1_31781:
	s_getpc_b64 s[14:15]
.Lpost_getpc1554:
	s_add_u32 s14, s14, (.LBB1_6220-.Lpost_getpc1554)&4294967295
	s_addc_u32 s15, s15, (.LBB1_6220-.Lpost_getpc1554)>>32
	s_setpc_b64 s[14:15]
.LBB1_20557:
	s_movk_i32 s4, 0x80
	v_cmp_eq_u16_sdwa s[12:13], v3, s4 src0_sel:BYTE_0 src1_sel:DWORD
	s_mov_b64 s[4:5], -1
                                        ; implicit-def: $sgpr10
	s_and_saveexec_b64 s[8:9], s[12:13]
; %bb.20558:
	s_mov_b32 s10, 0x7f800001
	s_xor_b64 s[4:5], exec, -1
; %bb.20559:
	s_or_b64 exec, exec, s[8:9]
	s_and_b64 s[4:5], s[4:5], exec
	s_or_saveexec_b64 s[6:7], s[6:7]
	v_mov_b32_e32 v6, s10
	s_xor_b64 exec, exec, s[6:7]
	s_cbranch_execnz .LBB1_20560
; %bb.56397:
	s_getpc_b64 s[14:15]
.Lpost_getpc13862:
	s_add_u32 s14, s14, (.LBB1_6222-.Lpost_getpc13862)&4294967295
	s_addc_u32 s15, s15, (.LBB1_6222-.Lpost_getpc13862)>>32
	s_setpc_b64 s[14:15]
.LBB1_20560:
	v_mov_b32_e32 v6, 0
	v_cmp_ne_u16_sdwa s[8:9], v3, v6 src0_sel:BYTE_0 src1_sel:DWORD
	s_andn2_b64 s[4:5], s[4:5], exec
	s_and_b64 s[8:9], s[8:9], exec
	s_or_b64 s[4:5], s[4:5], s[8:9]
	s_or_b64 exec, exec, s[6:7]
	s_and_saveexec_b64 s[6:7], s[4:5]
	s_cbranch_execz .LBB1_31783
; %bb.56399:
	s_getpc_b64 s[14:15]
.Lpost_getpc13863:
	s_add_u32 s14, s14, (.LBB1_6223-.Lpost_getpc13863)&4294967295
	s_addc_u32 s15, s15, (.LBB1_6223-.Lpost_getpc13863)>>32
	s_setpc_b64 s[14:15]
.LBB1_31783:
	s_getpc_b64 s[14:15]
.Lpost_getpc1555:
	s_add_u32 s14, s14, (.LBB1_6224-.Lpost_getpc1555)&4294967295
	s_addc_u32 s15, s15, (.LBB1_6224-.Lpost_getpc1555)>>32
	s_setpc_b64 s[14:15]
.LBB1_20561:
	s_movk_i32 s4, 0x80
	v_cmp_eq_u16_e32 vcc, s4, v3
	s_mov_b64 s[4:5], -1
                                        ; implicit-def: $sgpr10
	s_and_saveexec_b64 s[8:9], vcc
; %bb.20562:
	s_mov_b32 s10, 0x7f800001
	s_xor_b64 s[4:5], exec, -1
; %bb.20563:
	s_or_b64 exec, exec, s[8:9]
	s_and_b64 s[4:5], s[4:5], exec
                                        ; implicit-def: $vgpr3
	s_or_saveexec_b64 s[6:7], s[6:7]
	v_mov_b32_e32 v2, s10
	s_xor_b64 exec, exec, s[6:7]
	s_cbranch_execnz .LBB1_20564
; %bb.56401:
	s_getpc_b64 s[14:15]
.Lpost_getpc13864:
	s_add_u32 s14, s14, (.LBB1_6226-.Lpost_getpc13864)&4294967295
	s_addc_u32 s15, s15, (.LBB1_6226-.Lpost_getpc13864)>>32
	s_setpc_b64 s[14:15]
.LBB1_20564:
	v_cmp_ne_u16_e32 vcc, 0, v3
	s_andn2_b64 s[4:5], s[4:5], exec
	s_and_b64 s[8:9], vcc, exec
	v_mov_b32_e32 v2, 0
	s_or_b64 s[4:5], s[4:5], s[8:9]
	s_or_b64 exec, exec, s[6:7]
	s_and_saveexec_b64 s[6:7], s[4:5]
	s_cbranch_execz .LBB1_31785
; %bb.56403:
	s_getpc_b64 s[14:15]
.Lpost_getpc13865:
	s_add_u32 s14, s14, (.LBB1_6227-.Lpost_getpc13865)&4294967295
	s_addc_u32 s15, s15, (.LBB1_6227-.Lpost_getpc13865)>>32
	s_setpc_b64 s[14:15]
.LBB1_31785:
	s_getpc_b64 s[14:15]
.Lpost_getpc1556:
	s_add_u32 s14, s14, (.LBB1_6228-.Lpost_getpc1556)&4294967295
	s_addc_u32 s15, s15, (.LBB1_6228-.Lpost_getpc1556)>>32
	s_setpc_b64 s[14:15]
.LBB1_20565:
	s_movk_i32 s4, 0x80
	v_cmp_eq_u16_e32 vcc, s4, v3
	s_mov_b64 s[4:5], -1
                                        ; implicit-def: $sgpr10
	s_and_saveexec_b64 s[8:9], vcc
; %bb.20566:
	s_mov_b32 s10, 0x7f800001
	s_xor_b64 s[4:5], exec, -1
; %bb.20567:
	s_or_b64 exec, exec, s[8:9]
	s_and_b64 s[4:5], s[4:5], exec
                                        ; implicit-def: $vgpr3
	s_or_saveexec_b64 s[6:7], s[6:7]
	v_mov_b32_e32 v6, s10
	s_xor_b64 exec, exec, s[6:7]
	s_cbranch_execnz .LBB1_20568
; %bb.56405:
	s_getpc_b64 s[14:15]
.Lpost_getpc13866:
	s_add_u32 s14, s14, (.LBB1_6230-.Lpost_getpc13866)&4294967295
	s_addc_u32 s15, s15, (.LBB1_6230-.Lpost_getpc13866)>>32
	s_setpc_b64 s[14:15]
.LBB1_20568:
	v_cmp_ne_u16_e32 vcc, 0, v3
	s_andn2_b64 s[4:5], s[4:5], exec
	s_and_b64 s[8:9], vcc, exec
	v_mov_b32_e32 v6, 0
	s_or_b64 s[4:5], s[4:5], s[8:9]
	s_or_b64 exec, exec, s[6:7]
	s_and_saveexec_b64 s[6:7], s[4:5]
	s_cbranch_execz .LBB1_31787
; %bb.56407:
	s_getpc_b64 s[14:15]
.Lpost_getpc13867:
	s_add_u32 s14, s14, (.LBB1_6231-.Lpost_getpc13867)&4294967295
	s_addc_u32 s15, s15, (.LBB1_6231-.Lpost_getpc13867)>>32
	s_setpc_b64 s[14:15]
.LBB1_31787:
	s_getpc_b64 s[14:15]
.Lpost_getpc1557:
	s_add_u32 s14, s14, (.LBB1_6232-.Lpost_getpc1557)&4294967295
	s_addc_u32 s15, s15, (.LBB1_6232-.Lpost_getpc1557)>>32
	s_setpc_b64 s[14:15]
.LBB1_20569:
	s_movk_i32 s4, 0x80
	v_cmp_eq_u16_sdwa s[12:13], v8, s4 src0_sel:BYTE_3 src1_sel:DWORD
	s_mov_b64 s[4:5], -1
                                        ; implicit-def: $sgpr10
	s_and_saveexec_b64 s[8:9], s[12:13]
; %bb.20570:
	s_mov_b32 s10, 0x7f800001
	s_xor_b64 s[4:5], exec, -1
; %bb.20571:
	s_or_b64 exec, exec, s[8:9]
	s_and_b64 s[4:5], s[4:5], exec
	s_or_saveexec_b64 s[6:7], s[6:7]
	v_mov_b32_e32 v2, s10
	s_xor_b64 exec, exec, s[6:7]
	s_cbranch_execnz .LBB1_20572
; %bb.56409:
	s_getpc_b64 s[14:15]
.Lpost_getpc13868:
	s_add_u32 s14, s14, (.LBB1_6234-.Lpost_getpc13868)&4294967295
	s_addc_u32 s15, s15, (.LBB1_6234-.Lpost_getpc13868)>>32
	s_setpc_b64 s[14:15]
.LBB1_20572:
	v_mov_b32_e32 v2, 0
	v_cmp_ne_u16_sdwa s[8:9], v8, v2 src0_sel:BYTE_3 src1_sel:DWORD
	s_andn2_b64 s[4:5], s[4:5], exec
	s_and_b64 s[8:9], s[8:9], exec
	s_or_b64 s[4:5], s[4:5], s[8:9]
	s_or_b64 exec, exec, s[6:7]
	s_and_saveexec_b64 s[6:7], s[4:5]
	s_cbranch_execz .LBB1_31789
; %bb.56411:
	s_getpc_b64 s[14:15]
.Lpost_getpc13869:
	s_add_u32 s14, s14, (.LBB1_6235-.Lpost_getpc13869)&4294967295
	s_addc_u32 s15, s15, (.LBB1_6235-.Lpost_getpc13869)>>32
	s_setpc_b64 s[14:15]
.LBB1_31789:
	s_getpc_b64 s[14:15]
.Lpost_getpc1558:
	s_add_u32 s14, s14, (.LBB1_6236-.Lpost_getpc1558)&4294967295
	s_addc_u32 s15, s15, (.LBB1_6236-.Lpost_getpc1558)>>32
	s_setpc_b64 s[14:15]
.LBB1_20573:
	s_movk_i32 s4, 0x80
	v_cmp_eq_u16_sdwa s[12:13], v4, s4 src0_sel:BYTE_3 src1_sel:DWORD
	s_mov_b64 s[4:5], -1
                                        ; implicit-def: $sgpr10
	s_and_saveexec_b64 s[8:9], s[12:13]
; %bb.20574:
	s_mov_b32 s10, 0x7f800001
	s_xor_b64 s[4:5], exec, -1
; %bb.20575:
	s_or_b64 exec, exec, s[8:9]
	s_and_b64 s[4:5], s[4:5], exec
	s_or_saveexec_b64 s[6:7], s[6:7]
	v_mov_b32_e32 v3, s10
	s_xor_b64 exec, exec, s[6:7]
	s_cbranch_execnz .LBB1_20576
; %bb.56413:
	s_getpc_b64 s[14:15]
.Lpost_getpc13870:
	s_add_u32 s14, s14, (.LBB1_6238-.Lpost_getpc13870)&4294967295
	s_addc_u32 s15, s15, (.LBB1_6238-.Lpost_getpc13870)>>32
	s_setpc_b64 s[14:15]
.LBB1_20576:
	v_mov_b32_e32 v3, 0
	v_cmp_ne_u16_sdwa s[8:9], v4, v3 src0_sel:BYTE_3 src1_sel:DWORD
	s_andn2_b64 s[4:5], s[4:5], exec
	s_and_b64 s[8:9], s[8:9], exec
	s_or_b64 s[4:5], s[4:5], s[8:9]
	s_or_b64 exec, exec, s[6:7]
	s_and_saveexec_b64 s[6:7], s[4:5]
	s_cbranch_execz .LBB1_31791
; %bb.56415:
	s_getpc_b64 s[14:15]
.Lpost_getpc13871:
	s_add_u32 s14, s14, (.LBB1_6239-.Lpost_getpc13871)&4294967295
	s_addc_u32 s15, s15, (.LBB1_6239-.Lpost_getpc13871)>>32
	s_setpc_b64 s[14:15]
.LBB1_31791:
	s_getpc_b64 s[14:15]
.Lpost_getpc1559:
	s_add_u32 s14, s14, (.LBB1_6240-.Lpost_getpc1559)&4294967295
	s_addc_u32 s15, s15, (.LBB1_6240-.Lpost_getpc1559)>>32
	s_setpc_b64 s[14:15]
.LBB1_20577:
	s_movk_i32 s4, 0x80
	v_cmp_eq_u16_sdwa s[12:13], v9, s4 src0_sel:BYTE_0 src1_sel:DWORD
	s_mov_b64 s[4:5], -1
                                        ; implicit-def: $sgpr10
	s_and_saveexec_b64 s[8:9], s[12:13]
; %bb.20578:
	s_mov_b32 s10, 0x7f800001
	s_xor_b64 s[4:5], exec, -1
; %bb.20579:
	s_or_b64 exec, exec, s[8:9]
	s_and_b64 s[4:5], s[4:5], exec
	s_or_saveexec_b64 s[6:7], s[6:7]
	v_mov_b32_e32 v2, s10
	s_xor_b64 exec, exec, s[6:7]
	s_cbranch_execnz .LBB1_20580
; %bb.56417:
	s_getpc_b64 s[14:15]
.Lpost_getpc13872:
	s_add_u32 s14, s14, (.LBB1_6242-.Lpost_getpc13872)&4294967295
	s_addc_u32 s15, s15, (.LBB1_6242-.Lpost_getpc13872)>>32
	s_setpc_b64 s[14:15]
.LBB1_20580:
	v_mov_b32_e32 v2, 0
	v_cmp_ne_u16_sdwa s[8:9], v9, v2 src0_sel:BYTE_0 src1_sel:DWORD
	s_andn2_b64 s[4:5], s[4:5], exec
	s_and_b64 s[8:9], s[8:9], exec
	s_or_b64 s[4:5], s[4:5], s[8:9]
	s_or_b64 exec, exec, s[6:7]
	s_and_saveexec_b64 s[6:7], s[4:5]
	s_cbranch_execz .LBB1_31793
; %bb.56419:
	s_getpc_b64 s[14:15]
.Lpost_getpc13873:
	s_add_u32 s14, s14, (.LBB1_6243-.Lpost_getpc13873)&4294967295
	s_addc_u32 s15, s15, (.LBB1_6243-.Lpost_getpc13873)>>32
	s_setpc_b64 s[14:15]
.LBB1_31793:
	s_getpc_b64 s[14:15]
.Lpost_getpc1560:
	s_add_u32 s14, s14, (.LBB1_6244-.Lpost_getpc1560)&4294967295
	s_addc_u32 s15, s15, (.LBB1_6244-.Lpost_getpc1560)>>32
	s_setpc_b64 s[14:15]
.LBB1_20581:
	s_movk_i32 s4, 0x80
	v_cmp_eq_u16_sdwa s[12:13], v5, s4 src0_sel:BYTE_0 src1_sel:DWORD
	s_mov_b64 s[4:5], -1
                                        ; implicit-def: $sgpr10
	s_and_saveexec_b64 s[8:9], s[12:13]
; %bb.20582:
	s_mov_b32 s10, 0x7f800001
	s_xor_b64 s[4:5], exec, -1
; %bb.20583:
	s_or_b64 exec, exec, s[8:9]
	s_and_b64 s[4:5], s[4:5], exec
	s_or_saveexec_b64 s[6:7], s[6:7]
	v_mov_b32_e32 v3, s10
	s_xor_b64 exec, exec, s[6:7]
	s_cbranch_execnz .LBB1_20584
; %bb.56421:
	s_getpc_b64 s[14:15]
.Lpost_getpc13874:
	s_add_u32 s14, s14, (.LBB1_6246-.Lpost_getpc13874)&4294967295
	s_addc_u32 s15, s15, (.LBB1_6246-.Lpost_getpc13874)>>32
	s_setpc_b64 s[14:15]
.LBB1_20584:
	v_mov_b32_e32 v3, 0
	v_cmp_ne_u16_sdwa s[8:9], v5, v3 src0_sel:BYTE_0 src1_sel:DWORD
	s_andn2_b64 s[4:5], s[4:5], exec
	s_and_b64 s[8:9], s[8:9], exec
	s_or_b64 s[4:5], s[4:5], s[8:9]
	s_or_b64 exec, exec, s[6:7]
	s_and_saveexec_b64 s[6:7], s[4:5]
	s_cbranch_execz .LBB1_31795
; %bb.56423:
	s_getpc_b64 s[14:15]
.Lpost_getpc13875:
	s_add_u32 s14, s14, (.LBB1_6247-.Lpost_getpc13875)&4294967295
	s_addc_u32 s15, s15, (.LBB1_6247-.Lpost_getpc13875)>>32
	s_setpc_b64 s[14:15]
.LBB1_31795:
	s_getpc_b64 s[14:15]
.Lpost_getpc1561:
	s_add_u32 s14, s14, (.LBB1_6248-.Lpost_getpc1561)&4294967295
	s_addc_u32 s15, s15, (.LBB1_6248-.Lpost_getpc1561)>>32
	s_setpc_b64 s[14:15]
.LBB1_20585:
	s_movk_i32 s4, 0x80
	v_cmp_eq_u16_sdwa s[12:13], v3, s4 src0_sel:BYTE_0 src1_sel:DWORD
	s_mov_b64 s[4:5], -1
                                        ; implicit-def: $sgpr10
	s_and_saveexec_b64 s[8:9], s[12:13]
; %bb.20586:
	s_mov_b32 s10, 0x7f800001
	s_xor_b64 s[4:5], exec, -1
; %bb.20587:
	s_or_b64 exec, exec, s[8:9]
	s_and_b64 s[4:5], s[4:5], exec
	s_or_saveexec_b64 s[6:7], s[6:7]
	v_mov_b32_e32 v2, s10
	s_xor_b64 exec, exec, s[6:7]
	s_cbranch_execnz .LBB1_20588
; %bb.56425:
	s_getpc_b64 s[14:15]
.Lpost_getpc13876:
	s_add_u32 s14, s14, (.LBB1_6250-.Lpost_getpc13876)&4294967295
	s_addc_u32 s15, s15, (.LBB1_6250-.Lpost_getpc13876)>>32
	s_setpc_b64 s[14:15]
.LBB1_20588:
	v_mov_b32_e32 v2, 0
	v_cmp_ne_u16_sdwa s[8:9], v3, v2 src0_sel:BYTE_0 src1_sel:DWORD
	s_andn2_b64 s[4:5], s[4:5], exec
	s_and_b64 s[8:9], s[8:9], exec
	s_or_b64 s[4:5], s[4:5], s[8:9]
	s_or_b64 exec, exec, s[6:7]
	s_and_saveexec_b64 s[6:7], s[4:5]
	s_cbranch_execz .LBB1_31797
; %bb.56427:
	s_getpc_b64 s[14:15]
.Lpost_getpc13877:
	s_add_u32 s14, s14, (.LBB1_6251-.Lpost_getpc13877)&4294967295
	s_addc_u32 s15, s15, (.LBB1_6251-.Lpost_getpc13877)>>32
	s_setpc_b64 s[14:15]
.LBB1_31797:
	s_getpc_b64 s[14:15]
.Lpost_getpc1562:
	s_add_u32 s14, s14, (.LBB1_6252-.Lpost_getpc1562)&4294967295
	s_addc_u32 s15, s15, (.LBB1_6252-.Lpost_getpc1562)>>32
	s_setpc_b64 s[14:15]
.LBB1_20589:
	s_movk_i32 s4, 0x80
	v_cmp_eq_u16_sdwa s[12:13], v3, s4 src0_sel:BYTE_0 src1_sel:DWORD
	s_mov_b64 s[4:5], -1
                                        ; implicit-def: $sgpr10
	s_and_saveexec_b64 s[8:9], s[12:13]
; %bb.20590:
	s_mov_b32 s10, 0x7f800001
	s_xor_b64 s[4:5], exec, -1
; %bb.20591:
	s_or_b64 exec, exec, s[8:9]
	s_and_b64 s[4:5], s[4:5], exec
	s_or_saveexec_b64 s[6:7], s[6:7]
	v_mov_b32_e32 v4, s10
	s_xor_b64 exec, exec, s[6:7]
	s_cbranch_execnz .LBB1_20592
; %bb.56429:
	s_getpc_b64 s[14:15]
.Lpost_getpc13878:
	s_add_u32 s14, s14, (.LBB1_6254-.Lpost_getpc13878)&4294967295
	s_addc_u32 s15, s15, (.LBB1_6254-.Lpost_getpc13878)>>32
	s_setpc_b64 s[14:15]
.LBB1_20592:
	v_mov_b32_e32 v4, 0
	v_cmp_ne_u16_sdwa s[8:9], v3, v4 src0_sel:BYTE_0 src1_sel:DWORD
	s_andn2_b64 s[4:5], s[4:5], exec
	s_and_b64 s[8:9], s[8:9], exec
	s_or_b64 s[4:5], s[4:5], s[8:9]
	s_or_b64 exec, exec, s[6:7]
	s_and_saveexec_b64 s[6:7], s[4:5]
	s_cbranch_execz .LBB1_31799
; %bb.56431:
	s_getpc_b64 s[14:15]
.Lpost_getpc13879:
	s_add_u32 s14, s14, (.LBB1_6255-.Lpost_getpc13879)&4294967295
	s_addc_u32 s15, s15, (.LBB1_6255-.Lpost_getpc13879)>>32
	s_setpc_b64 s[14:15]
.LBB1_31799:
	s_getpc_b64 s[14:15]
.Lpost_getpc1563:
	s_add_u32 s14, s14, (.LBB1_6256-.Lpost_getpc1563)&4294967295
	s_addc_u32 s15, s15, (.LBB1_6256-.Lpost_getpc1563)>>32
	s_setpc_b64 s[14:15]
.LBB1_20593:
	s_movk_i32 s4, 0x80
	v_cmp_eq_u16_e32 vcc, s4, v3
	s_mov_b64 s[4:5], -1
                                        ; implicit-def: $sgpr10
	s_and_saveexec_b64 s[8:9], vcc
; %bb.20594:
	s_mov_b32 s10, 0x7f800001
	s_xor_b64 s[4:5], exec, -1
; %bb.20595:
	s_or_b64 exec, exec, s[8:9]
	s_and_b64 s[4:5], s[4:5], exec
                                        ; implicit-def: $vgpr3
	s_or_saveexec_b64 s[6:7], s[6:7]
	v_mov_b32_e32 v2, s10
	s_xor_b64 exec, exec, s[6:7]
	s_cbranch_execnz .LBB1_20596
; %bb.56433:
	s_getpc_b64 s[14:15]
.Lpost_getpc13880:
	s_add_u32 s14, s14, (.LBB1_6258-.Lpost_getpc13880)&4294967295
	s_addc_u32 s15, s15, (.LBB1_6258-.Lpost_getpc13880)>>32
	s_setpc_b64 s[14:15]
.LBB1_20596:
	v_cmp_ne_u16_e32 vcc, 0, v3
	s_andn2_b64 s[4:5], s[4:5], exec
	s_and_b64 s[8:9], vcc, exec
	v_mov_b32_e32 v2, 0
	s_or_b64 s[4:5], s[4:5], s[8:9]
	s_or_b64 exec, exec, s[6:7]
	s_and_saveexec_b64 s[6:7], s[4:5]
	s_cbranch_execz .LBB1_31801
; %bb.56435:
	s_getpc_b64 s[14:15]
.Lpost_getpc13881:
	s_add_u32 s14, s14, (.LBB1_6259-.Lpost_getpc13881)&4294967295
	s_addc_u32 s15, s15, (.LBB1_6259-.Lpost_getpc13881)>>32
	s_setpc_b64 s[14:15]
.LBB1_31801:
	s_getpc_b64 s[14:15]
.Lpost_getpc1564:
	s_add_u32 s14, s14, (.LBB1_6260-.Lpost_getpc1564)&4294967295
	s_addc_u32 s15, s15, (.LBB1_6260-.Lpost_getpc1564)>>32
	s_setpc_b64 s[14:15]
.LBB1_20597:
	s_movk_i32 s4, 0x80
	v_cmp_eq_u16_e32 vcc, s4, v3
	s_mov_b64 s[4:5], -1
                                        ; implicit-def: $sgpr10
	s_and_saveexec_b64 s[8:9], vcc
; %bb.20598:
	s_mov_b32 s10, 0x7f800001
	s_xor_b64 s[4:5], exec, -1
; %bb.20599:
	s_or_b64 exec, exec, s[8:9]
	s_and_b64 s[4:5], s[4:5], exec
                                        ; implicit-def: $vgpr3
	s_or_saveexec_b64 s[6:7], s[6:7]
	v_mov_b32_e32 v4, s10
	s_xor_b64 exec, exec, s[6:7]
	s_cbranch_execnz .LBB1_20600
; %bb.56437:
	s_getpc_b64 s[14:15]
.Lpost_getpc13882:
	s_add_u32 s14, s14, (.LBB1_6262-.Lpost_getpc13882)&4294967295
	s_addc_u32 s15, s15, (.LBB1_6262-.Lpost_getpc13882)>>32
	s_setpc_b64 s[14:15]
.LBB1_20600:
	v_cmp_ne_u16_e32 vcc, 0, v3
	s_andn2_b64 s[4:5], s[4:5], exec
	s_and_b64 s[8:9], vcc, exec
	v_mov_b32_e32 v4, 0
	s_or_b64 s[4:5], s[4:5], s[8:9]
	s_or_b64 exec, exec, s[6:7]
	s_and_saveexec_b64 s[6:7], s[4:5]
	s_cbranch_execz .LBB1_31803
; %bb.56439:
	s_getpc_b64 s[14:15]
.Lpost_getpc13883:
	s_add_u32 s14, s14, (.LBB1_6263-.Lpost_getpc13883)&4294967295
	s_addc_u32 s15, s15, (.LBB1_6263-.Lpost_getpc13883)>>32
	s_setpc_b64 s[14:15]
.LBB1_31803:
	s_getpc_b64 s[14:15]
.Lpost_getpc1565:
	s_add_u32 s14, s14, (.LBB1_6264-.Lpost_getpc1565)&4294967295
	s_addc_u32 s15, s15, (.LBB1_6264-.Lpost_getpc1565)>>32
	s_setpc_b64 s[14:15]
.LBB1_20601:
	s_movk_i32 s4, 0x80
	v_cmp_eq_u16_sdwa s[12:13], v9, s4 src0_sel:BYTE_3 src1_sel:DWORD
	s_mov_b64 s[4:5], -1
                                        ; implicit-def: $sgpr10
	s_and_saveexec_b64 s[8:9], s[12:13]
; %bb.20602:
	s_mov_b32 s10, 0x7f800001
	s_xor_b64 s[4:5], exec, -1
; %bb.20603:
	s_or_b64 exec, exec, s[8:9]
	s_and_b64 s[4:5], s[4:5], exec
	s_or_saveexec_b64 s[6:7], s[6:7]
	v_mov_b32_e32 v2, s10
	s_xor_b64 exec, exec, s[6:7]
	s_cbranch_execnz .LBB1_20604
; %bb.56441:
	s_getpc_b64 s[14:15]
.Lpost_getpc13884:
	s_add_u32 s14, s14, (.LBB1_6266-.Lpost_getpc13884)&4294967295
	s_addc_u32 s15, s15, (.LBB1_6266-.Lpost_getpc13884)>>32
	s_setpc_b64 s[14:15]
.LBB1_20604:
	v_mov_b32_e32 v2, 0
	v_cmp_ne_u16_sdwa s[8:9], v9, v2 src0_sel:BYTE_3 src1_sel:DWORD
	s_andn2_b64 s[4:5], s[4:5], exec
	s_and_b64 s[8:9], s[8:9], exec
	s_or_b64 s[4:5], s[4:5], s[8:9]
	s_or_b64 exec, exec, s[6:7]
	s_and_saveexec_b64 s[6:7], s[4:5]
	s_cbranch_execz .LBB1_31805
; %bb.56443:
	s_getpc_b64 s[14:15]
.Lpost_getpc13885:
	s_add_u32 s14, s14, (.LBB1_6267-.Lpost_getpc13885)&4294967295
	s_addc_u32 s15, s15, (.LBB1_6267-.Lpost_getpc13885)>>32
	s_setpc_b64 s[14:15]
.LBB1_31805:
	s_getpc_b64 s[14:15]
.Lpost_getpc1566:
	s_add_u32 s14, s14, (.LBB1_6268-.Lpost_getpc1566)&4294967295
	s_addc_u32 s15, s15, (.LBB1_6268-.Lpost_getpc1566)>>32
	s_setpc_b64 s[14:15]
.LBB1_20605:
	s_movk_i32 s4, 0x80
	v_cmp_eq_u16_sdwa s[12:13], v5, s4 src0_sel:BYTE_3 src1_sel:DWORD
	s_mov_b64 s[4:5], -1
                                        ; implicit-def: $sgpr10
	s_and_saveexec_b64 s[8:9], s[12:13]
; %bb.20606:
	s_mov_b32 s10, 0x7f800001
	s_xor_b64 s[4:5], exec, -1
; %bb.20607:
	s_or_b64 exec, exec, s[8:9]
	s_and_b64 s[4:5], s[4:5], exec
	s_or_saveexec_b64 s[6:7], s[6:7]
	v_mov_b32_e32 v3, s10
	s_xor_b64 exec, exec, s[6:7]
	s_cbranch_execnz .LBB1_20608
; %bb.56445:
	s_getpc_b64 s[14:15]
.Lpost_getpc13886:
	s_add_u32 s14, s14, (.LBB1_6270-.Lpost_getpc13886)&4294967295
	s_addc_u32 s15, s15, (.LBB1_6270-.Lpost_getpc13886)>>32
	s_setpc_b64 s[14:15]
.LBB1_20608:
	v_mov_b32_e32 v3, 0
	v_cmp_ne_u16_sdwa s[8:9], v5, v3 src0_sel:BYTE_3 src1_sel:DWORD
	s_andn2_b64 s[4:5], s[4:5], exec
	s_and_b64 s[8:9], s[8:9], exec
	s_or_b64 s[4:5], s[4:5], s[8:9]
	s_or_b64 exec, exec, s[6:7]
	s_and_saveexec_b64 s[6:7], s[4:5]
	s_cbranch_execz .LBB1_31807
; %bb.56447:
	s_getpc_b64 s[14:15]
.Lpost_getpc13887:
	s_add_u32 s14, s14, (.LBB1_6271-.Lpost_getpc13887)&4294967295
	s_addc_u32 s15, s15, (.LBB1_6271-.Lpost_getpc13887)>>32
	s_setpc_b64 s[14:15]
.LBB1_31807:
	s_getpc_b64 s[14:15]
.Lpost_getpc1567:
	s_add_u32 s14, s14, (.LBB1_6272-.Lpost_getpc1567)&4294967295
	s_addc_u32 s15, s15, (.LBB1_6272-.Lpost_getpc1567)>>32
	s_setpc_b64 s[14:15]
.LBB1_20609:
	s_movk_i32 s4, 0x80
	v_cmp_eq_u16_sdwa s[12:13], v6, s4 src0_sel:BYTE_0 src1_sel:DWORD
	s_mov_b64 s[4:5], -1
                                        ; implicit-def: $sgpr10
	s_and_saveexec_b64 s[8:9], s[12:13]
; %bb.20610:
	s_mov_b32 s10, 0x7f800001
	s_xor_b64 s[4:5], exec, -1
; %bb.20611:
	s_or_b64 exec, exec, s[8:9]
	s_and_b64 s[4:5], s[4:5], exec
	s_or_saveexec_b64 s[6:7], s[6:7]
	v_mov_b32_e32 v12, s10
	s_xor_b64 exec, exec, s[6:7]
	s_cbranch_execnz .LBB1_20612
; %bb.56449:
	s_getpc_b64 s[14:15]
.Lpost_getpc13888:
	s_add_u32 s14, s14, (.LBB1_6274-.Lpost_getpc13888)&4294967295
	s_addc_u32 s15, s15, (.LBB1_6274-.Lpost_getpc13888)>>32
	s_setpc_b64 s[14:15]
.LBB1_20612:
	v_mov_b32_e32 v12, 0
	v_cmp_ne_u16_sdwa s[8:9], v6, v12 src0_sel:BYTE_0 src1_sel:DWORD
	s_andn2_b64 s[4:5], s[4:5], exec
	s_and_b64 s[8:9], s[8:9], exec
	s_or_b64 s[4:5], s[4:5], s[8:9]
	s_or_b64 exec, exec, s[6:7]
	s_and_saveexec_b64 s[6:7], s[4:5]
	s_cbranch_execz .LBB1_31809
; %bb.56451:
	s_getpc_b64 s[14:15]
.Lpost_getpc13889:
	s_add_u32 s14, s14, (.LBB1_6275-.Lpost_getpc13889)&4294967295
	s_addc_u32 s15, s15, (.LBB1_6275-.Lpost_getpc13889)>>32
	s_setpc_b64 s[14:15]
.LBB1_31809:
	s_getpc_b64 s[14:15]
.Lpost_getpc1568:
	s_add_u32 s14, s14, (.LBB1_6276-.Lpost_getpc1568)&4294967295
	s_addc_u32 s15, s15, (.LBB1_6276-.Lpost_getpc1568)>>32
	s_setpc_b64 s[14:15]
.LBB1_20613:
	s_movk_i32 s4, 0x80
	v_cmp_eq_u16_sdwa s[12:13], v2, s4 src0_sel:BYTE_0 src1_sel:DWORD
	s_mov_b64 s[4:5], -1
                                        ; implicit-def: $sgpr10
	s_and_saveexec_b64 s[8:9], s[12:13]
; %bb.20614:
	s_mov_b32 s10, 0x7f800001
	s_xor_b64 s[4:5], exec, -1
; %bb.20615:
	s_or_b64 exec, exec, s[8:9]
	s_and_b64 s[4:5], s[4:5], exec
	s_or_saveexec_b64 s[6:7], s[6:7]
	v_mov_b32_e32 v13, s10
	s_xor_b64 exec, exec, s[6:7]
	s_cbranch_execnz .LBB1_20616
; %bb.56453:
	s_getpc_b64 s[14:15]
.Lpost_getpc13890:
	s_add_u32 s14, s14, (.LBB1_6278-.Lpost_getpc13890)&4294967295
	s_addc_u32 s15, s15, (.LBB1_6278-.Lpost_getpc13890)>>32
	s_setpc_b64 s[14:15]
.LBB1_20616:
	v_mov_b32_e32 v13, 0
	v_cmp_ne_u16_sdwa s[8:9], v2, v13 src0_sel:BYTE_0 src1_sel:DWORD
	s_andn2_b64 s[4:5], s[4:5], exec
	s_and_b64 s[8:9], s[8:9], exec
	s_or_b64 s[4:5], s[4:5], s[8:9]
	s_or_b64 exec, exec, s[6:7]
	s_and_saveexec_b64 s[6:7], s[4:5]
	s_cbranch_execz .LBB1_31811
; %bb.56455:
	s_getpc_b64 s[14:15]
.Lpost_getpc13891:
	s_add_u32 s14, s14, (.LBB1_6279-.Lpost_getpc13891)&4294967295
	s_addc_u32 s15, s15, (.LBB1_6279-.Lpost_getpc13891)>>32
	s_setpc_b64 s[14:15]
.LBB1_31811:
	s_getpc_b64 s[14:15]
.Lpost_getpc1569:
	s_add_u32 s14, s14, (.LBB1_6280-.Lpost_getpc1569)&4294967295
	s_addc_u32 s15, s15, (.LBB1_6280-.Lpost_getpc1569)>>32
	s_setpc_b64 s[14:15]
.LBB1_20617:
	s_movk_i32 s4, 0x80
	v_cmp_eq_u16_sdwa s[12:13], v13, s4 src0_sel:BYTE_0 src1_sel:DWORD
	s_mov_b64 s[4:5], -1
                                        ; implicit-def: $sgpr10
	s_and_saveexec_b64 s[8:9], s[12:13]
; %bb.20618:
	s_mov_b32 s10, 0x7f800001
	s_xor_b64 s[4:5], exec, -1
; %bb.20619:
	s_or_b64 exec, exec, s[8:9]
	s_and_b64 s[4:5], s[4:5], exec
	s_or_saveexec_b64 s[6:7], s[6:7]
	v_mov_b32_e32 v12, s10
	s_xor_b64 exec, exec, s[6:7]
	s_cbranch_execnz .LBB1_20620
; %bb.56457:
	s_getpc_b64 s[14:15]
.Lpost_getpc13892:
	s_add_u32 s14, s14, (.LBB1_6282-.Lpost_getpc13892)&4294967295
	s_addc_u32 s15, s15, (.LBB1_6282-.Lpost_getpc13892)>>32
	s_setpc_b64 s[14:15]
.LBB1_20620:
	v_mov_b32_e32 v12, 0
	v_cmp_ne_u16_sdwa s[8:9], v13, v12 src0_sel:BYTE_0 src1_sel:DWORD
	s_andn2_b64 s[4:5], s[4:5], exec
	s_and_b64 s[8:9], s[8:9], exec
	s_or_b64 s[4:5], s[4:5], s[8:9]
	s_or_b64 exec, exec, s[6:7]
	s_and_saveexec_b64 s[6:7], s[4:5]
	s_cbranch_execz .LBB1_31813
; %bb.56459:
	s_getpc_b64 s[14:15]
.Lpost_getpc13893:
	s_add_u32 s14, s14, (.LBB1_6283-.Lpost_getpc13893)&4294967295
	s_addc_u32 s15, s15, (.LBB1_6283-.Lpost_getpc13893)>>32
	s_setpc_b64 s[14:15]
.LBB1_31813:
	s_getpc_b64 s[14:15]
.Lpost_getpc1570:
	s_add_u32 s14, s14, (.LBB1_6284-.Lpost_getpc1570)&4294967295
	s_addc_u32 s15, s15, (.LBB1_6284-.Lpost_getpc1570)>>32
	s_setpc_b64 s[14:15]
.LBB1_20621:
	s_movk_i32 s4, 0x80
	v_cmp_eq_u16_sdwa s[12:13], v13, s4 src0_sel:BYTE_0 src1_sel:DWORD
	s_mov_b64 s[4:5], -1
                                        ; implicit-def: $sgpr10
	s_and_saveexec_b64 s[8:9], s[12:13]
; %bb.20622:
	s_mov_b32 s10, 0x7f800001
	s_xor_b64 s[4:5], exec, -1
; %bb.20623:
	s_or_b64 exec, exec, s[8:9]
	s_and_b64 s[4:5], s[4:5], exec
	s_or_saveexec_b64 s[6:7], s[6:7]
	v_mov_b32_e32 v14, s10
	s_xor_b64 exec, exec, s[6:7]
	s_cbranch_execnz .LBB1_20624
; %bb.56461:
	s_getpc_b64 s[14:15]
.Lpost_getpc13894:
	s_add_u32 s14, s14, (.LBB1_6286-.Lpost_getpc13894)&4294967295
	s_addc_u32 s15, s15, (.LBB1_6286-.Lpost_getpc13894)>>32
	s_setpc_b64 s[14:15]
.LBB1_20624:
	v_mov_b32_e32 v14, 0
	v_cmp_ne_u16_sdwa s[8:9], v13, v14 src0_sel:BYTE_0 src1_sel:DWORD
	s_andn2_b64 s[4:5], s[4:5], exec
	s_and_b64 s[8:9], s[8:9], exec
	s_or_b64 s[4:5], s[4:5], s[8:9]
	s_or_b64 exec, exec, s[6:7]
	s_and_saveexec_b64 s[6:7], s[4:5]
	s_cbranch_execz .LBB1_31815
; %bb.56463:
	s_getpc_b64 s[14:15]
.Lpost_getpc13895:
	s_add_u32 s14, s14, (.LBB1_6287-.Lpost_getpc13895)&4294967295
	s_addc_u32 s15, s15, (.LBB1_6287-.Lpost_getpc13895)>>32
	s_setpc_b64 s[14:15]
.LBB1_31815:
	s_getpc_b64 s[14:15]
.Lpost_getpc1571:
	s_add_u32 s14, s14, (.LBB1_6288-.Lpost_getpc1571)&4294967295
	s_addc_u32 s15, s15, (.LBB1_6288-.Lpost_getpc1571)>>32
	s_setpc_b64 s[14:15]
.LBB1_20625:
	s_movk_i32 s4, 0x80
	v_cmp_eq_u16_e32 vcc, s4, v13
	s_mov_b64 s[4:5], -1
                                        ; implicit-def: $sgpr10
	s_and_saveexec_b64 s[8:9], vcc
; %bb.20626:
	s_mov_b32 s10, 0x7f800001
	s_xor_b64 s[4:5], exec, -1
; %bb.20627:
	s_or_b64 exec, exec, s[8:9]
	s_and_b64 s[4:5], s[4:5], exec
                                        ; implicit-def: $vgpr13
	s_or_saveexec_b64 s[6:7], s[6:7]
	v_mov_b32_e32 v12, s10
	s_xor_b64 exec, exec, s[6:7]
	s_cbranch_execnz .LBB1_20628
; %bb.56465:
	s_getpc_b64 s[14:15]
.Lpost_getpc13896:
	s_add_u32 s14, s14, (.LBB1_6290-.Lpost_getpc13896)&4294967295
	s_addc_u32 s15, s15, (.LBB1_6290-.Lpost_getpc13896)>>32
	s_setpc_b64 s[14:15]
.LBB1_20628:
	v_cmp_ne_u16_e32 vcc, 0, v13
	s_andn2_b64 s[4:5], s[4:5], exec
	s_and_b64 s[8:9], vcc, exec
	v_mov_b32_e32 v12, 0
	s_or_b64 s[4:5], s[4:5], s[8:9]
	s_or_b64 exec, exec, s[6:7]
	s_and_saveexec_b64 s[6:7], s[4:5]
	s_cbranch_execz .LBB1_31817
; %bb.56467:
	s_getpc_b64 s[14:15]
.Lpost_getpc13897:
	s_add_u32 s14, s14, (.LBB1_6291-.Lpost_getpc13897)&4294967295
	s_addc_u32 s15, s15, (.LBB1_6291-.Lpost_getpc13897)>>32
	s_setpc_b64 s[14:15]
.LBB1_31817:
	s_getpc_b64 s[14:15]
.Lpost_getpc1572:
	s_add_u32 s14, s14, (.LBB1_6292-.Lpost_getpc1572)&4294967295
	s_addc_u32 s15, s15, (.LBB1_6292-.Lpost_getpc1572)>>32
	s_setpc_b64 s[14:15]
.LBB1_20629:
	s_movk_i32 s4, 0x80
	v_cmp_eq_u16_e32 vcc, s4, v13
	s_mov_b64 s[4:5], -1
                                        ; implicit-def: $sgpr10
	s_and_saveexec_b64 s[8:9], vcc
; %bb.20630:
	s_mov_b32 s10, 0x7f800001
	s_xor_b64 s[4:5], exec, -1
; %bb.20631:
	s_or_b64 exec, exec, s[8:9]
	s_and_b64 s[4:5], s[4:5], exec
                                        ; implicit-def: $vgpr13
	s_or_saveexec_b64 s[6:7], s[6:7]
	v_mov_b32_e32 v14, s10
	s_xor_b64 exec, exec, s[6:7]
	s_cbranch_execnz .LBB1_20632
; %bb.56469:
	s_getpc_b64 s[14:15]
.Lpost_getpc13898:
	s_add_u32 s14, s14, (.LBB1_6294-.Lpost_getpc13898)&4294967295
	s_addc_u32 s15, s15, (.LBB1_6294-.Lpost_getpc13898)>>32
	s_setpc_b64 s[14:15]
.LBB1_20632:
	v_cmp_ne_u16_e32 vcc, 0, v13
	s_andn2_b64 s[4:5], s[4:5], exec
	s_and_b64 s[8:9], vcc, exec
	v_mov_b32_e32 v14, 0
	s_or_b64 s[4:5], s[4:5], s[8:9]
	s_or_b64 exec, exec, s[6:7]
	s_and_saveexec_b64 s[6:7], s[4:5]
	s_cbranch_execz .LBB1_31819
; %bb.56471:
	s_getpc_b64 s[14:15]
.Lpost_getpc13899:
	s_add_u32 s14, s14, (.LBB1_6295-.Lpost_getpc13899)&4294967295
	s_addc_u32 s15, s15, (.LBB1_6295-.Lpost_getpc13899)>>32
	s_setpc_b64 s[14:15]
.LBB1_31819:
	s_getpc_b64 s[14:15]
.Lpost_getpc1573:
	s_add_u32 s14, s14, (.LBB1_6296-.Lpost_getpc1573)&4294967295
	s_addc_u32 s15, s15, (.LBB1_6296-.Lpost_getpc1573)>>32
	s_setpc_b64 s[14:15]
.LBB1_20633:
	s_movk_i32 s4, 0x80
	v_cmp_eq_u16_sdwa s[12:13], v6, s4 src0_sel:BYTE_3 src1_sel:DWORD
	s_mov_b64 s[4:5], -1
                                        ; implicit-def: $sgpr10
	s_and_saveexec_b64 s[8:9], s[12:13]
; %bb.20634:
	s_mov_b32 s10, 0x7f800001
	s_xor_b64 s[4:5], exec, -1
; %bb.20635:
	s_or_b64 exec, exec, s[8:9]
	s_and_b64 s[4:5], s[4:5], exec
	s_or_saveexec_b64 s[6:7], s[6:7]
	v_mov_b32_e32 v12, s10
	s_xor_b64 exec, exec, s[6:7]
	s_cbranch_execnz .LBB1_20636
; %bb.56473:
	s_getpc_b64 s[14:15]
.Lpost_getpc13900:
	s_add_u32 s14, s14, (.LBB1_6298-.Lpost_getpc13900)&4294967295
	s_addc_u32 s15, s15, (.LBB1_6298-.Lpost_getpc13900)>>32
	s_setpc_b64 s[14:15]
.LBB1_20636:
	v_mov_b32_e32 v12, 0
	v_cmp_ne_u16_sdwa s[8:9], v6, v12 src0_sel:BYTE_3 src1_sel:DWORD
	s_andn2_b64 s[4:5], s[4:5], exec
	s_and_b64 s[8:9], s[8:9], exec
	s_or_b64 s[4:5], s[4:5], s[8:9]
	s_or_b64 exec, exec, s[6:7]
	s_and_saveexec_b64 s[6:7], s[4:5]
	s_cbranch_execz .LBB1_31821
; %bb.56475:
	s_getpc_b64 s[14:15]
.Lpost_getpc13901:
	s_add_u32 s14, s14, (.LBB1_6299-.Lpost_getpc13901)&4294967295
	s_addc_u32 s15, s15, (.LBB1_6299-.Lpost_getpc13901)>>32
	s_setpc_b64 s[14:15]
.LBB1_31821:
	s_getpc_b64 s[14:15]
.Lpost_getpc1574:
	s_add_u32 s14, s14, (.LBB1_6300-.Lpost_getpc1574)&4294967295
	s_addc_u32 s15, s15, (.LBB1_6300-.Lpost_getpc1574)>>32
	s_setpc_b64 s[14:15]
.LBB1_20637:
	s_movk_i32 s4, 0x80
	v_cmp_eq_u16_sdwa s[12:13], v2, s4 src0_sel:BYTE_3 src1_sel:DWORD
	s_mov_b64 s[4:5], -1
                                        ; implicit-def: $sgpr10
	s_and_saveexec_b64 s[8:9], s[12:13]
; %bb.20638:
	s_mov_b32 s10, 0x7f800001
	s_xor_b64 s[4:5], exec, -1
; %bb.20639:
	s_or_b64 exec, exec, s[8:9]
	s_and_b64 s[4:5], s[4:5], exec
	s_or_saveexec_b64 s[6:7], s[6:7]
	v_mov_b32_e32 v6, s10
	s_xor_b64 exec, exec, s[6:7]
	s_cbranch_execnz .LBB1_20640
; %bb.56477:
	s_getpc_b64 s[14:15]
.Lpost_getpc13902:
	s_add_u32 s14, s14, (.LBB1_6302-.Lpost_getpc13902)&4294967295
	s_addc_u32 s15, s15, (.LBB1_6302-.Lpost_getpc13902)>>32
	s_setpc_b64 s[14:15]
.LBB1_20640:
	v_mov_b32_e32 v6, 0
	v_cmp_ne_u16_sdwa s[8:9], v2, v6 src0_sel:BYTE_3 src1_sel:DWORD
	s_andn2_b64 s[4:5], s[4:5], exec
	s_and_b64 s[8:9], s[8:9], exec
	s_or_b64 s[4:5], s[4:5], s[8:9]
	s_or_b64 exec, exec, s[6:7]
	s_and_saveexec_b64 s[6:7], s[4:5]
	s_cbranch_execz .LBB1_31823
; %bb.56479:
	s_getpc_b64 s[14:15]
.Lpost_getpc13903:
	s_add_u32 s14, s14, (.LBB1_6303-.Lpost_getpc13903)&4294967295
	s_addc_u32 s15, s15, (.LBB1_6303-.Lpost_getpc13903)>>32
	s_setpc_b64 s[14:15]
.LBB1_31823:
	s_getpc_b64 s[14:15]
.Lpost_getpc1575:
	s_add_u32 s14, s14, (.LBB1_6304-.Lpost_getpc1575)&4294967295
	s_addc_u32 s15, s15, (.LBB1_6304-.Lpost_getpc1575)>>32
	s_setpc_b64 s[14:15]
.LBB1_20641:
	s_movk_i32 s4, 0x80
	v_cmp_eq_u16_sdwa s[12:13], v7, s4 src0_sel:BYTE_0 src1_sel:DWORD
	s_mov_b64 s[4:5], -1
                                        ; implicit-def: $sgpr10
	s_and_saveexec_b64 s[8:9], s[12:13]
; %bb.20642:
	s_mov_b32 s10, 0x7f800001
	s_xor_b64 s[4:5], exec, -1
; %bb.20643:
	s_or_b64 exec, exec, s[8:9]
	s_and_b64 s[4:5], s[4:5], exec
	s_or_saveexec_b64 s[6:7], s[6:7]
	v_mov_b32_e32 v2, s10
	s_xor_b64 exec, exec, s[6:7]
	s_cbranch_execnz .LBB1_20644
; %bb.56481:
	s_getpc_b64 s[14:15]
.Lpost_getpc13904:
	s_add_u32 s14, s14, (.LBB1_6306-.Lpost_getpc13904)&4294967295
	s_addc_u32 s15, s15, (.LBB1_6306-.Lpost_getpc13904)>>32
	s_setpc_b64 s[14:15]
.LBB1_20644:
	v_mov_b32_e32 v2, 0
	v_cmp_ne_u16_sdwa s[8:9], v7, v2 src0_sel:BYTE_0 src1_sel:DWORD
	s_andn2_b64 s[4:5], s[4:5], exec
	s_and_b64 s[8:9], s[8:9], exec
	s_or_b64 s[4:5], s[4:5], s[8:9]
	s_or_b64 exec, exec, s[6:7]
	s_and_saveexec_b64 s[6:7], s[4:5]
	s_cbranch_execz .LBB1_31825
; %bb.56483:
	s_getpc_b64 s[14:15]
.Lpost_getpc13905:
	s_add_u32 s14, s14, (.LBB1_6307-.Lpost_getpc13905)&4294967295
	s_addc_u32 s15, s15, (.LBB1_6307-.Lpost_getpc13905)>>32
	s_setpc_b64 s[14:15]
.LBB1_31825:
	s_getpc_b64 s[14:15]
.Lpost_getpc1576:
	s_add_u32 s14, s14, (.LBB1_6308-.Lpost_getpc1576)&4294967295
	s_addc_u32 s15, s15, (.LBB1_6308-.Lpost_getpc1576)>>32
	s_setpc_b64 s[14:15]
.LBB1_20645:
	s_movk_i32 s4, 0x80
	v_cmp_eq_u16_sdwa s[12:13], v3, s4 src0_sel:BYTE_0 src1_sel:DWORD
	s_mov_b64 s[4:5], -1
                                        ; implicit-def: $sgpr10
	s_and_saveexec_b64 s[8:9], s[12:13]
; %bb.20646:
	s_mov_b32 s10, 0x7f800001
	s_xor_b64 s[4:5], exec, -1
; %bb.20647:
	s_or_b64 exec, exec, s[8:9]
	s_and_b64 s[4:5], s[4:5], exec
	s_or_saveexec_b64 s[6:7], s[6:7]
	v_mov_b32_e32 v6, s10
	s_xor_b64 exec, exec, s[6:7]
	s_cbranch_execnz .LBB1_20648
; %bb.56485:
	s_getpc_b64 s[14:15]
.Lpost_getpc13906:
	s_add_u32 s14, s14, (.LBB1_6310-.Lpost_getpc13906)&4294967295
	s_addc_u32 s15, s15, (.LBB1_6310-.Lpost_getpc13906)>>32
	s_setpc_b64 s[14:15]
.LBB1_20648:
	v_mov_b32_e32 v6, 0
	v_cmp_ne_u16_sdwa s[8:9], v3, v6 src0_sel:BYTE_0 src1_sel:DWORD
	s_andn2_b64 s[4:5], s[4:5], exec
	s_and_b64 s[8:9], s[8:9], exec
	s_or_b64 s[4:5], s[4:5], s[8:9]
	s_or_b64 exec, exec, s[6:7]
	s_and_saveexec_b64 s[6:7], s[4:5]
	s_cbranch_execz .LBB1_31827
; %bb.56487:
	s_getpc_b64 s[14:15]
.Lpost_getpc13907:
	s_add_u32 s14, s14, (.LBB1_6311-.Lpost_getpc13907)&4294967295
	s_addc_u32 s15, s15, (.LBB1_6311-.Lpost_getpc13907)>>32
	s_setpc_b64 s[14:15]
.LBB1_31827:
	s_getpc_b64 s[14:15]
.Lpost_getpc1577:
	s_add_u32 s14, s14, (.LBB1_6312-.Lpost_getpc1577)&4294967295
	s_addc_u32 s15, s15, (.LBB1_6312-.Lpost_getpc1577)>>32
	s_setpc_b64 s[14:15]
.LBB1_20649:
	s_movk_i32 s4, 0x80
	v_cmp_eq_u16_sdwa s[12:13], v6, s4 src0_sel:BYTE_0 src1_sel:DWORD
	s_mov_b64 s[4:5], -1
                                        ; implicit-def: $sgpr10
	s_and_saveexec_b64 s[8:9], s[12:13]
; %bb.20650:
	s_mov_b32 s10, 0x7f800001
	s_xor_b64 s[4:5], exec, -1
; %bb.20651:
	s_or_b64 exec, exec, s[8:9]
	s_and_b64 s[4:5], s[4:5], exec
	s_or_saveexec_b64 s[6:7], s[6:7]
	v_mov_b32_e32 v2, s10
	s_xor_b64 exec, exec, s[6:7]
	s_cbranch_execnz .LBB1_20652
; %bb.56489:
	s_getpc_b64 s[14:15]
.Lpost_getpc13908:
	s_add_u32 s14, s14, (.LBB1_6314-.Lpost_getpc13908)&4294967295
	s_addc_u32 s15, s15, (.LBB1_6314-.Lpost_getpc13908)>>32
	s_setpc_b64 s[14:15]
.LBB1_20652:
	v_mov_b32_e32 v2, 0
	v_cmp_ne_u16_sdwa s[8:9], v6, v2 src0_sel:BYTE_0 src1_sel:DWORD
	s_andn2_b64 s[4:5], s[4:5], exec
	s_and_b64 s[8:9], s[8:9], exec
	s_or_b64 s[4:5], s[4:5], s[8:9]
	s_or_b64 exec, exec, s[6:7]
	s_and_saveexec_b64 s[6:7], s[4:5]
	s_cbranch_execz .LBB1_31829
; %bb.56491:
	s_getpc_b64 s[14:15]
.Lpost_getpc13909:
	s_add_u32 s14, s14, (.LBB1_6315-.Lpost_getpc13909)&4294967295
	s_addc_u32 s15, s15, (.LBB1_6315-.Lpost_getpc13909)>>32
	s_setpc_b64 s[14:15]
.LBB1_31829:
	s_getpc_b64 s[14:15]
.Lpost_getpc1578:
	s_add_u32 s14, s14, (.LBB1_6316-.Lpost_getpc1578)&4294967295
	s_addc_u32 s15, s15, (.LBB1_6316-.Lpost_getpc1578)>>32
	s_setpc_b64 s[14:15]
.LBB1_20653:
	s_movk_i32 s4, 0x80
	v_cmp_eq_u16_sdwa s[12:13], v6, s4 src0_sel:BYTE_0 src1_sel:DWORD
	s_mov_b64 s[4:5], -1
                                        ; implicit-def: $sgpr10
	s_and_saveexec_b64 s[8:9], s[12:13]
; %bb.20654:
	s_mov_b32 s10, 0x7f800001
	s_xor_b64 s[4:5], exec, -1
; %bb.20655:
	s_or_b64 exec, exec, s[8:9]
	s_and_b64 s[4:5], s[4:5], exec
	s_or_saveexec_b64 s[6:7], s[6:7]
	v_mov_b32_e32 v12, s10
	s_xor_b64 exec, exec, s[6:7]
	s_cbranch_execnz .LBB1_20656
; %bb.56493:
	s_getpc_b64 s[14:15]
.Lpost_getpc13910:
	s_add_u32 s14, s14, (.LBB1_6318-.Lpost_getpc13910)&4294967295
	s_addc_u32 s15, s15, (.LBB1_6318-.Lpost_getpc13910)>>32
	s_setpc_b64 s[14:15]
.LBB1_20656:
	v_mov_b32_e32 v12, 0
	v_cmp_ne_u16_sdwa s[8:9], v6, v12 src0_sel:BYTE_0 src1_sel:DWORD
	s_andn2_b64 s[4:5], s[4:5], exec
	s_and_b64 s[8:9], s[8:9], exec
	s_or_b64 s[4:5], s[4:5], s[8:9]
	s_or_b64 exec, exec, s[6:7]
	s_and_saveexec_b64 s[6:7], s[4:5]
	s_cbranch_execz .LBB1_31831
; %bb.56495:
	s_getpc_b64 s[14:15]
.Lpost_getpc13911:
	s_add_u32 s14, s14, (.LBB1_6319-.Lpost_getpc13911)&4294967295
	s_addc_u32 s15, s15, (.LBB1_6319-.Lpost_getpc13911)>>32
	s_setpc_b64 s[14:15]
.LBB1_31831:
	s_getpc_b64 s[14:15]
.Lpost_getpc1579:
	s_add_u32 s14, s14, (.LBB1_6320-.Lpost_getpc1579)&4294967295
	s_addc_u32 s15, s15, (.LBB1_6320-.Lpost_getpc1579)>>32
	s_setpc_b64 s[14:15]
.LBB1_20657:
	s_movk_i32 s4, 0x80
	v_cmp_eq_u16_e32 vcc, s4, v6
	s_mov_b64 s[4:5], -1
                                        ; implicit-def: $sgpr10
	s_and_saveexec_b64 s[8:9], vcc
; %bb.20658:
	s_mov_b32 s10, 0x7f800001
	s_xor_b64 s[4:5], exec, -1
; %bb.20659:
	s_or_b64 exec, exec, s[8:9]
	s_and_b64 s[4:5], s[4:5], exec
                                        ; implicit-def: $vgpr6
	s_or_saveexec_b64 s[6:7], s[6:7]
	v_mov_b32_e32 v2, s10
	s_xor_b64 exec, exec, s[6:7]
	s_cbranch_execnz .LBB1_20660
; %bb.56497:
	s_getpc_b64 s[14:15]
.Lpost_getpc13912:
	s_add_u32 s14, s14, (.LBB1_6322-.Lpost_getpc13912)&4294967295
	s_addc_u32 s15, s15, (.LBB1_6322-.Lpost_getpc13912)>>32
	s_setpc_b64 s[14:15]
.LBB1_20660:
	v_cmp_ne_u16_e32 vcc, 0, v6
	s_andn2_b64 s[4:5], s[4:5], exec
	s_and_b64 s[8:9], vcc, exec
	v_mov_b32_e32 v2, 0
	s_or_b64 s[4:5], s[4:5], s[8:9]
	s_or_b64 exec, exec, s[6:7]
	s_and_saveexec_b64 s[6:7], s[4:5]
	s_cbranch_execz .LBB1_31833
; %bb.56499:
	s_getpc_b64 s[14:15]
.Lpost_getpc13913:
	s_add_u32 s14, s14, (.LBB1_6323-.Lpost_getpc13913)&4294967295
	s_addc_u32 s15, s15, (.LBB1_6323-.Lpost_getpc13913)>>32
	s_setpc_b64 s[14:15]
.LBB1_31833:
	s_getpc_b64 s[14:15]
.Lpost_getpc1580:
	s_add_u32 s14, s14, (.LBB1_6324-.Lpost_getpc1580)&4294967295
	s_addc_u32 s15, s15, (.LBB1_6324-.Lpost_getpc1580)>>32
	s_setpc_b64 s[14:15]
.LBB1_20661:
	s_movk_i32 s4, 0x80
	v_cmp_eq_u16_e32 vcc, s4, v6
	s_mov_b64 s[4:5], -1
                                        ; implicit-def: $sgpr10
	s_and_saveexec_b64 s[8:9], vcc
; %bb.20662:
	s_mov_b32 s10, 0x7f800001
	s_xor_b64 s[4:5], exec, -1
; %bb.20663:
	s_or_b64 exec, exec, s[8:9]
	s_and_b64 s[4:5], s[4:5], exec
                                        ; implicit-def: $vgpr6
	s_or_saveexec_b64 s[6:7], s[6:7]
	v_mov_b32_e32 v12, s10
	s_xor_b64 exec, exec, s[6:7]
	s_cbranch_execnz .LBB1_20664
; %bb.56501:
	s_getpc_b64 s[14:15]
.Lpost_getpc13914:
	s_add_u32 s14, s14, (.LBB1_6326-.Lpost_getpc13914)&4294967295
	s_addc_u32 s15, s15, (.LBB1_6326-.Lpost_getpc13914)>>32
	s_setpc_b64 s[14:15]
.LBB1_20664:
	v_cmp_ne_u16_e32 vcc, 0, v6
	s_andn2_b64 s[4:5], s[4:5], exec
	s_and_b64 s[8:9], vcc, exec
	v_mov_b32_e32 v12, 0
	s_or_b64 s[4:5], s[4:5], s[8:9]
	s_or_b64 exec, exec, s[6:7]
	s_and_saveexec_b64 s[6:7], s[4:5]
	s_cbranch_execz .LBB1_31835
; %bb.56503:
	s_getpc_b64 s[14:15]
.Lpost_getpc13915:
	s_add_u32 s14, s14, (.LBB1_6327-.Lpost_getpc13915)&4294967295
	s_addc_u32 s15, s15, (.LBB1_6327-.Lpost_getpc13915)>>32
	s_setpc_b64 s[14:15]
.LBB1_31835:
	s_getpc_b64 s[14:15]
.Lpost_getpc1581:
	s_add_u32 s14, s14, (.LBB1_6328-.Lpost_getpc1581)&4294967295
	s_addc_u32 s15, s15, (.LBB1_6328-.Lpost_getpc1581)>>32
	s_setpc_b64 s[14:15]
.LBB1_20665:
	s_movk_i32 s4, 0x80
	v_cmp_eq_u16_sdwa s[12:13], v7, s4 src0_sel:BYTE_3 src1_sel:DWORD
	s_mov_b64 s[4:5], -1
                                        ; implicit-def: $sgpr10
	s_and_saveexec_b64 s[8:9], s[12:13]
; %bb.20666:
	s_mov_b32 s10, 0x7f800001
	s_xor_b64 s[4:5], exec, -1
; %bb.20667:
	s_or_b64 exec, exec, s[8:9]
	s_and_b64 s[4:5], s[4:5], exec
	s_or_saveexec_b64 s[6:7], s[6:7]
	v_mov_b32_e32 v2, s10
	s_xor_b64 exec, exec, s[6:7]
	s_cbranch_execnz .LBB1_20668
; %bb.56505:
	s_getpc_b64 s[14:15]
.Lpost_getpc13916:
	s_add_u32 s14, s14, (.LBB1_6330-.Lpost_getpc13916)&4294967295
	s_addc_u32 s15, s15, (.LBB1_6330-.Lpost_getpc13916)>>32
	s_setpc_b64 s[14:15]
.LBB1_20668:
	v_mov_b32_e32 v2, 0
	v_cmp_ne_u16_sdwa s[8:9], v7, v2 src0_sel:BYTE_3 src1_sel:DWORD
	s_andn2_b64 s[4:5], s[4:5], exec
	s_and_b64 s[8:9], s[8:9], exec
	s_or_b64 s[4:5], s[4:5], s[8:9]
	s_or_b64 exec, exec, s[6:7]
	s_and_saveexec_b64 s[6:7], s[4:5]
	s_cbranch_execz .LBB1_31837
; %bb.56507:
	s_getpc_b64 s[14:15]
.Lpost_getpc13917:
	s_add_u32 s14, s14, (.LBB1_6331-.Lpost_getpc13917)&4294967295
	s_addc_u32 s15, s15, (.LBB1_6331-.Lpost_getpc13917)>>32
	s_setpc_b64 s[14:15]
.LBB1_31837:
	s_getpc_b64 s[14:15]
.Lpost_getpc1582:
	s_add_u32 s14, s14, (.LBB1_6332-.Lpost_getpc1582)&4294967295
	s_addc_u32 s15, s15, (.LBB1_6332-.Lpost_getpc1582)>>32
	s_setpc_b64 s[14:15]
.LBB1_20669:
	s_movk_i32 s4, 0x80
	v_cmp_eq_u16_sdwa s[12:13], v3, s4 src0_sel:BYTE_3 src1_sel:DWORD
	s_mov_b64 s[4:5], -1
                                        ; implicit-def: $sgpr10
	s_and_saveexec_b64 s[8:9], s[12:13]
; %bb.20670:
	s_mov_b32 s10, 0x7f800001
	s_xor_b64 s[4:5], exec, -1
; %bb.20671:
	s_or_b64 exec, exec, s[8:9]
	s_and_b64 s[4:5], s[4:5], exec
	s_or_saveexec_b64 s[6:7], s[6:7]
	v_mov_b32_e32 v6, s10
	s_xor_b64 exec, exec, s[6:7]
	s_cbranch_execnz .LBB1_20672
; %bb.56509:
	s_getpc_b64 s[14:15]
.Lpost_getpc13918:
	s_add_u32 s14, s14, (.LBB1_6334-.Lpost_getpc13918)&4294967295
	s_addc_u32 s15, s15, (.LBB1_6334-.Lpost_getpc13918)>>32
	s_setpc_b64 s[14:15]
.LBB1_20672:
	v_mov_b32_e32 v6, 0
	v_cmp_ne_u16_sdwa s[8:9], v3, v6 src0_sel:BYTE_3 src1_sel:DWORD
	s_andn2_b64 s[4:5], s[4:5], exec
	s_and_b64 s[8:9], s[8:9], exec
	s_or_b64 s[4:5], s[4:5], s[8:9]
	s_or_b64 exec, exec, s[6:7]
	s_and_saveexec_b64 s[6:7], s[4:5]
	s_cbranch_execz .LBB1_31839
; %bb.56511:
	s_getpc_b64 s[14:15]
.Lpost_getpc13919:
	s_add_u32 s14, s14, (.LBB1_6335-.Lpost_getpc13919)&4294967295
	s_addc_u32 s15, s15, (.LBB1_6335-.Lpost_getpc13919)>>32
	s_setpc_b64 s[14:15]
.LBB1_31839:
	s_getpc_b64 s[14:15]
.Lpost_getpc1583:
	s_add_u32 s14, s14, (.LBB1_6336-.Lpost_getpc1583)&4294967295
	s_addc_u32 s15, s15, (.LBB1_6336-.Lpost_getpc1583)>>32
	s_setpc_b64 s[14:15]
.LBB1_20673:
	s_movk_i32 s4, 0x80
	v_cmp_eq_u16_sdwa s[12:13], v8, s4 src0_sel:BYTE_0 src1_sel:DWORD
	s_mov_b64 s[4:5], -1
                                        ; implicit-def: $sgpr10
	s_and_saveexec_b64 s[8:9], s[12:13]
; %bb.20674:
	s_mov_b32 s10, 0x7f800001
	s_xor_b64 s[4:5], exec, -1
; %bb.20675:
	s_or_b64 exec, exec, s[8:9]
	s_and_b64 s[4:5], s[4:5], exec
	s_or_saveexec_b64 s[6:7], s[6:7]
	v_mov_b32_e32 v2, s10
	s_xor_b64 exec, exec, s[6:7]
	s_cbranch_execnz .LBB1_20676
; %bb.56513:
	s_getpc_b64 s[14:15]
.Lpost_getpc13920:
	s_add_u32 s14, s14, (.LBB1_6338-.Lpost_getpc13920)&4294967295
	s_addc_u32 s15, s15, (.LBB1_6338-.Lpost_getpc13920)>>32
	s_setpc_b64 s[14:15]
.LBB1_20676:
	v_mov_b32_e32 v2, 0
	v_cmp_ne_u16_sdwa s[8:9], v8, v2 src0_sel:BYTE_0 src1_sel:DWORD
	s_andn2_b64 s[4:5], s[4:5], exec
	s_and_b64 s[8:9], s[8:9], exec
	s_or_b64 s[4:5], s[4:5], s[8:9]
	s_or_b64 exec, exec, s[6:7]
	s_and_saveexec_b64 s[6:7], s[4:5]
	s_cbranch_execz .LBB1_31841
; %bb.56515:
	s_getpc_b64 s[14:15]
.Lpost_getpc13921:
	s_add_u32 s14, s14, (.LBB1_6339-.Lpost_getpc13921)&4294967295
	s_addc_u32 s15, s15, (.LBB1_6339-.Lpost_getpc13921)>>32
	s_setpc_b64 s[14:15]
.LBB1_31841:
	s_getpc_b64 s[14:15]
.Lpost_getpc1584:
	s_add_u32 s14, s14, (.LBB1_6340-.Lpost_getpc1584)&4294967295
	s_addc_u32 s15, s15, (.LBB1_6340-.Lpost_getpc1584)>>32
	s_setpc_b64 s[14:15]
.LBB1_20677:
	s_movk_i32 s4, 0x80
	v_cmp_eq_u16_sdwa s[12:13], v4, s4 src0_sel:BYTE_0 src1_sel:DWORD
	s_mov_b64 s[4:5], -1
                                        ; implicit-def: $sgpr10
	s_and_saveexec_b64 s[8:9], s[12:13]
; %bb.20678:
	s_mov_b32 s10, 0x7f800001
	s_xor_b64 s[4:5], exec, -1
; %bb.20679:
	s_or_b64 exec, exec, s[8:9]
	s_and_b64 s[4:5], s[4:5], exec
	s_or_saveexec_b64 s[6:7], s[6:7]
	v_mov_b32_e32 v3, s10
	s_xor_b64 exec, exec, s[6:7]
	s_cbranch_execnz .LBB1_20680
; %bb.56517:
	s_getpc_b64 s[14:15]
.Lpost_getpc13922:
	s_add_u32 s14, s14, (.LBB1_6342-.Lpost_getpc13922)&4294967295
	s_addc_u32 s15, s15, (.LBB1_6342-.Lpost_getpc13922)>>32
	s_setpc_b64 s[14:15]
.LBB1_20680:
	v_mov_b32_e32 v3, 0
	v_cmp_ne_u16_sdwa s[8:9], v4, v3 src0_sel:BYTE_0 src1_sel:DWORD
	s_andn2_b64 s[4:5], s[4:5], exec
	s_and_b64 s[8:9], s[8:9], exec
	s_or_b64 s[4:5], s[4:5], s[8:9]
	s_or_b64 exec, exec, s[6:7]
	s_and_saveexec_b64 s[6:7], s[4:5]
	s_cbranch_execz .LBB1_31843
; %bb.56519:
	s_getpc_b64 s[14:15]
.Lpost_getpc13923:
	s_add_u32 s14, s14, (.LBB1_6343-.Lpost_getpc13923)&4294967295
	s_addc_u32 s15, s15, (.LBB1_6343-.Lpost_getpc13923)>>32
	s_setpc_b64 s[14:15]
.LBB1_31843:
	s_getpc_b64 s[14:15]
.Lpost_getpc1585:
	s_add_u32 s14, s14, (.LBB1_6344-.Lpost_getpc1585)&4294967295
	s_addc_u32 s15, s15, (.LBB1_6344-.Lpost_getpc1585)>>32
	s_setpc_b64 s[14:15]
.LBB1_20681:
	s_movk_i32 s4, 0x80
	v_cmp_eq_u16_sdwa s[12:13], v3, s4 src0_sel:BYTE_0 src1_sel:DWORD
	s_mov_b64 s[4:5], -1
                                        ; implicit-def: $sgpr10
	s_and_saveexec_b64 s[8:9], s[12:13]
; %bb.20682:
	s_mov_b32 s10, 0x7f800001
	s_xor_b64 s[4:5], exec, -1
; %bb.20683:
	s_or_b64 exec, exec, s[8:9]
	s_and_b64 s[4:5], s[4:5], exec
	s_or_saveexec_b64 s[6:7], s[6:7]
	v_mov_b32_e32 v2, s10
	s_xor_b64 exec, exec, s[6:7]
	s_cbranch_execnz .LBB1_20684
; %bb.56521:
	s_getpc_b64 s[14:15]
.Lpost_getpc13924:
	s_add_u32 s14, s14, (.LBB1_6346-.Lpost_getpc13924)&4294967295
	s_addc_u32 s15, s15, (.LBB1_6346-.Lpost_getpc13924)>>32
	s_setpc_b64 s[14:15]
.LBB1_20684:
	v_mov_b32_e32 v2, 0
	v_cmp_ne_u16_sdwa s[8:9], v3, v2 src0_sel:BYTE_0 src1_sel:DWORD
	s_andn2_b64 s[4:5], s[4:5], exec
	s_and_b64 s[8:9], s[8:9], exec
	s_or_b64 s[4:5], s[4:5], s[8:9]
	s_or_b64 exec, exec, s[6:7]
	s_and_saveexec_b64 s[6:7], s[4:5]
	s_cbranch_execz .LBB1_31845
; %bb.56523:
	s_getpc_b64 s[14:15]
.Lpost_getpc13925:
	s_add_u32 s14, s14, (.LBB1_6347-.Lpost_getpc13925)&4294967295
	s_addc_u32 s15, s15, (.LBB1_6347-.Lpost_getpc13925)>>32
	s_setpc_b64 s[14:15]
.LBB1_31845:
	s_getpc_b64 s[14:15]
.Lpost_getpc1586:
	s_add_u32 s14, s14, (.LBB1_6348-.Lpost_getpc1586)&4294967295
	s_addc_u32 s15, s15, (.LBB1_6348-.Lpost_getpc1586)>>32
	s_setpc_b64 s[14:15]
.LBB1_20685:
	s_movk_i32 s4, 0x80
	v_cmp_eq_u16_sdwa s[12:13], v3, s4 src0_sel:BYTE_0 src1_sel:DWORD
	s_mov_b64 s[4:5], -1
                                        ; implicit-def: $sgpr10
	s_and_saveexec_b64 s[8:9], s[12:13]
; %bb.20686:
	s_mov_b32 s10, 0x7f800001
	s_xor_b64 s[4:5], exec, -1
; %bb.20687:
	s_or_b64 exec, exec, s[8:9]
	s_and_b64 s[4:5], s[4:5], exec
	s_or_saveexec_b64 s[6:7], s[6:7]
	v_mov_b32_e32 v6, s10
	s_xor_b64 exec, exec, s[6:7]
	s_cbranch_execnz .LBB1_20688
; %bb.56525:
	s_getpc_b64 s[14:15]
.Lpost_getpc13926:
	s_add_u32 s14, s14, (.LBB1_6350-.Lpost_getpc13926)&4294967295
	s_addc_u32 s15, s15, (.LBB1_6350-.Lpost_getpc13926)>>32
	s_setpc_b64 s[14:15]
.LBB1_20688:
	v_mov_b32_e32 v6, 0
	v_cmp_ne_u16_sdwa s[8:9], v3, v6 src0_sel:BYTE_0 src1_sel:DWORD
	s_andn2_b64 s[4:5], s[4:5], exec
	s_and_b64 s[8:9], s[8:9], exec
	s_or_b64 s[4:5], s[4:5], s[8:9]
	s_or_b64 exec, exec, s[6:7]
	s_and_saveexec_b64 s[6:7], s[4:5]
	s_cbranch_execz .LBB1_31847
; %bb.56527:
	s_getpc_b64 s[14:15]
.Lpost_getpc13927:
	s_add_u32 s14, s14, (.LBB1_6351-.Lpost_getpc13927)&4294967295
	s_addc_u32 s15, s15, (.LBB1_6351-.Lpost_getpc13927)>>32
	s_setpc_b64 s[14:15]
.LBB1_31847:
	s_getpc_b64 s[14:15]
.Lpost_getpc1587:
	s_add_u32 s14, s14, (.LBB1_6352-.Lpost_getpc1587)&4294967295
	s_addc_u32 s15, s15, (.LBB1_6352-.Lpost_getpc1587)>>32
	s_setpc_b64 s[14:15]
.LBB1_20689:
	s_movk_i32 s4, 0x80
	v_cmp_eq_u16_e32 vcc, s4, v3
	s_mov_b64 s[4:5], -1
                                        ; implicit-def: $sgpr10
	s_and_saveexec_b64 s[8:9], vcc
; %bb.20690:
	s_mov_b32 s10, 0x7f800001
	s_xor_b64 s[4:5], exec, -1
; %bb.20691:
	s_or_b64 exec, exec, s[8:9]
	s_and_b64 s[4:5], s[4:5], exec
                                        ; implicit-def: $vgpr3
	s_or_saveexec_b64 s[6:7], s[6:7]
	v_mov_b32_e32 v2, s10
	s_xor_b64 exec, exec, s[6:7]
	s_cbranch_execnz .LBB1_20692
; %bb.56529:
	s_getpc_b64 s[14:15]
.Lpost_getpc13928:
	s_add_u32 s14, s14, (.LBB1_6354-.Lpost_getpc13928)&4294967295
	s_addc_u32 s15, s15, (.LBB1_6354-.Lpost_getpc13928)>>32
	s_setpc_b64 s[14:15]
.LBB1_20692:
	v_cmp_ne_u16_e32 vcc, 0, v3
	s_andn2_b64 s[4:5], s[4:5], exec
	s_and_b64 s[8:9], vcc, exec
	v_mov_b32_e32 v2, 0
	s_or_b64 s[4:5], s[4:5], s[8:9]
	s_or_b64 exec, exec, s[6:7]
	s_and_saveexec_b64 s[6:7], s[4:5]
	s_cbranch_execz .LBB1_31849
; %bb.56531:
	s_getpc_b64 s[14:15]
.Lpost_getpc13929:
	s_add_u32 s14, s14, (.LBB1_6355-.Lpost_getpc13929)&4294967295
	s_addc_u32 s15, s15, (.LBB1_6355-.Lpost_getpc13929)>>32
	s_setpc_b64 s[14:15]
.LBB1_31849:
	s_getpc_b64 s[14:15]
.Lpost_getpc1588:
	s_add_u32 s14, s14, (.LBB1_6356-.Lpost_getpc1588)&4294967295
	s_addc_u32 s15, s15, (.LBB1_6356-.Lpost_getpc1588)>>32
	s_setpc_b64 s[14:15]
.LBB1_20693:
	s_movk_i32 s4, 0x80
	v_cmp_eq_u16_e32 vcc, s4, v3
	s_mov_b64 s[4:5], -1
                                        ; implicit-def: $sgpr10
	s_and_saveexec_b64 s[8:9], vcc
; %bb.20694:
	s_mov_b32 s10, 0x7f800001
	s_xor_b64 s[4:5], exec, -1
; %bb.20695:
	s_or_b64 exec, exec, s[8:9]
	s_and_b64 s[4:5], s[4:5], exec
                                        ; implicit-def: $vgpr3
	s_or_saveexec_b64 s[6:7], s[6:7]
	v_mov_b32_e32 v6, s10
	s_xor_b64 exec, exec, s[6:7]
	s_cbranch_execnz .LBB1_20696
; %bb.56533:
	s_getpc_b64 s[14:15]
.Lpost_getpc13930:
	s_add_u32 s14, s14, (.LBB1_6358-.Lpost_getpc13930)&4294967295
	s_addc_u32 s15, s15, (.LBB1_6358-.Lpost_getpc13930)>>32
	s_setpc_b64 s[14:15]
.LBB1_20696:
	v_cmp_ne_u16_e32 vcc, 0, v3
	s_andn2_b64 s[4:5], s[4:5], exec
	s_and_b64 s[8:9], vcc, exec
	v_mov_b32_e32 v6, 0
	s_or_b64 s[4:5], s[4:5], s[8:9]
	s_or_b64 exec, exec, s[6:7]
	s_and_saveexec_b64 s[6:7], s[4:5]
	s_cbranch_execz .LBB1_31851
; %bb.56535:
	s_getpc_b64 s[14:15]
.Lpost_getpc13931:
	s_add_u32 s14, s14, (.LBB1_6359-.Lpost_getpc13931)&4294967295
	s_addc_u32 s15, s15, (.LBB1_6359-.Lpost_getpc13931)>>32
	s_setpc_b64 s[14:15]
.LBB1_31851:
	s_getpc_b64 s[14:15]
.Lpost_getpc1589:
	s_add_u32 s14, s14, (.LBB1_6360-.Lpost_getpc1589)&4294967295
	s_addc_u32 s15, s15, (.LBB1_6360-.Lpost_getpc1589)>>32
	s_setpc_b64 s[14:15]
.LBB1_20697:
	s_movk_i32 s4, 0x80
	v_cmp_eq_u16_sdwa s[12:13], v8, s4 src0_sel:BYTE_3 src1_sel:DWORD
	s_mov_b64 s[4:5], -1
                                        ; implicit-def: $sgpr10
	s_and_saveexec_b64 s[8:9], s[12:13]
; %bb.20698:
	s_mov_b32 s10, 0x7f800001
	s_xor_b64 s[4:5], exec, -1
; %bb.20699:
	s_or_b64 exec, exec, s[8:9]
	s_and_b64 s[4:5], s[4:5], exec
	s_or_saveexec_b64 s[6:7], s[6:7]
	v_mov_b32_e32 v2, s10
	s_xor_b64 exec, exec, s[6:7]
	s_cbranch_execnz .LBB1_20700
; %bb.56537:
	s_getpc_b64 s[14:15]
.Lpost_getpc13932:
	s_add_u32 s14, s14, (.LBB1_6362-.Lpost_getpc13932)&4294967295
	s_addc_u32 s15, s15, (.LBB1_6362-.Lpost_getpc13932)>>32
	s_setpc_b64 s[14:15]
.LBB1_20700:
	v_mov_b32_e32 v2, 0
	v_cmp_ne_u16_sdwa s[8:9], v8, v2 src0_sel:BYTE_3 src1_sel:DWORD
	s_andn2_b64 s[4:5], s[4:5], exec
	s_and_b64 s[8:9], s[8:9], exec
	s_or_b64 s[4:5], s[4:5], s[8:9]
	s_or_b64 exec, exec, s[6:7]
	s_and_saveexec_b64 s[6:7], s[4:5]
	s_cbranch_execz .LBB1_31853
; %bb.56539:
	s_getpc_b64 s[14:15]
.Lpost_getpc13933:
	s_add_u32 s14, s14, (.LBB1_6363-.Lpost_getpc13933)&4294967295
	s_addc_u32 s15, s15, (.LBB1_6363-.Lpost_getpc13933)>>32
	s_setpc_b64 s[14:15]
.LBB1_31853:
	s_getpc_b64 s[14:15]
.Lpost_getpc1590:
	s_add_u32 s14, s14, (.LBB1_6364-.Lpost_getpc1590)&4294967295
	s_addc_u32 s15, s15, (.LBB1_6364-.Lpost_getpc1590)>>32
	s_setpc_b64 s[14:15]
.LBB1_20701:
	s_movk_i32 s4, 0x80
	v_cmp_eq_u16_sdwa s[12:13], v4, s4 src0_sel:BYTE_3 src1_sel:DWORD
	s_mov_b64 s[4:5], -1
                                        ; implicit-def: $sgpr10
	s_and_saveexec_b64 s[8:9], s[12:13]
; %bb.20702:
	s_mov_b32 s10, 0x7f800001
	s_xor_b64 s[4:5], exec, -1
; %bb.20703:
	s_or_b64 exec, exec, s[8:9]
	s_and_b64 s[4:5], s[4:5], exec
	s_or_saveexec_b64 s[6:7], s[6:7]
	v_mov_b32_e32 v3, s10
	s_xor_b64 exec, exec, s[6:7]
	s_cbranch_execnz .LBB1_20704
; %bb.56541:
	s_getpc_b64 s[14:15]
.Lpost_getpc13934:
	s_add_u32 s14, s14, (.LBB1_6366-.Lpost_getpc13934)&4294967295
	s_addc_u32 s15, s15, (.LBB1_6366-.Lpost_getpc13934)>>32
	s_setpc_b64 s[14:15]
.LBB1_20704:
	v_mov_b32_e32 v3, 0
	v_cmp_ne_u16_sdwa s[8:9], v4, v3 src0_sel:BYTE_3 src1_sel:DWORD
	s_andn2_b64 s[4:5], s[4:5], exec
	s_and_b64 s[8:9], s[8:9], exec
	s_or_b64 s[4:5], s[4:5], s[8:9]
	s_or_b64 exec, exec, s[6:7]
	s_and_saveexec_b64 s[6:7], s[4:5]
	s_cbranch_execz .LBB1_31855
; %bb.56543:
	s_getpc_b64 s[14:15]
.Lpost_getpc13935:
	s_add_u32 s14, s14, (.LBB1_6367-.Lpost_getpc13935)&4294967295
	s_addc_u32 s15, s15, (.LBB1_6367-.Lpost_getpc13935)>>32
	s_setpc_b64 s[14:15]
.LBB1_31855:
	s_getpc_b64 s[14:15]
.Lpost_getpc1591:
	s_add_u32 s14, s14, (.LBB1_6368-.Lpost_getpc1591)&4294967295
	s_addc_u32 s15, s15, (.LBB1_6368-.Lpost_getpc1591)>>32
	s_setpc_b64 s[14:15]
.LBB1_20705:
	s_movk_i32 s4, 0x80
	v_cmp_eq_u16_sdwa s[12:13], v9, s4 src0_sel:BYTE_0 src1_sel:DWORD
	s_mov_b64 s[4:5], -1
                                        ; implicit-def: $sgpr10
	s_and_saveexec_b64 s[8:9], s[12:13]
; %bb.20706:
	s_mov_b32 s10, 0x7f800001
	s_xor_b64 s[4:5], exec, -1
; %bb.20707:
	s_or_b64 exec, exec, s[8:9]
	s_and_b64 s[4:5], s[4:5], exec
	s_or_saveexec_b64 s[6:7], s[6:7]
	v_mov_b32_e32 v2, s10
	s_xor_b64 exec, exec, s[6:7]
	s_cbranch_execnz .LBB1_20708
; %bb.56545:
	s_getpc_b64 s[14:15]
.Lpost_getpc13936:
	s_add_u32 s14, s14, (.LBB1_6370-.Lpost_getpc13936)&4294967295
	s_addc_u32 s15, s15, (.LBB1_6370-.Lpost_getpc13936)>>32
	s_setpc_b64 s[14:15]
.LBB1_20708:
	v_mov_b32_e32 v2, 0
	v_cmp_ne_u16_sdwa s[8:9], v9, v2 src0_sel:BYTE_0 src1_sel:DWORD
	s_andn2_b64 s[4:5], s[4:5], exec
	s_and_b64 s[8:9], s[8:9], exec
	s_or_b64 s[4:5], s[4:5], s[8:9]
	s_or_b64 exec, exec, s[6:7]
	s_and_saveexec_b64 s[6:7], s[4:5]
	s_cbranch_execz .LBB1_31857
; %bb.56547:
	s_getpc_b64 s[14:15]
.Lpost_getpc13937:
	s_add_u32 s14, s14, (.LBB1_6371-.Lpost_getpc13937)&4294967295
	s_addc_u32 s15, s15, (.LBB1_6371-.Lpost_getpc13937)>>32
	s_setpc_b64 s[14:15]
.LBB1_31857:
	s_getpc_b64 s[14:15]
.Lpost_getpc1592:
	s_add_u32 s14, s14, (.LBB1_6372-.Lpost_getpc1592)&4294967295
	s_addc_u32 s15, s15, (.LBB1_6372-.Lpost_getpc1592)>>32
	s_setpc_b64 s[14:15]
.LBB1_20709:
	s_movk_i32 s4, 0x80
	v_cmp_eq_u16_sdwa s[12:13], v5, s4 src0_sel:BYTE_0 src1_sel:DWORD
	s_mov_b64 s[4:5], -1
                                        ; implicit-def: $sgpr10
	s_and_saveexec_b64 s[8:9], s[12:13]
; %bb.20710:
	s_mov_b32 s10, 0x7f800001
	s_xor_b64 s[4:5], exec, -1
; %bb.20711:
	s_or_b64 exec, exec, s[8:9]
	s_and_b64 s[4:5], s[4:5], exec
	s_or_saveexec_b64 s[6:7], s[6:7]
	v_mov_b32_e32 v3, s10
	s_xor_b64 exec, exec, s[6:7]
	s_cbranch_execnz .LBB1_20712
; %bb.56549:
	s_getpc_b64 s[14:15]
.Lpost_getpc13938:
	s_add_u32 s14, s14, (.LBB1_6374-.Lpost_getpc13938)&4294967295
	s_addc_u32 s15, s15, (.LBB1_6374-.Lpost_getpc13938)>>32
	s_setpc_b64 s[14:15]
.LBB1_20712:
	v_mov_b32_e32 v3, 0
	v_cmp_ne_u16_sdwa s[8:9], v5, v3 src0_sel:BYTE_0 src1_sel:DWORD
	s_andn2_b64 s[4:5], s[4:5], exec
	s_and_b64 s[8:9], s[8:9], exec
	s_or_b64 s[4:5], s[4:5], s[8:9]
	s_or_b64 exec, exec, s[6:7]
	s_and_saveexec_b64 s[6:7], s[4:5]
	s_cbranch_execz .LBB1_31859
; %bb.56551:
	s_getpc_b64 s[14:15]
.Lpost_getpc13939:
	s_add_u32 s14, s14, (.LBB1_6375-.Lpost_getpc13939)&4294967295
	s_addc_u32 s15, s15, (.LBB1_6375-.Lpost_getpc13939)>>32
	s_setpc_b64 s[14:15]
.LBB1_31859:
	s_getpc_b64 s[14:15]
.Lpost_getpc1593:
	s_add_u32 s14, s14, (.LBB1_6376-.Lpost_getpc1593)&4294967295
	s_addc_u32 s15, s15, (.LBB1_6376-.Lpost_getpc1593)>>32
	s_setpc_b64 s[14:15]
.LBB1_20713:
	s_movk_i32 s4, 0x80
	v_cmp_eq_u16_sdwa s[12:13], v3, s4 src0_sel:BYTE_0 src1_sel:DWORD
	s_mov_b64 s[4:5], -1
                                        ; implicit-def: $sgpr10
	s_and_saveexec_b64 s[8:9], s[12:13]
; %bb.20714:
	s_mov_b32 s10, 0x7f800001
	s_xor_b64 s[4:5], exec, -1
; %bb.20715:
	s_or_b64 exec, exec, s[8:9]
	s_and_b64 s[4:5], s[4:5], exec
	s_or_saveexec_b64 s[6:7], s[6:7]
	v_mov_b32_e32 v2, s10
	s_xor_b64 exec, exec, s[6:7]
	s_cbranch_execnz .LBB1_20716
; %bb.56553:
	s_getpc_b64 s[14:15]
.Lpost_getpc13940:
	s_add_u32 s14, s14, (.LBB1_6378-.Lpost_getpc13940)&4294967295
	s_addc_u32 s15, s15, (.LBB1_6378-.Lpost_getpc13940)>>32
	s_setpc_b64 s[14:15]
.LBB1_20716:
	v_mov_b32_e32 v2, 0
	v_cmp_ne_u16_sdwa s[8:9], v3, v2 src0_sel:BYTE_0 src1_sel:DWORD
	s_andn2_b64 s[4:5], s[4:5], exec
	s_and_b64 s[8:9], s[8:9], exec
	s_or_b64 s[4:5], s[4:5], s[8:9]
	s_or_b64 exec, exec, s[6:7]
	s_and_saveexec_b64 s[6:7], s[4:5]
	s_cbranch_execz .LBB1_31861
; %bb.56555:
	s_getpc_b64 s[14:15]
.Lpost_getpc13941:
	s_add_u32 s14, s14, (.LBB1_6379-.Lpost_getpc13941)&4294967295
	s_addc_u32 s15, s15, (.LBB1_6379-.Lpost_getpc13941)>>32
	s_setpc_b64 s[14:15]
.LBB1_31861:
	s_getpc_b64 s[14:15]
.Lpost_getpc1594:
	s_add_u32 s14, s14, (.LBB1_6380-.Lpost_getpc1594)&4294967295
	s_addc_u32 s15, s15, (.LBB1_6380-.Lpost_getpc1594)>>32
	s_setpc_b64 s[14:15]
.LBB1_20717:
	s_movk_i32 s4, 0x80
	v_cmp_eq_u16_sdwa s[12:13], v3, s4 src0_sel:BYTE_0 src1_sel:DWORD
	s_mov_b64 s[4:5], -1
                                        ; implicit-def: $sgpr10
	s_and_saveexec_b64 s[8:9], s[12:13]
; %bb.20718:
	s_mov_b32 s10, 0x7f800001
	s_xor_b64 s[4:5], exec, -1
; %bb.20719:
	s_or_b64 exec, exec, s[8:9]
	s_and_b64 s[4:5], s[4:5], exec
	s_or_saveexec_b64 s[6:7], s[6:7]
	v_mov_b32_e32 v4, s10
	s_xor_b64 exec, exec, s[6:7]
	s_cbranch_execnz .LBB1_20720
; %bb.56557:
	s_getpc_b64 s[14:15]
.Lpost_getpc13942:
	s_add_u32 s14, s14, (.LBB1_6382-.Lpost_getpc13942)&4294967295
	s_addc_u32 s15, s15, (.LBB1_6382-.Lpost_getpc13942)>>32
	s_setpc_b64 s[14:15]
.LBB1_20720:
	v_mov_b32_e32 v4, 0
	v_cmp_ne_u16_sdwa s[8:9], v3, v4 src0_sel:BYTE_0 src1_sel:DWORD
	s_andn2_b64 s[4:5], s[4:5], exec
	s_and_b64 s[8:9], s[8:9], exec
	s_or_b64 s[4:5], s[4:5], s[8:9]
	s_or_b64 exec, exec, s[6:7]
	s_and_saveexec_b64 s[6:7], s[4:5]
	s_cbranch_execz .LBB1_31863
; %bb.56559:
	s_getpc_b64 s[14:15]
.Lpost_getpc13943:
	s_add_u32 s14, s14, (.LBB1_6383-.Lpost_getpc13943)&4294967295
	s_addc_u32 s15, s15, (.LBB1_6383-.Lpost_getpc13943)>>32
	s_setpc_b64 s[14:15]
.LBB1_31863:
	s_getpc_b64 s[14:15]
.Lpost_getpc1595:
	s_add_u32 s14, s14, (.LBB1_6384-.Lpost_getpc1595)&4294967295
	s_addc_u32 s15, s15, (.LBB1_6384-.Lpost_getpc1595)>>32
	s_setpc_b64 s[14:15]
.LBB1_20721:
	s_movk_i32 s4, 0x80
	v_cmp_eq_u16_e32 vcc, s4, v3
	s_mov_b64 s[4:5], -1
                                        ; implicit-def: $sgpr10
	s_and_saveexec_b64 s[8:9], vcc
; %bb.20722:
	s_mov_b32 s10, 0x7f800001
	s_xor_b64 s[4:5], exec, -1
; %bb.20723:
	s_or_b64 exec, exec, s[8:9]
	s_and_b64 s[4:5], s[4:5], exec
                                        ; implicit-def: $vgpr3
	s_or_saveexec_b64 s[6:7], s[6:7]
	v_mov_b32_e32 v2, s10
	s_xor_b64 exec, exec, s[6:7]
	s_cbranch_execnz .LBB1_20724
; %bb.56561:
	s_getpc_b64 s[14:15]
.Lpost_getpc13944:
	s_add_u32 s14, s14, (.LBB1_6386-.Lpost_getpc13944)&4294967295
	s_addc_u32 s15, s15, (.LBB1_6386-.Lpost_getpc13944)>>32
	s_setpc_b64 s[14:15]
.LBB1_20724:
	v_cmp_ne_u16_e32 vcc, 0, v3
	s_andn2_b64 s[4:5], s[4:5], exec
	s_and_b64 s[8:9], vcc, exec
	v_mov_b32_e32 v2, 0
	s_or_b64 s[4:5], s[4:5], s[8:9]
	s_or_b64 exec, exec, s[6:7]
	s_and_saveexec_b64 s[6:7], s[4:5]
	s_cbranch_execz .LBB1_31865
; %bb.56563:
	s_getpc_b64 s[14:15]
.Lpost_getpc13945:
	s_add_u32 s14, s14, (.LBB1_6387-.Lpost_getpc13945)&4294967295
	s_addc_u32 s15, s15, (.LBB1_6387-.Lpost_getpc13945)>>32
	s_setpc_b64 s[14:15]
.LBB1_31865:
	s_getpc_b64 s[14:15]
.Lpost_getpc1596:
	s_add_u32 s14, s14, (.LBB1_6388-.Lpost_getpc1596)&4294967295
	s_addc_u32 s15, s15, (.LBB1_6388-.Lpost_getpc1596)>>32
	s_setpc_b64 s[14:15]
.LBB1_20725:
	s_movk_i32 s4, 0x80
	v_cmp_eq_u16_e32 vcc, s4, v3
	s_mov_b64 s[4:5], -1
                                        ; implicit-def: $sgpr10
	s_and_saveexec_b64 s[8:9], vcc
; %bb.20726:
	s_mov_b32 s10, 0x7f800001
	s_xor_b64 s[4:5], exec, -1
; %bb.20727:
	s_or_b64 exec, exec, s[8:9]
	s_and_b64 s[4:5], s[4:5], exec
                                        ; implicit-def: $vgpr3
	s_or_saveexec_b64 s[6:7], s[6:7]
	v_mov_b32_e32 v4, s10
	s_xor_b64 exec, exec, s[6:7]
	s_cbranch_execnz .LBB1_20728
; %bb.56565:
	s_getpc_b64 s[14:15]
.Lpost_getpc13946:
	s_add_u32 s14, s14, (.LBB1_6390-.Lpost_getpc13946)&4294967295
	s_addc_u32 s15, s15, (.LBB1_6390-.Lpost_getpc13946)>>32
	s_setpc_b64 s[14:15]
.LBB1_20728:
	v_cmp_ne_u16_e32 vcc, 0, v3
	s_andn2_b64 s[4:5], s[4:5], exec
	s_and_b64 s[8:9], vcc, exec
	v_mov_b32_e32 v4, 0
	s_or_b64 s[4:5], s[4:5], s[8:9]
	s_or_b64 exec, exec, s[6:7]
	s_and_saveexec_b64 s[6:7], s[4:5]
	s_cbranch_execz .LBB1_31867
; %bb.56567:
	s_getpc_b64 s[14:15]
.Lpost_getpc13947:
	s_add_u32 s14, s14, (.LBB1_6391-.Lpost_getpc13947)&4294967295
	s_addc_u32 s15, s15, (.LBB1_6391-.Lpost_getpc13947)>>32
	s_setpc_b64 s[14:15]
.LBB1_31867:
	s_getpc_b64 s[14:15]
.Lpost_getpc1597:
	s_add_u32 s14, s14, (.LBB1_6392-.Lpost_getpc1597)&4294967295
	s_addc_u32 s15, s15, (.LBB1_6392-.Lpost_getpc1597)>>32
	s_setpc_b64 s[14:15]
.LBB1_20729:
	s_movk_i32 s4, 0x80
	v_cmp_eq_u16_sdwa s[12:13], v9, s4 src0_sel:BYTE_3 src1_sel:DWORD
	s_mov_b64 s[4:5], -1
                                        ; implicit-def: $sgpr10
	s_and_saveexec_b64 s[8:9], s[12:13]
; %bb.20730:
	s_mov_b32 s10, 0x7f800001
	s_xor_b64 s[4:5], exec, -1
; %bb.20731:
	s_or_b64 exec, exec, s[8:9]
	s_and_b64 s[4:5], s[4:5], exec
	s_or_saveexec_b64 s[6:7], s[6:7]
	v_mov_b32_e32 v2, s10
	s_xor_b64 exec, exec, s[6:7]
	s_cbranch_execnz .LBB1_20732
; %bb.56569:
	s_getpc_b64 s[14:15]
.Lpost_getpc13948:
	s_add_u32 s14, s14, (.LBB1_6394-.Lpost_getpc13948)&4294967295
	s_addc_u32 s15, s15, (.LBB1_6394-.Lpost_getpc13948)>>32
	s_setpc_b64 s[14:15]
.LBB1_20732:
	v_mov_b32_e32 v2, 0
	v_cmp_ne_u16_sdwa s[8:9], v9, v2 src0_sel:BYTE_3 src1_sel:DWORD
	s_andn2_b64 s[4:5], s[4:5], exec
	s_and_b64 s[8:9], s[8:9], exec
	s_or_b64 s[4:5], s[4:5], s[8:9]
	s_or_b64 exec, exec, s[6:7]
	s_and_saveexec_b64 s[6:7], s[4:5]
	s_cbranch_execz .LBB1_31869
; %bb.56571:
	s_getpc_b64 s[14:15]
.Lpost_getpc13949:
	s_add_u32 s14, s14, (.LBB1_6395-.Lpost_getpc13949)&4294967295
	s_addc_u32 s15, s15, (.LBB1_6395-.Lpost_getpc13949)>>32
	s_setpc_b64 s[14:15]
.LBB1_31869:
	s_getpc_b64 s[14:15]
.Lpost_getpc1598:
	s_add_u32 s14, s14, (.LBB1_6396-.Lpost_getpc1598)&4294967295
	s_addc_u32 s15, s15, (.LBB1_6396-.Lpost_getpc1598)>>32
	s_setpc_b64 s[14:15]
.LBB1_20733:
	s_movk_i32 s4, 0x80
	v_cmp_eq_u16_sdwa s[12:13], v5, s4 src0_sel:BYTE_3 src1_sel:DWORD
	s_mov_b64 s[4:5], -1
                                        ; implicit-def: $sgpr10
	s_and_saveexec_b64 s[8:9], s[12:13]
; %bb.20734:
	s_mov_b32 s10, 0x7f800001
	s_xor_b64 s[4:5], exec, -1
; %bb.20735:
	s_or_b64 exec, exec, s[8:9]
	s_and_b64 s[4:5], s[4:5], exec
	s_or_saveexec_b64 s[6:7], s[6:7]
	v_mov_b32_e32 v3, s10
	s_xor_b64 exec, exec, s[6:7]
	s_cbranch_execnz .LBB1_20736
; %bb.56573:
	s_getpc_b64 s[14:15]
.Lpost_getpc13950:
	s_add_u32 s14, s14, (.LBB1_6398-.Lpost_getpc13950)&4294967295
	s_addc_u32 s15, s15, (.LBB1_6398-.Lpost_getpc13950)>>32
	s_setpc_b64 s[14:15]
.LBB1_20736:
	v_mov_b32_e32 v3, 0
	v_cmp_ne_u16_sdwa s[8:9], v5, v3 src0_sel:BYTE_3 src1_sel:DWORD
	s_andn2_b64 s[4:5], s[4:5], exec
	s_and_b64 s[8:9], s[8:9], exec
	s_or_b64 s[4:5], s[4:5], s[8:9]
	s_or_b64 exec, exec, s[6:7]
	s_and_saveexec_b64 s[6:7], s[4:5]
	s_cbranch_execz .LBB1_31871
; %bb.56575:
	s_getpc_b64 s[14:15]
.Lpost_getpc13951:
	s_add_u32 s14, s14, (.LBB1_6399-.Lpost_getpc13951)&4294967295
	s_addc_u32 s15, s15, (.LBB1_6399-.Lpost_getpc13951)>>32
	s_setpc_b64 s[14:15]
.LBB1_31871:
	s_getpc_b64 s[14:15]
.Lpost_getpc1599:
	s_add_u32 s14, s14, (.LBB1_6400-.Lpost_getpc1599)&4294967295
	s_addc_u32 s15, s15, (.LBB1_6400-.Lpost_getpc1599)>>32
	s_setpc_b64 s[14:15]
.LBB1_20737:
	s_movk_i32 s4, 0x80
	v_cmp_eq_u16_sdwa s[12:13], v6, s4 src0_sel:BYTE_0 src1_sel:DWORD
	s_mov_b64 s[4:5], -1
                                        ; implicit-def: $sgpr10
	s_and_saveexec_b64 s[8:9], s[12:13]
; %bb.20738:
	s_mov_b32 s10, 0x7f800001
	s_xor_b64 s[4:5], exec, -1
; %bb.20739:
	s_or_b64 exec, exec, s[8:9]
	s_and_b64 s[4:5], s[4:5], exec
	s_or_saveexec_b64 s[6:7], s[6:7]
	v_mov_b32_e32 v12, s10
	s_xor_b64 exec, exec, s[6:7]
	s_cbranch_execnz .LBB1_20740
; %bb.56577:
	s_getpc_b64 s[14:15]
.Lpost_getpc13952:
	s_add_u32 s14, s14, (.LBB1_6402-.Lpost_getpc13952)&4294967295
	s_addc_u32 s15, s15, (.LBB1_6402-.Lpost_getpc13952)>>32
	s_setpc_b64 s[14:15]
.LBB1_20740:
	v_mov_b32_e32 v12, 0
	v_cmp_ne_u16_sdwa s[8:9], v6, v12 src0_sel:BYTE_0 src1_sel:DWORD
	s_andn2_b64 s[4:5], s[4:5], exec
	s_and_b64 s[8:9], s[8:9], exec
	s_or_b64 s[4:5], s[4:5], s[8:9]
	s_or_b64 exec, exec, s[6:7]
	s_and_saveexec_b64 s[6:7], s[4:5]
	s_cbranch_execz .LBB1_31873
; %bb.56579:
	s_getpc_b64 s[14:15]
.Lpost_getpc13953:
	s_add_u32 s14, s14, (.LBB1_6403-.Lpost_getpc13953)&4294967295
	s_addc_u32 s15, s15, (.LBB1_6403-.Lpost_getpc13953)>>32
	s_setpc_b64 s[14:15]
.LBB1_31873:
	s_getpc_b64 s[14:15]
.Lpost_getpc1600:
	s_add_u32 s14, s14, (.LBB1_6404-.Lpost_getpc1600)&4294967295
	s_addc_u32 s15, s15, (.LBB1_6404-.Lpost_getpc1600)>>32
	s_setpc_b64 s[14:15]
.LBB1_20741:
	s_movk_i32 s4, 0x80
	v_cmp_eq_u16_sdwa s[12:13], v2, s4 src0_sel:BYTE_0 src1_sel:DWORD
	s_mov_b64 s[4:5], -1
                                        ; implicit-def: $sgpr10
	s_and_saveexec_b64 s[8:9], s[12:13]
; %bb.20742:
	s_mov_b32 s10, 0x7f800001
	s_xor_b64 s[4:5], exec, -1
; %bb.20743:
	s_or_b64 exec, exec, s[8:9]
	s_and_b64 s[4:5], s[4:5], exec
	s_or_saveexec_b64 s[6:7], s[6:7]
	v_mov_b32_e32 v13, s10
	s_xor_b64 exec, exec, s[6:7]
	s_cbranch_execnz .LBB1_20744
; %bb.56581:
	s_getpc_b64 s[14:15]
.Lpost_getpc13954:
	s_add_u32 s14, s14, (.LBB1_6406-.Lpost_getpc13954)&4294967295
	s_addc_u32 s15, s15, (.LBB1_6406-.Lpost_getpc13954)>>32
	s_setpc_b64 s[14:15]
.LBB1_20744:
	v_mov_b32_e32 v13, 0
	v_cmp_ne_u16_sdwa s[8:9], v2, v13 src0_sel:BYTE_0 src1_sel:DWORD
	s_andn2_b64 s[4:5], s[4:5], exec
	s_and_b64 s[8:9], s[8:9], exec
	s_or_b64 s[4:5], s[4:5], s[8:9]
	s_or_b64 exec, exec, s[6:7]
	s_and_saveexec_b64 s[6:7], s[4:5]
	s_cbranch_execz .LBB1_31875
; %bb.56583:
	s_getpc_b64 s[14:15]
.Lpost_getpc13955:
	s_add_u32 s14, s14, (.LBB1_6407-.Lpost_getpc13955)&4294967295
	s_addc_u32 s15, s15, (.LBB1_6407-.Lpost_getpc13955)>>32
	s_setpc_b64 s[14:15]
.LBB1_31875:
	s_getpc_b64 s[14:15]
.Lpost_getpc1601:
	s_add_u32 s14, s14, (.LBB1_6408-.Lpost_getpc1601)&4294967295
	s_addc_u32 s15, s15, (.LBB1_6408-.Lpost_getpc1601)>>32
	s_setpc_b64 s[14:15]
.LBB1_20745:
	s_movk_i32 s4, 0x80
	v_cmp_eq_u16_sdwa s[12:13], v13, s4 src0_sel:BYTE_0 src1_sel:DWORD
	s_mov_b64 s[4:5], -1
                                        ; implicit-def: $sgpr10
	s_and_saveexec_b64 s[8:9], s[12:13]
; %bb.20746:
	s_mov_b32 s10, 0x7f800001
	s_xor_b64 s[4:5], exec, -1
; %bb.20747:
	s_or_b64 exec, exec, s[8:9]
	s_and_b64 s[4:5], s[4:5], exec
	s_or_saveexec_b64 s[6:7], s[6:7]
	v_mov_b32_e32 v12, s10
	s_xor_b64 exec, exec, s[6:7]
	s_cbranch_execnz .LBB1_20748
; %bb.56585:
	s_getpc_b64 s[14:15]
.Lpost_getpc13956:
	s_add_u32 s14, s14, (.LBB1_6410-.Lpost_getpc13956)&4294967295
	s_addc_u32 s15, s15, (.LBB1_6410-.Lpost_getpc13956)>>32
	s_setpc_b64 s[14:15]
.LBB1_20748:
	v_mov_b32_e32 v12, 0
	v_cmp_ne_u16_sdwa s[8:9], v13, v12 src0_sel:BYTE_0 src1_sel:DWORD
	s_andn2_b64 s[4:5], s[4:5], exec
	s_and_b64 s[8:9], s[8:9], exec
	s_or_b64 s[4:5], s[4:5], s[8:9]
	s_or_b64 exec, exec, s[6:7]
	s_and_saveexec_b64 s[6:7], s[4:5]
	s_cbranch_execz .LBB1_31877
; %bb.56587:
	s_getpc_b64 s[14:15]
.Lpost_getpc13957:
	s_add_u32 s14, s14, (.LBB1_6411-.Lpost_getpc13957)&4294967295
	s_addc_u32 s15, s15, (.LBB1_6411-.Lpost_getpc13957)>>32
	s_setpc_b64 s[14:15]
.LBB1_31877:
	s_getpc_b64 s[14:15]
.Lpost_getpc1602:
	s_add_u32 s14, s14, (.LBB1_6412-.Lpost_getpc1602)&4294967295
	s_addc_u32 s15, s15, (.LBB1_6412-.Lpost_getpc1602)>>32
	s_setpc_b64 s[14:15]
.LBB1_20749:
	s_movk_i32 s4, 0x80
	v_cmp_eq_u16_sdwa s[12:13], v13, s4 src0_sel:BYTE_0 src1_sel:DWORD
	s_mov_b64 s[4:5], -1
                                        ; implicit-def: $sgpr10
	s_and_saveexec_b64 s[8:9], s[12:13]
; %bb.20750:
	s_mov_b32 s10, 0x7f800001
	s_xor_b64 s[4:5], exec, -1
; %bb.20751:
	s_or_b64 exec, exec, s[8:9]
	s_and_b64 s[4:5], s[4:5], exec
	s_or_saveexec_b64 s[6:7], s[6:7]
	v_mov_b32_e32 v14, s10
	s_xor_b64 exec, exec, s[6:7]
	s_cbranch_execnz .LBB1_20752
; %bb.56589:
	s_getpc_b64 s[14:15]
.Lpost_getpc13958:
	s_add_u32 s14, s14, (.LBB1_6414-.Lpost_getpc13958)&4294967295
	s_addc_u32 s15, s15, (.LBB1_6414-.Lpost_getpc13958)>>32
	s_setpc_b64 s[14:15]
.LBB1_20752:
	v_mov_b32_e32 v14, 0
	v_cmp_ne_u16_sdwa s[8:9], v13, v14 src0_sel:BYTE_0 src1_sel:DWORD
	s_andn2_b64 s[4:5], s[4:5], exec
	s_and_b64 s[8:9], s[8:9], exec
	s_or_b64 s[4:5], s[4:5], s[8:9]
	s_or_b64 exec, exec, s[6:7]
	s_and_saveexec_b64 s[6:7], s[4:5]
	s_cbranch_execz .LBB1_31879
; %bb.56591:
	s_getpc_b64 s[14:15]
.Lpost_getpc13959:
	s_add_u32 s14, s14, (.LBB1_6415-.Lpost_getpc13959)&4294967295
	s_addc_u32 s15, s15, (.LBB1_6415-.Lpost_getpc13959)>>32
	s_setpc_b64 s[14:15]
.LBB1_31879:
	s_getpc_b64 s[14:15]
.Lpost_getpc1603:
	s_add_u32 s14, s14, (.LBB1_6416-.Lpost_getpc1603)&4294967295
	s_addc_u32 s15, s15, (.LBB1_6416-.Lpost_getpc1603)>>32
	s_setpc_b64 s[14:15]
.LBB1_20753:
	s_movk_i32 s4, 0x80
	v_cmp_eq_u16_e32 vcc, s4, v13
	s_mov_b64 s[4:5], -1
                                        ; implicit-def: $sgpr10
	s_and_saveexec_b64 s[8:9], vcc
; %bb.20754:
	s_mov_b32 s10, 0x7f800001
	s_xor_b64 s[4:5], exec, -1
; %bb.20755:
	s_or_b64 exec, exec, s[8:9]
	s_and_b64 s[4:5], s[4:5], exec
                                        ; implicit-def: $vgpr13
	s_or_saveexec_b64 s[6:7], s[6:7]
	v_mov_b32_e32 v12, s10
	s_xor_b64 exec, exec, s[6:7]
	s_cbranch_execnz .LBB1_20756
; %bb.56593:
	s_getpc_b64 s[14:15]
.Lpost_getpc13960:
	s_add_u32 s14, s14, (.LBB1_6418-.Lpost_getpc13960)&4294967295
	s_addc_u32 s15, s15, (.LBB1_6418-.Lpost_getpc13960)>>32
	s_setpc_b64 s[14:15]
.LBB1_20756:
	v_cmp_ne_u16_e32 vcc, 0, v13
	s_andn2_b64 s[4:5], s[4:5], exec
	s_and_b64 s[8:9], vcc, exec
	v_mov_b32_e32 v12, 0
	s_or_b64 s[4:5], s[4:5], s[8:9]
	s_or_b64 exec, exec, s[6:7]
	s_and_saveexec_b64 s[6:7], s[4:5]
	s_cbranch_execz .LBB1_31881
; %bb.56595:
	s_getpc_b64 s[14:15]
.Lpost_getpc13961:
	s_add_u32 s14, s14, (.LBB1_6419-.Lpost_getpc13961)&4294967295
	s_addc_u32 s15, s15, (.LBB1_6419-.Lpost_getpc13961)>>32
	s_setpc_b64 s[14:15]
.LBB1_31881:
	s_getpc_b64 s[14:15]
.Lpost_getpc1604:
	s_add_u32 s14, s14, (.LBB1_6420-.Lpost_getpc1604)&4294967295
	s_addc_u32 s15, s15, (.LBB1_6420-.Lpost_getpc1604)>>32
	s_setpc_b64 s[14:15]
.LBB1_20757:
	s_movk_i32 s4, 0x80
	v_cmp_eq_u16_e32 vcc, s4, v13
	s_mov_b64 s[4:5], -1
                                        ; implicit-def: $sgpr10
	s_and_saveexec_b64 s[8:9], vcc
; %bb.20758:
	s_mov_b32 s10, 0x7f800001
	s_xor_b64 s[4:5], exec, -1
; %bb.20759:
	s_or_b64 exec, exec, s[8:9]
	s_and_b64 s[4:5], s[4:5], exec
                                        ; implicit-def: $vgpr13
	s_or_saveexec_b64 s[6:7], s[6:7]
	v_mov_b32_e32 v14, s10
	s_xor_b64 exec, exec, s[6:7]
	s_cbranch_execnz .LBB1_20760
; %bb.56597:
	s_getpc_b64 s[14:15]
.Lpost_getpc13962:
	s_add_u32 s14, s14, (.LBB1_6422-.Lpost_getpc13962)&4294967295
	s_addc_u32 s15, s15, (.LBB1_6422-.Lpost_getpc13962)>>32
	s_setpc_b64 s[14:15]
.LBB1_20760:
	v_cmp_ne_u16_e32 vcc, 0, v13
	s_andn2_b64 s[4:5], s[4:5], exec
	s_and_b64 s[8:9], vcc, exec
	v_mov_b32_e32 v14, 0
	s_or_b64 s[4:5], s[4:5], s[8:9]
	s_or_b64 exec, exec, s[6:7]
	s_and_saveexec_b64 s[6:7], s[4:5]
	s_cbranch_execz .LBB1_31883
; %bb.56599:
	s_getpc_b64 s[14:15]
.Lpost_getpc13963:
	s_add_u32 s14, s14, (.LBB1_6423-.Lpost_getpc13963)&4294967295
	s_addc_u32 s15, s15, (.LBB1_6423-.Lpost_getpc13963)>>32
	s_setpc_b64 s[14:15]
.LBB1_31883:
	s_getpc_b64 s[14:15]
.Lpost_getpc1605:
	s_add_u32 s14, s14, (.LBB1_6424-.Lpost_getpc1605)&4294967295
	s_addc_u32 s15, s15, (.LBB1_6424-.Lpost_getpc1605)>>32
	s_setpc_b64 s[14:15]
.LBB1_20761:
	s_movk_i32 s4, 0x80
	v_cmp_eq_u16_sdwa s[12:13], v6, s4 src0_sel:BYTE_3 src1_sel:DWORD
	s_mov_b64 s[4:5], -1
                                        ; implicit-def: $sgpr10
	s_and_saveexec_b64 s[8:9], s[12:13]
; %bb.20762:
	s_mov_b32 s10, 0x7f800001
	s_xor_b64 s[4:5], exec, -1
; %bb.20763:
	s_or_b64 exec, exec, s[8:9]
	s_and_b64 s[4:5], s[4:5], exec
	s_or_saveexec_b64 s[6:7], s[6:7]
	v_mov_b32_e32 v12, s10
	s_xor_b64 exec, exec, s[6:7]
	s_cbranch_execnz .LBB1_20764
; %bb.56601:
	s_getpc_b64 s[14:15]
.Lpost_getpc13964:
	s_add_u32 s14, s14, (.LBB1_6426-.Lpost_getpc13964)&4294967295
	s_addc_u32 s15, s15, (.LBB1_6426-.Lpost_getpc13964)>>32
	s_setpc_b64 s[14:15]
.LBB1_20764:
	v_mov_b32_e32 v12, 0
	v_cmp_ne_u16_sdwa s[8:9], v6, v12 src0_sel:BYTE_3 src1_sel:DWORD
	s_andn2_b64 s[4:5], s[4:5], exec
	s_and_b64 s[8:9], s[8:9], exec
	s_or_b64 s[4:5], s[4:5], s[8:9]
	s_or_b64 exec, exec, s[6:7]
	s_and_saveexec_b64 s[6:7], s[4:5]
	s_cbranch_execz .LBB1_31885
; %bb.56603:
	s_getpc_b64 s[14:15]
.Lpost_getpc13965:
	s_add_u32 s14, s14, (.LBB1_6427-.Lpost_getpc13965)&4294967295
	s_addc_u32 s15, s15, (.LBB1_6427-.Lpost_getpc13965)>>32
	s_setpc_b64 s[14:15]
.LBB1_31885:
	s_getpc_b64 s[14:15]
.Lpost_getpc1606:
	s_add_u32 s14, s14, (.LBB1_6428-.Lpost_getpc1606)&4294967295
	s_addc_u32 s15, s15, (.LBB1_6428-.Lpost_getpc1606)>>32
	s_setpc_b64 s[14:15]
.LBB1_20765:
	s_movk_i32 s4, 0x80
	v_cmp_eq_u16_sdwa s[12:13], v2, s4 src0_sel:BYTE_3 src1_sel:DWORD
	s_mov_b64 s[4:5], -1
                                        ; implicit-def: $sgpr10
	s_and_saveexec_b64 s[8:9], s[12:13]
; %bb.20766:
	s_mov_b32 s10, 0x7f800001
	s_xor_b64 s[4:5], exec, -1
; %bb.20767:
	s_or_b64 exec, exec, s[8:9]
	s_and_b64 s[4:5], s[4:5], exec
	s_or_saveexec_b64 s[6:7], s[6:7]
	v_mov_b32_e32 v6, s10
	s_xor_b64 exec, exec, s[6:7]
	s_cbranch_execnz .LBB1_20768
; %bb.56605:
	s_getpc_b64 s[14:15]
.Lpost_getpc13966:
	s_add_u32 s14, s14, (.LBB1_6430-.Lpost_getpc13966)&4294967295
	s_addc_u32 s15, s15, (.LBB1_6430-.Lpost_getpc13966)>>32
	s_setpc_b64 s[14:15]
.LBB1_20768:
	v_mov_b32_e32 v6, 0
	v_cmp_ne_u16_sdwa s[8:9], v2, v6 src0_sel:BYTE_3 src1_sel:DWORD
	s_andn2_b64 s[4:5], s[4:5], exec
	s_and_b64 s[8:9], s[8:9], exec
	s_or_b64 s[4:5], s[4:5], s[8:9]
	s_or_b64 exec, exec, s[6:7]
	s_and_saveexec_b64 s[6:7], s[4:5]
	s_cbranch_execz .LBB1_31887
; %bb.56607:
	s_getpc_b64 s[14:15]
.Lpost_getpc13967:
	s_add_u32 s14, s14, (.LBB1_6431-.Lpost_getpc13967)&4294967295
	s_addc_u32 s15, s15, (.LBB1_6431-.Lpost_getpc13967)>>32
	s_setpc_b64 s[14:15]
.LBB1_31887:
	s_getpc_b64 s[14:15]
.Lpost_getpc1607:
	s_add_u32 s14, s14, (.LBB1_6432-.Lpost_getpc1607)&4294967295
	s_addc_u32 s15, s15, (.LBB1_6432-.Lpost_getpc1607)>>32
	s_setpc_b64 s[14:15]
.LBB1_20769:
	s_movk_i32 s4, 0x80
	v_cmp_eq_u16_sdwa s[12:13], v7, s4 src0_sel:BYTE_0 src1_sel:DWORD
	s_mov_b64 s[4:5], -1
                                        ; implicit-def: $sgpr10
	s_and_saveexec_b64 s[8:9], s[12:13]
; %bb.20770:
	s_mov_b32 s10, 0x7f800001
	s_xor_b64 s[4:5], exec, -1
; %bb.20771:
	s_or_b64 exec, exec, s[8:9]
	s_and_b64 s[4:5], s[4:5], exec
	s_or_saveexec_b64 s[6:7], s[6:7]
	v_mov_b32_e32 v2, s10
	s_xor_b64 exec, exec, s[6:7]
	s_cbranch_execnz .LBB1_20772
; %bb.56609:
	s_getpc_b64 s[14:15]
.Lpost_getpc13968:
	s_add_u32 s14, s14, (.LBB1_6434-.Lpost_getpc13968)&4294967295
	s_addc_u32 s15, s15, (.LBB1_6434-.Lpost_getpc13968)>>32
	s_setpc_b64 s[14:15]
.LBB1_20772:
	v_mov_b32_e32 v2, 0
	v_cmp_ne_u16_sdwa s[8:9], v7, v2 src0_sel:BYTE_0 src1_sel:DWORD
	s_andn2_b64 s[4:5], s[4:5], exec
	s_and_b64 s[8:9], s[8:9], exec
	s_or_b64 s[4:5], s[4:5], s[8:9]
	s_or_b64 exec, exec, s[6:7]
	s_and_saveexec_b64 s[6:7], s[4:5]
	s_cbranch_execz .LBB1_31889
; %bb.56611:
	s_getpc_b64 s[14:15]
.Lpost_getpc13969:
	s_add_u32 s14, s14, (.LBB1_6435-.Lpost_getpc13969)&4294967295
	s_addc_u32 s15, s15, (.LBB1_6435-.Lpost_getpc13969)>>32
	s_setpc_b64 s[14:15]
.LBB1_31889:
	s_getpc_b64 s[14:15]
.Lpost_getpc1608:
	s_add_u32 s14, s14, (.LBB1_6436-.Lpost_getpc1608)&4294967295
	s_addc_u32 s15, s15, (.LBB1_6436-.Lpost_getpc1608)>>32
	s_setpc_b64 s[14:15]
.LBB1_20773:
	s_movk_i32 s4, 0x80
	v_cmp_eq_u16_sdwa s[12:13], v3, s4 src0_sel:BYTE_0 src1_sel:DWORD
	s_mov_b64 s[4:5], -1
                                        ; implicit-def: $sgpr10
	s_and_saveexec_b64 s[8:9], s[12:13]
; %bb.20774:
	s_mov_b32 s10, 0x7f800001
	s_xor_b64 s[4:5], exec, -1
; %bb.20775:
	s_or_b64 exec, exec, s[8:9]
	s_and_b64 s[4:5], s[4:5], exec
	s_or_saveexec_b64 s[6:7], s[6:7]
	v_mov_b32_e32 v6, s10
	s_xor_b64 exec, exec, s[6:7]
	s_cbranch_execnz .LBB1_20776
; %bb.56613:
	s_getpc_b64 s[14:15]
.Lpost_getpc13970:
	s_add_u32 s14, s14, (.LBB1_6438-.Lpost_getpc13970)&4294967295
	s_addc_u32 s15, s15, (.LBB1_6438-.Lpost_getpc13970)>>32
	s_setpc_b64 s[14:15]
.LBB1_20776:
	v_mov_b32_e32 v6, 0
	v_cmp_ne_u16_sdwa s[8:9], v3, v6 src0_sel:BYTE_0 src1_sel:DWORD
	s_andn2_b64 s[4:5], s[4:5], exec
	s_and_b64 s[8:9], s[8:9], exec
	s_or_b64 s[4:5], s[4:5], s[8:9]
	s_or_b64 exec, exec, s[6:7]
	s_and_saveexec_b64 s[6:7], s[4:5]
	s_cbranch_execz .LBB1_31891
; %bb.56615:
	s_getpc_b64 s[14:15]
.Lpost_getpc13971:
	s_add_u32 s14, s14, (.LBB1_6439-.Lpost_getpc13971)&4294967295
	s_addc_u32 s15, s15, (.LBB1_6439-.Lpost_getpc13971)>>32
	s_setpc_b64 s[14:15]
.LBB1_31891:
	s_getpc_b64 s[14:15]
.Lpost_getpc1609:
	s_add_u32 s14, s14, (.LBB1_6440-.Lpost_getpc1609)&4294967295
	s_addc_u32 s15, s15, (.LBB1_6440-.Lpost_getpc1609)>>32
	s_setpc_b64 s[14:15]
.LBB1_20777:
	s_movk_i32 s4, 0x80
	v_cmp_eq_u16_sdwa s[12:13], v6, s4 src0_sel:BYTE_0 src1_sel:DWORD
	s_mov_b64 s[4:5], -1
                                        ; implicit-def: $sgpr10
	s_and_saveexec_b64 s[8:9], s[12:13]
; %bb.20778:
	s_mov_b32 s10, 0x7f800001
	s_xor_b64 s[4:5], exec, -1
; %bb.20779:
	s_or_b64 exec, exec, s[8:9]
	s_and_b64 s[4:5], s[4:5], exec
	s_or_saveexec_b64 s[6:7], s[6:7]
	v_mov_b32_e32 v2, s10
	s_xor_b64 exec, exec, s[6:7]
	s_cbranch_execnz .LBB1_20780
; %bb.56617:
	s_getpc_b64 s[14:15]
.Lpost_getpc13972:
	s_add_u32 s14, s14, (.LBB1_6442-.Lpost_getpc13972)&4294967295
	s_addc_u32 s15, s15, (.LBB1_6442-.Lpost_getpc13972)>>32
	s_setpc_b64 s[14:15]
.LBB1_20780:
	v_mov_b32_e32 v2, 0
	v_cmp_ne_u16_sdwa s[8:9], v6, v2 src0_sel:BYTE_0 src1_sel:DWORD
	s_andn2_b64 s[4:5], s[4:5], exec
	s_and_b64 s[8:9], s[8:9], exec
	s_or_b64 s[4:5], s[4:5], s[8:9]
	s_or_b64 exec, exec, s[6:7]
	s_and_saveexec_b64 s[6:7], s[4:5]
	s_cbranch_execz .LBB1_31893
; %bb.56619:
	s_getpc_b64 s[14:15]
.Lpost_getpc13973:
	s_add_u32 s14, s14, (.LBB1_6443-.Lpost_getpc13973)&4294967295
	s_addc_u32 s15, s15, (.LBB1_6443-.Lpost_getpc13973)>>32
	s_setpc_b64 s[14:15]
.LBB1_31893:
	s_getpc_b64 s[14:15]
.Lpost_getpc1610:
	s_add_u32 s14, s14, (.LBB1_6444-.Lpost_getpc1610)&4294967295
	s_addc_u32 s15, s15, (.LBB1_6444-.Lpost_getpc1610)>>32
	s_setpc_b64 s[14:15]
.LBB1_20781:
	s_movk_i32 s4, 0x80
	v_cmp_eq_u16_sdwa s[12:13], v6, s4 src0_sel:BYTE_0 src1_sel:DWORD
	s_mov_b64 s[4:5], -1
                                        ; implicit-def: $sgpr10
	s_and_saveexec_b64 s[8:9], s[12:13]
; %bb.20782:
	s_mov_b32 s10, 0x7f800001
	s_xor_b64 s[4:5], exec, -1
; %bb.20783:
	s_or_b64 exec, exec, s[8:9]
	s_and_b64 s[4:5], s[4:5], exec
	s_or_saveexec_b64 s[6:7], s[6:7]
	v_mov_b32_e32 v12, s10
	s_xor_b64 exec, exec, s[6:7]
	s_cbranch_execnz .LBB1_20784
; %bb.56621:
	s_getpc_b64 s[14:15]
.Lpost_getpc13974:
	s_add_u32 s14, s14, (.LBB1_6446-.Lpost_getpc13974)&4294967295
	s_addc_u32 s15, s15, (.LBB1_6446-.Lpost_getpc13974)>>32
	s_setpc_b64 s[14:15]
.LBB1_20784:
	v_mov_b32_e32 v12, 0
	v_cmp_ne_u16_sdwa s[8:9], v6, v12 src0_sel:BYTE_0 src1_sel:DWORD
	s_andn2_b64 s[4:5], s[4:5], exec
	s_and_b64 s[8:9], s[8:9], exec
	s_or_b64 s[4:5], s[4:5], s[8:9]
	s_or_b64 exec, exec, s[6:7]
	s_and_saveexec_b64 s[6:7], s[4:5]
	s_cbranch_execz .LBB1_31895
; %bb.56623:
	s_getpc_b64 s[14:15]
.Lpost_getpc13975:
	s_add_u32 s14, s14, (.LBB1_6447-.Lpost_getpc13975)&4294967295
	s_addc_u32 s15, s15, (.LBB1_6447-.Lpost_getpc13975)>>32
	s_setpc_b64 s[14:15]
.LBB1_31895:
	s_getpc_b64 s[14:15]
.Lpost_getpc1611:
	s_add_u32 s14, s14, (.LBB1_6448-.Lpost_getpc1611)&4294967295
	s_addc_u32 s15, s15, (.LBB1_6448-.Lpost_getpc1611)>>32
	s_setpc_b64 s[14:15]
.LBB1_20785:
	s_movk_i32 s4, 0x80
	v_cmp_eq_u16_e32 vcc, s4, v6
	s_mov_b64 s[4:5], -1
                                        ; implicit-def: $sgpr10
	s_and_saveexec_b64 s[8:9], vcc
; %bb.20786:
	s_mov_b32 s10, 0x7f800001
	s_xor_b64 s[4:5], exec, -1
; %bb.20787:
	s_or_b64 exec, exec, s[8:9]
	s_and_b64 s[4:5], s[4:5], exec
                                        ; implicit-def: $vgpr6
	s_or_saveexec_b64 s[6:7], s[6:7]
	v_mov_b32_e32 v2, s10
	s_xor_b64 exec, exec, s[6:7]
	s_cbranch_execnz .LBB1_20788
; %bb.56625:
	s_getpc_b64 s[14:15]
.Lpost_getpc13976:
	s_add_u32 s14, s14, (.LBB1_6450-.Lpost_getpc13976)&4294967295
	s_addc_u32 s15, s15, (.LBB1_6450-.Lpost_getpc13976)>>32
	s_setpc_b64 s[14:15]
.LBB1_20788:
	v_cmp_ne_u16_e32 vcc, 0, v6
	s_andn2_b64 s[4:5], s[4:5], exec
	s_and_b64 s[8:9], vcc, exec
	v_mov_b32_e32 v2, 0
	s_or_b64 s[4:5], s[4:5], s[8:9]
	s_or_b64 exec, exec, s[6:7]
	s_and_saveexec_b64 s[6:7], s[4:5]
	s_cbranch_execz .LBB1_31897
; %bb.56627:
	s_getpc_b64 s[14:15]
.Lpost_getpc13977:
	s_add_u32 s14, s14, (.LBB1_6451-.Lpost_getpc13977)&4294967295
	s_addc_u32 s15, s15, (.LBB1_6451-.Lpost_getpc13977)>>32
	s_setpc_b64 s[14:15]
.LBB1_31897:
	s_getpc_b64 s[14:15]
.Lpost_getpc1612:
	s_add_u32 s14, s14, (.LBB1_6452-.Lpost_getpc1612)&4294967295
	s_addc_u32 s15, s15, (.LBB1_6452-.Lpost_getpc1612)>>32
	s_setpc_b64 s[14:15]
.LBB1_20789:
	s_movk_i32 s4, 0x80
	v_cmp_eq_u16_e32 vcc, s4, v6
	s_mov_b64 s[4:5], -1
                                        ; implicit-def: $sgpr10
	s_and_saveexec_b64 s[8:9], vcc
; %bb.20790:
	s_mov_b32 s10, 0x7f800001
	s_xor_b64 s[4:5], exec, -1
; %bb.20791:
	s_or_b64 exec, exec, s[8:9]
	s_and_b64 s[4:5], s[4:5], exec
                                        ; implicit-def: $vgpr6
	s_or_saveexec_b64 s[6:7], s[6:7]
	v_mov_b32_e32 v12, s10
	s_xor_b64 exec, exec, s[6:7]
	s_cbranch_execnz .LBB1_20792
; %bb.56629:
	s_getpc_b64 s[14:15]
.Lpost_getpc13978:
	s_add_u32 s14, s14, (.LBB1_6454-.Lpost_getpc13978)&4294967295
	s_addc_u32 s15, s15, (.LBB1_6454-.Lpost_getpc13978)>>32
	s_setpc_b64 s[14:15]
.LBB1_20792:
	v_cmp_ne_u16_e32 vcc, 0, v6
	s_andn2_b64 s[4:5], s[4:5], exec
	s_and_b64 s[8:9], vcc, exec
	v_mov_b32_e32 v12, 0
	s_or_b64 s[4:5], s[4:5], s[8:9]
	s_or_b64 exec, exec, s[6:7]
	s_and_saveexec_b64 s[6:7], s[4:5]
	s_cbranch_execz .LBB1_31899
; %bb.56631:
	s_getpc_b64 s[14:15]
.Lpost_getpc13979:
	s_add_u32 s14, s14, (.LBB1_6455-.Lpost_getpc13979)&4294967295
	s_addc_u32 s15, s15, (.LBB1_6455-.Lpost_getpc13979)>>32
	s_setpc_b64 s[14:15]
.LBB1_31899:
	s_getpc_b64 s[14:15]
.Lpost_getpc1613:
	s_add_u32 s14, s14, (.LBB1_6456-.Lpost_getpc1613)&4294967295
	s_addc_u32 s15, s15, (.LBB1_6456-.Lpost_getpc1613)>>32
	s_setpc_b64 s[14:15]
.LBB1_20793:
	s_movk_i32 s4, 0x80
	v_cmp_eq_u16_sdwa s[12:13], v7, s4 src0_sel:BYTE_3 src1_sel:DWORD
	s_mov_b64 s[4:5], -1
                                        ; implicit-def: $sgpr10
	s_and_saveexec_b64 s[8:9], s[12:13]
; %bb.20794:
	s_mov_b32 s10, 0x7f800001
	s_xor_b64 s[4:5], exec, -1
; %bb.20795:
	s_or_b64 exec, exec, s[8:9]
	s_and_b64 s[4:5], s[4:5], exec
	s_or_saveexec_b64 s[6:7], s[6:7]
	v_mov_b32_e32 v2, s10
	s_xor_b64 exec, exec, s[6:7]
	s_cbranch_execnz .LBB1_20796
; %bb.56633:
	s_getpc_b64 s[14:15]
.Lpost_getpc13980:
	s_add_u32 s14, s14, (.LBB1_6458-.Lpost_getpc13980)&4294967295
	s_addc_u32 s15, s15, (.LBB1_6458-.Lpost_getpc13980)>>32
	s_setpc_b64 s[14:15]
.LBB1_20796:
	v_mov_b32_e32 v2, 0
	v_cmp_ne_u16_sdwa s[8:9], v7, v2 src0_sel:BYTE_3 src1_sel:DWORD
	s_andn2_b64 s[4:5], s[4:5], exec
	s_and_b64 s[8:9], s[8:9], exec
	s_or_b64 s[4:5], s[4:5], s[8:9]
	s_or_b64 exec, exec, s[6:7]
	s_and_saveexec_b64 s[6:7], s[4:5]
	s_cbranch_execz .LBB1_31901
; %bb.56635:
	s_getpc_b64 s[14:15]
.Lpost_getpc13981:
	s_add_u32 s14, s14, (.LBB1_6459-.Lpost_getpc13981)&4294967295
	s_addc_u32 s15, s15, (.LBB1_6459-.Lpost_getpc13981)>>32
	s_setpc_b64 s[14:15]
.LBB1_31901:
	s_getpc_b64 s[14:15]
.Lpost_getpc1614:
	s_add_u32 s14, s14, (.LBB1_6460-.Lpost_getpc1614)&4294967295
	s_addc_u32 s15, s15, (.LBB1_6460-.Lpost_getpc1614)>>32
	s_setpc_b64 s[14:15]
.LBB1_20797:
	s_movk_i32 s4, 0x80
	v_cmp_eq_u16_sdwa s[12:13], v3, s4 src0_sel:BYTE_3 src1_sel:DWORD
	s_mov_b64 s[4:5], -1
                                        ; implicit-def: $sgpr10
	s_and_saveexec_b64 s[8:9], s[12:13]
; %bb.20798:
	s_mov_b32 s10, 0x7f800001
	s_xor_b64 s[4:5], exec, -1
; %bb.20799:
	s_or_b64 exec, exec, s[8:9]
	s_and_b64 s[4:5], s[4:5], exec
	s_or_saveexec_b64 s[6:7], s[6:7]
	v_mov_b32_e32 v6, s10
	s_xor_b64 exec, exec, s[6:7]
	s_cbranch_execnz .LBB1_20800
; %bb.56637:
	s_getpc_b64 s[14:15]
.Lpost_getpc13982:
	s_add_u32 s14, s14, (.LBB1_6462-.Lpost_getpc13982)&4294967295
	s_addc_u32 s15, s15, (.LBB1_6462-.Lpost_getpc13982)>>32
	s_setpc_b64 s[14:15]
.LBB1_20800:
	v_mov_b32_e32 v6, 0
	v_cmp_ne_u16_sdwa s[8:9], v3, v6 src0_sel:BYTE_3 src1_sel:DWORD
	s_andn2_b64 s[4:5], s[4:5], exec
	s_and_b64 s[8:9], s[8:9], exec
	s_or_b64 s[4:5], s[4:5], s[8:9]
	s_or_b64 exec, exec, s[6:7]
	s_and_saveexec_b64 s[6:7], s[4:5]
	s_cbranch_execz .LBB1_31903
; %bb.56639:
	s_getpc_b64 s[14:15]
.Lpost_getpc13983:
	s_add_u32 s14, s14, (.LBB1_6463-.Lpost_getpc13983)&4294967295
	s_addc_u32 s15, s15, (.LBB1_6463-.Lpost_getpc13983)>>32
	s_setpc_b64 s[14:15]
.LBB1_31903:
	s_getpc_b64 s[14:15]
.Lpost_getpc1615:
	s_add_u32 s14, s14, (.LBB1_6464-.Lpost_getpc1615)&4294967295
	s_addc_u32 s15, s15, (.LBB1_6464-.Lpost_getpc1615)>>32
	s_setpc_b64 s[14:15]
.LBB1_20801:
	s_movk_i32 s4, 0x80
	v_cmp_eq_u16_sdwa s[12:13], v8, s4 src0_sel:BYTE_0 src1_sel:DWORD
	s_mov_b64 s[4:5], -1
                                        ; implicit-def: $sgpr10
	s_and_saveexec_b64 s[8:9], s[12:13]
; %bb.20802:
	s_mov_b32 s10, 0x7f800001
	s_xor_b64 s[4:5], exec, -1
; %bb.20803:
	s_or_b64 exec, exec, s[8:9]
	s_and_b64 s[4:5], s[4:5], exec
	s_or_saveexec_b64 s[6:7], s[6:7]
	v_mov_b32_e32 v2, s10
	s_xor_b64 exec, exec, s[6:7]
	s_cbranch_execnz .LBB1_20804
; %bb.56641:
	s_getpc_b64 s[14:15]
.Lpost_getpc13984:
	s_add_u32 s14, s14, (.LBB1_6466-.Lpost_getpc13984)&4294967295
	s_addc_u32 s15, s15, (.LBB1_6466-.Lpost_getpc13984)>>32
	s_setpc_b64 s[14:15]
.LBB1_20804:
	v_mov_b32_e32 v2, 0
	v_cmp_ne_u16_sdwa s[8:9], v8, v2 src0_sel:BYTE_0 src1_sel:DWORD
	s_andn2_b64 s[4:5], s[4:5], exec
	s_and_b64 s[8:9], s[8:9], exec
	s_or_b64 s[4:5], s[4:5], s[8:9]
	s_or_b64 exec, exec, s[6:7]
	s_and_saveexec_b64 s[6:7], s[4:5]
	s_cbranch_execz .LBB1_31905
; %bb.56643:
	s_getpc_b64 s[14:15]
.Lpost_getpc13985:
	s_add_u32 s14, s14, (.LBB1_6467-.Lpost_getpc13985)&4294967295
	s_addc_u32 s15, s15, (.LBB1_6467-.Lpost_getpc13985)>>32
	s_setpc_b64 s[14:15]
.LBB1_31905:
	s_getpc_b64 s[14:15]
.Lpost_getpc1616:
	s_add_u32 s14, s14, (.LBB1_6468-.Lpost_getpc1616)&4294967295
	s_addc_u32 s15, s15, (.LBB1_6468-.Lpost_getpc1616)>>32
	s_setpc_b64 s[14:15]
.LBB1_20805:
	s_movk_i32 s4, 0x80
	v_cmp_eq_u16_sdwa s[12:13], v4, s4 src0_sel:BYTE_0 src1_sel:DWORD
	s_mov_b64 s[4:5], -1
                                        ; implicit-def: $sgpr10
	s_and_saveexec_b64 s[8:9], s[12:13]
; %bb.20806:
	s_mov_b32 s10, 0x7f800001
	s_xor_b64 s[4:5], exec, -1
; %bb.20807:
	s_or_b64 exec, exec, s[8:9]
	s_and_b64 s[4:5], s[4:5], exec
	s_or_saveexec_b64 s[6:7], s[6:7]
	v_mov_b32_e32 v3, s10
	s_xor_b64 exec, exec, s[6:7]
	s_cbranch_execnz .LBB1_20808
; %bb.56645:
	s_getpc_b64 s[14:15]
.Lpost_getpc13986:
	s_add_u32 s14, s14, (.LBB1_6470-.Lpost_getpc13986)&4294967295
	s_addc_u32 s15, s15, (.LBB1_6470-.Lpost_getpc13986)>>32
	s_setpc_b64 s[14:15]
.LBB1_20808:
	v_mov_b32_e32 v3, 0
	v_cmp_ne_u16_sdwa s[8:9], v4, v3 src0_sel:BYTE_0 src1_sel:DWORD
	s_andn2_b64 s[4:5], s[4:5], exec
	s_and_b64 s[8:9], s[8:9], exec
	s_or_b64 s[4:5], s[4:5], s[8:9]
	s_or_b64 exec, exec, s[6:7]
	s_and_saveexec_b64 s[6:7], s[4:5]
	s_cbranch_execz .LBB1_31907
; %bb.56647:
	s_getpc_b64 s[14:15]
.Lpost_getpc13987:
	s_add_u32 s14, s14, (.LBB1_6471-.Lpost_getpc13987)&4294967295
	s_addc_u32 s15, s15, (.LBB1_6471-.Lpost_getpc13987)>>32
	s_setpc_b64 s[14:15]
.LBB1_31907:
	s_getpc_b64 s[14:15]
.Lpost_getpc1617:
	s_add_u32 s14, s14, (.LBB1_6472-.Lpost_getpc1617)&4294967295
	s_addc_u32 s15, s15, (.LBB1_6472-.Lpost_getpc1617)>>32
	s_setpc_b64 s[14:15]
.LBB1_20809:
	s_movk_i32 s4, 0x80
	v_cmp_eq_u16_sdwa s[12:13], v3, s4 src0_sel:BYTE_0 src1_sel:DWORD
	s_mov_b64 s[4:5], -1
                                        ; implicit-def: $sgpr10
	s_and_saveexec_b64 s[8:9], s[12:13]
; %bb.20810:
	s_mov_b32 s10, 0x7f800001
	s_xor_b64 s[4:5], exec, -1
; %bb.20811:
	s_or_b64 exec, exec, s[8:9]
	s_and_b64 s[4:5], s[4:5], exec
	s_or_saveexec_b64 s[6:7], s[6:7]
	v_mov_b32_e32 v2, s10
	s_xor_b64 exec, exec, s[6:7]
	s_cbranch_execnz .LBB1_20812
; %bb.56649:
	s_getpc_b64 s[14:15]
.Lpost_getpc13988:
	s_add_u32 s14, s14, (.LBB1_6474-.Lpost_getpc13988)&4294967295
	s_addc_u32 s15, s15, (.LBB1_6474-.Lpost_getpc13988)>>32
	s_setpc_b64 s[14:15]
.LBB1_20812:
	v_mov_b32_e32 v2, 0
	v_cmp_ne_u16_sdwa s[8:9], v3, v2 src0_sel:BYTE_0 src1_sel:DWORD
	s_andn2_b64 s[4:5], s[4:5], exec
	s_and_b64 s[8:9], s[8:9], exec
	s_or_b64 s[4:5], s[4:5], s[8:9]
	s_or_b64 exec, exec, s[6:7]
	s_and_saveexec_b64 s[6:7], s[4:5]
	s_cbranch_execz .LBB1_31909
; %bb.56651:
	s_getpc_b64 s[14:15]
.Lpost_getpc13989:
	s_add_u32 s14, s14, (.LBB1_6475-.Lpost_getpc13989)&4294967295
	s_addc_u32 s15, s15, (.LBB1_6475-.Lpost_getpc13989)>>32
	s_setpc_b64 s[14:15]
.LBB1_31909:
	s_getpc_b64 s[14:15]
.Lpost_getpc1618:
	s_add_u32 s14, s14, (.LBB1_6476-.Lpost_getpc1618)&4294967295
	s_addc_u32 s15, s15, (.LBB1_6476-.Lpost_getpc1618)>>32
	s_setpc_b64 s[14:15]
.LBB1_20813:
	s_movk_i32 s4, 0x80
	v_cmp_eq_u16_sdwa s[12:13], v3, s4 src0_sel:BYTE_0 src1_sel:DWORD
	s_mov_b64 s[4:5], -1
                                        ; implicit-def: $sgpr10
	s_and_saveexec_b64 s[8:9], s[12:13]
; %bb.20814:
	s_mov_b32 s10, 0x7f800001
	s_xor_b64 s[4:5], exec, -1
; %bb.20815:
	s_or_b64 exec, exec, s[8:9]
	s_and_b64 s[4:5], s[4:5], exec
	s_or_saveexec_b64 s[6:7], s[6:7]
	v_mov_b32_e32 v6, s10
	s_xor_b64 exec, exec, s[6:7]
	s_cbranch_execnz .LBB1_20816
; %bb.56653:
	s_getpc_b64 s[14:15]
.Lpost_getpc13990:
	s_add_u32 s14, s14, (.LBB1_6478-.Lpost_getpc13990)&4294967295
	s_addc_u32 s15, s15, (.LBB1_6478-.Lpost_getpc13990)>>32
	s_setpc_b64 s[14:15]
.LBB1_20816:
	v_mov_b32_e32 v6, 0
	v_cmp_ne_u16_sdwa s[8:9], v3, v6 src0_sel:BYTE_0 src1_sel:DWORD
	s_andn2_b64 s[4:5], s[4:5], exec
	s_and_b64 s[8:9], s[8:9], exec
	s_or_b64 s[4:5], s[4:5], s[8:9]
	s_or_b64 exec, exec, s[6:7]
	s_and_saveexec_b64 s[6:7], s[4:5]
	s_cbranch_execz .LBB1_31911
; %bb.56655:
	s_getpc_b64 s[14:15]
.Lpost_getpc13991:
	s_add_u32 s14, s14, (.LBB1_6479-.Lpost_getpc13991)&4294967295
	s_addc_u32 s15, s15, (.LBB1_6479-.Lpost_getpc13991)>>32
	s_setpc_b64 s[14:15]
.LBB1_31911:
	s_getpc_b64 s[14:15]
.Lpost_getpc1619:
	s_add_u32 s14, s14, (.LBB1_6480-.Lpost_getpc1619)&4294967295
	s_addc_u32 s15, s15, (.LBB1_6480-.Lpost_getpc1619)>>32
	s_setpc_b64 s[14:15]
.LBB1_20817:
	s_movk_i32 s4, 0x80
	v_cmp_eq_u16_e32 vcc, s4, v3
	s_mov_b64 s[4:5], -1
                                        ; implicit-def: $sgpr10
	s_and_saveexec_b64 s[8:9], vcc
; %bb.20818:
	s_mov_b32 s10, 0x7f800001
	s_xor_b64 s[4:5], exec, -1
; %bb.20819:
	s_or_b64 exec, exec, s[8:9]
	s_and_b64 s[4:5], s[4:5], exec
                                        ; implicit-def: $vgpr3
	s_or_saveexec_b64 s[6:7], s[6:7]
	v_mov_b32_e32 v2, s10
	s_xor_b64 exec, exec, s[6:7]
	s_cbranch_execnz .LBB1_20820
; %bb.56657:
	s_getpc_b64 s[14:15]
.Lpost_getpc13992:
	s_add_u32 s14, s14, (.LBB1_6482-.Lpost_getpc13992)&4294967295
	s_addc_u32 s15, s15, (.LBB1_6482-.Lpost_getpc13992)>>32
	s_setpc_b64 s[14:15]
.LBB1_20820:
	v_cmp_ne_u16_e32 vcc, 0, v3
	s_andn2_b64 s[4:5], s[4:5], exec
	s_and_b64 s[8:9], vcc, exec
	v_mov_b32_e32 v2, 0
	s_or_b64 s[4:5], s[4:5], s[8:9]
	s_or_b64 exec, exec, s[6:7]
	s_and_saveexec_b64 s[6:7], s[4:5]
	s_cbranch_execz .LBB1_31913
; %bb.56659:
	s_getpc_b64 s[14:15]
.Lpost_getpc13993:
	s_add_u32 s14, s14, (.LBB1_6483-.Lpost_getpc13993)&4294967295
	s_addc_u32 s15, s15, (.LBB1_6483-.Lpost_getpc13993)>>32
	s_setpc_b64 s[14:15]
.LBB1_31913:
	s_getpc_b64 s[14:15]
.Lpost_getpc1620:
	s_add_u32 s14, s14, (.LBB1_6484-.Lpost_getpc1620)&4294967295
	s_addc_u32 s15, s15, (.LBB1_6484-.Lpost_getpc1620)>>32
	s_setpc_b64 s[14:15]
.LBB1_20821:
	s_movk_i32 s4, 0x80
	v_cmp_eq_u16_e32 vcc, s4, v3
	s_mov_b64 s[4:5], -1
                                        ; implicit-def: $sgpr10
	s_and_saveexec_b64 s[8:9], vcc
; %bb.20822:
	s_mov_b32 s10, 0x7f800001
	s_xor_b64 s[4:5], exec, -1
; %bb.20823:
	s_or_b64 exec, exec, s[8:9]
	s_and_b64 s[4:5], s[4:5], exec
                                        ; implicit-def: $vgpr3
	s_or_saveexec_b64 s[6:7], s[6:7]
	v_mov_b32_e32 v6, s10
	s_xor_b64 exec, exec, s[6:7]
	s_cbranch_execnz .LBB1_20824
; %bb.56661:
	s_getpc_b64 s[14:15]
.Lpost_getpc13994:
	s_add_u32 s14, s14, (.LBB1_6486-.Lpost_getpc13994)&4294967295
	s_addc_u32 s15, s15, (.LBB1_6486-.Lpost_getpc13994)>>32
	s_setpc_b64 s[14:15]
.LBB1_20824:
	v_cmp_ne_u16_e32 vcc, 0, v3
	s_andn2_b64 s[4:5], s[4:5], exec
	s_and_b64 s[8:9], vcc, exec
	v_mov_b32_e32 v6, 0
	s_or_b64 s[4:5], s[4:5], s[8:9]
	s_or_b64 exec, exec, s[6:7]
	s_and_saveexec_b64 s[6:7], s[4:5]
	s_cbranch_execz .LBB1_31915
; %bb.56663:
	s_getpc_b64 s[14:15]
.Lpost_getpc13995:
	s_add_u32 s14, s14, (.LBB1_6487-.Lpost_getpc13995)&4294967295
	s_addc_u32 s15, s15, (.LBB1_6487-.Lpost_getpc13995)>>32
	s_setpc_b64 s[14:15]
.LBB1_31915:
	s_getpc_b64 s[14:15]
.Lpost_getpc1621:
	s_add_u32 s14, s14, (.LBB1_6488-.Lpost_getpc1621)&4294967295
	s_addc_u32 s15, s15, (.LBB1_6488-.Lpost_getpc1621)>>32
	s_setpc_b64 s[14:15]
.LBB1_20825:
	s_movk_i32 s4, 0x80
	v_cmp_eq_u16_sdwa s[12:13], v8, s4 src0_sel:BYTE_3 src1_sel:DWORD
	s_mov_b64 s[4:5], -1
                                        ; implicit-def: $sgpr10
	s_and_saveexec_b64 s[8:9], s[12:13]
; %bb.20826:
	s_mov_b32 s10, 0x7f800001
	s_xor_b64 s[4:5], exec, -1
; %bb.20827:
	s_or_b64 exec, exec, s[8:9]
	s_and_b64 s[4:5], s[4:5], exec
	s_or_saveexec_b64 s[6:7], s[6:7]
	v_mov_b32_e32 v2, s10
	s_xor_b64 exec, exec, s[6:7]
	s_cbranch_execnz .LBB1_20828
; %bb.56665:
	s_getpc_b64 s[14:15]
.Lpost_getpc13996:
	s_add_u32 s14, s14, (.LBB1_6490-.Lpost_getpc13996)&4294967295
	s_addc_u32 s15, s15, (.LBB1_6490-.Lpost_getpc13996)>>32
	s_setpc_b64 s[14:15]
.LBB1_20828:
	v_mov_b32_e32 v2, 0
	v_cmp_ne_u16_sdwa s[8:9], v8, v2 src0_sel:BYTE_3 src1_sel:DWORD
	s_andn2_b64 s[4:5], s[4:5], exec
	s_and_b64 s[8:9], s[8:9], exec
	s_or_b64 s[4:5], s[4:5], s[8:9]
	s_or_b64 exec, exec, s[6:7]
	s_and_saveexec_b64 s[6:7], s[4:5]
	s_cbranch_execz .LBB1_31917
; %bb.56667:
	s_getpc_b64 s[14:15]
.Lpost_getpc13997:
	s_add_u32 s14, s14, (.LBB1_6491-.Lpost_getpc13997)&4294967295
	s_addc_u32 s15, s15, (.LBB1_6491-.Lpost_getpc13997)>>32
	s_setpc_b64 s[14:15]
.LBB1_31917:
	s_getpc_b64 s[14:15]
.Lpost_getpc1622:
	s_add_u32 s14, s14, (.LBB1_6492-.Lpost_getpc1622)&4294967295
	s_addc_u32 s15, s15, (.LBB1_6492-.Lpost_getpc1622)>>32
	s_setpc_b64 s[14:15]
.LBB1_20829:
	s_movk_i32 s4, 0x80
	v_cmp_eq_u16_sdwa s[12:13], v4, s4 src0_sel:BYTE_3 src1_sel:DWORD
	s_mov_b64 s[4:5], -1
                                        ; implicit-def: $sgpr10
	s_and_saveexec_b64 s[8:9], s[12:13]
; %bb.20830:
	s_mov_b32 s10, 0x7f800001
	s_xor_b64 s[4:5], exec, -1
; %bb.20831:
	s_or_b64 exec, exec, s[8:9]
	s_and_b64 s[4:5], s[4:5], exec
	s_or_saveexec_b64 s[6:7], s[6:7]
	v_mov_b32_e32 v3, s10
	s_xor_b64 exec, exec, s[6:7]
	s_cbranch_execnz .LBB1_20832
; %bb.56669:
	s_getpc_b64 s[14:15]
.Lpost_getpc13998:
	s_add_u32 s14, s14, (.LBB1_6494-.Lpost_getpc13998)&4294967295
	s_addc_u32 s15, s15, (.LBB1_6494-.Lpost_getpc13998)>>32
	s_setpc_b64 s[14:15]
.LBB1_20832:
	v_mov_b32_e32 v3, 0
	v_cmp_ne_u16_sdwa s[8:9], v4, v3 src0_sel:BYTE_3 src1_sel:DWORD
	s_andn2_b64 s[4:5], s[4:5], exec
	s_and_b64 s[8:9], s[8:9], exec
	s_or_b64 s[4:5], s[4:5], s[8:9]
	s_or_b64 exec, exec, s[6:7]
	s_and_saveexec_b64 s[6:7], s[4:5]
	s_cbranch_execz .LBB1_31919
; %bb.56671:
	s_getpc_b64 s[14:15]
.Lpost_getpc13999:
	s_add_u32 s14, s14, (.LBB1_6495-.Lpost_getpc13999)&4294967295
	s_addc_u32 s15, s15, (.LBB1_6495-.Lpost_getpc13999)>>32
	s_setpc_b64 s[14:15]
.LBB1_31919:
	s_getpc_b64 s[14:15]
.Lpost_getpc1623:
	s_add_u32 s14, s14, (.LBB1_6496-.Lpost_getpc1623)&4294967295
	s_addc_u32 s15, s15, (.LBB1_6496-.Lpost_getpc1623)>>32
	s_setpc_b64 s[14:15]
.LBB1_20833:
	s_movk_i32 s4, 0x80
	v_cmp_eq_u16_sdwa s[12:13], v9, s4 src0_sel:BYTE_0 src1_sel:DWORD
	s_mov_b64 s[4:5], -1
                                        ; implicit-def: $sgpr10
	s_and_saveexec_b64 s[8:9], s[12:13]
; %bb.20834:
	s_mov_b32 s10, 0x7f800001
	s_xor_b64 s[4:5], exec, -1
; %bb.20835:
	s_or_b64 exec, exec, s[8:9]
	s_and_b64 s[4:5], s[4:5], exec
	s_or_saveexec_b64 s[6:7], s[6:7]
	v_mov_b32_e32 v2, s10
	s_xor_b64 exec, exec, s[6:7]
	s_cbranch_execnz .LBB1_20836
; %bb.56673:
	s_getpc_b64 s[14:15]
.Lpost_getpc14000:
	s_add_u32 s14, s14, (.LBB1_6498-.Lpost_getpc14000)&4294967295
	s_addc_u32 s15, s15, (.LBB1_6498-.Lpost_getpc14000)>>32
	s_setpc_b64 s[14:15]
.LBB1_20836:
	v_mov_b32_e32 v2, 0
	v_cmp_ne_u16_sdwa s[8:9], v9, v2 src0_sel:BYTE_0 src1_sel:DWORD
	s_andn2_b64 s[4:5], s[4:5], exec
	s_and_b64 s[8:9], s[8:9], exec
	s_or_b64 s[4:5], s[4:5], s[8:9]
	s_or_b64 exec, exec, s[6:7]
	s_and_saveexec_b64 s[6:7], s[4:5]
	s_cbranch_execz .LBB1_31921
; %bb.56675:
	s_getpc_b64 s[14:15]
.Lpost_getpc14001:
	s_add_u32 s14, s14, (.LBB1_6499-.Lpost_getpc14001)&4294967295
	s_addc_u32 s15, s15, (.LBB1_6499-.Lpost_getpc14001)>>32
	s_setpc_b64 s[14:15]
.LBB1_31921:
	s_getpc_b64 s[14:15]
.Lpost_getpc1624:
	s_add_u32 s14, s14, (.LBB1_6500-.Lpost_getpc1624)&4294967295
	s_addc_u32 s15, s15, (.LBB1_6500-.Lpost_getpc1624)>>32
	s_setpc_b64 s[14:15]
.LBB1_20837:
	s_movk_i32 s4, 0x80
	v_cmp_eq_u16_sdwa s[12:13], v5, s4 src0_sel:BYTE_0 src1_sel:DWORD
	s_mov_b64 s[4:5], -1
                                        ; implicit-def: $sgpr10
	s_and_saveexec_b64 s[8:9], s[12:13]
; %bb.20838:
	s_mov_b32 s10, 0x7f800001
	s_xor_b64 s[4:5], exec, -1
; %bb.20839:
	s_or_b64 exec, exec, s[8:9]
	s_and_b64 s[4:5], s[4:5], exec
	s_or_saveexec_b64 s[6:7], s[6:7]
	v_mov_b32_e32 v3, s10
	s_xor_b64 exec, exec, s[6:7]
	s_cbranch_execnz .LBB1_20840
; %bb.56677:
	s_getpc_b64 s[14:15]
.Lpost_getpc14002:
	s_add_u32 s14, s14, (.LBB1_6502-.Lpost_getpc14002)&4294967295
	s_addc_u32 s15, s15, (.LBB1_6502-.Lpost_getpc14002)>>32
	s_setpc_b64 s[14:15]
.LBB1_20840:
	v_mov_b32_e32 v3, 0
	v_cmp_ne_u16_sdwa s[8:9], v5, v3 src0_sel:BYTE_0 src1_sel:DWORD
	s_andn2_b64 s[4:5], s[4:5], exec
	s_and_b64 s[8:9], s[8:9], exec
	s_or_b64 s[4:5], s[4:5], s[8:9]
	s_or_b64 exec, exec, s[6:7]
	s_and_saveexec_b64 s[6:7], s[4:5]
	s_cbranch_execz .LBB1_31923
; %bb.56679:
	s_getpc_b64 s[14:15]
.Lpost_getpc14003:
	s_add_u32 s14, s14, (.LBB1_6503-.Lpost_getpc14003)&4294967295
	s_addc_u32 s15, s15, (.LBB1_6503-.Lpost_getpc14003)>>32
	s_setpc_b64 s[14:15]
.LBB1_31923:
	s_getpc_b64 s[14:15]
.Lpost_getpc1625:
	s_add_u32 s14, s14, (.LBB1_6504-.Lpost_getpc1625)&4294967295
	s_addc_u32 s15, s15, (.LBB1_6504-.Lpost_getpc1625)>>32
	s_setpc_b64 s[14:15]
.LBB1_20841:
	s_movk_i32 s4, 0x80
	v_cmp_eq_u16_sdwa s[12:13], v3, s4 src0_sel:BYTE_0 src1_sel:DWORD
	s_mov_b64 s[4:5], -1
                                        ; implicit-def: $sgpr10
	s_and_saveexec_b64 s[8:9], s[12:13]
; %bb.20842:
	s_mov_b32 s10, 0x7f800001
	s_xor_b64 s[4:5], exec, -1
; %bb.20843:
	s_or_b64 exec, exec, s[8:9]
	s_and_b64 s[4:5], s[4:5], exec
	s_or_saveexec_b64 s[6:7], s[6:7]
	v_mov_b32_e32 v2, s10
	s_xor_b64 exec, exec, s[6:7]
	s_cbranch_execnz .LBB1_20844
; %bb.56681:
	s_getpc_b64 s[14:15]
.Lpost_getpc14004:
	s_add_u32 s14, s14, (.LBB1_6506-.Lpost_getpc14004)&4294967295
	s_addc_u32 s15, s15, (.LBB1_6506-.Lpost_getpc14004)>>32
	s_setpc_b64 s[14:15]
.LBB1_20844:
	v_mov_b32_e32 v2, 0
	v_cmp_ne_u16_sdwa s[8:9], v3, v2 src0_sel:BYTE_0 src1_sel:DWORD
	s_andn2_b64 s[4:5], s[4:5], exec
	s_and_b64 s[8:9], s[8:9], exec
	s_or_b64 s[4:5], s[4:5], s[8:9]
	s_or_b64 exec, exec, s[6:7]
	s_and_saveexec_b64 s[6:7], s[4:5]
	s_cbranch_execz .LBB1_31925
; %bb.56683:
	s_getpc_b64 s[14:15]
.Lpost_getpc14005:
	s_add_u32 s14, s14, (.LBB1_6507-.Lpost_getpc14005)&4294967295
	s_addc_u32 s15, s15, (.LBB1_6507-.Lpost_getpc14005)>>32
	s_setpc_b64 s[14:15]
.LBB1_31925:
	s_getpc_b64 s[14:15]
.Lpost_getpc1626:
	s_add_u32 s14, s14, (.LBB1_6508-.Lpost_getpc1626)&4294967295
	s_addc_u32 s15, s15, (.LBB1_6508-.Lpost_getpc1626)>>32
	s_setpc_b64 s[14:15]
.LBB1_20845:
	s_movk_i32 s4, 0x80
	v_cmp_eq_u16_sdwa s[12:13], v3, s4 src0_sel:BYTE_0 src1_sel:DWORD
	s_mov_b64 s[4:5], -1
                                        ; implicit-def: $sgpr10
	s_and_saveexec_b64 s[8:9], s[12:13]
; %bb.20846:
	s_mov_b32 s10, 0x7f800001
	s_xor_b64 s[4:5], exec, -1
; %bb.20847:
	s_or_b64 exec, exec, s[8:9]
	s_and_b64 s[4:5], s[4:5], exec
	s_or_saveexec_b64 s[6:7], s[6:7]
	v_mov_b32_e32 v4, s10
	s_xor_b64 exec, exec, s[6:7]
	s_cbranch_execnz .LBB1_20848
; %bb.56685:
	s_getpc_b64 s[14:15]
.Lpost_getpc14006:
	s_add_u32 s14, s14, (.LBB1_6510-.Lpost_getpc14006)&4294967295
	s_addc_u32 s15, s15, (.LBB1_6510-.Lpost_getpc14006)>>32
	s_setpc_b64 s[14:15]
.LBB1_20848:
	v_mov_b32_e32 v4, 0
	v_cmp_ne_u16_sdwa s[8:9], v3, v4 src0_sel:BYTE_0 src1_sel:DWORD
	s_andn2_b64 s[4:5], s[4:5], exec
	s_and_b64 s[8:9], s[8:9], exec
	s_or_b64 s[4:5], s[4:5], s[8:9]
	s_or_b64 exec, exec, s[6:7]
	s_and_saveexec_b64 s[6:7], s[4:5]
	s_cbranch_execz .LBB1_31927
; %bb.56687:
	s_getpc_b64 s[14:15]
.Lpost_getpc14007:
	s_add_u32 s14, s14, (.LBB1_6511-.Lpost_getpc14007)&4294967295
	s_addc_u32 s15, s15, (.LBB1_6511-.Lpost_getpc14007)>>32
	s_setpc_b64 s[14:15]
.LBB1_31927:
	s_getpc_b64 s[14:15]
.Lpost_getpc1627:
	s_add_u32 s14, s14, (.LBB1_6512-.Lpost_getpc1627)&4294967295
	s_addc_u32 s15, s15, (.LBB1_6512-.Lpost_getpc1627)>>32
	s_setpc_b64 s[14:15]
.LBB1_20849:
	s_movk_i32 s4, 0x80
	v_cmp_eq_u16_e32 vcc, s4, v3
	s_mov_b64 s[4:5], -1
                                        ; implicit-def: $sgpr10
	s_and_saveexec_b64 s[8:9], vcc
; %bb.20850:
	s_mov_b32 s10, 0x7f800001
	s_xor_b64 s[4:5], exec, -1
; %bb.20851:
	s_or_b64 exec, exec, s[8:9]
	s_and_b64 s[4:5], s[4:5], exec
                                        ; implicit-def: $vgpr3
	s_or_saveexec_b64 s[6:7], s[6:7]
	v_mov_b32_e32 v2, s10
	s_xor_b64 exec, exec, s[6:7]
	s_cbranch_execnz .LBB1_20852
; %bb.56689:
	s_getpc_b64 s[14:15]
.Lpost_getpc14008:
	s_add_u32 s14, s14, (.LBB1_6514-.Lpost_getpc14008)&4294967295
	s_addc_u32 s15, s15, (.LBB1_6514-.Lpost_getpc14008)>>32
	s_setpc_b64 s[14:15]
.LBB1_20852:
	v_cmp_ne_u16_e32 vcc, 0, v3
	s_andn2_b64 s[4:5], s[4:5], exec
	s_and_b64 s[8:9], vcc, exec
	v_mov_b32_e32 v2, 0
	s_or_b64 s[4:5], s[4:5], s[8:9]
	s_or_b64 exec, exec, s[6:7]
	s_and_saveexec_b64 s[6:7], s[4:5]
	s_cbranch_execz .LBB1_31929
; %bb.56691:
	s_getpc_b64 s[14:15]
.Lpost_getpc14009:
	s_add_u32 s14, s14, (.LBB1_6515-.Lpost_getpc14009)&4294967295
	s_addc_u32 s15, s15, (.LBB1_6515-.Lpost_getpc14009)>>32
	s_setpc_b64 s[14:15]
.LBB1_31929:
	s_getpc_b64 s[14:15]
.Lpost_getpc1628:
	s_add_u32 s14, s14, (.LBB1_6516-.Lpost_getpc1628)&4294967295
	s_addc_u32 s15, s15, (.LBB1_6516-.Lpost_getpc1628)>>32
	s_setpc_b64 s[14:15]
.LBB1_20853:
	s_movk_i32 s4, 0x80
	v_cmp_eq_u16_e32 vcc, s4, v3
	s_mov_b64 s[4:5], -1
                                        ; implicit-def: $sgpr10
	s_and_saveexec_b64 s[8:9], vcc
; %bb.20854:
	s_mov_b32 s10, 0x7f800001
	s_xor_b64 s[4:5], exec, -1
; %bb.20855:
	s_or_b64 exec, exec, s[8:9]
	s_and_b64 s[4:5], s[4:5], exec
                                        ; implicit-def: $vgpr3
	s_or_saveexec_b64 s[6:7], s[6:7]
	v_mov_b32_e32 v4, s10
	s_xor_b64 exec, exec, s[6:7]
	s_cbranch_execnz .LBB1_20856
; %bb.56693:
	s_getpc_b64 s[14:15]
.Lpost_getpc14010:
	s_add_u32 s14, s14, (.LBB1_6518-.Lpost_getpc14010)&4294967295
	s_addc_u32 s15, s15, (.LBB1_6518-.Lpost_getpc14010)>>32
	s_setpc_b64 s[14:15]
.LBB1_20856:
	v_cmp_ne_u16_e32 vcc, 0, v3
	s_andn2_b64 s[4:5], s[4:5], exec
	s_and_b64 s[8:9], vcc, exec
	v_mov_b32_e32 v4, 0
	s_or_b64 s[4:5], s[4:5], s[8:9]
	s_or_b64 exec, exec, s[6:7]
	s_and_saveexec_b64 s[6:7], s[4:5]
	s_cbranch_execz .LBB1_31931
; %bb.56695:
	s_getpc_b64 s[14:15]
.Lpost_getpc14011:
	s_add_u32 s14, s14, (.LBB1_6519-.Lpost_getpc14011)&4294967295
	s_addc_u32 s15, s15, (.LBB1_6519-.Lpost_getpc14011)>>32
	s_setpc_b64 s[14:15]
.LBB1_31931:
	s_getpc_b64 s[14:15]
.Lpost_getpc1629:
	s_add_u32 s14, s14, (.LBB1_6520-.Lpost_getpc1629)&4294967295
	s_addc_u32 s15, s15, (.LBB1_6520-.Lpost_getpc1629)>>32
	s_setpc_b64 s[14:15]
.LBB1_20857:
	s_movk_i32 s4, 0x80
	v_cmp_eq_u16_sdwa s[12:13], v9, s4 src0_sel:BYTE_3 src1_sel:DWORD
	s_mov_b64 s[4:5], -1
                                        ; implicit-def: $sgpr10
	s_and_saveexec_b64 s[8:9], s[12:13]
; %bb.20858:
	s_mov_b32 s10, 0x7f800001
	s_xor_b64 s[4:5], exec, -1
; %bb.20859:
	s_or_b64 exec, exec, s[8:9]
	s_and_b64 s[4:5], s[4:5], exec
	s_or_saveexec_b64 s[6:7], s[6:7]
	v_mov_b32_e32 v2, s10
	s_xor_b64 exec, exec, s[6:7]
	s_cbranch_execnz .LBB1_20860
; %bb.56697:
	s_getpc_b64 s[14:15]
.Lpost_getpc14012:
	s_add_u32 s14, s14, (.LBB1_6522-.Lpost_getpc14012)&4294967295
	s_addc_u32 s15, s15, (.LBB1_6522-.Lpost_getpc14012)>>32
	s_setpc_b64 s[14:15]
.LBB1_20860:
	v_mov_b32_e32 v2, 0
	v_cmp_ne_u16_sdwa s[8:9], v9, v2 src0_sel:BYTE_3 src1_sel:DWORD
	s_andn2_b64 s[4:5], s[4:5], exec
	s_and_b64 s[8:9], s[8:9], exec
	s_or_b64 s[4:5], s[4:5], s[8:9]
	s_or_b64 exec, exec, s[6:7]
	s_and_saveexec_b64 s[6:7], s[4:5]
	s_cbranch_execz .LBB1_31933
; %bb.56699:
	s_getpc_b64 s[14:15]
.Lpost_getpc14013:
	s_add_u32 s14, s14, (.LBB1_6523-.Lpost_getpc14013)&4294967295
	s_addc_u32 s15, s15, (.LBB1_6523-.Lpost_getpc14013)>>32
	s_setpc_b64 s[14:15]
.LBB1_31933:
	s_getpc_b64 s[14:15]
.Lpost_getpc1630:
	s_add_u32 s14, s14, (.LBB1_6524-.Lpost_getpc1630)&4294967295
	s_addc_u32 s15, s15, (.LBB1_6524-.Lpost_getpc1630)>>32
	s_setpc_b64 s[14:15]
.LBB1_20861:
	s_movk_i32 s4, 0x80
	v_cmp_eq_u16_sdwa s[12:13], v5, s4 src0_sel:BYTE_3 src1_sel:DWORD
	s_mov_b64 s[4:5], -1
                                        ; implicit-def: $sgpr10
	s_and_saveexec_b64 s[8:9], s[12:13]
; %bb.20862:
	s_mov_b32 s10, 0x7f800001
	s_xor_b64 s[4:5], exec, -1
; %bb.20863:
	s_or_b64 exec, exec, s[8:9]
	s_and_b64 s[4:5], s[4:5], exec
	s_or_saveexec_b64 s[6:7], s[6:7]
	v_mov_b32_e32 v3, s10
	s_xor_b64 exec, exec, s[6:7]
	s_cbranch_execnz .LBB1_20864
; %bb.56701:
	s_getpc_b64 s[14:15]
.Lpost_getpc14014:
	s_add_u32 s14, s14, (.LBB1_6526-.Lpost_getpc14014)&4294967295
	s_addc_u32 s15, s15, (.LBB1_6526-.Lpost_getpc14014)>>32
	s_setpc_b64 s[14:15]
.LBB1_20864:
	v_mov_b32_e32 v3, 0
	v_cmp_ne_u16_sdwa s[8:9], v5, v3 src0_sel:BYTE_3 src1_sel:DWORD
	s_andn2_b64 s[4:5], s[4:5], exec
	s_and_b64 s[8:9], s[8:9], exec
	s_or_b64 s[4:5], s[4:5], s[8:9]
	s_or_b64 exec, exec, s[6:7]
	s_and_saveexec_b64 s[6:7], s[4:5]
	s_cbranch_execz .LBB1_31935
; %bb.56703:
	s_getpc_b64 s[14:15]
.Lpost_getpc14015:
	s_add_u32 s14, s14, (.LBB1_6527-.Lpost_getpc14015)&4294967295
	s_addc_u32 s15, s15, (.LBB1_6527-.Lpost_getpc14015)>>32
	s_setpc_b64 s[14:15]
.LBB1_31935:
	s_getpc_b64 s[14:15]
.Lpost_getpc1631:
	s_add_u32 s14, s14, (.LBB1_6528-.Lpost_getpc1631)&4294967295
	s_addc_u32 s15, s15, (.LBB1_6528-.Lpost_getpc1631)>>32
	s_setpc_b64 s[14:15]
.LBB1_20865:
	s_movk_i32 s4, 0x80
	v_cmp_eq_u16_sdwa s[12:13], v6, s4 src0_sel:BYTE_0 src1_sel:DWORD
	s_mov_b64 s[4:5], -1
                                        ; implicit-def: $sgpr10
	s_and_saveexec_b64 s[8:9], s[12:13]
; %bb.20866:
	s_mov_b32 s10, 0x7f800001
	s_xor_b64 s[4:5], exec, -1
; %bb.20867:
	s_or_b64 exec, exec, s[8:9]
	s_and_b64 s[4:5], s[4:5], exec
	s_or_saveexec_b64 s[6:7], s[6:7]
	v_mov_b32_e32 v12, s10
	s_xor_b64 exec, exec, s[6:7]
	s_cbranch_execnz .LBB1_20868
; %bb.56705:
	s_getpc_b64 s[14:15]
.Lpost_getpc14016:
	s_add_u32 s14, s14, (.LBB1_6530-.Lpost_getpc14016)&4294967295
	s_addc_u32 s15, s15, (.LBB1_6530-.Lpost_getpc14016)>>32
	s_setpc_b64 s[14:15]
.LBB1_20868:
	v_mov_b32_e32 v12, 0
	v_cmp_ne_u16_sdwa s[8:9], v6, v12 src0_sel:BYTE_0 src1_sel:DWORD
	s_andn2_b64 s[4:5], s[4:5], exec
	s_and_b64 s[8:9], s[8:9], exec
	s_or_b64 s[4:5], s[4:5], s[8:9]
	s_or_b64 exec, exec, s[6:7]
	s_and_saveexec_b64 s[6:7], s[4:5]
	s_cbranch_execz .LBB1_31937
; %bb.56707:
	s_getpc_b64 s[14:15]
.Lpost_getpc14017:
	s_add_u32 s14, s14, (.LBB1_6531-.Lpost_getpc14017)&4294967295
	s_addc_u32 s15, s15, (.LBB1_6531-.Lpost_getpc14017)>>32
	s_setpc_b64 s[14:15]
.LBB1_31937:
	s_getpc_b64 s[14:15]
.Lpost_getpc1632:
	s_add_u32 s14, s14, (.LBB1_6532-.Lpost_getpc1632)&4294967295
	s_addc_u32 s15, s15, (.LBB1_6532-.Lpost_getpc1632)>>32
	s_setpc_b64 s[14:15]
.LBB1_20869:
	s_movk_i32 s4, 0x80
	v_cmp_eq_u16_sdwa s[12:13], v2, s4 src0_sel:BYTE_0 src1_sel:DWORD
	s_mov_b64 s[4:5], -1
                                        ; implicit-def: $sgpr10
	s_and_saveexec_b64 s[8:9], s[12:13]
; %bb.20870:
	s_mov_b32 s10, 0x7f800001
	s_xor_b64 s[4:5], exec, -1
; %bb.20871:
	s_or_b64 exec, exec, s[8:9]
	s_and_b64 s[4:5], s[4:5], exec
	s_or_saveexec_b64 s[6:7], s[6:7]
	v_mov_b32_e32 v13, s10
	s_xor_b64 exec, exec, s[6:7]
	s_cbranch_execnz .LBB1_20872
; %bb.56709:
	s_getpc_b64 s[14:15]
.Lpost_getpc14018:
	s_add_u32 s14, s14, (.LBB1_6534-.Lpost_getpc14018)&4294967295
	s_addc_u32 s15, s15, (.LBB1_6534-.Lpost_getpc14018)>>32
	s_setpc_b64 s[14:15]
.LBB1_20872:
	v_mov_b32_e32 v13, 0
	v_cmp_ne_u16_sdwa s[8:9], v2, v13 src0_sel:BYTE_0 src1_sel:DWORD
	s_andn2_b64 s[4:5], s[4:5], exec
	s_and_b64 s[8:9], s[8:9], exec
	s_or_b64 s[4:5], s[4:5], s[8:9]
	s_or_b64 exec, exec, s[6:7]
	s_and_saveexec_b64 s[6:7], s[4:5]
	s_cbranch_execz .LBB1_31939
; %bb.56711:
	s_getpc_b64 s[14:15]
.Lpost_getpc14019:
	s_add_u32 s14, s14, (.LBB1_6535-.Lpost_getpc14019)&4294967295
	s_addc_u32 s15, s15, (.LBB1_6535-.Lpost_getpc14019)>>32
	s_setpc_b64 s[14:15]
.LBB1_31939:
	s_getpc_b64 s[14:15]
.Lpost_getpc1633:
	s_add_u32 s14, s14, (.LBB1_6536-.Lpost_getpc1633)&4294967295
	s_addc_u32 s15, s15, (.LBB1_6536-.Lpost_getpc1633)>>32
	s_setpc_b64 s[14:15]
.LBB1_20873:
	s_movk_i32 s4, 0x80
	v_cmp_eq_u16_sdwa s[12:13], v13, s4 src0_sel:BYTE_0 src1_sel:DWORD
	s_mov_b64 s[4:5], -1
                                        ; implicit-def: $sgpr10
	s_and_saveexec_b64 s[8:9], s[12:13]
; %bb.20874:
	s_mov_b32 s10, 0x7f800001
	s_xor_b64 s[4:5], exec, -1
; %bb.20875:
	s_or_b64 exec, exec, s[8:9]
	s_and_b64 s[4:5], s[4:5], exec
	s_or_saveexec_b64 s[6:7], s[6:7]
	v_mov_b32_e32 v12, s10
	s_xor_b64 exec, exec, s[6:7]
	s_cbranch_execnz .LBB1_20876
; %bb.56713:
	s_getpc_b64 s[14:15]
.Lpost_getpc14020:
	s_add_u32 s14, s14, (.LBB1_6538-.Lpost_getpc14020)&4294967295
	s_addc_u32 s15, s15, (.LBB1_6538-.Lpost_getpc14020)>>32
	s_setpc_b64 s[14:15]
.LBB1_20876:
	v_mov_b32_e32 v12, 0
	v_cmp_ne_u16_sdwa s[8:9], v13, v12 src0_sel:BYTE_0 src1_sel:DWORD
	s_andn2_b64 s[4:5], s[4:5], exec
	s_and_b64 s[8:9], s[8:9], exec
	s_or_b64 s[4:5], s[4:5], s[8:9]
	s_or_b64 exec, exec, s[6:7]
	s_and_saveexec_b64 s[6:7], s[4:5]
	s_cbranch_execz .LBB1_31941
; %bb.56715:
	s_getpc_b64 s[14:15]
.Lpost_getpc14021:
	s_add_u32 s14, s14, (.LBB1_6539-.Lpost_getpc14021)&4294967295
	s_addc_u32 s15, s15, (.LBB1_6539-.Lpost_getpc14021)>>32
	s_setpc_b64 s[14:15]
.LBB1_31941:
	s_getpc_b64 s[14:15]
.Lpost_getpc1634:
	s_add_u32 s14, s14, (.LBB1_6540-.Lpost_getpc1634)&4294967295
	s_addc_u32 s15, s15, (.LBB1_6540-.Lpost_getpc1634)>>32
	s_setpc_b64 s[14:15]
.LBB1_20877:
	s_movk_i32 s4, 0x80
	v_cmp_eq_u16_sdwa s[12:13], v13, s4 src0_sel:BYTE_0 src1_sel:DWORD
	s_mov_b64 s[4:5], -1
                                        ; implicit-def: $sgpr10
	s_and_saveexec_b64 s[8:9], s[12:13]
; %bb.20878:
	s_mov_b32 s10, 0x7f800001
	s_xor_b64 s[4:5], exec, -1
; %bb.20879:
	s_or_b64 exec, exec, s[8:9]
	s_and_b64 s[4:5], s[4:5], exec
	s_or_saveexec_b64 s[6:7], s[6:7]
	v_mov_b32_e32 v14, s10
	s_xor_b64 exec, exec, s[6:7]
	s_cbranch_execnz .LBB1_20880
; %bb.56717:
	s_getpc_b64 s[14:15]
.Lpost_getpc14022:
	s_add_u32 s14, s14, (.LBB1_6542-.Lpost_getpc14022)&4294967295
	s_addc_u32 s15, s15, (.LBB1_6542-.Lpost_getpc14022)>>32
	s_setpc_b64 s[14:15]
.LBB1_20880:
	v_mov_b32_e32 v14, 0
	v_cmp_ne_u16_sdwa s[8:9], v13, v14 src0_sel:BYTE_0 src1_sel:DWORD
	s_andn2_b64 s[4:5], s[4:5], exec
	s_and_b64 s[8:9], s[8:9], exec
	s_or_b64 s[4:5], s[4:5], s[8:9]
	s_or_b64 exec, exec, s[6:7]
	s_and_saveexec_b64 s[6:7], s[4:5]
	s_cbranch_execz .LBB1_31943
; %bb.56719:
	s_getpc_b64 s[14:15]
.Lpost_getpc14023:
	s_add_u32 s14, s14, (.LBB1_6543-.Lpost_getpc14023)&4294967295
	s_addc_u32 s15, s15, (.LBB1_6543-.Lpost_getpc14023)>>32
	s_setpc_b64 s[14:15]
.LBB1_31943:
	s_getpc_b64 s[14:15]
.Lpost_getpc1635:
	s_add_u32 s14, s14, (.LBB1_6544-.Lpost_getpc1635)&4294967295
	s_addc_u32 s15, s15, (.LBB1_6544-.Lpost_getpc1635)>>32
	s_setpc_b64 s[14:15]
.LBB1_20881:
	s_movk_i32 s4, 0x80
	v_cmp_eq_u16_e32 vcc, s4, v13
	s_mov_b64 s[4:5], -1
                                        ; implicit-def: $sgpr10
	s_and_saveexec_b64 s[8:9], vcc
; %bb.20882:
	s_mov_b32 s10, 0x7f800001
	s_xor_b64 s[4:5], exec, -1
; %bb.20883:
	s_or_b64 exec, exec, s[8:9]
	s_and_b64 s[4:5], s[4:5], exec
                                        ; implicit-def: $vgpr13
	s_or_saveexec_b64 s[6:7], s[6:7]
	v_mov_b32_e32 v12, s10
	s_xor_b64 exec, exec, s[6:7]
	s_cbranch_execnz .LBB1_20884
; %bb.56721:
	s_getpc_b64 s[14:15]
.Lpost_getpc14024:
	s_add_u32 s14, s14, (.LBB1_6546-.Lpost_getpc14024)&4294967295
	s_addc_u32 s15, s15, (.LBB1_6546-.Lpost_getpc14024)>>32
	s_setpc_b64 s[14:15]
.LBB1_20884:
	v_cmp_ne_u16_e32 vcc, 0, v13
	s_andn2_b64 s[4:5], s[4:5], exec
	s_and_b64 s[8:9], vcc, exec
	v_mov_b32_e32 v12, 0
	s_or_b64 s[4:5], s[4:5], s[8:9]
	s_or_b64 exec, exec, s[6:7]
	s_and_saveexec_b64 s[6:7], s[4:5]
	s_cbranch_execz .LBB1_31945
; %bb.56723:
	s_getpc_b64 s[14:15]
.Lpost_getpc14025:
	s_add_u32 s14, s14, (.LBB1_6547-.Lpost_getpc14025)&4294967295
	s_addc_u32 s15, s15, (.LBB1_6547-.Lpost_getpc14025)>>32
	s_setpc_b64 s[14:15]
.LBB1_31945:
	s_getpc_b64 s[14:15]
.Lpost_getpc1636:
	s_add_u32 s14, s14, (.LBB1_6548-.Lpost_getpc1636)&4294967295
	s_addc_u32 s15, s15, (.LBB1_6548-.Lpost_getpc1636)>>32
	s_setpc_b64 s[14:15]
.LBB1_20885:
	s_movk_i32 s4, 0x80
	v_cmp_eq_u16_e32 vcc, s4, v13
	s_mov_b64 s[4:5], -1
                                        ; implicit-def: $sgpr10
	s_and_saveexec_b64 s[8:9], vcc
; %bb.20886:
	s_mov_b32 s10, 0x7f800001
	s_xor_b64 s[4:5], exec, -1
; %bb.20887:
	s_or_b64 exec, exec, s[8:9]
	s_and_b64 s[4:5], s[4:5], exec
                                        ; implicit-def: $vgpr13
	s_or_saveexec_b64 s[6:7], s[6:7]
	v_mov_b32_e32 v14, s10
	s_xor_b64 exec, exec, s[6:7]
	s_cbranch_execnz .LBB1_20888
; %bb.56725:
	s_getpc_b64 s[14:15]
.Lpost_getpc14026:
	s_add_u32 s14, s14, (.LBB1_6550-.Lpost_getpc14026)&4294967295
	s_addc_u32 s15, s15, (.LBB1_6550-.Lpost_getpc14026)>>32
	s_setpc_b64 s[14:15]
.LBB1_20888:
	v_cmp_ne_u16_e32 vcc, 0, v13
	s_andn2_b64 s[4:5], s[4:5], exec
	s_and_b64 s[8:9], vcc, exec
	v_mov_b32_e32 v14, 0
	s_or_b64 s[4:5], s[4:5], s[8:9]
	s_or_b64 exec, exec, s[6:7]
	s_and_saveexec_b64 s[6:7], s[4:5]
	s_cbranch_execz .LBB1_31947
; %bb.56727:
	s_getpc_b64 s[14:15]
.Lpost_getpc14027:
	s_add_u32 s14, s14, (.LBB1_6551-.Lpost_getpc14027)&4294967295
	s_addc_u32 s15, s15, (.LBB1_6551-.Lpost_getpc14027)>>32
	s_setpc_b64 s[14:15]
.LBB1_31947:
	s_getpc_b64 s[14:15]
.Lpost_getpc1637:
	s_add_u32 s14, s14, (.LBB1_6552-.Lpost_getpc1637)&4294967295
	s_addc_u32 s15, s15, (.LBB1_6552-.Lpost_getpc1637)>>32
	s_setpc_b64 s[14:15]
.LBB1_20889:
	s_movk_i32 s4, 0x80
	v_cmp_eq_u16_sdwa s[12:13], v6, s4 src0_sel:BYTE_3 src1_sel:DWORD
	s_mov_b64 s[4:5], -1
                                        ; implicit-def: $sgpr10
	s_and_saveexec_b64 s[8:9], s[12:13]
; %bb.20890:
	s_mov_b32 s10, 0x7f800001
	s_xor_b64 s[4:5], exec, -1
; %bb.20891:
	s_or_b64 exec, exec, s[8:9]
	s_and_b64 s[4:5], s[4:5], exec
	s_or_saveexec_b64 s[6:7], s[6:7]
	v_mov_b32_e32 v12, s10
	s_xor_b64 exec, exec, s[6:7]
	s_cbranch_execnz .LBB1_20892
; %bb.56729:
	s_getpc_b64 s[14:15]
.Lpost_getpc14028:
	s_add_u32 s14, s14, (.LBB1_6554-.Lpost_getpc14028)&4294967295
	s_addc_u32 s15, s15, (.LBB1_6554-.Lpost_getpc14028)>>32
	s_setpc_b64 s[14:15]
.LBB1_20892:
	v_mov_b32_e32 v12, 0
	v_cmp_ne_u16_sdwa s[8:9], v6, v12 src0_sel:BYTE_3 src1_sel:DWORD
	s_andn2_b64 s[4:5], s[4:5], exec
	s_and_b64 s[8:9], s[8:9], exec
	s_or_b64 s[4:5], s[4:5], s[8:9]
	s_or_b64 exec, exec, s[6:7]
	s_and_saveexec_b64 s[6:7], s[4:5]
	s_cbranch_execz .LBB1_31949
; %bb.56731:
	s_getpc_b64 s[14:15]
.Lpost_getpc14029:
	s_add_u32 s14, s14, (.LBB1_6555-.Lpost_getpc14029)&4294967295
	s_addc_u32 s15, s15, (.LBB1_6555-.Lpost_getpc14029)>>32
	s_setpc_b64 s[14:15]
.LBB1_31949:
	s_getpc_b64 s[14:15]
.Lpost_getpc1638:
	s_add_u32 s14, s14, (.LBB1_6556-.Lpost_getpc1638)&4294967295
	s_addc_u32 s15, s15, (.LBB1_6556-.Lpost_getpc1638)>>32
	s_setpc_b64 s[14:15]
.LBB1_20893:
	s_movk_i32 s4, 0x80
	v_cmp_eq_u16_sdwa s[12:13], v2, s4 src0_sel:BYTE_3 src1_sel:DWORD
	s_mov_b64 s[4:5], -1
                                        ; implicit-def: $sgpr10
	s_and_saveexec_b64 s[8:9], s[12:13]
; %bb.20894:
	s_mov_b32 s10, 0x7f800001
	s_xor_b64 s[4:5], exec, -1
; %bb.20895:
	s_or_b64 exec, exec, s[8:9]
	s_and_b64 s[4:5], s[4:5], exec
	s_or_saveexec_b64 s[6:7], s[6:7]
	v_mov_b32_e32 v6, s10
	s_xor_b64 exec, exec, s[6:7]
	s_cbranch_execnz .LBB1_20896
; %bb.56733:
	s_getpc_b64 s[14:15]
.Lpost_getpc14030:
	s_add_u32 s14, s14, (.LBB1_6558-.Lpost_getpc14030)&4294967295
	s_addc_u32 s15, s15, (.LBB1_6558-.Lpost_getpc14030)>>32
	s_setpc_b64 s[14:15]
.LBB1_20896:
	v_mov_b32_e32 v6, 0
	v_cmp_ne_u16_sdwa s[8:9], v2, v6 src0_sel:BYTE_3 src1_sel:DWORD
	s_andn2_b64 s[4:5], s[4:5], exec
	s_and_b64 s[8:9], s[8:9], exec
	s_or_b64 s[4:5], s[4:5], s[8:9]
	s_or_b64 exec, exec, s[6:7]
	s_and_saveexec_b64 s[6:7], s[4:5]
	s_cbranch_execz .LBB1_31951
; %bb.56735:
	s_getpc_b64 s[14:15]
.Lpost_getpc14031:
	s_add_u32 s14, s14, (.LBB1_6559-.Lpost_getpc14031)&4294967295
	s_addc_u32 s15, s15, (.LBB1_6559-.Lpost_getpc14031)>>32
	s_setpc_b64 s[14:15]
.LBB1_31951:
	s_getpc_b64 s[14:15]
.Lpost_getpc1639:
	s_add_u32 s14, s14, (.LBB1_6560-.Lpost_getpc1639)&4294967295
	s_addc_u32 s15, s15, (.LBB1_6560-.Lpost_getpc1639)>>32
	s_setpc_b64 s[14:15]
.LBB1_20897:
	s_movk_i32 s4, 0x80
	v_cmp_eq_u16_sdwa s[12:13], v7, s4 src0_sel:BYTE_0 src1_sel:DWORD
	s_mov_b64 s[4:5], -1
                                        ; implicit-def: $sgpr10
	s_and_saveexec_b64 s[8:9], s[12:13]
; %bb.20898:
	s_mov_b32 s10, 0x7f800001
	s_xor_b64 s[4:5], exec, -1
; %bb.20899:
	s_or_b64 exec, exec, s[8:9]
	s_and_b64 s[4:5], s[4:5], exec
	s_or_saveexec_b64 s[6:7], s[6:7]
	v_mov_b32_e32 v2, s10
	s_xor_b64 exec, exec, s[6:7]
	s_cbranch_execnz .LBB1_20900
; %bb.56737:
	s_getpc_b64 s[14:15]
.Lpost_getpc14032:
	s_add_u32 s14, s14, (.LBB1_6562-.Lpost_getpc14032)&4294967295
	s_addc_u32 s15, s15, (.LBB1_6562-.Lpost_getpc14032)>>32
	s_setpc_b64 s[14:15]
.LBB1_20900:
	v_mov_b32_e32 v2, 0
	v_cmp_ne_u16_sdwa s[8:9], v7, v2 src0_sel:BYTE_0 src1_sel:DWORD
	s_andn2_b64 s[4:5], s[4:5], exec
	s_and_b64 s[8:9], s[8:9], exec
	s_or_b64 s[4:5], s[4:5], s[8:9]
	s_or_b64 exec, exec, s[6:7]
	s_and_saveexec_b64 s[6:7], s[4:5]
	s_cbranch_execz .LBB1_31953
; %bb.56739:
	s_getpc_b64 s[14:15]
.Lpost_getpc14033:
	s_add_u32 s14, s14, (.LBB1_6563-.Lpost_getpc14033)&4294967295
	s_addc_u32 s15, s15, (.LBB1_6563-.Lpost_getpc14033)>>32
	s_setpc_b64 s[14:15]
.LBB1_31953:
	s_getpc_b64 s[14:15]
.Lpost_getpc1640:
	s_add_u32 s14, s14, (.LBB1_6564-.Lpost_getpc1640)&4294967295
	s_addc_u32 s15, s15, (.LBB1_6564-.Lpost_getpc1640)>>32
	s_setpc_b64 s[14:15]
.LBB1_20901:
	s_movk_i32 s4, 0x80
	v_cmp_eq_u16_sdwa s[12:13], v3, s4 src0_sel:BYTE_0 src1_sel:DWORD
	s_mov_b64 s[4:5], -1
                                        ; implicit-def: $sgpr10
	s_and_saveexec_b64 s[8:9], s[12:13]
; %bb.20902:
	s_mov_b32 s10, 0x7f800001
	s_xor_b64 s[4:5], exec, -1
; %bb.20903:
	s_or_b64 exec, exec, s[8:9]
	s_and_b64 s[4:5], s[4:5], exec
	s_or_saveexec_b64 s[6:7], s[6:7]
	v_mov_b32_e32 v6, s10
	s_xor_b64 exec, exec, s[6:7]
	s_cbranch_execnz .LBB1_20904
; %bb.56741:
	s_getpc_b64 s[14:15]
.Lpost_getpc14034:
	s_add_u32 s14, s14, (.LBB1_6566-.Lpost_getpc14034)&4294967295
	s_addc_u32 s15, s15, (.LBB1_6566-.Lpost_getpc14034)>>32
	s_setpc_b64 s[14:15]
.LBB1_20904:
	v_mov_b32_e32 v6, 0
	v_cmp_ne_u16_sdwa s[8:9], v3, v6 src0_sel:BYTE_0 src1_sel:DWORD
	s_andn2_b64 s[4:5], s[4:5], exec
	s_and_b64 s[8:9], s[8:9], exec
	s_or_b64 s[4:5], s[4:5], s[8:9]
	s_or_b64 exec, exec, s[6:7]
	s_and_saveexec_b64 s[6:7], s[4:5]
	s_cbranch_execz .LBB1_31955
; %bb.56743:
	s_getpc_b64 s[14:15]
.Lpost_getpc14035:
	s_add_u32 s14, s14, (.LBB1_6567-.Lpost_getpc14035)&4294967295
	s_addc_u32 s15, s15, (.LBB1_6567-.Lpost_getpc14035)>>32
	s_setpc_b64 s[14:15]
.LBB1_31955:
	s_getpc_b64 s[14:15]
.Lpost_getpc1641:
	s_add_u32 s14, s14, (.LBB1_6568-.Lpost_getpc1641)&4294967295
	s_addc_u32 s15, s15, (.LBB1_6568-.Lpost_getpc1641)>>32
	s_setpc_b64 s[14:15]
.LBB1_20905:
	s_movk_i32 s4, 0x80
	v_cmp_eq_u16_sdwa s[12:13], v6, s4 src0_sel:BYTE_0 src1_sel:DWORD
	s_mov_b64 s[4:5], -1
                                        ; implicit-def: $sgpr10
	s_and_saveexec_b64 s[8:9], s[12:13]
; %bb.20906:
	s_mov_b32 s10, 0x7f800001
	s_xor_b64 s[4:5], exec, -1
; %bb.20907:
	s_or_b64 exec, exec, s[8:9]
	s_and_b64 s[4:5], s[4:5], exec
	s_or_saveexec_b64 s[6:7], s[6:7]
	v_mov_b32_e32 v2, s10
	s_xor_b64 exec, exec, s[6:7]
	s_cbranch_execnz .LBB1_20908
; %bb.56745:
	s_getpc_b64 s[14:15]
.Lpost_getpc14036:
	s_add_u32 s14, s14, (.LBB1_6570-.Lpost_getpc14036)&4294967295
	s_addc_u32 s15, s15, (.LBB1_6570-.Lpost_getpc14036)>>32
	s_setpc_b64 s[14:15]
.LBB1_20908:
	v_mov_b32_e32 v2, 0
	v_cmp_ne_u16_sdwa s[8:9], v6, v2 src0_sel:BYTE_0 src1_sel:DWORD
	s_andn2_b64 s[4:5], s[4:5], exec
	s_and_b64 s[8:9], s[8:9], exec
	s_or_b64 s[4:5], s[4:5], s[8:9]
	s_or_b64 exec, exec, s[6:7]
	s_and_saveexec_b64 s[6:7], s[4:5]
	s_cbranch_execz .LBB1_31957
; %bb.56747:
	s_getpc_b64 s[14:15]
.Lpost_getpc14037:
	s_add_u32 s14, s14, (.LBB1_6571-.Lpost_getpc14037)&4294967295
	s_addc_u32 s15, s15, (.LBB1_6571-.Lpost_getpc14037)>>32
	s_setpc_b64 s[14:15]
.LBB1_31957:
	s_getpc_b64 s[14:15]
.Lpost_getpc1642:
	s_add_u32 s14, s14, (.LBB1_6572-.Lpost_getpc1642)&4294967295
	s_addc_u32 s15, s15, (.LBB1_6572-.Lpost_getpc1642)>>32
	s_setpc_b64 s[14:15]
.LBB1_20909:
	s_movk_i32 s4, 0x80
	v_cmp_eq_u16_sdwa s[12:13], v6, s4 src0_sel:BYTE_0 src1_sel:DWORD
	s_mov_b64 s[4:5], -1
                                        ; implicit-def: $sgpr10
	s_and_saveexec_b64 s[8:9], s[12:13]
; %bb.20910:
	s_mov_b32 s10, 0x7f800001
	s_xor_b64 s[4:5], exec, -1
; %bb.20911:
	s_or_b64 exec, exec, s[8:9]
	s_and_b64 s[4:5], s[4:5], exec
	s_or_saveexec_b64 s[6:7], s[6:7]
	v_mov_b32_e32 v12, s10
	s_xor_b64 exec, exec, s[6:7]
	s_cbranch_execnz .LBB1_20912
; %bb.56749:
	s_getpc_b64 s[14:15]
.Lpost_getpc14038:
	s_add_u32 s14, s14, (.LBB1_6574-.Lpost_getpc14038)&4294967295
	s_addc_u32 s15, s15, (.LBB1_6574-.Lpost_getpc14038)>>32
	s_setpc_b64 s[14:15]
.LBB1_20912:
	v_mov_b32_e32 v12, 0
	v_cmp_ne_u16_sdwa s[8:9], v6, v12 src0_sel:BYTE_0 src1_sel:DWORD
	s_andn2_b64 s[4:5], s[4:5], exec
	s_and_b64 s[8:9], s[8:9], exec
	s_or_b64 s[4:5], s[4:5], s[8:9]
	s_or_b64 exec, exec, s[6:7]
	s_and_saveexec_b64 s[6:7], s[4:5]
	s_cbranch_execz .LBB1_31959
; %bb.56751:
	s_getpc_b64 s[14:15]
.Lpost_getpc14039:
	s_add_u32 s14, s14, (.LBB1_6575-.Lpost_getpc14039)&4294967295
	s_addc_u32 s15, s15, (.LBB1_6575-.Lpost_getpc14039)>>32
	s_setpc_b64 s[14:15]
.LBB1_31959:
	s_getpc_b64 s[14:15]
.Lpost_getpc1643:
	s_add_u32 s14, s14, (.LBB1_6576-.Lpost_getpc1643)&4294967295
	s_addc_u32 s15, s15, (.LBB1_6576-.Lpost_getpc1643)>>32
	s_setpc_b64 s[14:15]
.LBB1_20913:
	s_movk_i32 s4, 0x80
	v_cmp_eq_u16_e32 vcc, s4, v6
	s_mov_b64 s[4:5], -1
                                        ; implicit-def: $sgpr10
	s_and_saveexec_b64 s[8:9], vcc
; %bb.20914:
	s_mov_b32 s10, 0x7f800001
	s_xor_b64 s[4:5], exec, -1
; %bb.20915:
	s_or_b64 exec, exec, s[8:9]
	s_and_b64 s[4:5], s[4:5], exec
                                        ; implicit-def: $vgpr6
	s_or_saveexec_b64 s[6:7], s[6:7]
	v_mov_b32_e32 v2, s10
	s_xor_b64 exec, exec, s[6:7]
	s_cbranch_execnz .LBB1_20916
; %bb.56753:
	s_getpc_b64 s[14:15]
.Lpost_getpc14040:
	s_add_u32 s14, s14, (.LBB1_6578-.Lpost_getpc14040)&4294967295
	s_addc_u32 s15, s15, (.LBB1_6578-.Lpost_getpc14040)>>32
	s_setpc_b64 s[14:15]
.LBB1_20916:
	v_cmp_ne_u16_e32 vcc, 0, v6
	s_andn2_b64 s[4:5], s[4:5], exec
	s_and_b64 s[8:9], vcc, exec
	v_mov_b32_e32 v2, 0
	s_or_b64 s[4:5], s[4:5], s[8:9]
	s_or_b64 exec, exec, s[6:7]
	s_and_saveexec_b64 s[6:7], s[4:5]
	s_cbranch_execz .LBB1_31961
; %bb.56755:
	s_getpc_b64 s[14:15]
.Lpost_getpc14041:
	s_add_u32 s14, s14, (.LBB1_6579-.Lpost_getpc14041)&4294967295
	s_addc_u32 s15, s15, (.LBB1_6579-.Lpost_getpc14041)>>32
	s_setpc_b64 s[14:15]
.LBB1_31961:
	s_getpc_b64 s[14:15]
.Lpost_getpc1644:
	s_add_u32 s14, s14, (.LBB1_6580-.Lpost_getpc1644)&4294967295
	s_addc_u32 s15, s15, (.LBB1_6580-.Lpost_getpc1644)>>32
	s_setpc_b64 s[14:15]
.LBB1_20917:
	s_movk_i32 s4, 0x80
	v_cmp_eq_u16_e32 vcc, s4, v6
	s_mov_b64 s[4:5], -1
                                        ; implicit-def: $sgpr10
	s_and_saveexec_b64 s[8:9], vcc
; %bb.20918:
	s_mov_b32 s10, 0x7f800001
	s_xor_b64 s[4:5], exec, -1
; %bb.20919:
	s_or_b64 exec, exec, s[8:9]
	s_and_b64 s[4:5], s[4:5], exec
                                        ; implicit-def: $vgpr6
	s_or_saveexec_b64 s[6:7], s[6:7]
	v_mov_b32_e32 v12, s10
	s_xor_b64 exec, exec, s[6:7]
	s_cbranch_execnz .LBB1_20920
; %bb.56757:
	s_getpc_b64 s[14:15]
.Lpost_getpc14042:
	s_add_u32 s14, s14, (.LBB1_6582-.Lpost_getpc14042)&4294967295
	s_addc_u32 s15, s15, (.LBB1_6582-.Lpost_getpc14042)>>32
	s_setpc_b64 s[14:15]
.LBB1_20920:
	v_cmp_ne_u16_e32 vcc, 0, v6
	s_andn2_b64 s[4:5], s[4:5], exec
	s_and_b64 s[8:9], vcc, exec
	v_mov_b32_e32 v12, 0
	s_or_b64 s[4:5], s[4:5], s[8:9]
	s_or_b64 exec, exec, s[6:7]
	s_and_saveexec_b64 s[6:7], s[4:5]
	s_cbranch_execz .LBB1_31963
; %bb.56759:
	s_getpc_b64 s[14:15]
.Lpost_getpc14043:
	s_add_u32 s14, s14, (.LBB1_6583-.Lpost_getpc14043)&4294967295
	s_addc_u32 s15, s15, (.LBB1_6583-.Lpost_getpc14043)>>32
	s_setpc_b64 s[14:15]
.LBB1_31963:
	s_getpc_b64 s[14:15]
.Lpost_getpc1645:
	s_add_u32 s14, s14, (.LBB1_6584-.Lpost_getpc1645)&4294967295
	s_addc_u32 s15, s15, (.LBB1_6584-.Lpost_getpc1645)>>32
	s_setpc_b64 s[14:15]
.LBB1_20921:
	s_movk_i32 s4, 0x80
	v_cmp_eq_u16_sdwa s[12:13], v7, s4 src0_sel:BYTE_3 src1_sel:DWORD
	s_mov_b64 s[4:5], -1
                                        ; implicit-def: $sgpr10
	s_and_saveexec_b64 s[8:9], s[12:13]
; %bb.20922:
	s_mov_b32 s10, 0x7f800001
	s_xor_b64 s[4:5], exec, -1
; %bb.20923:
	s_or_b64 exec, exec, s[8:9]
	s_and_b64 s[4:5], s[4:5], exec
	s_or_saveexec_b64 s[6:7], s[6:7]
	v_mov_b32_e32 v2, s10
	s_xor_b64 exec, exec, s[6:7]
	s_cbranch_execnz .LBB1_20924
; %bb.56761:
	s_getpc_b64 s[14:15]
.Lpost_getpc14044:
	s_add_u32 s14, s14, (.LBB1_6586-.Lpost_getpc14044)&4294967295
	s_addc_u32 s15, s15, (.LBB1_6586-.Lpost_getpc14044)>>32
	s_setpc_b64 s[14:15]
.LBB1_20924:
	v_mov_b32_e32 v2, 0
	v_cmp_ne_u16_sdwa s[8:9], v7, v2 src0_sel:BYTE_3 src1_sel:DWORD
	s_andn2_b64 s[4:5], s[4:5], exec
	s_and_b64 s[8:9], s[8:9], exec
	s_or_b64 s[4:5], s[4:5], s[8:9]
	s_or_b64 exec, exec, s[6:7]
	s_and_saveexec_b64 s[6:7], s[4:5]
	s_cbranch_execz .LBB1_31965
; %bb.56763:
	s_getpc_b64 s[14:15]
.Lpost_getpc14045:
	s_add_u32 s14, s14, (.LBB1_6587-.Lpost_getpc14045)&4294967295
	s_addc_u32 s15, s15, (.LBB1_6587-.Lpost_getpc14045)>>32
	s_setpc_b64 s[14:15]
.LBB1_31965:
	s_getpc_b64 s[14:15]
.Lpost_getpc1646:
	s_add_u32 s14, s14, (.LBB1_6588-.Lpost_getpc1646)&4294967295
	s_addc_u32 s15, s15, (.LBB1_6588-.Lpost_getpc1646)>>32
	s_setpc_b64 s[14:15]
.LBB1_20925:
	s_movk_i32 s4, 0x80
	v_cmp_eq_u16_sdwa s[12:13], v3, s4 src0_sel:BYTE_3 src1_sel:DWORD
	s_mov_b64 s[4:5], -1
                                        ; implicit-def: $sgpr10
	s_and_saveexec_b64 s[8:9], s[12:13]
; %bb.20926:
	s_mov_b32 s10, 0x7f800001
	s_xor_b64 s[4:5], exec, -1
; %bb.20927:
	s_or_b64 exec, exec, s[8:9]
	s_and_b64 s[4:5], s[4:5], exec
	s_or_saveexec_b64 s[6:7], s[6:7]
	v_mov_b32_e32 v6, s10
	s_xor_b64 exec, exec, s[6:7]
	s_cbranch_execnz .LBB1_20928
; %bb.56765:
	s_getpc_b64 s[14:15]
.Lpost_getpc14046:
	s_add_u32 s14, s14, (.LBB1_6590-.Lpost_getpc14046)&4294967295
	s_addc_u32 s15, s15, (.LBB1_6590-.Lpost_getpc14046)>>32
	s_setpc_b64 s[14:15]
.LBB1_20928:
	v_mov_b32_e32 v6, 0
	v_cmp_ne_u16_sdwa s[8:9], v3, v6 src0_sel:BYTE_3 src1_sel:DWORD
	s_andn2_b64 s[4:5], s[4:5], exec
	s_and_b64 s[8:9], s[8:9], exec
	s_or_b64 s[4:5], s[4:5], s[8:9]
	s_or_b64 exec, exec, s[6:7]
	s_and_saveexec_b64 s[6:7], s[4:5]
	s_cbranch_execz .LBB1_31967
; %bb.56767:
	s_getpc_b64 s[14:15]
.Lpost_getpc14047:
	s_add_u32 s14, s14, (.LBB1_6591-.Lpost_getpc14047)&4294967295
	s_addc_u32 s15, s15, (.LBB1_6591-.Lpost_getpc14047)>>32
	s_setpc_b64 s[14:15]
.LBB1_31967:
	s_getpc_b64 s[14:15]
.Lpost_getpc1647:
	s_add_u32 s14, s14, (.LBB1_6592-.Lpost_getpc1647)&4294967295
	s_addc_u32 s15, s15, (.LBB1_6592-.Lpost_getpc1647)>>32
	s_setpc_b64 s[14:15]
.LBB1_20929:
	s_movk_i32 s4, 0x80
	v_cmp_eq_u16_sdwa s[12:13], v8, s4 src0_sel:BYTE_0 src1_sel:DWORD
	s_mov_b64 s[4:5], -1
                                        ; implicit-def: $sgpr10
	s_and_saveexec_b64 s[8:9], s[12:13]
; %bb.20930:
	s_mov_b32 s10, 0x7f800001
	s_xor_b64 s[4:5], exec, -1
; %bb.20931:
	s_or_b64 exec, exec, s[8:9]
	s_and_b64 s[4:5], s[4:5], exec
	s_or_saveexec_b64 s[6:7], s[6:7]
	v_mov_b32_e32 v2, s10
	s_xor_b64 exec, exec, s[6:7]
	s_cbranch_execnz .LBB1_20932
; %bb.56769:
	s_getpc_b64 s[14:15]
.Lpost_getpc14048:
	s_add_u32 s14, s14, (.LBB1_6594-.Lpost_getpc14048)&4294967295
	s_addc_u32 s15, s15, (.LBB1_6594-.Lpost_getpc14048)>>32
	s_setpc_b64 s[14:15]
.LBB1_20932:
	v_mov_b32_e32 v2, 0
	v_cmp_ne_u16_sdwa s[8:9], v8, v2 src0_sel:BYTE_0 src1_sel:DWORD
	s_andn2_b64 s[4:5], s[4:5], exec
	s_and_b64 s[8:9], s[8:9], exec
	s_or_b64 s[4:5], s[4:5], s[8:9]
	s_or_b64 exec, exec, s[6:7]
	s_and_saveexec_b64 s[6:7], s[4:5]
	s_cbranch_execz .LBB1_31969
; %bb.56771:
	s_getpc_b64 s[14:15]
.Lpost_getpc14049:
	s_add_u32 s14, s14, (.LBB1_6595-.Lpost_getpc14049)&4294967295
	s_addc_u32 s15, s15, (.LBB1_6595-.Lpost_getpc14049)>>32
	s_setpc_b64 s[14:15]
.LBB1_31969:
	s_getpc_b64 s[14:15]
.Lpost_getpc1648:
	s_add_u32 s14, s14, (.LBB1_6596-.Lpost_getpc1648)&4294967295
	s_addc_u32 s15, s15, (.LBB1_6596-.Lpost_getpc1648)>>32
	s_setpc_b64 s[14:15]
.LBB1_20933:
	s_movk_i32 s4, 0x80
	v_cmp_eq_u16_sdwa s[12:13], v4, s4 src0_sel:BYTE_0 src1_sel:DWORD
	s_mov_b64 s[4:5], -1
                                        ; implicit-def: $sgpr10
	s_and_saveexec_b64 s[8:9], s[12:13]
; %bb.20934:
	s_mov_b32 s10, 0x7f800001
	s_xor_b64 s[4:5], exec, -1
; %bb.20935:
	s_or_b64 exec, exec, s[8:9]
	s_and_b64 s[4:5], s[4:5], exec
	s_or_saveexec_b64 s[6:7], s[6:7]
	v_mov_b32_e32 v3, s10
	s_xor_b64 exec, exec, s[6:7]
	s_cbranch_execnz .LBB1_20936
; %bb.56773:
	s_getpc_b64 s[14:15]
.Lpost_getpc14050:
	s_add_u32 s14, s14, (.LBB1_6598-.Lpost_getpc14050)&4294967295
	s_addc_u32 s15, s15, (.LBB1_6598-.Lpost_getpc14050)>>32
	s_setpc_b64 s[14:15]
.LBB1_20936:
	v_mov_b32_e32 v3, 0
	v_cmp_ne_u16_sdwa s[8:9], v4, v3 src0_sel:BYTE_0 src1_sel:DWORD
	s_andn2_b64 s[4:5], s[4:5], exec
	s_and_b64 s[8:9], s[8:9], exec
	s_or_b64 s[4:5], s[4:5], s[8:9]
	s_or_b64 exec, exec, s[6:7]
	s_and_saveexec_b64 s[6:7], s[4:5]
	s_cbranch_execz .LBB1_31971
; %bb.56775:
	s_getpc_b64 s[14:15]
.Lpost_getpc14051:
	s_add_u32 s14, s14, (.LBB1_6599-.Lpost_getpc14051)&4294967295
	s_addc_u32 s15, s15, (.LBB1_6599-.Lpost_getpc14051)>>32
	s_setpc_b64 s[14:15]
.LBB1_31971:
	s_getpc_b64 s[14:15]
.Lpost_getpc1649:
	s_add_u32 s14, s14, (.LBB1_6600-.Lpost_getpc1649)&4294967295
	s_addc_u32 s15, s15, (.LBB1_6600-.Lpost_getpc1649)>>32
	s_setpc_b64 s[14:15]
.LBB1_20937:
	s_movk_i32 s4, 0x80
	v_cmp_eq_u16_sdwa s[12:13], v3, s4 src0_sel:BYTE_0 src1_sel:DWORD
	s_mov_b64 s[4:5], -1
                                        ; implicit-def: $sgpr10
	s_and_saveexec_b64 s[8:9], s[12:13]
; %bb.20938:
	s_mov_b32 s10, 0x7f800001
	s_xor_b64 s[4:5], exec, -1
; %bb.20939:
	s_or_b64 exec, exec, s[8:9]
	s_and_b64 s[4:5], s[4:5], exec
	s_or_saveexec_b64 s[6:7], s[6:7]
	v_mov_b32_e32 v2, s10
	s_xor_b64 exec, exec, s[6:7]
	s_cbranch_execnz .LBB1_20940
; %bb.56777:
	s_getpc_b64 s[14:15]
.Lpost_getpc14052:
	s_add_u32 s14, s14, (.LBB1_6602-.Lpost_getpc14052)&4294967295
	s_addc_u32 s15, s15, (.LBB1_6602-.Lpost_getpc14052)>>32
	s_setpc_b64 s[14:15]
.LBB1_20940:
	v_mov_b32_e32 v2, 0
	v_cmp_ne_u16_sdwa s[8:9], v3, v2 src0_sel:BYTE_0 src1_sel:DWORD
	s_andn2_b64 s[4:5], s[4:5], exec
	s_and_b64 s[8:9], s[8:9], exec
	s_or_b64 s[4:5], s[4:5], s[8:9]
	s_or_b64 exec, exec, s[6:7]
	s_and_saveexec_b64 s[6:7], s[4:5]
	s_cbranch_execz .LBB1_31973
; %bb.56779:
	s_getpc_b64 s[14:15]
.Lpost_getpc14053:
	s_add_u32 s14, s14, (.LBB1_6603-.Lpost_getpc14053)&4294967295
	s_addc_u32 s15, s15, (.LBB1_6603-.Lpost_getpc14053)>>32
	s_setpc_b64 s[14:15]
.LBB1_31973:
	s_getpc_b64 s[14:15]
.Lpost_getpc1650:
	s_add_u32 s14, s14, (.LBB1_6604-.Lpost_getpc1650)&4294967295
	s_addc_u32 s15, s15, (.LBB1_6604-.Lpost_getpc1650)>>32
	s_setpc_b64 s[14:15]
.LBB1_20941:
	s_movk_i32 s4, 0x80
	v_cmp_eq_u16_sdwa s[12:13], v3, s4 src0_sel:BYTE_0 src1_sel:DWORD
	s_mov_b64 s[4:5], -1
                                        ; implicit-def: $sgpr10
	s_and_saveexec_b64 s[8:9], s[12:13]
; %bb.20942:
	s_mov_b32 s10, 0x7f800001
	s_xor_b64 s[4:5], exec, -1
; %bb.20943:
	s_or_b64 exec, exec, s[8:9]
	s_and_b64 s[4:5], s[4:5], exec
	s_or_saveexec_b64 s[6:7], s[6:7]
	v_mov_b32_e32 v6, s10
	s_xor_b64 exec, exec, s[6:7]
	s_cbranch_execnz .LBB1_20944
; %bb.56781:
	s_getpc_b64 s[14:15]
.Lpost_getpc14054:
	s_add_u32 s14, s14, (.LBB1_6606-.Lpost_getpc14054)&4294967295
	s_addc_u32 s15, s15, (.LBB1_6606-.Lpost_getpc14054)>>32
	s_setpc_b64 s[14:15]
.LBB1_20944:
	v_mov_b32_e32 v6, 0
	v_cmp_ne_u16_sdwa s[8:9], v3, v6 src0_sel:BYTE_0 src1_sel:DWORD
	s_andn2_b64 s[4:5], s[4:5], exec
	s_and_b64 s[8:9], s[8:9], exec
	s_or_b64 s[4:5], s[4:5], s[8:9]
	s_or_b64 exec, exec, s[6:7]
	s_and_saveexec_b64 s[6:7], s[4:5]
	s_cbranch_execz .LBB1_31975
; %bb.56783:
	s_getpc_b64 s[14:15]
.Lpost_getpc14055:
	s_add_u32 s14, s14, (.LBB1_6607-.Lpost_getpc14055)&4294967295
	s_addc_u32 s15, s15, (.LBB1_6607-.Lpost_getpc14055)>>32
	s_setpc_b64 s[14:15]
.LBB1_31975:
	s_getpc_b64 s[14:15]
.Lpost_getpc1651:
	s_add_u32 s14, s14, (.LBB1_6608-.Lpost_getpc1651)&4294967295
	s_addc_u32 s15, s15, (.LBB1_6608-.Lpost_getpc1651)>>32
	s_setpc_b64 s[14:15]
.LBB1_20945:
	s_movk_i32 s4, 0x80
	v_cmp_eq_u16_e32 vcc, s4, v3
	s_mov_b64 s[4:5], -1
                                        ; implicit-def: $sgpr10
	s_and_saveexec_b64 s[8:9], vcc
; %bb.20946:
	s_mov_b32 s10, 0x7f800001
	s_xor_b64 s[4:5], exec, -1
; %bb.20947:
	s_or_b64 exec, exec, s[8:9]
	s_and_b64 s[4:5], s[4:5], exec
                                        ; implicit-def: $vgpr3
	s_or_saveexec_b64 s[6:7], s[6:7]
	v_mov_b32_e32 v2, s10
	s_xor_b64 exec, exec, s[6:7]
	s_cbranch_execnz .LBB1_20948
; %bb.56785:
	s_getpc_b64 s[14:15]
.Lpost_getpc14056:
	s_add_u32 s14, s14, (.LBB1_6610-.Lpost_getpc14056)&4294967295
	s_addc_u32 s15, s15, (.LBB1_6610-.Lpost_getpc14056)>>32
	s_setpc_b64 s[14:15]
.LBB1_20948:
	v_cmp_ne_u16_e32 vcc, 0, v3
	s_andn2_b64 s[4:5], s[4:5], exec
	s_and_b64 s[8:9], vcc, exec
	v_mov_b32_e32 v2, 0
	s_or_b64 s[4:5], s[4:5], s[8:9]
	s_or_b64 exec, exec, s[6:7]
	s_and_saveexec_b64 s[6:7], s[4:5]
	s_cbranch_execz .LBB1_31977
; %bb.56787:
	s_getpc_b64 s[14:15]
.Lpost_getpc14057:
	s_add_u32 s14, s14, (.LBB1_6611-.Lpost_getpc14057)&4294967295
	s_addc_u32 s15, s15, (.LBB1_6611-.Lpost_getpc14057)>>32
	s_setpc_b64 s[14:15]
.LBB1_31977:
	s_getpc_b64 s[14:15]
.Lpost_getpc1652:
	s_add_u32 s14, s14, (.LBB1_6612-.Lpost_getpc1652)&4294967295
	s_addc_u32 s15, s15, (.LBB1_6612-.Lpost_getpc1652)>>32
	s_setpc_b64 s[14:15]
.LBB1_20949:
	s_movk_i32 s4, 0x80
	v_cmp_eq_u16_e32 vcc, s4, v3
	s_mov_b64 s[4:5], -1
                                        ; implicit-def: $sgpr10
	s_and_saveexec_b64 s[8:9], vcc
; %bb.20950:
	s_mov_b32 s10, 0x7f800001
	s_xor_b64 s[4:5], exec, -1
; %bb.20951:
	s_or_b64 exec, exec, s[8:9]
	s_and_b64 s[4:5], s[4:5], exec
                                        ; implicit-def: $vgpr3
	s_or_saveexec_b64 s[6:7], s[6:7]
	v_mov_b32_e32 v6, s10
	s_xor_b64 exec, exec, s[6:7]
	s_cbranch_execnz .LBB1_20952
; %bb.56789:
	s_getpc_b64 s[14:15]
.Lpost_getpc14058:
	s_add_u32 s14, s14, (.LBB1_6614-.Lpost_getpc14058)&4294967295
	s_addc_u32 s15, s15, (.LBB1_6614-.Lpost_getpc14058)>>32
	s_setpc_b64 s[14:15]
.LBB1_20952:
	v_cmp_ne_u16_e32 vcc, 0, v3
	s_andn2_b64 s[4:5], s[4:5], exec
	s_and_b64 s[8:9], vcc, exec
	v_mov_b32_e32 v6, 0
	s_or_b64 s[4:5], s[4:5], s[8:9]
	s_or_b64 exec, exec, s[6:7]
	s_and_saveexec_b64 s[6:7], s[4:5]
	s_cbranch_execz .LBB1_31979
; %bb.56791:
	s_getpc_b64 s[14:15]
.Lpost_getpc14059:
	s_add_u32 s14, s14, (.LBB1_6615-.Lpost_getpc14059)&4294967295
	s_addc_u32 s15, s15, (.LBB1_6615-.Lpost_getpc14059)>>32
	s_setpc_b64 s[14:15]
.LBB1_31979:
	s_getpc_b64 s[14:15]
.Lpost_getpc1653:
	s_add_u32 s14, s14, (.LBB1_6616-.Lpost_getpc1653)&4294967295
	s_addc_u32 s15, s15, (.LBB1_6616-.Lpost_getpc1653)>>32
	s_setpc_b64 s[14:15]
.LBB1_20953:
	s_movk_i32 s4, 0x80
	v_cmp_eq_u16_sdwa s[12:13], v8, s4 src0_sel:BYTE_3 src1_sel:DWORD
	s_mov_b64 s[4:5], -1
                                        ; implicit-def: $sgpr10
	s_and_saveexec_b64 s[8:9], s[12:13]
; %bb.20954:
	s_mov_b32 s10, 0x7f800001
	s_xor_b64 s[4:5], exec, -1
; %bb.20955:
	s_or_b64 exec, exec, s[8:9]
	s_and_b64 s[4:5], s[4:5], exec
	s_or_saveexec_b64 s[6:7], s[6:7]
	v_mov_b32_e32 v2, s10
	s_xor_b64 exec, exec, s[6:7]
	s_cbranch_execnz .LBB1_20956
; %bb.56793:
	s_getpc_b64 s[14:15]
.Lpost_getpc14060:
	s_add_u32 s14, s14, (.LBB1_6618-.Lpost_getpc14060)&4294967295
	s_addc_u32 s15, s15, (.LBB1_6618-.Lpost_getpc14060)>>32
	s_setpc_b64 s[14:15]
.LBB1_20956:
	v_mov_b32_e32 v2, 0
	v_cmp_ne_u16_sdwa s[8:9], v8, v2 src0_sel:BYTE_3 src1_sel:DWORD
	s_andn2_b64 s[4:5], s[4:5], exec
	s_and_b64 s[8:9], s[8:9], exec
	s_or_b64 s[4:5], s[4:5], s[8:9]
	s_or_b64 exec, exec, s[6:7]
	s_and_saveexec_b64 s[6:7], s[4:5]
	s_cbranch_execz .LBB1_31981
; %bb.56795:
	s_getpc_b64 s[14:15]
.Lpost_getpc14061:
	s_add_u32 s14, s14, (.LBB1_6619-.Lpost_getpc14061)&4294967295
	s_addc_u32 s15, s15, (.LBB1_6619-.Lpost_getpc14061)>>32
	s_setpc_b64 s[14:15]
.LBB1_31981:
	s_getpc_b64 s[14:15]
.Lpost_getpc1654:
	s_add_u32 s14, s14, (.LBB1_6620-.Lpost_getpc1654)&4294967295
	s_addc_u32 s15, s15, (.LBB1_6620-.Lpost_getpc1654)>>32
	s_setpc_b64 s[14:15]
.LBB1_20957:
	s_movk_i32 s4, 0x80
	v_cmp_eq_u16_sdwa s[12:13], v4, s4 src0_sel:BYTE_3 src1_sel:DWORD
	s_mov_b64 s[4:5], -1
                                        ; implicit-def: $sgpr10
	s_and_saveexec_b64 s[8:9], s[12:13]
; %bb.20958:
	s_mov_b32 s10, 0x7f800001
	s_xor_b64 s[4:5], exec, -1
; %bb.20959:
	s_or_b64 exec, exec, s[8:9]
	s_and_b64 s[4:5], s[4:5], exec
	s_or_saveexec_b64 s[6:7], s[6:7]
	v_mov_b32_e32 v3, s10
	s_xor_b64 exec, exec, s[6:7]
	s_cbranch_execnz .LBB1_20960
; %bb.56797:
	s_getpc_b64 s[14:15]
.Lpost_getpc14062:
	s_add_u32 s14, s14, (.LBB1_6622-.Lpost_getpc14062)&4294967295
	s_addc_u32 s15, s15, (.LBB1_6622-.Lpost_getpc14062)>>32
	s_setpc_b64 s[14:15]
.LBB1_20960:
	v_mov_b32_e32 v3, 0
	v_cmp_ne_u16_sdwa s[8:9], v4, v3 src0_sel:BYTE_3 src1_sel:DWORD
	s_andn2_b64 s[4:5], s[4:5], exec
	s_and_b64 s[8:9], s[8:9], exec
	s_or_b64 s[4:5], s[4:5], s[8:9]
	s_or_b64 exec, exec, s[6:7]
	s_and_saveexec_b64 s[6:7], s[4:5]
	s_cbranch_execz .LBB1_31983
; %bb.56799:
	s_getpc_b64 s[14:15]
.Lpost_getpc14063:
	s_add_u32 s14, s14, (.LBB1_6623-.Lpost_getpc14063)&4294967295
	s_addc_u32 s15, s15, (.LBB1_6623-.Lpost_getpc14063)>>32
	s_setpc_b64 s[14:15]
.LBB1_31983:
	s_getpc_b64 s[14:15]
.Lpost_getpc1655:
	s_add_u32 s14, s14, (.LBB1_6624-.Lpost_getpc1655)&4294967295
	s_addc_u32 s15, s15, (.LBB1_6624-.Lpost_getpc1655)>>32
	s_setpc_b64 s[14:15]
.LBB1_20961:
	s_movk_i32 s4, 0x80
	v_cmp_eq_u16_sdwa s[12:13], v9, s4 src0_sel:BYTE_0 src1_sel:DWORD
	s_mov_b64 s[4:5], -1
                                        ; implicit-def: $sgpr10
	s_and_saveexec_b64 s[8:9], s[12:13]
; %bb.20962:
	s_mov_b32 s10, 0x7f800001
	s_xor_b64 s[4:5], exec, -1
; %bb.20963:
	s_or_b64 exec, exec, s[8:9]
	s_and_b64 s[4:5], s[4:5], exec
	s_or_saveexec_b64 s[6:7], s[6:7]
	v_mov_b32_e32 v2, s10
	s_xor_b64 exec, exec, s[6:7]
	s_cbranch_execnz .LBB1_20964
; %bb.56801:
	s_getpc_b64 s[14:15]
.Lpost_getpc14064:
	s_add_u32 s14, s14, (.LBB1_6626-.Lpost_getpc14064)&4294967295
	s_addc_u32 s15, s15, (.LBB1_6626-.Lpost_getpc14064)>>32
	s_setpc_b64 s[14:15]
.LBB1_20964:
	v_mov_b32_e32 v2, 0
	v_cmp_ne_u16_sdwa s[8:9], v9, v2 src0_sel:BYTE_0 src1_sel:DWORD
	s_andn2_b64 s[4:5], s[4:5], exec
	s_and_b64 s[8:9], s[8:9], exec
	s_or_b64 s[4:5], s[4:5], s[8:9]
	s_or_b64 exec, exec, s[6:7]
	s_and_saveexec_b64 s[6:7], s[4:5]
	s_cbranch_execz .LBB1_31985
; %bb.56803:
	s_getpc_b64 s[14:15]
.Lpost_getpc14065:
	s_add_u32 s14, s14, (.LBB1_6627-.Lpost_getpc14065)&4294967295
	s_addc_u32 s15, s15, (.LBB1_6627-.Lpost_getpc14065)>>32
	s_setpc_b64 s[14:15]
.LBB1_31985:
	s_getpc_b64 s[14:15]
.Lpost_getpc1656:
	s_add_u32 s14, s14, (.LBB1_6628-.Lpost_getpc1656)&4294967295
	s_addc_u32 s15, s15, (.LBB1_6628-.Lpost_getpc1656)>>32
	s_setpc_b64 s[14:15]
.LBB1_20965:
	s_movk_i32 s4, 0x80
	v_cmp_eq_u16_sdwa s[12:13], v5, s4 src0_sel:BYTE_0 src1_sel:DWORD
	s_mov_b64 s[4:5], -1
                                        ; implicit-def: $sgpr10
	s_and_saveexec_b64 s[8:9], s[12:13]
; %bb.20966:
	s_mov_b32 s10, 0x7f800001
	s_xor_b64 s[4:5], exec, -1
; %bb.20967:
	s_or_b64 exec, exec, s[8:9]
	s_and_b64 s[4:5], s[4:5], exec
	s_or_saveexec_b64 s[6:7], s[6:7]
	v_mov_b32_e32 v3, s10
	s_xor_b64 exec, exec, s[6:7]
	s_cbranch_execnz .LBB1_20968
; %bb.56805:
	s_getpc_b64 s[14:15]
.Lpost_getpc14066:
	s_add_u32 s14, s14, (.LBB1_6630-.Lpost_getpc14066)&4294967295
	s_addc_u32 s15, s15, (.LBB1_6630-.Lpost_getpc14066)>>32
	s_setpc_b64 s[14:15]
.LBB1_20968:
	v_mov_b32_e32 v3, 0
	v_cmp_ne_u16_sdwa s[8:9], v5, v3 src0_sel:BYTE_0 src1_sel:DWORD
	s_andn2_b64 s[4:5], s[4:5], exec
	s_and_b64 s[8:9], s[8:9], exec
	s_or_b64 s[4:5], s[4:5], s[8:9]
	s_or_b64 exec, exec, s[6:7]
	s_and_saveexec_b64 s[6:7], s[4:5]
	s_cbranch_execz .LBB1_31987
; %bb.56807:
	s_getpc_b64 s[14:15]
.Lpost_getpc14067:
	s_add_u32 s14, s14, (.LBB1_6631-.Lpost_getpc14067)&4294967295
	s_addc_u32 s15, s15, (.LBB1_6631-.Lpost_getpc14067)>>32
	s_setpc_b64 s[14:15]
.LBB1_31987:
	s_getpc_b64 s[14:15]
.Lpost_getpc1657:
	s_add_u32 s14, s14, (.LBB1_6632-.Lpost_getpc1657)&4294967295
	s_addc_u32 s15, s15, (.LBB1_6632-.Lpost_getpc1657)>>32
	s_setpc_b64 s[14:15]
.LBB1_20969:
	s_movk_i32 s4, 0x80
	v_cmp_eq_u16_sdwa s[12:13], v3, s4 src0_sel:BYTE_0 src1_sel:DWORD
	s_mov_b64 s[4:5], -1
                                        ; implicit-def: $sgpr10
	s_and_saveexec_b64 s[8:9], s[12:13]
; %bb.20970:
	s_mov_b32 s10, 0x7f800001
	s_xor_b64 s[4:5], exec, -1
; %bb.20971:
	s_or_b64 exec, exec, s[8:9]
	s_and_b64 s[4:5], s[4:5], exec
	s_or_saveexec_b64 s[6:7], s[6:7]
	v_mov_b32_e32 v2, s10
	s_xor_b64 exec, exec, s[6:7]
	s_cbranch_execnz .LBB1_20972
; %bb.56809:
	s_getpc_b64 s[14:15]
.Lpost_getpc14068:
	s_add_u32 s14, s14, (.LBB1_6634-.Lpost_getpc14068)&4294967295
	s_addc_u32 s15, s15, (.LBB1_6634-.Lpost_getpc14068)>>32
	s_setpc_b64 s[14:15]
.LBB1_20972:
	v_mov_b32_e32 v2, 0
	v_cmp_ne_u16_sdwa s[8:9], v3, v2 src0_sel:BYTE_0 src1_sel:DWORD
	s_andn2_b64 s[4:5], s[4:5], exec
	s_and_b64 s[8:9], s[8:9], exec
	s_or_b64 s[4:5], s[4:5], s[8:9]
	s_or_b64 exec, exec, s[6:7]
	s_and_saveexec_b64 s[6:7], s[4:5]
	s_cbranch_execz .LBB1_31989
; %bb.56811:
	s_getpc_b64 s[14:15]
.Lpost_getpc14069:
	s_add_u32 s14, s14, (.LBB1_6635-.Lpost_getpc14069)&4294967295
	s_addc_u32 s15, s15, (.LBB1_6635-.Lpost_getpc14069)>>32
	s_setpc_b64 s[14:15]
.LBB1_31989:
	s_getpc_b64 s[14:15]
.Lpost_getpc1658:
	s_add_u32 s14, s14, (.LBB1_6636-.Lpost_getpc1658)&4294967295
	s_addc_u32 s15, s15, (.LBB1_6636-.Lpost_getpc1658)>>32
	s_setpc_b64 s[14:15]
.LBB1_20973:
	s_movk_i32 s4, 0x80
	v_cmp_eq_u16_sdwa s[12:13], v3, s4 src0_sel:BYTE_0 src1_sel:DWORD
	s_mov_b64 s[4:5], -1
                                        ; implicit-def: $sgpr10
	s_and_saveexec_b64 s[8:9], s[12:13]
; %bb.20974:
	s_mov_b32 s10, 0x7f800001
	s_xor_b64 s[4:5], exec, -1
; %bb.20975:
	s_or_b64 exec, exec, s[8:9]
	s_and_b64 s[4:5], s[4:5], exec
	s_or_saveexec_b64 s[6:7], s[6:7]
	v_mov_b32_e32 v4, s10
	s_xor_b64 exec, exec, s[6:7]
	s_cbranch_execnz .LBB1_20976
; %bb.56813:
	s_getpc_b64 s[14:15]
.Lpost_getpc14070:
	s_add_u32 s14, s14, (.LBB1_6638-.Lpost_getpc14070)&4294967295
	s_addc_u32 s15, s15, (.LBB1_6638-.Lpost_getpc14070)>>32
	s_setpc_b64 s[14:15]
.LBB1_20976:
	v_mov_b32_e32 v4, 0
	v_cmp_ne_u16_sdwa s[8:9], v3, v4 src0_sel:BYTE_0 src1_sel:DWORD
	s_andn2_b64 s[4:5], s[4:5], exec
	s_and_b64 s[8:9], s[8:9], exec
	s_or_b64 s[4:5], s[4:5], s[8:9]
	s_or_b64 exec, exec, s[6:7]
	s_and_saveexec_b64 s[6:7], s[4:5]
	s_cbranch_execz .LBB1_31991
; %bb.56815:
	s_getpc_b64 s[14:15]
.Lpost_getpc14071:
	s_add_u32 s14, s14, (.LBB1_6639-.Lpost_getpc14071)&4294967295
	s_addc_u32 s15, s15, (.LBB1_6639-.Lpost_getpc14071)>>32
	s_setpc_b64 s[14:15]
.LBB1_31991:
	s_getpc_b64 s[14:15]
.Lpost_getpc1659:
	s_add_u32 s14, s14, (.LBB1_6640-.Lpost_getpc1659)&4294967295
	s_addc_u32 s15, s15, (.LBB1_6640-.Lpost_getpc1659)>>32
	s_setpc_b64 s[14:15]
.LBB1_20977:
	s_movk_i32 s4, 0x80
	v_cmp_eq_u16_e32 vcc, s4, v3
	s_mov_b64 s[4:5], -1
                                        ; implicit-def: $sgpr10
	s_and_saveexec_b64 s[8:9], vcc
; %bb.20978:
	s_mov_b32 s10, 0x7f800001
	s_xor_b64 s[4:5], exec, -1
; %bb.20979:
	s_or_b64 exec, exec, s[8:9]
	s_and_b64 s[4:5], s[4:5], exec
                                        ; implicit-def: $vgpr3
	s_or_saveexec_b64 s[6:7], s[6:7]
	v_mov_b32_e32 v2, s10
	s_xor_b64 exec, exec, s[6:7]
	s_cbranch_execnz .LBB1_20980
; %bb.56817:
	s_getpc_b64 s[14:15]
.Lpost_getpc14072:
	s_add_u32 s14, s14, (.LBB1_6642-.Lpost_getpc14072)&4294967295
	s_addc_u32 s15, s15, (.LBB1_6642-.Lpost_getpc14072)>>32
	s_setpc_b64 s[14:15]
.LBB1_20980:
	v_cmp_ne_u16_e32 vcc, 0, v3
	s_andn2_b64 s[4:5], s[4:5], exec
	s_and_b64 s[8:9], vcc, exec
	v_mov_b32_e32 v2, 0
	s_or_b64 s[4:5], s[4:5], s[8:9]
	s_or_b64 exec, exec, s[6:7]
	s_and_saveexec_b64 s[6:7], s[4:5]
	s_cbranch_execz .LBB1_31993
; %bb.56819:
	s_getpc_b64 s[14:15]
.Lpost_getpc14073:
	s_add_u32 s14, s14, (.LBB1_6643-.Lpost_getpc14073)&4294967295
	s_addc_u32 s15, s15, (.LBB1_6643-.Lpost_getpc14073)>>32
	s_setpc_b64 s[14:15]
.LBB1_31993:
	s_getpc_b64 s[14:15]
.Lpost_getpc1660:
	s_add_u32 s14, s14, (.LBB1_6644-.Lpost_getpc1660)&4294967295
	s_addc_u32 s15, s15, (.LBB1_6644-.Lpost_getpc1660)>>32
	s_setpc_b64 s[14:15]
.LBB1_20981:
	s_movk_i32 s4, 0x80
	v_cmp_eq_u16_e32 vcc, s4, v3
	s_mov_b64 s[4:5], -1
                                        ; implicit-def: $sgpr10
	s_and_saveexec_b64 s[8:9], vcc
; %bb.20982:
	s_mov_b32 s10, 0x7f800001
	s_xor_b64 s[4:5], exec, -1
; %bb.20983:
	s_or_b64 exec, exec, s[8:9]
	s_and_b64 s[4:5], s[4:5], exec
                                        ; implicit-def: $vgpr3
	s_or_saveexec_b64 s[6:7], s[6:7]
	v_mov_b32_e32 v4, s10
	s_xor_b64 exec, exec, s[6:7]
	s_cbranch_execnz .LBB1_20984
; %bb.56821:
	s_getpc_b64 s[14:15]
.Lpost_getpc14074:
	s_add_u32 s14, s14, (.LBB1_6646-.Lpost_getpc14074)&4294967295
	s_addc_u32 s15, s15, (.LBB1_6646-.Lpost_getpc14074)>>32
	s_setpc_b64 s[14:15]
.LBB1_20984:
	v_cmp_ne_u16_e32 vcc, 0, v3
	s_andn2_b64 s[4:5], s[4:5], exec
	s_and_b64 s[8:9], vcc, exec
	v_mov_b32_e32 v4, 0
	s_or_b64 s[4:5], s[4:5], s[8:9]
	s_or_b64 exec, exec, s[6:7]
	s_and_saveexec_b64 s[6:7], s[4:5]
	s_cbranch_execz .LBB1_31995
; %bb.56823:
	s_getpc_b64 s[14:15]
.Lpost_getpc14075:
	s_add_u32 s14, s14, (.LBB1_6647-.Lpost_getpc14075)&4294967295
	s_addc_u32 s15, s15, (.LBB1_6647-.Lpost_getpc14075)>>32
	s_setpc_b64 s[14:15]
.LBB1_31995:
	s_getpc_b64 s[14:15]
.Lpost_getpc1661:
	s_add_u32 s14, s14, (.LBB1_6648-.Lpost_getpc1661)&4294967295
	s_addc_u32 s15, s15, (.LBB1_6648-.Lpost_getpc1661)>>32
	s_setpc_b64 s[14:15]
.LBB1_20985:
	s_movk_i32 s4, 0x80
	v_cmp_eq_u16_sdwa s[12:13], v9, s4 src0_sel:BYTE_3 src1_sel:DWORD
	s_mov_b64 s[4:5], -1
                                        ; implicit-def: $sgpr10
	s_and_saveexec_b64 s[8:9], s[12:13]
; %bb.20986:
	s_mov_b32 s10, 0x7f800001
	s_xor_b64 s[4:5], exec, -1
; %bb.20987:
	s_or_b64 exec, exec, s[8:9]
	s_and_b64 s[4:5], s[4:5], exec
	s_or_saveexec_b64 s[6:7], s[6:7]
	v_mov_b32_e32 v2, s10
	s_xor_b64 exec, exec, s[6:7]
	s_cbranch_execnz .LBB1_20988
; %bb.56825:
	s_getpc_b64 s[14:15]
.Lpost_getpc14076:
	s_add_u32 s14, s14, (.LBB1_6650-.Lpost_getpc14076)&4294967295
	s_addc_u32 s15, s15, (.LBB1_6650-.Lpost_getpc14076)>>32
	s_setpc_b64 s[14:15]
.LBB1_20988:
	v_mov_b32_e32 v2, 0
	v_cmp_ne_u16_sdwa s[8:9], v9, v2 src0_sel:BYTE_3 src1_sel:DWORD
	s_andn2_b64 s[4:5], s[4:5], exec
	s_and_b64 s[8:9], s[8:9], exec
	s_or_b64 s[4:5], s[4:5], s[8:9]
	s_or_b64 exec, exec, s[6:7]
	s_and_saveexec_b64 s[6:7], s[4:5]
	s_cbranch_execz .LBB1_31997
; %bb.56827:
	s_getpc_b64 s[14:15]
.Lpost_getpc14077:
	s_add_u32 s14, s14, (.LBB1_6651-.Lpost_getpc14077)&4294967295
	s_addc_u32 s15, s15, (.LBB1_6651-.Lpost_getpc14077)>>32
	s_setpc_b64 s[14:15]
.LBB1_31997:
	s_getpc_b64 s[14:15]
.Lpost_getpc1662:
	s_add_u32 s14, s14, (.LBB1_6652-.Lpost_getpc1662)&4294967295
	s_addc_u32 s15, s15, (.LBB1_6652-.Lpost_getpc1662)>>32
	s_setpc_b64 s[14:15]
.LBB1_20989:
	s_movk_i32 s4, 0x80
	v_cmp_eq_u16_sdwa s[12:13], v5, s4 src0_sel:BYTE_3 src1_sel:DWORD
	s_mov_b64 s[4:5], -1
                                        ; implicit-def: $sgpr10
	s_and_saveexec_b64 s[8:9], s[12:13]
; %bb.20990:
	s_mov_b32 s10, 0x7f800001
	s_xor_b64 s[4:5], exec, -1
; %bb.20991:
	s_or_b64 exec, exec, s[8:9]
	s_and_b64 s[4:5], s[4:5], exec
	s_or_saveexec_b64 s[6:7], s[6:7]
	v_mov_b32_e32 v3, s10
	s_xor_b64 exec, exec, s[6:7]
	s_cbranch_execnz .LBB1_20992
; %bb.56829:
	s_getpc_b64 s[14:15]
.Lpost_getpc14078:
	s_add_u32 s14, s14, (.LBB1_6654-.Lpost_getpc14078)&4294967295
	s_addc_u32 s15, s15, (.LBB1_6654-.Lpost_getpc14078)>>32
	s_setpc_b64 s[14:15]
.LBB1_20992:
	v_mov_b32_e32 v3, 0
	v_cmp_ne_u16_sdwa s[8:9], v5, v3 src0_sel:BYTE_3 src1_sel:DWORD
	s_andn2_b64 s[4:5], s[4:5], exec
	s_and_b64 s[8:9], s[8:9], exec
	s_or_b64 s[4:5], s[4:5], s[8:9]
	s_or_b64 exec, exec, s[6:7]
	s_and_saveexec_b64 s[6:7], s[4:5]
	s_cbranch_execz .LBB1_31999
; %bb.56831:
	s_getpc_b64 s[14:15]
.Lpost_getpc14079:
	s_add_u32 s14, s14, (.LBB1_6655-.Lpost_getpc14079)&4294967295
	s_addc_u32 s15, s15, (.LBB1_6655-.Lpost_getpc14079)>>32
	s_setpc_b64 s[14:15]
.LBB1_31999:
	s_getpc_b64 s[14:15]
.Lpost_getpc1663:
	s_add_u32 s14, s14, (.LBB1_6656-.Lpost_getpc1663)&4294967295
	s_addc_u32 s15, s15, (.LBB1_6656-.Lpost_getpc1663)>>32
	s_setpc_b64 s[14:15]
.LBB1_20993:
	s_movk_i32 s4, 0x80
	v_cmp_eq_u16_sdwa s[12:13], v6, s4 src0_sel:BYTE_0 src1_sel:DWORD
	s_mov_b64 s[4:5], -1
                                        ; implicit-def: $sgpr10
	s_and_saveexec_b64 s[8:9], s[12:13]
; %bb.20994:
	s_mov_b32 s10, 0x7f800001
	s_xor_b64 s[4:5], exec, -1
; %bb.20995:
	s_or_b64 exec, exec, s[8:9]
	s_and_b64 s[4:5], s[4:5], exec
	s_or_saveexec_b64 s[6:7], s[6:7]
	v_mov_b32_e32 v12, s10
	s_xor_b64 exec, exec, s[6:7]
	s_cbranch_execnz .LBB1_20996
; %bb.56833:
	s_getpc_b64 s[14:15]
.Lpost_getpc14080:
	s_add_u32 s14, s14, (.LBB1_6658-.Lpost_getpc14080)&4294967295
	s_addc_u32 s15, s15, (.LBB1_6658-.Lpost_getpc14080)>>32
	s_setpc_b64 s[14:15]
.LBB1_20996:
	v_mov_b32_e32 v12, 0
	v_cmp_ne_u16_sdwa s[8:9], v6, v12 src0_sel:BYTE_0 src1_sel:DWORD
	s_andn2_b64 s[4:5], s[4:5], exec
	s_and_b64 s[8:9], s[8:9], exec
	s_or_b64 s[4:5], s[4:5], s[8:9]
	s_or_b64 exec, exec, s[6:7]
	s_and_saveexec_b64 s[6:7], s[4:5]
	s_cbranch_execz .LBB1_32001
; %bb.56835:
	s_getpc_b64 s[14:15]
.Lpost_getpc14081:
	s_add_u32 s14, s14, (.LBB1_6659-.Lpost_getpc14081)&4294967295
	s_addc_u32 s15, s15, (.LBB1_6659-.Lpost_getpc14081)>>32
	s_setpc_b64 s[14:15]
.LBB1_32001:
	s_getpc_b64 s[14:15]
.Lpost_getpc1664:
	s_add_u32 s14, s14, (.LBB1_6660-.Lpost_getpc1664)&4294967295
	s_addc_u32 s15, s15, (.LBB1_6660-.Lpost_getpc1664)>>32
	s_setpc_b64 s[14:15]
.LBB1_20997:
	s_movk_i32 s4, 0x80
	v_cmp_eq_u16_sdwa s[12:13], v2, s4 src0_sel:BYTE_0 src1_sel:DWORD
	s_mov_b64 s[4:5], -1
                                        ; implicit-def: $sgpr10
	s_and_saveexec_b64 s[8:9], s[12:13]
; %bb.20998:
	s_mov_b32 s10, 0x7f800001
	s_xor_b64 s[4:5], exec, -1
; %bb.20999:
	s_or_b64 exec, exec, s[8:9]
	s_and_b64 s[4:5], s[4:5], exec
	s_or_saveexec_b64 s[6:7], s[6:7]
	v_mov_b32_e32 v13, s10
	s_xor_b64 exec, exec, s[6:7]
	s_cbranch_execnz .LBB1_21000
; %bb.56837:
	s_getpc_b64 s[14:15]
.Lpost_getpc14082:
	s_add_u32 s14, s14, (.LBB1_6662-.Lpost_getpc14082)&4294967295
	s_addc_u32 s15, s15, (.LBB1_6662-.Lpost_getpc14082)>>32
	s_setpc_b64 s[14:15]
.LBB1_21000:
	v_mov_b32_e32 v13, 0
	v_cmp_ne_u16_sdwa s[8:9], v2, v13 src0_sel:BYTE_0 src1_sel:DWORD
	s_andn2_b64 s[4:5], s[4:5], exec
	s_and_b64 s[8:9], s[8:9], exec
	s_or_b64 s[4:5], s[4:5], s[8:9]
	s_or_b64 exec, exec, s[6:7]
	s_and_saveexec_b64 s[6:7], s[4:5]
	s_cbranch_execz .LBB1_32003
; %bb.56839:
	s_getpc_b64 s[14:15]
.Lpost_getpc14083:
	s_add_u32 s14, s14, (.LBB1_6663-.Lpost_getpc14083)&4294967295
	s_addc_u32 s15, s15, (.LBB1_6663-.Lpost_getpc14083)>>32
	s_setpc_b64 s[14:15]
.LBB1_32003:
	s_getpc_b64 s[14:15]
.Lpost_getpc1665:
	s_add_u32 s14, s14, (.LBB1_6664-.Lpost_getpc1665)&4294967295
	s_addc_u32 s15, s15, (.LBB1_6664-.Lpost_getpc1665)>>32
	s_setpc_b64 s[14:15]
.LBB1_21001:
	s_movk_i32 s4, 0x80
	v_cmp_eq_u16_sdwa s[12:13], v13, s4 src0_sel:BYTE_0 src1_sel:DWORD
	s_mov_b64 s[4:5], -1
                                        ; implicit-def: $sgpr10
	s_and_saveexec_b64 s[8:9], s[12:13]
; %bb.21002:
	s_mov_b32 s10, 0x7f800001
	s_xor_b64 s[4:5], exec, -1
; %bb.21003:
	s_or_b64 exec, exec, s[8:9]
	s_and_b64 s[4:5], s[4:5], exec
	s_or_saveexec_b64 s[6:7], s[6:7]
	v_mov_b32_e32 v12, s10
	s_xor_b64 exec, exec, s[6:7]
	s_cbranch_execnz .LBB1_21004
; %bb.56841:
	s_getpc_b64 s[14:15]
.Lpost_getpc14084:
	s_add_u32 s14, s14, (.LBB1_6666-.Lpost_getpc14084)&4294967295
	s_addc_u32 s15, s15, (.LBB1_6666-.Lpost_getpc14084)>>32
	s_setpc_b64 s[14:15]
.LBB1_21004:
	v_mov_b32_e32 v12, 0
	v_cmp_ne_u16_sdwa s[8:9], v13, v12 src0_sel:BYTE_0 src1_sel:DWORD
	s_andn2_b64 s[4:5], s[4:5], exec
	s_and_b64 s[8:9], s[8:9], exec
	s_or_b64 s[4:5], s[4:5], s[8:9]
	s_or_b64 exec, exec, s[6:7]
	s_and_saveexec_b64 s[6:7], s[4:5]
	s_cbranch_execz .LBB1_32005
; %bb.56843:
	s_getpc_b64 s[14:15]
.Lpost_getpc14085:
	s_add_u32 s14, s14, (.LBB1_6667-.Lpost_getpc14085)&4294967295
	s_addc_u32 s15, s15, (.LBB1_6667-.Lpost_getpc14085)>>32
	s_setpc_b64 s[14:15]
.LBB1_32005:
	s_getpc_b64 s[14:15]
.Lpost_getpc1666:
	s_add_u32 s14, s14, (.LBB1_6668-.Lpost_getpc1666)&4294967295
	s_addc_u32 s15, s15, (.LBB1_6668-.Lpost_getpc1666)>>32
	s_setpc_b64 s[14:15]
.LBB1_21005:
	s_movk_i32 s4, 0x80
	v_cmp_eq_u16_sdwa s[12:13], v13, s4 src0_sel:BYTE_0 src1_sel:DWORD
	s_mov_b64 s[4:5], -1
                                        ; implicit-def: $sgpr10
	s_and_saveexec_b64 s[8:9], s[12:13]
; %bb.21006:
	s_mov_b32 s10, 0x7f800001
	s_xor_b64 s[4:5], exec, -1
; %bb.21007:
	s_or_b64 exec, exec, s[8:9]
	s_and_b64 s[4:5], s[4:5], exec
	s_or_saveexec_b64 s[6:7], s[6:7]
	v_mov_b32_e32 v14, s10
	s_xor_b64 exec, exec, s[6:7]
	s_cbranch_execnz .LBB1_21008
; %bb.56845:
	s_getpc_b64 s[14:15]
.Lpost_getpc14086:
	s_add_u32 s14, s14, (.LBB1_6670-.Lpost_getpc14086)&4294967295
	s_addc_u32 s15, s15, (.LBB1_6670-.Lpost_getpc14086)>>32
	s_setpc_b64 s[14:15]
.LBB1_21008:
	v_mov_b32_e32 v14, 0
	v_cmp_ne_u16_sdwa s[8:9], v13, v14 src0_sel:BYTE_0 src1_sel:DWORD
	s_andn2_b64 s[4:5], s[4:5], exec
	s_and_b64 s[8:9], s[8:9], exec
	s_or_b64 s[4:5], s[4:5], s[8:9]
	s_or_b64 exec, exec, s[6:7]
	s_and_saveexec_b64 s[6:7], s[4:5]
	s_cbranch_execz .LBB1_32007
; %bb.56847:
	s_getpc_b64 s[14:15]
.Lpost_getpc14087:
	s_add_u32 s14, s14, (.LBB1_6671-.Lpost_getpc14087)&4294967295
	s_addc_u32 s15, s15, (.LBB1_6671-.Lpost_getpc14087)>>32
	s_setpc_b64 s[14:15]
.LBB1_32007:
	s_getpc_b64 s[14:15]
.Lpost_getpc1667:
	s_add_u32 s14, s14, (.LBB1_6672-.Lpost_getpc1667)&4294967295
	s_addc_u32 s15, s15, (.LBB1_6672-.Lpost_getpc1667)>>32
	s_setpc_b64 s[14:15]
.LBB1_21009:
	s_movk_i32 s4, 0x80
	v_cmp_eq_u16_e32 vcc, s4, v13
	s_mov_b64 s[4:5], -1
                                        ; implicit-def: $sgpr10
	s_and_saveexec_b64 s[8:9], vcc
; %bb.21010:
	s_mov_b32 s10, 0x7f800001
	s_xor_b64 s[4:5], exec, -1
; %bb.21011:
	s_or_b64 exec, exec, s[8:9]
	s_and_b64 s[4:5], s[4:5], exec
                                        ; implicit-def: $vgpr13
	s_or_saveexec_b64 s[6:7], s[6:7]
	v_mov_b32_e32 v12, s10
	s_xor_b64 exec, exec, s[6:7]
	s_cbranch_execnz .LBB1_21012
; %bb.56849:
	s_getpc_b64 s[14:15]
.Lpost_getpc14088:
	s_add_u32 s14, s14, (.LBB1_6674-.Lpost_getpc14088)&4294967295
	s_addc_u32 s15, s15, (.LBB1_6674-.Lpost_getpc14088)>>32
	s_setpc_b64 s[14:15]
.LBB1_21012:
	v_cmp_ne_u16_e32 vcc, 0, v13
	s_andn2_b64 s[4:5], s[4:5], exec
	s_and_b64 s[8:9], vcc, exec
	v_mov_b32_e32 v12, 0
	s_or_b64 s[4:5], s[4:5], s[8:9]
	s_or_b64 exec, exec, s[6:7]
	s_and_saveexec_b64 s[6:7], s[4:5]
	s_cbranch_execz .LBB1_32009
; %bb.56851:
	s_getpc_b64 s[14:15]
.Lpost_getpc14089:
	s_add_u32 s14, s14, (.LBB1_6675-.Lpost_getpc14089)&4294967295
	s_addc_u32 s15, s15, (.LBB1_6675-.Lpost_getpc14089)>>32
	s_setpc_b64 s[14:15]
.LBB1_32009:
	s_getpc_b64 s[14:15]
.Lpost_getpc1668:
	s_add_u32 s14, s14, (.LBB1_6676-.Lpost_getpc1668)&4294967295
	s_addc_u32 s15, s15, (.LBB1_6676-.Lpost_getpc1668)>>32
	s_setpc_b64 s[14:15]
.LBB1_21013:
	s_movk_i32 s4, 0x80
	v_cmp_eq_u16_e32 vcc, s4, v13
	s_mov_b64 s[4:5], -1
                                        ; implicit-def: $sgpr10
	s_and_saveexec_b64 s[8:9], vcc
; %bb.21014:
	s_mov_b32 s10, 0x7f800001
	s_xor_b64 s[4:5], exec, -1
; %bb.21015:
	s_or_b64 exec, exec, s[8:9]
	s_and_b64 s[4:5], s[4:5], exec
                                        ; implicit-def: $vgpr13
	s_or_saveexec_b64 s[6:7], s[6:7]
	v_mov_b32_e32 v14, s10
	s_xor_b64 exec, exec, s[6:7]
	s_cbranch_execnz .LBB1_21016
; %bb.56853:
	s_getpc_b64 s[14:15]
.Lpost_getpc14090:
	s_add_u32 s14, s14, (.LBB1_6678-.Lpost_getpc14090)&4294967295
	s_addc_u32 s15, s15, (.LBB1_6678-.Lpost_getpc14090)>>32
	s_setpc_b64 s[14:15]
.LBB1_21016:
	v_cmp_ne_u16_e32 vcc, 0, v13
	s_andn2_b64 s[4:5], s[4:5], exec
	s_and_b64 s[8:9], vcc, exec
	v_mov_b32_e32 v14, 0
	s_or_b64 s[4:5], s[4:5], s[8:9]
	s_or_b64 exec, exec, s[6:7]
	s_and_saveexec_b64 s[6:7], s[4:5]
	s_cbranch_execz .LBB1_32011
; %bb.56855:
	s_getpc_b64 s[14:15]
.Lpost_getpc14091:
	s_add_u32 s14, s14, (.LBB1_6679-.Lpost_getpc14091)&4294967295
	s_addc_u32 s15, s15, (.LBB1_6679-.Lpost_getpc14091)>>32
	s_setpc_b64 s[14:15]
.LBB1_32011:
	s_getpc_b64 s[14:15]
.Lpost_getpc1669:
	s_add_u32 s14, s14, (.LBB1_6680-.Lpost_getpc1669)&4294967295
	s_addc_u32 s15, s15, (.LBB1_6680-.Lpost_getpc1669)>>32
	s_setpc_b64 s[14:15]
.LBB1_21017:
	s_movk_i32 s4, 0x80
	v_cmp_eq_u16_sdwa s[12:13], v6, s4 src0_sel:BYTE_3 src1_sel:DWORD
	s_mov_b64 s[4:5], -1
                                        ; implicit-def: $sgpr10
	s_and_saveexec_b64 s[8:9], s[12:13]
; %bb.21018:
	s_mov_b32 s10, 0x7f800001
	s_xor_b64 s[4:5], exec, -1
; %bb.21019:
	s_or_b64 exec, exec, s[8:9]
	s_and_b64 s[4:5], s[4:5], exec
	s_or_saveexec_b64 s[6:7], s[6:7]
	v_mov_b32_e32 v12, s10
	s_xor_b64 exec, exec, s[6:7]
	s_cbranch_execnz .LBB1_21020
; %bb.56857:
	s_getpc_b64 s[14:15]
.Lpost_getpc14092:
	s_add_u32 s14, s14, (.LBB1_6682-.Lpost_getpc14092)&4294967295
	s_addc_u32 s15, s15, (.LBB1_6682-.Lpost_getpc14092)>>32
	s_setpc_b64 s[14:15]
.LBB1_21020:
	v_mov_b32_e32 v12, 0
	v_cmp_ne_u16_sdwa s[8:9], v6, v12 src0_sel:BYTE_3 src1_sel:DWORD
	s_andn2_b64 s[4:5], s[4:5], exec
	s_and_b64 s[8:9], s[8:9], exec
	s_or_b64 s[4:5], s[4:5], s[8:9]
	s_or_b64 exec, exec, s[6:7]
	s_and_saveexec_b64 s[6:7], s[4:5]
	s_cbranch_execz .LBB1_32013
; %bb.56859:
	s_getpc_b64 s[14:15]
.Lpost_getpc14093:
	s_add_u32 s14, s14, (.LBB1_6683-.Lpost_getpc14093)&4294967295
	s_addc_u32 s15, s15, (.LBB1_6683-.Lpost_getpc14093)>>32
	s_setpc_b64 s[14:15]
.LBB1_32013:
	s_getpc_b64 s[14:15]
.Lpost_getpc1670:
	s_add_u32 s14, s14, (.LBB1_6684-.Lpost_getpc1670)&4294967295
	s_addc_u32 s15, s15, (.LBB1_6684-.Lpost_getpc1670)>>32
	s_setpc_b64 s[14:15]
.LBB1_21021:
	s_movk_i32 s4, 0x80
	v_cmp_eq_u16_sdwa s[12:13], v2, s4 src0_sel:BYTE_3 src1_sel:DWORD
	s_mov_b64 s[4:5], -1
                                        ; implicit-def: $sgpr10
	s_and_saveexec_b64 s[8:9], s[12:13]
; %bb.21022:
	s_mov_b32 s10, 0x7f800001
	s_xor_b64 s[4:5], exec, -1
; %bb.21023:
	s_or_b64 exec, exec, s[8:9]
	s_and_b64 s[4:5], s[4:5], exec
	s_or_saveexec_b64 s[6:7], s[6:7]
	v_mov_b32_e32 v6, s10
	s_xor_b64 exec, exec, s[6:7]
	s_cbranch_execnz .LBB1_21024
; %bb.56861:
	s_getpc_b64 s[14:15]
.Lpost_getpc14094:
	s_add_u32 s14, s14, (.LBB1_6686-.Lpost_getpc14094)&4294967295
	s_addc_u32 s15, s15, (.LBB1_6686-.Lpost_getpc14094)>>32
	s_setpc_b64 s[14:15]
.LBB1_21024:
	v_mov_b32_e32 v6, 0
	v_cmp_ne_u16_sdwa s[8:9], v2, v6 src0_sel:BYTE_3 src1_sel:DWORD
	s_andn2_b64 s[4:5], s[4:5], exec
	s_and_b64 s[8:9], s[8:9], exec
	s_or_b64 s[4:5], s[4:5], s[8:9]
	s_or_b64 exec, exec, s[6:7]
	s_and_saveexec_b64 s[6:7], s[4:5]
	s_cbranch_execz .LBB1_32015
; %bb.56863:
	s_getpc_b64 s[14:15]
.Lpost_getpc14095:
	s_add_u32 s14, s14, (.LBB1_6687-.Lpost_getpc14095)&4294967295
	s_addc_u32 s15, s15, (.LBB1_6687-.Lpost_getpc14095)>>32
	s_setpc_b64 s[14:15]
.LBB1_32015:
	s_getpc_b64 s[14:15]
.Lpost_getpc1671:
	s_add_u32 s14, s14, (.LBB1_6688-.Lpost_getpc1671)&4294967295
	s_addc_u32 s15, s15, (.LBB1_6688-.Lpost_getpc1671)>>32
	s_setpc_b64 s[14:15]
.LBB1_21025:
	s_movk_i32 s4, 0x80
	v_cmp_eq_u16_sdwa s[12:13], v7, s4 src0_sel:BYTE_0 src1_sel:DWORD
	s_mov_b64 s[4:5], -1
                                        ; implicit-def: $sgpr10
	s_and_saveexec_b64 s[8:9], s[12:13]
; %bb.21026:
	s_mov_b32 s10, 0x7f800001
	s_xor_b64 s[4:5], exec, -1
; %bb.21027:
	s_or_b64 exec, exec, s[8:9]
	s_and_b64 s[4:5], s[4:5], exec
	s_or_saveexec_b64 s[6:7], s[6:7]
	v_mov_b32_e32 v2, s10
	s_xor_b64 exec, exec, s[6:7]
	s_cbranch_execnz .LBB1_21028
; %bb.56865:
	s_getpc_b64 s[14:15]
.Lpost_getpc14096:
	s_add_u32 s14, s14, (.LBB1_6690-.Lpost_getpc14096)&4294967295
	s_addc_u32 s15, s15, (.LBB1_6690-.Lpost_getpc14096)>>32
	s_setpc_b64 s[14:15]
.LBB1_21028:
	v_mov_b32_e32 v2, 0
	v_cmp_ne_u16_sdwa s[8:9], v7, v2 src0_sel:BYTE_0 src1_sel:DWORD
	s_andn2_b64 s[4:5], s[4:5], exec
	s_and_b64 s[8:9], s[8:9], exec
	s_or_b64 s[4:5], s[4:5], s[8:9]
	s_or_b64 exec, exec, s[6:7]
	s_and_saveexec_b64 s[6:7], s[4:5]
	s_cbranch_execz .LBB1_32017
; %bb.56867:
	s_getpc_b64 s[14:15]
.Lpost_getpc14097:
	s_add_u32 s14, s14, (.LBB1_6691-.Lpost_getpc14097)&4294967295
	s_addc_u32 s15, s15, (.LBB1_6691-.Lpost_getpc14097)>>32
	s_setpc_b64 s[14:15]
.LBB1_32017:
	s_getpc_b64 s[14:15]
.Lpost_getpc1672:
	s_add_u32 s14, s14, (.LBB1_6692-.Lpost_getpc1672)&4294967295
	s_addc_u32 s15, s15, (.LBB1_6692-.Lpost_getpc1672)>>32
	s_setpc_b64 s[14:15]
.LBB1_21029:
	s_movk_i32 s4, 0x80
	v_cmp_eq_u16_sdwa s[12:13], v3, s4 src0_sel:BYTE_0 src1_sel:DWORD
	s_mov_b64 s[4:5], -1
                                        ; implicit-def: $sgpr10
	s_and_saveexec_b64 s[8:9], s[12:13]
; %bb.21030:
	s_mov_b32 s10, 0x7f800001
	s_xor_b64 s[4:5], exec, -1
; %bb.21031:
	s_or_b64 exec, exec, s[8:9]
	s_and_b64 s[4:5], s[4:5], exec
	s_or_saveexec_b64 s[6:7], s[6:7]
	v_mov_b32_e32 v6, s10
	s_xor_b64 exec, exec, s[6:7]
	s_cbranch_execnz .LBB1_21032
; %bb.56869:
	s_getpc_b64 s[14:15]
.Lpost_getpc14098:
	s_add_u32 s14, s14, (.LBB1_6694-.Lpost_getpc14098)&4294967295
	s_addc_u32 s15, s15, (.LBB1_6694-.Lpost_getpc14098)>>32
	s_setpc_b64 s[14:15]
.LBB1_21032:
	v_mov_b32_e32 v6, 0
	v_cmp_ne_u16_sdwa s[8:9], v3, v6 src0_sel:BYTE_0 src1_sel:DWORD
	s_andn2_b64 s[4:5], s[4:5], exec
	s_and_b64 s[8:9], s[8:9], exec
	s_or_b64 s[4:5], s[4:5], s[8:9]
	s_or_b64 exec, exec, s[6:7]
	s_and_saveexec_b64 s[6:7], s[4:5]
	s_cbranch_execz .LBB1_32019
; %bb.56871:
	s_getpc_b64 s[14:15]
.Lpost_getpc14099:
	s_add_u32 s14, s14, (.LBB1_6695-.Lpost_getpc14099)&4294967295
	s_addc_u32 s15, s15, (.LBB1_6695-.Lpost_getpc14099)>>32
	s_setpc_b64 s[14:15]
.LBB1_32019:
	s_getpc_b64 s[14:15]
.Lpost_getpc1673:
	s_add_u32 s14, s14, (.LBB1_6696-.Lpost_getpc1673)&4294967295
	s_addc_u32 s15, s15, (.LBB1_6696-.Lpost_getpc1673)>>32
	s_setpc_b64 s[14:15]
.LBB1_21033:
	s_movk_i32 s4, 0x80
	v_cmp_eq_u16_sdwa s[12:13], v6, s4 src0_sel:BYTE_0 src1_sel:DWORD
	s_mov_b64 s[4:5], -1
                                        ; implicit-def: $sgpr10
	s_and_saveexec_b64 s[8:9], s[12:13]
; %bb.21034:
	s_mov_b32 s10, 0x7f800001
	s_xor_b64 s[4:5], exec, -1
; %bb.21035:
	s_or_b64 exec, exec, s[8:9]
	s_and_b64 s[4:5], s[4:5], exec
	s_or_saveexec_b64 s[6:7], s[6:7]
	v_mov_b32_e32 v2, s10
	s_xor_b64 exec, exec, s[6:7]
	s_cbranch_execnz .LBB1_21036
; %bb.56873:
	s_getpc_b64 s[14:15]
.Lpost_getpc14100:
	s_add_u32 s14, s14, (.LBB1_6698-.Lpost_getpc14100)&4294967295
	s_addc_u32 s15, s15, (.LBB1_6698-.Lpost_getpc14100)>>32
	s_setpc_b64 s[14:15]
.LBB1_21036:
	v_mov_b32_e32 v2, 0
	v_cmp_ne_u16_sdwa s[8:9], v6, v2 src0_sel:BYTE_0 src1_sel:DWORD
	s_andn2_b64 s[4:5], s[4:5], exec
	s_and_b64 s[8:9], s[8:9], exec
	s_or_b64 s[4:5], s[4:5], s[8:9]
	s_or_b64 exec, exec, s[6:7]
	s_and_saveexec_b64 s[6:7], s[4:5]
	s_cbranch_execz .LBB1_32021
; %bb.56875:
	s_getpc_b64 s[14:15]
.Lpost_getpc14101:
	s_add_u32 s14, s14, (.LBB1_6699-.Lpost_getpc14101)&4294967295
	s_addc_u32 s15, s15, (.LBB1_6699-.Lpost_getpc14101)>>32
	s_setpc_b64 s[14:15]
.LBB1_32021:
	s_getpc_b64 s[14:15]
.Lpost_getpc1674:
	s_add_u32 s14, s14, (.LBB1_6700-.Lpost_getpc1674)&4294967295
	s_addc_u32 s15, s15, (.LBB1_6700-.Lpost_getpc1674)>>32
	s_setpc_b64 s[14:15]
.LBB1_21037:
	s_movk_i32 s4, 0x80
	v_cmp_eq_u16_sdwa s[12:13], v6, s4 src0_sel:BYTE_0 src1_sel:DWORD
	s_mov_b64 s[4:5], -1
                                        ; implicit-def: $sgpr10
	s_and_saveexec_b64 s[8:9], s[12:13]
; %bb.21038:
	s_mov_b32 s10, 0x7f800001
	s_xor_b64 s[4:5], exec, -1
; %bb.21039:
	s_or_b64 exec, exec, s[8:9]
	s_and_b64 s[4:5], s[4:5], exec
	s_or_saveexec_b64 s[6:7], s[6:7]
	v_mov_b32_e32 v12, s10
	s_xor_b64 exec, exec, s[6:7]
	s_cbranch_execnz .LBB1_21040
; %bb.56877:
	s_getpc_b64 s[14:15]
.Lpost_getpc14102:
	s_add_u32 s14, s14, (.LBB1_6702-.Lpost_getpc14102)&4294967295
	s_addc_u32 s15, s15, (.LBB1_6702-.Lpost_getpc14102)>>32
	s_setpc_b64 s[14:15]
.LBB1_21040:
	v_mov_b32_e32 v12, 0
	v_cmp_ne_u16_sdwa s[8:9], v6, v12 src0_sel:BYTE_0 src1_sel:DWORD
	s_andn2_b64 s[4:5], s[4:5], exec
	s_and_b64 s[8:9], s[8:9], exec
	s_or_b64 s[4:5], s[4:5], s[8:9]
	s_or_b64 exec, exec, s[6:7]
	s_and_saveexec_b64 s[6:7], s[4:5]
	s_cbranch_execz .LBB1_32023
; %bb.56879:
	s_getpc_b64 s[14:15]
.Lpost_getpc14103:
	s_add_u32 s14, s14, (.LBB1_6703-.Lpost_getpc14103)&4294967295
	s_addc_u32 s15, s15, (.LBB1_6703-.Lpost_getpc14103)>>32
	s_setpc_b64 s[14:15]
.LBB1_32023:
	s_getpc_b64 s[14:15]
.Lpost_getpc1675:
	s_add_u32 s14, s14, (.LBB1_6704-.Lpost_getpc1675)&4294967295
	s_addc_u32 s15, s15, (.LBB1_6704-.Lpost_getpc1675)>>32
	s_setpc_b64 s[14:15]
.LBB1_21041:
	s_movk_i32 s4, 0x80
	v_cmp_eq_u16_e32 vcc, s4, v6
	s_mov_b64 s[4:5], -1
                                        ; implicit-def: $sgpr10
	s_and_saveexec_b64 s[8:9], vcc
; %bb.21042:
	s_mov_b32 s10, 0x7f800001
	s_xor_b64 s[4:5], exec, -1
; %bb.21043:
	s_or_b64 exec, exec, s[8:9]
	s_and_b64 s[4:5], s[4:5], exec
                                        ; implicit-def: $vgpr6
	s_or_saveexec_b64 s[6:7], s[6:7]
	v_mov_b32_e32 v2, s10
	s_xor_b64 exec, exec, s[6:7]
	s_cbranch_execnz .LBB1_21044
; %bb.56881:
	s_getpc_b64 s[14:15]
.Lpost_getpc14104:
	s_add_u32 s14, s14, (.LBB1_6706-.Lpost_getpc14104)&4294967295
	s_addc_u32 s15, s15, (.LBB1_6706-.Lpost_getpc14104)>>32
	s_setpc_b64 s[14:15]
.LBB1_21044:
	v_cmp_ne_u16_e32 vcc, 0, v6
	s_andn2_b64 s[4:5], s[4:5], exec
	s_and_b64 s[8:9], vcc, exec
	v_mov_b32_e32 v2, 0
	s_or_b64 s[4:5], s[4:5], s[8:9]
	s_or_b64 exec, exec, s[6:7]
	s_and_saveexec_b64 s[6:7], s[4:5]
	s_cbranch_execz .LBB1_32025
; %bb.56883:
	s_getpc_b64 s[14:15]
.Lpost_getpc14105:
	s_add_u32 s14, s14, (.LBB1_6707-.Lpost_getpc14105)&4294967295
	s_addc_u32 s15, s15, (.LBB1_6707-.Lpost_getpc14105)>>32
	s_setpc_b64 s[14:15]
.LBB1_32025:
	s_getpc_b64 s[14:15]
.Lpost_getpc1676:
	s_add_u32 s14, s14, (.LBB1_6708-.Lpost_getpc1676)&4294967295
	s_addc_u32 s15, s15, (.LBB1_6708-.Lpost_getpc1676)>>32
	s_setpc_b64 s[14:15]
.LBB1_21045:
	s_movk_i32 s4, 0x80
	v_cmp_eq_u16_e32 vcc, s4, v6
	s_mov_b64 s[4:5], -1
                                        ; implicit-def: $sgpr10
	s_and_saveexec_b64 s[8:9], vcc
; %bb.21046:
	s_mov_b32 s10, 0x7f800001
	s_xor_b64 s[4:5], exec, -1
; %bb.21047:
	s_or_b64 exec, exec, s[8:9]
	s_and_b64 s[4:5], s[4:5], exec
                                        ; implicit-def: $vgpr6
	s_or_saveexec_b64 s[6:7], s[6:7]
	v_mov_b32_e32 v12, s10
	s_xor_b64 exec, exec, s[6:7]
	s_cbranch_execnz .LBB1_21048
; %bb.56885:
	s_getpc_b64 s[14:15]
.Lpost_getpc14106:
	s_add_u32 s14, s14, (.LBB1_6710-.Lpost_getpc14106)&4294967295
	s_addc_u32 s15, s15, (.LBB1_6710-.Lpost_getpc14106)>>32
	s_setpc_b64 s[14:15]
.LBB1_21048:
	v_cmp_ne_u16_e32 vcc, 0, v6
	s_andn2_b64 s[4:5], s[4:5], exec
	s_and_b64 s[8:9], vcc, exec
	v_mov_b32_e32 v12, 0
	s_or_b64 s[4:5], s[4:5], s[8:9]
	s_or_b64 exec, exec, s[6:7]
	s_and_saveexec_b64 s[6:7], s[4:5]
	s_cbranch_execz .LBB1_32027
; %bb.56887:
	s_getpc_b64 s[14:15]
.Lpost_getpc14107:
	s_add_u32 s14, s14, (.LBB1_6711-.Lpost_getpc14107)&4294967295
	s_addc_u32 s15, s15, (.LBB1_6711-.Lpost_getpc14107)>>32
	s_setpc_b64 s[14:15]
.LBB1_32027:
	s_getpc_b64 s[14:15]
.Lpost_getpc1677:
	s_add_u32 s14, s14, (.LBB1_6712-.Lpost_getpc1677)&4294967295
	s_addc_u32 s15, s15, (.LBB1_6712-.Lpost_getpc1677)>>32
	s_setpc_b64 s[14:15]
.LBB1_21049:
	s_movk_i32 s4, 0x80
	v_cmp_eq_u16_sdwa s[12:13], v7, s4 src0_sel:BYTE_3 src1_sel:DWORD
	s_mov_b64 s[4:5], -1
                                        ; implicit-def: $sgpr10
	s_and_saveexec_b64 s[8:9], s[12:13]
; %bb.21050:
	s_mov_b32 s10, 0x7f800001
	s_xor_b64 s[4:5], exec, -1
; %bb.21051:
	s_or_b64 exec, exec, s[8:9]
	s_and_b64 s[4:5], s[4:5], exec
	s_or_saveexec_b64 s[6:7], s[6:7]
	v_mov_b32_e32 v2, s10
	s_xor_b64 exec, exec, s[6:7]
	s_cbranch_execnz .LBB1_21052
; %bb.56889:
	s_getpc_b64 s[14:15]
.Lpost_getpc14108:
	s_add_u32 s14, s14, (.LBB1_6714-.Lpost_getpc14108)&4294967295
	s_addc_u32 s15, s15, (.LBB1_6714-.Lpost_getpc14108)>>32
	s_setpc_b64 s[14:15]
.LBB1_21052:
	v_mov_b32_e32 v2, 0
	v_cmp_ne_u16_sdwa s[8:9], v7, v2 src0_sel:BYTE_3 src1_sel:DWORD
	s_andn2_b64 s[4:5], s[4:5], exec
	s_and_b64 s[8:9], s[8:9], exec
	s_or_b64 s[4:5], s[4:5], s[8:9]
	s_or_b64 exec, exec, s[6:7]
	s_and_saveexec_b64 s[6:7], s[4:5]
	s_cbranch_execz .LBB1_32029
; %bb.56891:
	s_getpc_b64 s[14:15]
.Lpost_getpc14109:
	s_add_u32 s14, s14, (.LBB1_6715-.Lpost_getpc14109)&4294967295
	s_addc_u32 s15, s15, (.LBB1_6715-.Lpost_getpc14109)>>32
	s_setpc_b64 s[14:15]
.LBB1_32029:
	s_getpc_b64 s[14:15]
.Lpost_getpc1678:
	s_add_u32 s14, s14, (.LBB1_6716-.Lpost_getpc1678)&4294967295
	s_addc_u32 s15, s15, (.LBB1_6716-.Lpost_getpc1678)>>32
	s_setpc_b64 s[14:15]
.LBB1_21053:
	s_movk_i32 s4, 0x80
	v_cmp_eq_u16_sdwa s[12:13], v3, s4 src0_sel:BYTE_3 src1_sel:DWORD
	s_mov_b64 s[4:5], -1
                                        ; implicit-def: $sgpr10
	s_and_saveexec_b64 s[8:9], s[12:13]
; %bb.21054:
	s_mov_b32 s10, 0x7f800001
	s_xor_b64 s[4:5], exec, -1
; %bb.21055:
	s_or_b64 exec, exec, s[8:9]
	s_and_b64 s[4:5], s[4:5], exec
	s_or_saveexec_b64 s[6:7], s[6:7]
	v_mov_b32_e32 v6, s10
	s_xor_b64 exec, exec, s[6:7]
	s_cbranch_execnz .LBB1_21056
; %bb.56893:
	s_getpc_b64 s[14:15]
.Lpost_getpc14110:
	s_add_u32 s14, s14, (.LBB1_6718-.Lpost_getpc14110)&4294967295
	s_addc_u32 s15, s15, (.LBB1_6718-.Lpost_getpc14110)>>32
	s_setpc_b64 s[14:15]
.LBB1_21056:
	v_mov_b32_e32 v6, 0
	v_cmp_ne_u16_sdwa s[8:9], v3, v6 src0_sel:BYTE_3 src1_sel:DWORD
	s_andn2_b64 s[4:5], s[4:5], exec
	s_and_b64 s[8:9], s[8:9], exec
	s_or_b64 s[4:5], s[4:5], s[8:9]
	s_or_b64 exec, exec, s[6:7]
	s_and_saveexec_b64 s[6:7], s[4:5]
	s_cbranch_execz .LBB1_32031
; %bb.56895:
	s_getpc_b64 s[14:15]
.Lpost_getpc14111:
	s_add_u32 s14, s14, (.LBB1_6719-.Lpost_getpc14111)&4294967295
	s_addc_u32 s15, s15, (.LBB1_6719-.Lpost_getpc14111)>>32
	s_setpc_b64 s[14:15]
.LBB1_32031:
	s_getpc_b64 s[14:15]
.Lpost_getpc1679:
	s_add_u32 s14, s14, (.LBB1_6720-.Lpost_getpc1679)&4294967295
	s_addc_u32 s15, s15, (.LBB1_6720-.Lpost_getpc1679)>>32
	s_setpc_b64 s[14:15]
.LBB1_21057:
	s_movk_i32 s4, 0x80
	v_cmp_eq_u16_sdwa s[12:13], v8, s4 src0_sel:BYTE_0 src1_sel:DWORD
	s_mov_b64 s[4:5], -1
                                        ; implicit-def: $sgpr10
	s_and_saveexec_b64 s[8:9], s[12:13]
; %bb.21058:
	s_mov_b32 s10, 0x7f800001
	s_xor_b64 s[4:5], exec, -1
; %bb.21059:
	s_or_b64 exec, exec, s[8:9]
	s_and_b64 s[4:5], s[4:5], exec
	s_or_saveexec_b64 s[6:7], s[6:7]
	v_mov_b32_e32 v2, s10
	s_xor_b64 exec, exec, s[6:7]
	s_cbranch_execnz .LBB1_21060
; %bb.56897:
	s_getpc_b64 s[14:15]
.Lpost_getpc14112:
	s_add_u32 s14, s14, (.LBB1_6722-.Lpost_getpc14112)&4294967295
	s_addc_u32 s15, s15, (.LBB1_6722-.Lpost_getpc14112)>>32
	s_setpc_b64 s[14:15]
.LBB1_21060:
	v_mov_b32_e32 v2, 0
	v_cmp_ne_u16_sdwa s[8:9], v8, v2 src0_sel:BYTE_0 src1_sel:DWORD
	s_andn2_b64 s[4:5], s[4:5], exec
	s_and_b64 s[8:9], s[8:9], exec
	s_or_b64 s[4:5], s[4:5], s[8:9]
	s_or_b64 exec, exec, s[6:7]
	s_and_saveexec_b64 s[6:7], s[4:5]
	s_cbranch_execz .LBB1_32033
; %bb.56899:
	s_getpc_b64 s[14:15]
.Lpost_getpc14113:
	s_add_u32 s14, s14, (.LBB1_6723-.Lpost_getpc14113)&4294967295
	s_addc_u32 s15, s15, (.LBB1_6723-.Lpost_getpc14113)>>32
	s_setpc_b64 s[14:15]
.LBB1_32033:
	s_getpc_b64 s[14:15]
.Lpost_getpc1680:
	s_add_u32 s14, s14, (.LBB1_6724-.Lpost_getpc1680)&4294967295
	s_addc_u32 s15, s15, (.LBB1_6724-.Lpost_getpc1680)>>32
	s_setpc_b64 s[14:15]
.LBB1_21061:
	s_movk_i32 s4, 0x80
	v_cmp_eq_u16_sdwa s[12:13], v4, s4 src0_sel:BYTE_0 src1_sel:DWORD
	s_mov_b64 s[4:5], -1
                                        ; implicit-def: $sgpr10
	s_and_saveexec_b64 s[8:9], s[12:13]
; %bb.21062:
	s_mov_b32 s10, 0x7f800001
	s_xor_b64 s[4:5], exec, -1
; %bb.21063:
	s_or_b64 exec, exec, s[8:9]
	s_and_b64 s[4:5], s[4:5], exec
	s_or_saveexec_b64 s[6:7], s[6:7]
	v_mov_b32_e32 v3, s10
	s_xor_b64 exec, exec, s[6:7]
	s_cbranch_execnz .LBB1_21064
; %bb.56901:
	s_getpc_b64 s[14:15]
.Lpost_getpc14114:
	s_add_u32 s14, s14, (.LBB1_6726-.Lpost_getpc14114)&4294967295
	s_addc_u32 s15, s15, (.LBB1_6726-.Lpost_getpc14114)>>32
	s_setpc_b64 s[14:15]
.LBB1_21064:
	v_mov_b32_e32 v3, 0
	v_cmp_ne_u16_sdwa s[8:9], v4, v3 src0_sel:BYTE_0 src1_sel:DWORD
	s_andn2_b64 s[4:5], s[4:5], exec
	s_and_b64 s[8:9], s[8:9], exec
	s_or_b64 s[4:5], s[4:5], s[8:9]
	s_or_b64 exec, exec, s[6:7]
	s_and_saveexec_b64 s[6:7], s[4:5]
	s_cbranch_execz .LBB1_32035
; %bb.56903:
	s_getpc_b64 s[14:15]
.Lpost_getpc14115:
	s_add_u32 s14, s14, (.LBB1_6727-.Lpost_getpc14115)&4294967295
	s_addc_u32 s15, s15, (.LBB1_6727-.Lpost_getpc14115)>>32
	s_setpc_b64 s[14:15]
.LBB1_32035:
	s_getpc_b64 s[14:15]
.Lpost_getpc1681:
	s_add_u32 s14, s14, (.LBB1_6728-.Lpost_getpc1681)&4294967295
	s_addc_u32 s15, s15, (.LBB1_6728-.Lpost_getpc1681)>>32
	s_setpc_b64 s[14:15]
.LBB1_21065:
	s_movk_i32 s4, 0x80
	v_cmp_eq_u16_sdwa s[12:13], v3, s4 src0_sel:BYTE_0 src1_sel:DWORD
	s_mov_b64 s[4:5], -1
                                        ; implicit-def: $sgpr10
	s_and_saveexec_b64 s[8:9], s[12:13]
; %bb.21066:
	s_mov_b32 s10, 0x7f800001
	s_xor_b64 s[4:5], exec, -1
; %bb.21067:
	s_or_b64 exec, exec, s[8:9]
	s_and_b64 s[4:5], s[4:5], exec
	s_or_saveexec_b64 s[6:7], s[6:7]
	v_mov_b32_e32 v2, s10
	s_xor_b64 exec, exec, s[6:7]
	s_cbranch_execnz .LBB1_21068
; %bb.56905:
	s_getpc_b64 s[14:15]
.Lpost_getpc14116:
	s_add_u32 s14, s14, (.LBB1_6730-.Lpost_getpc14116)&4294967295
	s_addc_u32 s15, s15, (.LBB1_6730-.Lpost_getpc14116)>>32
	s_setpc_b64 s[14:15]
.LBB1_21068:
	v_mov_b32_e32 v2, 0
	v_cmp_ne_u16_sdwa s[8:9], v3, v2 src0_sel:BYTE_0 src1_sel:DWORD
	s_andn2_b64 s[4:5], s[4:5], exec
	s_and_b64 s[8:9], s[8:9], exec
	s_or_b64 s[4:5], s[4:5], s[8:9]
	s_or_b64 exec, exec, s[6:7]
	s_and_saveexec_b64 s[6:7], s[4:5]
	s_cbranch_execz .LBB1_32037
; %bb.56907:
	s_getpc_b64 s[14:15]
.Lpost_getpc14117:
	s_add_u32 s14, s14, (.LBB1_6731-.Lpost_getpc14117)&4294967295
	s_addc_u32 s15, s15, (.LBB1_6731-.Lpost_getpc14117)>>32
	s_setpc_b64 s[14:15]
.LBB1_32037:
	s_getpc_b64 s[14:15]
.Lpost_getpc1682:
	s_add_u32 s14, s14, (.LBB1_6732-.Lpost_getpc1682)&4294967295
	s_addc_u32 s15, s15, (.LBB1_6732-.Lpost_getpc1682)>>32
	s_setpc_b64 s[14:15]
.LBB1_21069:
	s_movk_i32 s4, 0x80
	v_cmp_eq_u16_sdwa s[12:13], v3, s4 src0_sel:BYTE_0 src1_sel:DWORD
	s_mov_b64 s[4:5], -1
                                        ; implicit-def: $sgpr10
	s_and_saveexec_b64 s[8:9], s[12:13]
; %bb.21070:
	s_mov_b32 s10, 0x7f800001
	s_xor_b64 s[4:5], exec, -1
; %bb.21071:
	s_or_b64 exec, exec, s[8:9]
	s_and_b64 s[4:5], s[4:5], exec
	s_or_saveexec_b64 s[6:7], s[6:7]
	v_mov_b32_e32 v6, s10
	s_xor_b64 exec, exec, s[6:7]
	s_cbranch_execnz .LBB1_21072
; %bb.56909:
	s_getpc_b64 s[14:15]
.Lpost_getpc14118:
	s_add_u32 s14, s14, (.LBB1_6734-.Lpost_getpc14118)&4294967295
	s_addc_u32 s15, s15, (.LBB1_6734-.Lpost_getpc14118)>>32
	s_setpc_b64 s[14:15]
.LBB1_21072:
	v_mov_b32_e32 v6, 0
	v_cmp_ne_u16_sdwa s[8:9], v3, v6 src0_sel:BYTE_0 src1_sel:DWORD
	s_andn2_b64 s[4:5], s[4:5], exec
	s_and_b64 s[8:9], s[8:9], exec
	s_or_b64 s[4:5], s[4:5], s[8:9]
	s_or_b64 exec, exec, s[6:7]
	s_and_saveexec_b64 s[6:7], s[4:5]
	s_cbranch_execz .LBB1_32039
; %bb.56911:
	s_getpc_b64 s[14:15]
.Lpost_getpc14119:
	s_add_u32 s14, s14, (.LBB1_6735-.Lpost_getpc14119)&4294967295
	s_addc_u32 s15, s15, (.LBB1_6735-.Lpost_getpc14119)>>32
	s_setpc_b64 s[14:15]
.LBB1_32039:
	s_getpc_b64 s[14:15]
.Lpost_getpc1683:
	s_add_u32 s14, s14, (.LBB1_6736-.Lpost_getpc1683)&4294967295
	s_addc_u32 s15, s15, (.LBB1_6736-.Lpost_getpc1683)>>32
	s_setpc_b64 s[14:15]
.LBB1_21073:
	s_movk_i32 s4, 0x80
	v_cmp_eq_u16_e32 vcc, s4, v3
	s_mov_b64 s[4:5], -1
                                        ; implicit-def: $sgpr10
	s_and_saveexec_b64 s[8:9], vcc
; %bb.21074:
	s_mov_b32 s10, 0x7f800001
	s_xor_b64 s[4:5], exec, -1
; %bb.21075:
	s_or_b64 exec, exec, s[8:9]
	s_and_b64 s[4:5], s[4:5], exec
                                        ; implicit-def: $vgpr3
	s_or_saveexec_b64 s[6:7], s[6:7]
	v_mov_b32_e32 v2, s10
	s_xor_b64 exec, exec, s[6:7]
	s_cbranch_execnz .LBB1_21076
; %bb.56913:
	s_getpc_b64 s[14:15]
.Lpost_getpc14120:
	s_add_u32 s14, s14, (.LBB1_6738-.Lpost_getpc14120)&4294967295
	s_addc_u32 s15, s15, (.LBB1_6738-.Lpost_getpc14120)>>32
	s_setpc_b64 s[14:15]
.LBB1_21076:
	v_cmp_ne_u16_e32 vcc, 0, v3
	s_andn2_b64 s[4:5], s[4:5], exec
	s_and_b64 s[8:9], vcc, exec
	v_mov_b32_e32 v2, 0
	s_or_b64 s[4:5], s[4:5], s[8:9]
	s_or_b64 exec, exec, s[6:7]
	s_and_saveexec_b64 s[6:7], s[4:5]
	s_cbranch_execz .LBB1_32041
; %bb.56915:
	s_getpc_b64 s[14:15]
.Lpost_getpc14121:
	s_add_u32 s14, s14, (.LBB1_6739-.Lpost_getpc14121)&4294967295
	s_addc_u32 s15, s15, (.LBB1_6739-.Lpost_getpc14121)>>32
	s_setpc_b64 s[14:15]
.LBB1_32041:
	s_getpc_b64 s[14:15]
.Lpost_getpc1684:
	s_add_u32 s14, s14, (.LBB1_6740-.Lpost_getpc1684)&4294967295
	s_addc_u32 s15, s15, (.LBB1_6740-.Lpost_getpc1684)>>32
	s_setpc_b64 s[14:15]
.LBB1_21077:
	s_movk_i32 s4, 0x80
	v_cmp_eq_u16_e32 vcc, s4, v3
	s_mov_b64 s[4:5], -1
                                        ; implicit-def: $sgpr10
	s_and_saveexec_b64 s[8:9], vcc
; %bb.21078:
	s_mov_b32 s10, 0x7f800001
	s_xor_b64 s[4:5], exec, -1
; %bb.21079:
	s_or_b64 exec, exec, s[8:9]
	s_and_b64 s[4:5], s[4:5], exec
                                        ; implicit-def: $vgpr3
	s_or_saveexec_b64 s[6:7], s[6:7]
	v_mov_b32_e32 v6, s10
	s_xor_b64 exec, exec, s[6:7]
	s_cbranch_execnz .LBB1_21080
; %bb.56917:
	s_getpc_b64 s[14:15]
.Lpost_getpc14122:
	s_add_u32 s14, s14, (.LBB1_6742-.Lpost_getpc14122)&4294967295
	s_addc_u32 s15, s15, (.LBB1_6742-.Lpost_getpc14122)>>32
	s_setpc_b64 s[14:15]
.LBB1_21080:
	v_cmp_ne_u16_e32 vcc, 0, v3
	s_andn2_b64 s[4:5], s[4:5], exec
	s_and_b64 s[8:9], vcc, exec
	v_mov_b32_e32 v6, 0
	s_or_b64 s[4:5], s[4:5], s[8:9]
	s_or_b64 exec, exec, s[6:7]
	s_and_saveexec_b64 s[6:7], s[4:5]
	s_cbranch_execz .LBB1_32043
; %bb.56919:
	s_getpc_b64 s[14:15]
.Lpost_getpc14123:
	s_add_u32 s14, s14, (.LBB1_6743-.Lpost_getpc14123)&4294967295
	s_addc_u32 s15, s15, (.LBB1_6743-.Lpost_getpc14123)>>32
	s_setpc_b64 s[14:15]
.LBB1_32043:
	s_getpc_b64 s[14:15]
.Lpost_getpc1685:
	s_add_u32 s14, s14, (.LBB1_6744-.Lpost_getpc1685)&4294967295
	s_addc_u32 s15, s15, (.LBB1_6744-.Lpost_getpc1685)>>32
	s_setpc_b64 s[14:15]
.LBB1_21081:
	s_movk_i32 s4, 0x80
	v_cmp_eq_u16_sdwa s[12:13], v8, s4 src0_sel:BYTE_3 src1_sel:DWORD
	s_mov_b64 s[4:5], -1
                                        ; implicit-def: $sgpr10
	s_and_saveexec_b64 s[8:9], s[12:13]
; %bb.21082:
	s_mov_b32 s10, 0x7f800001
	s_xor_b64 s[4:5], exec, -1
; %bb.21083:
	s_or_b64 exec, exec, s[8:9]
	s_and_b64 s[4:5], s[4:5], exec
	s_or_saveexec_b64 s[6:7], s[6:7]
	v_mov_b32_e32 v2, s10
	s_xor_b64 exec, exec, s[6:7]
	s_cbranch_execnz .LBB1_21084
; %bb.56921:
	s_getpc_b64 s[14:15]
.Lpost_getpc14124:
	s_add_u32 s14, s14, (.LBB1_6746-.Lpost_getpc14124)&4294967295
	s_addc_u32 s15, s15, (.LBB1_6746-.Lpost_getpc14124)>>32
	s_setpc_b64 s[14:15]
.LBB1_21084:
	v_mov_b32_e32 v2, 0
	v_cmp_ne_u16_sdwa s[8:9], v8, v2 src0_sel:BYTE_3 src1_sel:DWORD
	s_andn2_b64 s[4:5], s[4:5], exec
	s_and_b64 s[8:9], s[8:9], exec
	s_or_b64 s[4:5], s[4:5], s[8:9]
	s_or_b64 exec, exec, s[6:7]
	s_and_saveexec_b64 s[6:7], s[4:5]
	s_cbranch_execz .LBB1_32045
; %bb.56923:
	s_getpc_b64 s[14:15]
.Lpost_getpc14125:
	s_add_u32 s14, s14, (.LBB1_6747-.Lpost_getpc14125)&4294967295
	s_addc_u32 s15, s15, (.LBB1_6747-.Lpost_getpc14125)>>32
	s_setpc_b64 s[14:15]
.LBB1_32045:
	s_getpc_b64 s[14:15]
.Lpost_getpc1686:
	s_add_u32 s14, s14, (.LBB1_6748-.Lpost_getpc1686)&4294967295
	s_addc_u32 s15, s15, (.LBB1_6748-.Lpost_getpc1686)>>32
	s_setpc_b64 s[14:15]
.LBB1_21085:
	s_movk_i32 s4, 0x80
	v_cmp_eq_u16_sdwa s[12:13], v4, s4 src0_sel:BYTE_3 src1_sel:DWORD
	s_mov_b64 s[4:5], -1
                                        ; implicit-def: $sgpr10
	s_and_saveexec_b64 s[8:9], s[12:13]
; %bb.21086:
	s_mov_b32 s10, 0x7f800001
	s_xor_b64 s[4:5], exec, -1
; %bb.21087:
	s_or_b64 exec, exec, s[8:9]
	s_and_b64 s[4:5], s[4:5], exec
	s_or_saveexec_b64 s[6:7], s[6:7]
	v_mov_b32_e32 v3, s10
	s_xor_b64 exec, exec, s[6:7]
	s_cbranch_execnz .LBB1_21088
; %bb.56925:
	s_getpc_b64 s[14:15]
.Lpost_getpc14126:
	s_add_u32 s14, s14, (.LBB1_6750-.Lpost_getpc14126)&4294967295
	s_addc_u32 s15, s15, (.LBB1_6750-.Lpost_getpc14126)>>32
	s_setpc_b64 s[14:15]
.LBB1_21088:
	v_mov_b32_e32 v3, 0
	v_cmp_ne_u16_sdwa s[8:9], v4, v3 src0_sel:BYTE_3 src1_sel:DWORD
	s_andn2_b64 s[4:5], s[4:5], exec
	s_and_b64 s[8:9], s[8:9], exec
	s_or_b64 s[4:5], s[4:5], s[8:9]
	s_or_b64 exec, exec, s[6:7]
	s_and_saveexec_b64 s[6:7], s[4:5]
	s_cbranch_execz .LBB1_32047
; %bb.56927:
	s_getpc_b64 s[14:15]
.Lpost_getpc14127:
	s_add_u32 s14, s14, (.LBB1_6751-.Lpost_getpc14127)&4294967295
	s_addc_u32 s15, s15, (.LBB1_6751-.Lpost_getpc14127)>>32
	s_setpc_b64 s[14:15]
.LBB1_32047:
	s_getpc_b64 s[14:15]
.Lpost_getpc1687:
	s_add_u32 s14, s14, (.LBB1_6752-.Lpost_getpc1687)&4294967295
	s_addc_u32 s15, s15, (.LBB1_6752-.Lpost_getpc1687)>>32
	s_setpc_b64 s[14:15]
.LBB1_21089:
	s_movk_i32 s4, 0x80
	v_cmp_eq_u16_sdwa s[12:13], v9, s4 src0_sel:BYTE_0 src1_sel:DWORD
	s_mov_b64 s[4:5], -1
                                        ; implicit-def: $sgpr10
	s_and_saveexec_b64 s[8:9], s[12:13]
; %bb.21090:
	s_mov_b32 s10, 0x7f800001
	s_xor_b64 s[4:5], exec, -1
; %bb.21091:
	s_or_b64 exec, exec, s[8:9]
	s_and_b64 s[4:5], s[4:5], exec
	s_or_saveexec_b64 s[6:7], s[6:7]
	v_mov_b32_e32 v2, s10
	s_xor_b64 exec, exec, s[6:7]
	s_cbranch_execnz .LBB1_21092
; %bb.56929:
	s_getpc_b64 s[14:15]
.Lpost_getpc14128:
	s_add_u32 s14, s14, (.LBB1_6754-.Lpost_getpc14128)&4294967295
	s_addc_u32 s15, s15, (.LBB1_6754-.Lpost_getpc14128)>>32
	s_setpc_b64 s[14:15]
.LBB1_21092:
	v_mov_b32_e32 v2, 0
	v_cmp_ne_u16_sdwa s[8:9], v9, v2 src0_sel:BYTE_0 src1_sel:DWORD
	s_andn2_b64 s[4:5], s[4:5], exec
	s_and_b64 s[8:9], s[8:9], exec
	s_or_b64 s[4:5], s[4:5], s[8:9]
	s_or_b64 exec, exec, s[6:7]
	s_and_saveexec_b64 s[6:7], s[4:5]
	s_cbranch_execz .LBB1_32049
; %bb.56931:
	s_getpc_b64 s[14:15]
.Lpost_getpc14129:
	s_add_u32 s14, s14, (.LBB1_6755-.Lpost_getpc14129)&4294967295
	s_addc_u32 s15, s15, (.LBB1_6755-.Lpost_getpc14129)>>32
	s_setpc_b64 s[14:15]
.LBB1_32049:
	s_getpc_b64 s[14:15]
.Lpost_getpc1688:
	s_add_u32 s14, s14, (.LBB1_6756-.Lpost_getpc1688)&4294967295
	s_addc_u32 s15, s15, (.LBB1_6756-.Lpost_getpc1688)>>32
	s_setpc_b64 s[14:15]
.LBB1_21093:
	s_movk_i32 s4, 0x80
	v_cmp_eq_u16_sdwa s[12:13], v5, s4 src0_sel:BYTE_0 src1_sel:DWORD
	s_mov_b64 s[4:5], -1
                                        ; implicit-def: $sgpr10
	s_and_saveexec_b64 s[8:9], s[12:13]
; %bb.21094:
	s_mov_b32 s10, 0x7f800001
	s_xor_b64 s[4:5], exec, -1
; %bb.21095:
	s_or_b64 exec, exec, s[8:9]
	s_and_b64 s[4:5], s[4:5], exec
	s_or_saveexec_b64 s[6:7], s[6:7]
	v_mov_b32_e32 v3, s10
	s_xor_b64 exec, exec, s[6:7]
	s_cbranch_execnz .LBB1_21096
; %bb.56933:
	s_getpc_b64 s[14:15]
.Lpost_getpc14130:
	s_add_u32 s14, s14, (.LBB1_6758-.Lpost_getpc14130)&4294967295
	s_addc_u32 s15, s15, (.LBB1_6758-.Lpost_getpc14130)>>32
	s_setpc_b64 s[14:15]
.LBB1_21096:
	v_mov_b32_e32 v3, 0
	v_cmp_ne_u16_sdwa s[8:9], v5, v3 src0_sel:BYTE_0 src1_sel:DWORD
	s_andn2_b64 s[4:5], s[4:5], exec
	s_and_b64 s[8:9], s[8:9], exec
	s_or_b64 s[4:5], s[4:5], s[8:9]
	s_or_b64 exec, exec, s[6:7]
	s_and_saveexec_b64 s[6:7], s[4:5]
	s_cbranch_execz .LBB1_32051
; %bb.56935:
	s_getpc_b64 s[14:15]
.Lpost_getpc14131:
	s_add_u32 s14, s14, (.LBB1_6759-.Lpost_getpc14131)&4294967295
	s_addc_u32 s15, s15, (.LBB1_6759-.Lpost_getpc14131)>>32
	s_setpc_b64 s[14:15]
.LBB1_32051:
	s_getpc_b64 s[14:15]
.Lpost_getpc1689:
	s_add_u32 s14, s14, (.LBB1_6760-.Lpost_getpc1689)&4294967295
	s_addc_u32 s15, s15, (.LBB1_6760-.Lpost_getpc1689)>>32
	s_setpc_b64 s[14:15]
.LBB1_21097:
	s_movk_i32 s4, 0x80
	v_cmp_eq_u16_sdwa s[12:13], v3, s4 src0_sel:BYTE_0 src1_sel:DWORD
	s_mov_b64 s[4:5], -1
                                        ; implicit-def: $sgpr10
	s_and_saveexec_b64 s[8:9], s[12:13]
; %bb.21098:
	s_mov_b32 s10, 0x7f800001
	s_xor_b64 s[4:5], exec, -1
; %bb.21099:
	s_or_b64 exec, exec, s[8:9]
	s_and_b64 s[4:5], s[4:5], exec
	s_or_saveexec_b64 s[6:7], s[6:7]
	v_mov_b32_e32 v2, s10
	s_xor_b64 exec, exec, s[6:7]
	s_cbranch_execnz .LBB1_21100
; %bb.56937:
	s_getpc_b64 s[14:15]
.Lpost_getpc14132:
	s_add_u32 s14, s14, (.LBB1_6762-.Lpost_getpc14132)&4294967295
	s_addc_u32 s15, s15, (.LBB1_6762-.Lpost_getpc14132)>>32
	s_setpc_b64 s[14:15]
.LBB1_21100:
	v_mov_b32_e32 v2, 0
	v_cmp_ne_u16_sdwa s[8:9], v3, v2 src0_sel:BYTE_0 src1_sel:DWORD
	s_andn2_b64 s[4:5], s[4:5], exec
	s_and_b64 s[8:9], s[8:9], exec
	s_or_b64 s[4:5], s[4:5], s[8:9]
	s_or_b64 exec, exec, s[6:7]
	s_and_saveexec_b64 s[6:7], s[4:5]
	s_cbranch_execz .LBB1_32053
; %bb.56939:
	s_getpc_b64 s[14:15]
.Lpost_getpc14133:
	s_add_u32 s14, s14, (.LBB1_6763-.Lpost_getpc14133)&4294967295
	s_addc_u32 s15, s15, (.LBB1_6763-.Lpost_getpc14133)>>32
	s_setpc_b64 s[14:15]
.LBB1_32053:
	s_getpc_b64 s[14:15]
.Lpost_getpc1690:
	s_add_u32 s14, s14, (.LBB1_6764-.Lpost_getpc1690)&4294967295
	s_addc_u32 s15, s15, (.LBB1_6764-.Lpost_getpc1690)>>32
	s_setpc_b64 s[14:15]
.LBB1_21101:
	s_movk_i32 s4, 0x80
	v_cmp_eq_u16_sdwa s[12:13], v3, s4 src0_sel:BYTE_0 src1_sel:DWORD
	s_mov_b64 s[4:5], -1
                                        ; implicit-def: $sgpr10
	s_and_saveexec_b64 s[8:9], s[12:13]
; %bb.21102:
	s_mov_b32 s10, 0x7f800001
	s_xor_b64 s[4:5], exec, -1
; %bb.21103:
	s_or_b64 exec, exec, s[8:9]
	s_and_b64 s[4:5], s[4:5], exec
	s_or_saveexec_b64 s[6:7], s[6:7]
	v_mov_b32_e32 v4, s10
	s_xor_b64 exec, exec, s[6:7]
	s_cbranch_execnz .LBB1_21104
; %bb.56941:
	s_getpc_b64 s[14:15]
.Lpost_getpc14134:
	s_add_u32 s14, s14, (.LBB1_6766-.Lpost_getpc14134)&4294967295
	s_addc_u32 s15, s15, (.LBB1_6766-.Lpost_getpc14134)>>32
	s_setpc_b64 s[14:15]
.LBB1_21104:
	v_mov_b32_e32 v4, 0
	v_cmp_ne_u16_sdwa s[8:9], v3, v4 src0_sel:BYTE_0 src1_sel:DWORD
	s_andn2_b64 s[4:5], s[4:5], exec
	s_and_b64 s[8:9], s[8:9], exec
	s_or_b64 s[4:5], s[4:5], s[8:9]
	s_or_b64 exec, exec, s[6:7]
	s_and_saveexec_b64 s[6:7], s[4:5]
	s_cbranch_execz .LBB1_32055
; %bb.56943:
	s_getpc_b64 s[14:15]
.Lpost_getpc14135:
	s_add_u32 s14, s14, (.LBB1_6767-.Lpost_getpc14135)&4294967295
	s_addc_u32 s15, s15, (.LBB1_6767-.Lpost_getpc14135)>>32
	s_setpc_b64 s[14:15]
.LBB1_32055:
	s_getpc_b64 s[14:15]
.Lpost_getpc1691:
	s_add_u32 s14, s14, (.LBB1_6768-.Lpost_getpc1691)&4294967295
	s_addc_u32 s15, s15, (.LBB1_6768-.Lpost_getpc1691)>>32
	s_setpc_b64 s[14:15]
.LBB1_21105:
	s_movk_i32 s4, 0x80
	v_cmp_eq_u16_e32 vcc, s4, v3
	s_mov_b64 s[4:5], -1
                                        ; implicit-def: $sgpr10
	s_and_saveexec_b64 s[8:9], vcc
; %bb.21106:
	s_mov_b32 s10, 0x7f800001
	s_xor_b64 s[4:5], exec, -1
; %bb.21107:
	s_or_b64 exec, exec, s[8:9]
	s_and_b64 s[4:5], s[4:5], exec
                                        ; implicit-def: $vgpr3
	s_or_saveexec_b64 s[6:7], s[6:7]
	v_mov_b32_e32 v2, s10
	s_xor_b64 exec, exec, s[6:7]
	s_cbranch_execnz .LBB1_21108
; %bb.56945:
	s_getpc_b64 s[14:15]
.Lpost_getpc14136:
	s_add_u32 s14, s14, (.LBB1_6770-.Lpost_getpc14136)&4294967295
	s_addc_u32 s15, s15, (.LBB1_6770-.Lpost_getpc14136)>>32
	s_setpc_b64 s[14:15]
.LBB1_21108:
	v_cmp_ne_u16_e32 vcc, 0, v3
	s_andn2_b64 s[4:5], s[4:5], exec
	s_and_b64 s[8:9], vcc, exec
	v_mov_b32_e32 v2, 0
	s_or_b64 s[4:5], s[4:5], s[8:9]
	s_or_b64 exec, exec, s[6:7]
	s_and_saveexec_b64 s[6:7], s[4:5]
	s_cbranch_execz .LBB1_32057
; %bb.56947:
	s_getpc_b64 s[14:15]
.Lpost_getpc14137:
	s_add_u32 s14, s14, (.LBB1_6771-.Lpost_getpc14137)&4294967295
	s_addc_u32 s15, s15, (.LBB1_6771-.Lpost_getpc14137)>>32
	s_setpc_b64 s[14:15]
.LBB1_32057:
	s_getpc_b64 s[14:15]
.Lpost_getpc1692:
	s_add_u32 s14, s14, (.LBB1_6772-.Lpost_getpc1692)&4294967295
	s_addc_u32 s15, s15, (.LBB1_6772-.Lpost_getpc1692)>>32
	s_setpc_b64 s[14:15]
.LBB1_21109:
	s_movk_i32 s4, 0x80
	v_cmp_eq_u16_e32 vcc, s4, v3
	s_mov_b64 s[4:5], -1
                                        ; implicit-def: $sgpr10
	s_and_saveexec_b64 s[8:9], vcc
; %bb.21110:
	s_mov_b32 s10, 0x7f800001
	s_xor_b64 s[4:5], exec, -1
; %bb.21111:
	s_or_b64 exec, exec, s[8:9]
	s_and_b64 s[4:5], s[4:5], exec
                                        ; implicit-def: $vgpr3
	s_or_saveexec_b64 s[6:7], s[6:7]
	v_mov_b32_e32 v4, s10
	s_xor_b64 exec, exec, s[6:7]
	s_cbranch_execnz .LBB1_21112
; %bb.56949:
	s_getpc_b64 s[14:15]
.Lpost_getpc14138:
	s_add_u32 s14, s14, (.LBB1_6774-.Lpost_getpc14138)&4294967295
	s_addc_u32 s15, s15, (.LBB1_6774-.Lpost_getpc14138)>>32
	s_setpc_b64 s[14:15]
.LBB1_21112:
	v_cmp_ne_u16_e32 vcc, 0, v3
	s_andn2_b64 s[4:5], s[4:5], exec
	s_and_b64 s[8:9], vcc, exec
	v_mov_b32_e32 v4, 0
	s_or_b64 s[4:5], s[4:5], s[8:9]
	s_or_b64 exec, exec, s[6:7]
	s_and_saveexec_b64 s[6:7], s[4:5]
	s_cbranch_execz .LBB1_32059
; %bb.56951:
	s_getpc_b64 s[14:15]
.Lpost_getpc14139:
	s_add_u32 s14, s14, (.LBB1_6775-.Lpost_getpc14139)&4294967295
	s_addc_u32 s15, s15, (.LBB1_6775-.Lpost_getpc14139)>>32
	s_setpc_b64 s[14:15]
.LBB1_32059:
	s_getpc_b64 s[14:15]
.Lpost_getpc1693:
	s_add_u32 s14, s14, (.LBB1_6776-.Lpost_getpc1693)&4294967295
	s_addc_u32 s15, s15, (.LBB1_6776-.Lpost_getpc1693)>>32
	s_setpc_b64 s[14:15]
.LBB1_21113:
	s_movk_i32 s4, 0x80
	v_cmp_eq_u16_sdwa s[12:13], v9, s4 src0_sel:BYTE_3 src1_sel:DWORD
	s_mov_b64 s[4:5], -1
                                        ; implicit-def: $sgpr10
	s_and_saveexec_b64 s[8:9], s[12:13]
; %bb.21114:
	s_mov_b32 s10, 0x7f800001
	s_xor_b64 s[4:5], exec, -1
; %bb.21115:
	s_or_b64 exec, exec, s[8:9]
	s_and_b64 s[4:5], s[4:5], exec
	s_or_saveexec_b64 s[6:7], s[6:7]
	v_mov_b32_e32 v2, s10
	s_xor_b64 exec, exec, s[6:7]
	s_cbranch_execnz .LBB1_21116
; %bb.56953:
	s_getpc_b64 s[14:15]
.Lpost_getpc14140:
	s_add_u32 s14, s14, (.LBB1_6778-.Lpost_getpc14140)&4294967295
	s_addc_u32 s15, s15, (.LBB1_6778-.Lpost_getpc14140)>>32
	s_setpc_b64 s[14:15]
.LBB1_21116:
	v_mov_b32_e32 v2, 0
	v_cmp_ne_u16_sdwa s[8:9], v9, v2 src0_sel:BYTE_3 src1_sel:DWORD
	s_andn2_b64 s[4:5], s[4:5], exec
	s_and_b64 s[8:9], s[8:9], exec
	s_or_b64 s[4:5], s[4:5], s[8:9]
	s_or_b64 exec, exec, s[6:7]
	s_and_saveexec_b64 s[6:7], s[4:5]
	s_cbranch_execz .LBB1_32061
; %bb.56955:
	s_getpc_b64 s[14:15]
.Lpost_getpc14141:
	s_add_u32 s14, s14, (.LBB1_6779-.Lpost_getpc14141)&4294967295
	s_addc_u32 s15, s15, (.LBB1_6779-.Lpost_getpc14141)>>32
	s_setpc_b64 s[14:15]
.LBB1_32061:
	s_getpc_b64 s[14:15]
.Lpost_getpc1694:
	s_add_u32 s14, s14, (.LBB1_6780-.Lpost_getpc1694)&4294967295
	s_addc_u32 s15, s15, (.LBB1_6780-.Lpost_getpc1694)>>32
	s_setpc_b64 s[14:15]
.LBB1_21117:
	s_movk_i32 s4, 0x80
	v_cmp_eq_u16_sdwa s[12:13], v5, s4 src0_sel:BYTE_3 src1_sel:DWORD
	s_mov_b64 s[4:5], -1
                                        ; implicit-def: $sgpr10
	s_and_saveexec_b64 s[8:9], s[12:13]
; %bb.21118:
	s_mov_b32 s10, 0x7f800001
	s_xor_b64 s[4:5], exec, -1
; %bb.21119:
	s_or_b64 exec, exec, s[8:9]
	s_and_b64 s[4:5], s[4:5], exec
	s_or_saveexec_b64 s[6:7], s[6:7]
	v_mov_b32_e32 v3, s10
	s_xor_b64 exec, exec, s[6:7]
	s_cbranch_execnz .LBB1_21120
; %bb.56957:
	s_getpc_b64 s[14:15]
.Lpost_getpc14142:
	s_add_u32 s14, s14, (.LBB1_6782-.Lpost_getpc14142)&4294967295
	s_addc_u32 s15, s15, (.LBB1_6782-.Lpost_getpc14142)>>32
	s_setpc_b64 s[14:15]
.LBB1_21120:
	v_mov_b32_e32 v3, 0
	v_cmp_ne_u16_sdwa s[8:9], v5, v3 src0_sel:BYTE_3 src1_sel:DWORD
	s_andn2_b64 s[4:5], s[4:5], exec
	s_and_b64 s[8:9], s[8:9], exec
	s_or_b64 s[4:5], s[4:5], s[8:9]
	s_or_b64 exec, exec, s[6:7]
	s_and_saveexec_b64 s[6:7], s[4:5]
	s_cbranch_execz .LBB1_32063
; %bb.56959:
	s_getpc_b64 s[14:15]
.Lpost_getpc14143:
	s_add_u32 s14, s14, (.LBB1_6783-.Lpost_getpc14143)&4294967295
	s_addc_u32 s15, s15, (.LBB1_6783-.Lpost_getpc14143)>>32
	s_setpc_b64 s[14:15]
.LBB1_32063:
	s_getpc_b64 s[14:15]
.Lpost_getpc1695:
	s_add_u32 s14, s14, (.LBB1_6784-.Lpost_getpc1695)&4294967295
	s_addc_u32 s15, s15, (.LBB1_6784-.Lpost_getpc1695)>>32
	s_setpc_b64 s[14:15]
.LBB1_21121:
	s_movk_i32 s4, 0x80
	v_cmp_eq_u16_sdwa s[12:13], v6, s4 src0_sel:BYTE_0 src1_sel:DWORD
	s_mov_b64 s[4:5], -1
                                        ; implicit-def: $sgpr10
	s_and_saveexec_b64 s[8:9], s[12:13]
; %bb.21122:
	s_mov_b32 s10, 0x7f800001
	s_xor_b64 s[4:5], exec, -1
; %bb.21123:
	s_or_b64 exec, exec, s[8:9]
	s_and_b64 s[4:5], s[4:5], exec
	s_or_saveexec_b64 s[6:7], s[6:7]
	v_mov_b32_e32 v12, s10
	s_xor_b64 exec, exec, s[6:7]
	s_cbranch_execnz .LBB1_21124
; %bb.56961:
	s_getpc_b64 s[14:15]
.Lpost_getpc14144:
	s_add_u32 s14, s14, (.LBB1_6786-.Lpost_getpc14144)&4294967295
	s_addc_u32 s15, s15, (.LBB1_6786-.Lpost_getpc14144)>>32
	s_setpc_b64 s[14:15]
.LBB1_21124:
	v_mov_b32_e32 v12, 0
	v_cmp_ne_u16_sdwa s[8:9], v6, v12 src0_sel:BYTE_0 src1_sel:DWORD
	s_andn2_b64 s[4:5], s[4:5], exec
	s_and_b64 s[8:9], s[8:9], exec
	s_or_b64 s[4:5], s[4:5], s[8:9]
	s_or_b64 exec, exec, s[6:7]
	s_and_saveexec_b64 s[6:7], s[4:5]
	s_cbranch_execz .LBB1_32065
; %bb.56963:
	s_getpc_b64 s[14:15]
.Lpost_getpc14145:
	s_add_u32 s14, s14, (.LBB1_6787-.Lpost_getpc14145)&4294967295
	s_addc_u32 s15, s15, (.LBB1_6787-.Lpost_getpc14145)>>32
	s_setpc_b64 s[14:15]
.LBB1_32065:
	s_getpc_b64 s[14:15]
.Lpost_getpc1696:
	s_add_u32 s14, s14, (.LBB1_6788-.Lpost_getpc1696)&4294967295
	s_addc_u32 s15, s15, (.LBB1_6788-.Lpost_getpc1696)>>32
	s_setpc_b64 s[14:15]
.LBB1_21125:
	s_movk_i32 s4, 0x80
	v_cmp_eq_u16_sdwa s[12:13], v2, s4 src0_sel:BYTE_0 src1_sel:DWORD
	s_mov_b64 s[4:5], -1
                                        ; implicit-def: $sgpr10
	s_and_saveexec_b64 s[8:9], s[12:13]
; %bb.21126:
	s_mov_b32 s10, 0x7f800001
	s_xor_b64 s[4:5], exec, -1
; %bb.21127:
	s_or_b64 exec, exec, s[8:9]
	s_and_b64 s[4:5], s[4:5], exec
	s_or_saveexec_b64 s[6:7], s[6:7]
	v_mov_b32_e32 v13, s10
	s_xor_b64 exec, exec, s[6:7]
	s_cbranch_execnz .LBB1_21128
; %bb.56965:
	s_getpc_b64 s[14:15]
.Lpost_getpc14146:
	s_add_u32 s14, s14, (.LBB1_6790-.Lpost_getpc14146)&4294967295
	s_addc_u32 s15, s15, (.LBB1_6790-.Lpost_getpc14146)>>32
	s_setpc_b64 s[14:15]
.LBB1_21128:
	v_mov_b32_e32 v13, 0
	v_cmp_ne_u16_sdwa s[8:9], v2, v13 src0_sel:BYTE_0 src1_sel:DWORD
	s_andn2_b64 s[4:5], s[4:5], exec
	s_and_b64 s[8:9], s[8:9], exec
	s_or_b64 s[4:5], s[4:5], s[8:9]
	s_or_b64 exec, exec, s[6:7]
	s_and_saveexec_b64 s[6:7], s[4:5]
	s_cbranch_execz .LBB1_32067
; %bb.56967:
	s_getpc_b64 s[14:15]
.Lpost_getpc14147:
	s_add_u32 s14, s14, (.LBB1_6791-.Lpost_getpc14147)&4294967295
	s_addc_u32 s15, s15, (.LBB1_6791-.Lpost_getpc14147)>>32
	s_setpc_b64 s[14:15]
.LBB1_32067:
	s_getpc_b64 s[14:15]
.Lpost_getpc1697:
	s_add_u32 s14, s14, (.LBB1_6792-.Lpost_getpc1697)&4294967295
	s_addc_u32 s15, s15, (.LBB1_6792-.Lpost_getpc1697)>>32
	s_setpc_b64 s[14:15]
.LBB1_21129:
	s_movk_i32 s4, 0x80
	v_cmp_eq_u16_sdwa s[12:13], v13, s4 src0_sel:BYTE_0 src1_sel:DWORD
	s_mov_b64 s[4:5], -1
                                        ; implicit-def: $sgpr10
	s_and_saveexec_b64 s[8:9], s[12:13]
; %bb.21130:
	s_mov_b32 s10, 0x7f800001
	s_xor_b64 s[4:5], exec, -1
; %bb.21131:
	s_or_b64 exec, exec, s[8:9]
	s_and_b64 s[4:5], s[4:5], exec
	s_or_saveexec_b64 s[6:7], s[6:7]
	v_mov_b32_e32 v12, s10
	s_xor_b64 exec, exec, s[6:7]
	s_cbranch_execnz .LBB1_21132
; %bb.56969:
	s_getpc_b64 s[14:15]
.Lpost_getpc14148:
	s_add_u32 s14, s14, (.LBB1_6794-.Lpost_getpc14148)&4294967295
	s_addc_u32 s15, s15, (.LBB1_6794-.Lpost_getpc14148)>>32
	s_setpc_b64 s[14:15]
.LBB1_21132:
	v_mov_b32_e32 v12, 0
	v_cmp_ne_u16_sdwa s[8:9], v13, v12 src0_sel:BYTE_0 src1_sel:DWORD
	s_andn2_b64 s[4:5], s[4:5], exec
	s_and_b64 s[8:9], s[8:9], exec
	s_or_b64 s[4:5], s[4:5], s[8:9]
	s_or_b64 exec, exec, s[6:7]
	s_and_saveexec_b64 s[6:7], s[4:5]
	s_cbranch_execz .LBB1_32069
; %bb.56971:
	s_getpc_b64 s[14:15]
.Lpost_getpc14149:
	s_add_u32 s14, s14, (.LBB1_6795-.Lpost_getpc14149)&4294967295
	s_addc_u32 s15, s15, (.LBB1_6795-.Lpost_getpc14149)>>32
	s_setpc_b64 s[14:15]
.LBB1_32069:
	s_getpc_b64 s[14:15]
.Lpost_getpc1698:
	s_add_u32 s14, s14, (.LBB1_6796-.Lpost_getpc1698)&4294967295
	s_addc_u32 s15, s15, (.LBB1_6796-.Lpost_getpc1698)>>32
	s_setpc_b64 s[14:15]
.LBB1_21133:
	s_movk_i32 s4, 0x80
	v_cmp_eq_u16_sdwa s[12:13], v13, s4 src0_sel:BYTE_0 src1_sel:DWORD
	s_mov_b64 s[4:5], -1
                                        ; implicit-def: $sgpr10
	s_and_saveexec_b64 s[8:9], s[12:13]
; %bb.21134:
	s_mov_b32 s10, 0x7f800001
	s_xor_b64 s[4:5], exec, -1
; %bb.21135:
	s_or_b64 exec, exec, s[8:9]
	s_and_b64 s[4:5], s[4:5], exec
	s_or_saveexec_b64 s[6:7], s[6:7]
	v_mov_b32_e32 v14, s10
	s_xor_b64 exec, exec, s[6:7]
	s_cbranch_execnz .LBB1_21136
; %bb.56973:
	s_getpc_b64 s[14:15]
.Lpost_getpc14150:
	s_add_u32 s14, s14, (.LBB1_6798-.Lpost_getpc14150)&4294967295
	s_addc_u32 s15, s15, (.LBB1_6798-.Lpost_getpc14150)>>32
	s_setpc_b64 s[14:15]
.LBB1_21136:
	v_mov_b32_e32 v14, 0
	v_cmp_ne_u16_sdwa s[8:9], v13, v14 src0_sel:BYTE_0 src1_sel:DWORD
	s_andn2_b64 s[4:5], s[4:5], exec
	s_and_b64 s[8:9], s[8:9], exec
	s_or_b64 s[4:5], s[4:5], s[8:9]
	s_or_b64 exec, exec, s[6:7]
	s_and_saveexec_b64 s[6:7], s[4:5]
	s_cbranch_execz .LBB1_32071
; %bb.56975:
	s_getpc_b64 s[14:15]
.Lpost_getpc14151:
	s_add_u32 s14, s14, (.LBB1_6799-.Lpost_getpc14151)&4294967295
	s_addc_u32 s15, s15, (.LBB1_6799-.Lpost_getpc14151)>>32
	s_setpc_b64 s[14:15]
.LBB1_32071:
	s_getpc_b64 s[14:15]
.Lpost_getpc1699:
	s_add_u32 s14, s14, (.LBB1_6800-.Lpost_getpc1699)&4294967295
	s_addc_u32 s15, s15, (.LBB1_6800-.Lpost_getpc1699)>>32
	s_setpc_b64 s[14:15]
.LBB1_21137:
	s_movk_i32 s4, 0x80
	v_cmp_eq_u16_e32 vcc, s4, v13
	s_mov_b64 s[4:5], -1
                                        ; implicit-def: $sgpr10
	s_and_saveexec_b64 s[8:9], vcc
; %bb.21138:
	s_mov_b32 s10, 0x7f800001
	s_xor_b64 s[4:5], exec, -1
; %bb.21139:
	s_or_b64 exec, exec, s[8:9]
	s_and_b64 s[4:5], s[4:5], exec
                                        ; implicit-def: $vgpr13
	s_or_saveexec_b64 s[6:7], s[6:7]
	v_mov_b32_e32 v12, s10
	s_xor_b64 exec, exec, s[6:7]
	s_cbranch_execnz .LBB1_21140
; %bb.56977:
	s_getpc_b64 s[14:15]
.Lpost_getpc14152:
	s_add_u32 s14, s14, (.LBB1_6802-.Lpost_getpc14152)&4294967295
	s_addc_u32 s15, s15, (.LBB1_6802-.Lpost_getpc14152)>>32
	s_setpc_b64 s[14:15]
.LBB1_21140:
	v_cmp_ne_u16_e32 vcc, 0, v13
	s_andn2_b64 s[4:5], s[4:5], exec
	s_and_b64 s[8:9], vcc, exec
	v_mov_b32_e32 v12, 0
	s_or_b64 s[4:5], s[4:5], s[8:9]
	s_or_b64 exec, exec, s[6:7]
	s_and_saveexec_b64 s[6:7], s[4:5]
	s_cbranch_execz .LBB1_32073
; %bb.56979:
	s_getpc_b64 s[14:15]
.Lpost_getpc14153:
	s_add_u32 s14, s14, (.LBB1_6803-.Lpost_getpc14153)&4294967295
	s_addc_u32 s15, s15, (.LBB1_6803-.Lpost_getpc14153)>>32
	s_setpc_b64 s[14:15]
.LBB1_32073:
	s_getpc_b64 s[14:15]
.Lpost_getpc1700:
	s_add_u32 s14, s14, (.LBB1_6804-.Lpost_getpc1700)&4294967295
	s_addc_u32 s15, s15, (.LBB1_6804-.Lpost_getpc1700)>>32
	s_setpc_b64 s[14:15]
.LBB1_21141:
	s_movk_i32 s4, 0x80
	v_cmp_eq_u16_e32 vcc, s4, v13
	s_mov_b64 s[4:5], -1
                                        ; implicit-def: $sgpr10
	s_and_saveexec_b64 s[8:9], vcc
; %bb.21142:
	s_mov_b32 s10, 0x7f800001
	s_xor_b64 s[4:5], exec, -1
; %bb.21143:
	s_or_b64 exec, exec, s[8:9]
	s_and_b64 s[4:5], s[4:5], exec
                                        ; implicit-def: $vgpr13
	s_or_saveexec_b64 s[6:7], s[6:7]
	v_mov_b32_e32 v14, s10
	s_xor_b64 exec, exec, s[6:7]
	s_cbranch_execnz .LBB1_21144
; %bb.56981:
	s_getpc_b64 s[14:15]
.Lpost_getpc14154:
	s_add_u32 s14, s14, (.LBB1_6806-.Lpost_getpc14154)&4294967295
	s_addc_u32 s15, s15, (.LBB1_6806-.Lpost_getpc14154)>>32
	s_setpc_b64 s[14:15]
.LBB1_21144:
	v_cmp_ne_u16_e32 vcc, 0, v13
	s_andn2_b64 s[4:5], s[4:5], exec
	s_and_b64 s[8:9], vcc, exec
	v_mov_b32_e32 v14, 0
	s_or_b64 s[4:5], s[4:5], s[8:9]
	s_or_b64 exec, exec, s[6:7]
	s_and_saveexec_b64 s[6:7], s[4:5]
	s_cbranch_execz .LBB1_32075
; %bb.56983:
	s_getpc_b64 s[14:15]
.Lpost_getpc14155:
	s_add_u32 s14, s14, (.LBB1_6807-.Lpost_getpc14155)&4294967295
	s_addc_u32 s15, s15, (.LBB1_6807-.Lpost_getpc14155)>>32
	s_setpc_b64 s[14:15]
.LBB1_32075:
	s_getpc_b64 s[14:15]
.Lpost_getpc1701:
	s_add_u32 s14, s14, (.LBB1_6808-.Lpost_getpc1701)&4294967295
	s_addc_u32 s15, s15, (.LBB1_6808-.Lpost_getpc1701)>>32
	s_setpc_b64 s[14:15]
.LBB1_21145:
	s_movk_i32 s4, 0x80
	v_cmp_eq_u16_sdwa s[12:13], v6, s4 src0_sel:BYTE_3 src1_sel:DWORD
	s_mov_b64 s[4:5], -1
                                        ; implicit-def: $sgpr10
	s_and_saveexec_b64 s[8:9], s[12:13]
; %bb.21146:
	s_mov_b32 s10, 0x7f800001
	s_xor_b64 s[4:5], exec, -1
; %bb.21147:
	s_or_b64 exec, exec, s[8:9]
	s_and_b64 s[4:5], s[4:5], exec
	s_or_saveexec_b64 s[6:7], s[6:7]
	v_mov_b32_e32 v12, s10
	s_xor_b64 exec, exec, s[6:7]
	s_cbranch_execnz .LBB1_21148
; %bb.56985:
	s_getpc_b64 s[14:15]
.Lpost_getpc14156:
	s_add_u32 s14, s14, (.LBB1_6810-.Lpost_getpc14156)&4294967295
	s_addc_u32 s15, s15, (.LBB1_6810-.Lpost_getpc14156)>>32
	s_setpc_b64 s[14:15]
.LBB1_21148:
	v_mov_b32_e32 v12, 0
	v_cmp_ne_u16_sdwa s[8:9], v6, v12 src0_sel:BYTE_3 src1_sel:DWORD
	s_andn2_b64 s[4:5], s[4:5], exec
	s_and_b64 s[8:9], s[8:9], exec
	s_or_b64 s[4:5], s[4:5], s[8:9]
	s_or_b64 exec, exec, s[6:7]
	s_and_saveexec_b64 s[6:7], s[4:5]
	s_cbranch_execz .LBB1_32077
; %bb.56987:
	s_getpc_b64 s[14:15]
.Lpost_getpc14157:
	s_add_u32 s14, s14, (.LBB1_6811-.Lpost_getpc14157)&4294967295
	s_addc_u32 s15, s15, (.LBB1_6811-.Lpost_getpc14157)>>32
	s_setpc_b64 s[14:15]
.LBB1_32077:
	s_getpc_b64 s[14:15]
.Lpost_getpc1702:
	s_add_u32 s14, s14, (.LBB1_6812-.Lpost_getpc1702)&4294967295
	s_addc_u32 s15, s15, (.LBB1_6812-.Lpost_getpc1702)>>32
	s_setpc_b64 s[14:15]
.LBB1_21149:
	s_movk_i32 s4, 0x80
	v_cmp_eq_u16_sdwa s[12:13], v2, s4 src0_sel:BYTE_3 src1_sel:DWORD
	s_mov_b64 s[4:5], -1
                                        ; implicit-def: $sgpr10
	s_and_saveexec_b64 s[8:9], s[12:13]
; %bb.21150:
	s_mov_b32 s10, 0x7f800001
	s_xor_b64 s[4:5], exec, -1
; %bb.21151:
	s_or_b64 exec, exec, s[8:9]
	s_and_b64 s[4:5], s[4:5], exec
	s_or_saveexec_b64 s[6:7], s[6:7]
	v_mov_b32_e32 v6, s10
	s_xor_b64 exec, exec, s[6:7]
	s_cbranch_execnz .LBB1_21152
; %bb.56989:
	s_getpc_b64 s[14:15]
.Lpost_getpc14158:
	s_add_u32 s14, s14, (.LBB1_6814-.Lpost_getpc14158)&4294967295
	s_addc_u32 s15, s15, (.LBB1_6814-.Lpost_getpc14158)>>32
	s_setpc_b64 s[14:15]
.LBB1_21152:
	v_mov_b32_e32 v6, 0
	v_cmp_ne_u16_sdwa s[8:9], v2, v6 src0_sel:BYTE_3 src1_sel:DWORD
	s_andn2_b64 s[4:5], s[4:5], exec
	s_and_b64 s[8:9], s[8:9], exec
	s_or_b64 s[4:5], s[4:5], s[8:9]
	s_or_b64 exec, exec, s[6:7]
	s_and_saveexec_b64 s[6:7], s[4:5]
	s_cbranch_execz .LBB1_32079
; %bb.56991:
	s_getpc_b64 s[14:15]
.Lpost_getpc14159:
	s_add_u32 s14, s14, (.LBB1_6815-.Lpost_getpc14159)&4294967295
	s_addc_u32 s15, s15, (.LBB1_6815-.Lpost_getpc14159)>>32
	s_setpc_b64 s[14:15]
.LBB1_32079:
	s_getpc_b64 s[14:15]
.Lpost_getpc1703:
	s_add_u32 s14, s14, (.LBB1_6816-.Lpost_getpc1703)&4294967295
	s_addc_u32 s15, s15, (.LBB1_6816-.Lpost_getpc1703)>>32
	s_setpc_b64 s[14:15]
.LBB1_21153:
	s_movk_i32 s4, 0x80
	v_cmp_eq_u16_sdwa s[12:13], v7, s4 src0_sel:BYTE_0 src1_sel:DWORD
	s_mov_b64 s[4:5], -1
                                        ; implicit-def: $sgpr10
	s_and_saveexec_b64 s[8:9], s[12:13]
; %bb.21154:
	s_mov_b32 s10, 0x7f800001
	s_xor_b64 s[4:5], exec, -1
; %bb.21155:
	s_or_b64 exec, exec, s[8:9]
	s_and_b64 s[4:5], s[4:5], exec
	s_or_saveexec_b64 s[6:7], s[6:7]
	v_mov_b32_e32 v2, s10
	s_xor_b64 exec, exec, s[6:7]
	s_cbranch_execnz .LBB1_21156
; %bb.56993:
	s_getpc_b64 s[14:15]
.Lpost_getpc14160:
	s_add_u32 s14, s14, (.LBB1_6818-.Lpost_getpc14160)&4294967295
	s_addc_u32 s15, s15, (.LBB1_6818-.Lpost_getpc14160)>>32
	s_setpc_b64 s[14:15]
.LBB1_21156:
	v_mov_b32_e32 v2, 0
	v_cmp_ne_u16_sdwa s[8:9], v7, v2 src0_sel:BYTE_0 src1_sel:DWORD
	s_andn2_b64 s[4:5], s[4:5], exec
	s_and_b64 s[8:9], s[8:9], exec
	s_or_b64 s[4:5], s[4:5], s[8:9]
	s_or_b64 exec, exec, s[6:7]
	s_and_saveexec_b64 s[6:7], s[4:5]
	s_cbranch_execz .LBB1_32081
; %bb.56995:
	s_getpc_b64 s[14:15]
.Lpost_getpc14161:
	s_add_u32 s14, s14, (.LBB1_6819-.Lpost_getpc14161)&4294967295
	s_addc_u32 s15, s15, (.LBB1_6819-.Lpost_getpc14161)>>32
	s_setpc_b64 s[14:15]
.LBB1_32081:
	s_getpc_b64 s[14:15]
.Lpost_getpc1704:
	s_add_u32 s14, s14, (.LBB1_6820-.Lpost_getpc1704)&4294967295
	s_addc_u32 s15, s15, (.LBB1_6820-.Lpost_getpc1704)>>32
	s_setpc_b64 s[14:15]
.LBB1_21157:
	s_movk_i32 s4, 0x80
	v_cmp_eq_u16_sdwa s[12:13], v3, s4 src0_sel:BYTE_0 src1_sel:DWORD
	s_mov_b64 s[4:5], -1
                                        ; implicit-def: $sgpr10
	s_and_saveexec_b64 s[8:9], s[12:13]
; %bb.21158:
	s_mov_b32 s10, 0x7f800001
	s_xor_b64 s[4:5], exec, -1
; %bb.21159:
	s_or_b64 exec, exec, s[8:9]
	s_and_b64 s[4:5], s[4:5], exec
	s_or_saveexec_b64 s[6:7], s[6:7]
	v_mov_b32_e32 v6, s10
	s_xor_b64 exec, exec, s[6:7]
	s_cbranch_execnz .LBB1_21160
; %bb.56997:
	s_getpc_b64 s[14:15]
.Lpost_getpc14162:
	s_add_u32 s14, s14, (.LBB1_6822-.Lpost_getpc14162)&4294967295
	s_addc_u32 s15, s15, (.LBB1_6822-.Lpost_getpc14162)>>32
	s_setpc_b64 s[14:15]
.LBB1_21160:
	v_mov_b32_e32 v6, 0
	v_cmp_ne_u16_sdwa s[8:9], v3, v6 src0_sel:BYTE_0 src1_sel:DWORD
	s_andn2_b64 s[4:5], s[4:5], exec
	s_and_b64 s[8:9], s[8:9], exec
	s_or_b64 s[4:5], s[4:5], s[8:9]
	s_or_b64 exec, exec, s[6:7]
	s_and_saveexec_b64 s[6:7], s[4:5]
	s_cbranch_execz .LBB1_32083
; %bb.56999:
	s_getpc_b64 s[14:15]
.Lpost_getpc14163:
	s_add_u32 s14, s14, (.LBB1_6823-.Lpost_getpc14163)&4294967295
	s_addc_u32 s15, s15, (.LBB1_6823-.Lpost_getpc14163)>>32
	s_setpc_b64 s[14:15]
.LBB1_32083:
	s_getpc_b64 s[14:15]
.Lpost_getpc1705:
	s_add_u32 s14, s14, (.LBB1_6824-.Lpost_getpc1705)&4294967295
	s_addc_u32 s15, s15, (.LBB1_6824-.Lpost_getpc1705)>>32
	s_setpc_b64 s[14:15]
.LBB1_21161:
	s_movk_i32 s4, 0x80
	v_cmp_eq_u16_sdwa s[12:13], v6, s4 src0_sel:BYTE_0 src1_sel:DWORD
	s_mov_b64 s[4:5], -1
                                        ; implicit-def: $sgpr10
	s_and_saveexec_b64 s[8:9], s[12:13]
; %bb.21162:
	s_mov_b32 s10, 0x7f800001
	s_xor_b64 s[4:5], exec, -1
; %bb.21163:
	s_or_b64 exec, exec, s[8:9]
	s_and_b64 s[4:5], s[4:5], exec
	s_or_saveexec_b64 s[6:7], s[6:7]
	v_mov_b32_e32 v2, s10
	s_xor_b64 exec, exec, s[6:7]
	s_cbranch_execnz .LBB1_21164
; %bb.57001:
	s_getpc_b64 s[14:15]
.Lpost_getpc14164:
	s_add_u32 s14, s14, (.LBB1_6826-.Lpost_getpc14164)&4294967295
	s_addc_u32 s15, s15, (.LBB1_6826-.Lpost_getpc14164)>>32
	s_setpc_b64 s[14:15]
.LBB1_21164:
	v_mov_b32_e32 v2, 0
	v_cmp_ne_u16_sdwa s[8:9], v6, v2 src0_sel:BYTE_0 src1_sel:DWORD
	s_andn2_b64 s[4:5], s[4:5], exec
	s_and_b64 s[8:9], s[8:9], exec
	s_or_b64 s[4:5], s[4:5], s[8:9]
	s_or_b64 exec, exec, s[6:7]
	s_and_saveexec_b64 s[6:7], s[4:5]
	s_cbranch_execz .LBB1_32085
; %bb.57003:
	s_getpc_b64 s[14:15]
.Lpost_getpc14165:
	s_add_u32 s14, s14, (.LBB1_6827-.Lpost_getpc14165)&4294967295
	s_addc_u32 s15, s15, (.LBB1_6827-.Lpost_getpc14165)>>32
	s_setpc_b64 s[14:15]
.LBB1_32085:
	s_getpc_b64 s[14:15]
.Lpost_getpc1706:
	s_add_u32 s14, s14, (.LBB1_6828-.Lpost_getpc1706)&4294967295
	s_addc_u32 s15, s15, (.LBB1_6828-.Lpost_getpc1706)>>32
	s_setpc_b64 s[14:15]
.LBB1_21165:
	s_movk_i32 s4, 0x80
	v_cmp_eq_u16_sdwa s[12:13], v6, s4 src0_sel:BYTE_0 src1_sel:DWORD
	s_mov_b64 s[4:5], -1
                                        ; implicit-def: $sgpr10
	s_and_saveexec_b64 s[8:9], s[12:13]
; %bb.21166:
	s_mov_b32 s10, 0x7f800001
	s_xor_b64 s[4:5], exec, -1
; %bb.21167:
	s_or_b64 exec, exec, s[8:9]
	s_and_b64 s[4:5], s[4:5], exec
	s_or_saveexec_b64 s[6:7], s[6:7]
	v_mov_b32_e32 v12, s10
	s_xor_b64 exec, exec, s[6:7]
	s_cbranch_execnz .LBB1_21168
; %bb.57005:
	s_getpc_b64 s[14:15]
.Lpost_getpc14166:
	s_add_u32 s14, s14, (.LBB1_6830-.Lpost_getpc14166)&4294967295
	s_addc_u32 s15, s15, (.LBB1_6830-.Lpost_getpc14166)>>32
	s_setpc_b64 s[14:15]
.LBB1_21168:
	v_mov_b32_e32 v12, 0
	v_cmp_ne_u16_sdwa s[8:9], v6, v12 src0_sel:BYTE_0 src1_sel:DWORD
	s_andn2_b64 s[4:5], s[4:5], exec
	s_and_b64 s[8:9], s[8:9], exec
	s_or_b64 s[4:5], s[4:5], s[8:9]
	s_or_b64 exec, exec, s[6:7]
	s_and_saveexec_b64 s[6:7], s[4:5]
	s_cbranch_execz .LBB1_32087
; %bb.57007:
	s_getpc_b64 s[14:15]
.Lpost_getpc14167:
	s_add_u32 s14, s14, (.LBB1_6831-.Lpost_getpc14167)&4294967295
	s_addc_u32 s15, s15, (.LBB1_6831-.Lpost_getpc14167)>>32
	s_setpc_b64 s[14:15]
.LBB1_32087:
	s_getpc_b64 s[14:15]
.Lpost_getpc1707:
	s_add_u32 s14, s14, (.LBB1_6832-.Lpost_getpc1707)&4294967295
	s_addc_u32 s15, s15, (.LBB1_6832-.Lpost_getpc1707)>>32
	s_setpc_b64 s[14:15]
.LBB1_21169:
	s_movk_i32 s4, 0x80
	v_cmp_eq_u16_e32 vcc, s4, v6
	s_mov_b64 s[4:5], -1
                                        ; implicit-def: $sgpr10
	s_and_saveexec_b64 s[8:9], vcc
; %bb.21170:
	s_mov_b32 s10, 0x7f800001
	s_xor_b64 s[4:5], exec, -1
; %bb.21171:
	s_or_b64 exec, exec, s[8:9]
	s_and_b64 s[4:5], s[4:5], exec
                                        ; implicit-def: $vgpr6
	s_or_saveexec_b64 s[6:7], s[6:7]
	v_mov_b32_e32 v2, s10
	s_xor_b64 exec, exec, s[6:7]
	s_cbranch_execnz .LBB1_21172
; %bb.57009:
	s_getpc_b64 s[14:15]
.Lpost_getpc14168:
	s_add_u32 s14, s14, (.LBB1_6834-.Lpost_getpc14168)&4294967295
	s_addc_u32 s15, s15, (.LBB1_6834-.Lpost_getpc14168)>>32
	s_setpc_b64 s[14:15]
.LBB1_21172:
	v_cmp_ne_u16_e32 vcc, 0, v6
	s_andn2_b64 s[4:5], s[4:5], exec
	s_and_b64 s[8:9], vcc, exec
	v_mov_b32_e32 v2, 0
	s_or_b64 s[4:5], s[4:5], s[8:9]
	s_or_b64 exec, exec, s[6:7]
	s_and_saveexec_b64 s[6:7], s[4:5]
	s_cbranch_execz .LBB1_32089
; %bb.57011:
	s_getpc_b64 s[14:15]
.Lpost_getpc14169:
	s_add_u32 s14, s14, (.LBB1_6835-.Lpost_getpc14169)&4294967295
	s_addc_u32 s15, s15, (.LBB1_6835-.Lpost_getpc14169)>>32
	s_setpc_b64 s[14:15]
.LBB1_32089:
	s_getpc_b64 s[14:15]
.Lpost_getpc1708:
	s_add_u32 s14, s14, (.LBB1_6836-.Lpost_getpc1708)&4294967295
	s_addc_u32 s15, s15, (.LBB1_6836-.Lpost_getpc1708)>>32
	s_setpc_b64 s[14:15]
.LBB1_21173:
	s_movk_i32 s4, 0x80
	v_cmp_eq_u16_e32 vcc, s4, v6
	s_mov_b64 s[4:5], -1
                                        ; implicit-def: $sgpr10
	s_and_saveexec_b64 s[8:9], vcc
; %bb.21174:
	s_mov_b32 s10, 0x7f800001
	s_xor_b64 s[4:5], exec, -1
; %bb.21175:
	s_or_b64 exec, exec, s[8:9]
	s_and_b64 s[4:5], s[4:5], exec
                                        ; implicit-def: $vgpr6
	s_or_saveexec_b64 s[6:7], s[6:7]
	v_mov_b32_e32 v12, s10
	s_xor_b64 exec, exec, s[6:7]
	s_cbranch_execnz .LBB1_21176
; %bb.57013:
	s_getpc_b64 s[14:15]
.Lpost_getpc14170:
	s_add_u32 s14, s14, (.LBB1_6838-.Lpost_getpc14170)&4294967295
	s_addc_u32 s15, s15, (.LBB1_6838-.Lpost_getpc14170)>>32
	s_setpc_b64 s[14:15]
.LBB1_21176:
	v_cmp_ne_u16_e32 vcc, 0, v6
	s_andn2_b64 s[4:5], s[4:5], exec
	s_and_b64 s[8:9], vcc, exec
	v_mov_b32_e32 v12, 0
	s_or_b64 s[4:5], s[4:5], s[8:9]
	s_or_b64 exec, exec, s[6:7]
	s_and_saveexec_b64 s[6:7], s[4:5]
	s_cbranch_execz .LBB1_32091
; %bb.57015:
	s_getpc_b64 s[14:15]
.Lpost_getpc14171:
	s_add_u32 s14, s14, (.LBB1_6839-.Lpost_getpc14171)&4294967295
	s_addc_u32 s15, s15, (.LBB1_6839-.Lpost_getpc14171)>>32
	s_setpc_b64 s[14:15]
.LBB1_32091:
	s_getpc_b64 s[14:15]
.Lpost_getpc1709:
	s_add_u32 s14, s14, (.LBB1_6840-.Lpost_getpc1709)&4294967295
	s_addc_u32 s15, s15, (.LBB1_6840-.Lpost_getpc1709)>>32
	s_setpc_b64 s[14:15]
.LBB1_21177:
	s_movk_i32 s4, 0x80
	v_cmp_eq_u16_sdwa s[12:13], v7, s4 src0_sel:BYTE_3 src1_sel:DWORD
	s_mov_b64 s[4:5], -1
                                        ; implicit-def: $sgpr10
	s_and_saveexec_b64 s[8:9], s[12:13]
; %bb.21178:
	s_mov_b32 s10, 0x7f800001
	s_xor_b64 s[4:5], exec, -1
; %bb.21179:
	s_or_b64 exec, exec, s[8:9]
	s_and_b64 s[4:5], s[4:5], exec
	s_or_saveexec_b64 s[6:7], s[6:7]
	v_mov_b32_e32 v2, s10
	s_xor_b64 exec, exec, s[6:7]
	s_cbranch_execnz .LBB1_21180
; %bb.57017:
	s_getpc_b64 s[14:15]
.Lpost_getpc14172:
	s_add_u32 s14, s14, (.LBB1_6842-.Lpost_getpc14172)&4294967295
	s_addc_u32 s15, s15, (.LBB1_6842-.Lpost_getpc14172)>>32
	s_setpc_b64 s[14:15]
.LBB1_21180:
	v_mov_b32_e32 v2, 0
	v_cmp_ne_u16_sdwa s[8:9], v7, v2 src0_sel:BYTE_3 src1_sel:DWORD
	s_andn2_b64 s[4:5], s[4:5], exec
	s_and_b64 s[8:9], s[8:9], exec
	s_or_b64 s[4:5], s[4:5], s[8:9]
	s_or_b64 exec, exec, s[6:7]
	s_and_saveexec_b64 s[6:7], s[4:5]
	s_cbranch_execz .LBB1_32093
; %bb.57019:
	s_getpc_b64 s[14:15]
.Lpost_getpc14173:
	s_add_u32 s14, s14, (.LBB1_6843-.Lpost_getpc14173)&4294967295
	s_addc_u32 s15, s15, (.LBB1_6843-.Lpost_getpc14173)>>32
	s_setpc_b64 s[14:15]
.LBB1_32093:
	s_getpc_b64 s[14:15]
.Lpost_getpc1710:
	s_add_u32 s14, s14, (.LBB1_6844-.Lpost_getpc1710)&4294967295
	s_addc_u32 s15, s15, (.LBB1_6844-.Lpost_getpc1710)>>32
	s_setpc_b64 s[14:15]
.LBB1_21181:
	s_movk_i32 s4, 0x80
	v_cmp_eq_u16_sdwa s[12:13], v3, s4 src0_sel:BYTE_3 src1_sel:DWORD
	s_mov_b64 s[4:5], -1
                                        ; implicit-def: $sgpr10
	s_and_saveexec_b64 s[8:9], s[12:13]
; %bb.21182:
	s_mov_b32 s10, 0x7f800001
	s_xor_b64 s[4:5], exec, -1
; %bb.21183:
	s_or_b64 exec, exec, s[8:9]
	s_and_b64 s[4:5], s[4:5], exec
	s_or_saveexec_b64 s[6:7], s[6:7]
	v_mov_b32_e32 v6, s10
	s_xor_b64 exec, exec, s[6:7]
	s_cbranch_execnz .LBB1_21184
; %bb.57021:
	s_getpc_b64 s[14:15]
.Lpost_getpc14174:
	s_add_u32 s14, s14, (.LBB1_6846-.Lpost_getpc14174)&4294967295
	s_addc_u32 s15, s15, (.LBB1_6846-.Lpost_getpc14174)>>32
	s_setpc_b64 s[14:15]
.LBB1_21184:
	v_mov_b32_e32 v6, 0
	v_cmp_ne_u16_sdwa s[8:9], v3, v6 src0_sel:BYTE_3 src1_sel:DWORD
	s_andn2_b64 s[4:5], s[4:5], exec
	s_and_b64 s[8:9], s[8:9], exec
	s_or_b64 s[4:5], s[4:5], s[8:9]
	s_or_b64 exec, exec, s[6:7]
	s_and_saveexec_b64 s[6:7], s[4:5]
	s_cbranch_execz .LBB1_32095
; %bb.57023:
	s_getpc_b64 s[14:15]
.Lpost_getpc14175:
	s_add_u32 s14, s14, (.LBB1_6847-.Lpost_getpc14175)&4294967295
	s_addc_u32 s15, s15, (.LBB1_6847-.Lpost_getpc14175)>>32
	s_setpc_b64 s[14:15]
.LBB1_32095:
	s_getpc_b64 s[14:15]
.Lpost_getpc1711:
	s_add_u32 s14, s14, (.LBB1_6848-.Lpost_getpc1711)&4294967295
	s_addc_u32 s15, s15, (.LBB1_6848-.Lpost_getpc1711)>>32
	s_setpc_b64 s[14:15]
.LBB1_21185:
	s_movk_i32 s4, 0x80
	v_cmp_eq_u16_sdwa s[12:13], v8, s4 src0_sel:BYTE_0 src1_sel:DWORD
	s_mov_b64 s[4:5], -1
                                        ; implicit-def: $sgpr10
	s_and_saveexec_b64 s[8:9], s[12:13]
; %bb.21186:
	s_mov_b32 s10, 0x7f800001
	s_xor_b64 s[4:5], exec, -1
; %bb.21187:
	s_or_b64 exec, exec, s[8:9]
	s_and_b64 s[4:5], s[4:5], exec
	s_or_saveexec_b64 s[6:7], s[6:7]
	v_mov_b32_e32 v2, s10
	s_xor_b64 exec, exec, s[6:7]
	s_cbranch_execnz .LBB1_21188
; %bb.57025:
	s_getpc_b64 s[14:15]
.Lpost_getpc14176:
	s_add_u32 s14, s14, (.LBB1_6850-.Lpost_getpc14176)&4294967295
	s_addc_u32 s15, s15, (.LBB1_6850-.Lpost_getpc14176)>>32
	s_setpc_b64 s[14:15]
.LBB1_21188:
	v_mov_b32_e32 v2, 0
	v_cmp_ne_u16_sdwa s[8:9], v8, v2 src0_sel:BYTE_0 src1_sel:DWORD
	s_andn2_b64 s[4:5], s[4:5], exec
	s_and_b64 s[8:9], s[8:9], exec
	s_or_b64 s[4:5], s[4:5], s[8:9]
	s_or_b64 exec, exec, s[6:7]
	s_and_saveexec_b64 s[6:7], s[4:5]
	s_cbranch_execz .LBB1_32097
; %bb.57027:
	s_getpc_b64 s[14:15]
.Lpost_getpc14177:
	s_add_u32 s14, s14, (.LBB1_6851-.Lpost_getpc14177)&4294967295
	s_addc_u32 s15, s15, (.LBB1_6851-.Lpost_getpc14177)>>32
	s_setpc_b64 s[14:15]
.LBB1_32097:
	s_getpc_b64 s[14:15]
.Lpost_getpc1712:
	s_add_u32 s14, s14, (.LBB1_6852-.Lpost_getpc1712)&4294967295
	s_addc_u32 s15, s15, (.LBB1_6852-.Lpost_getpc1712)>>32
	s_setpc_b64 s[14:15]
.LBB1_21189:
	s_movk_i32 s4, 0x80
	v_cmp_eq_u16_sdwa s[12:13], v4, s4 src0_sel:BYTE_0 src1_sel:DWORD
	s_mov_b64 s[4:5], -1
                                        ; implicit-def: $sgpr10
	s_and_saveexec_b64 s[8:9], s[12:13]
; %bb.21190:
	s_mov_b32 s10, 0x7f800001
	s_xor_b64 s[4:5], exec, -1
; %bb.21191:
	s_or_b64 exec, exec, s[8:9]
	s_and_b64 s[4:5], s[4:5], exec
	s_or_saveexec_b64 s[6:7], s[6:7]
	v_mov_b32_e32 v3, s10
	s_xor_b64 exec, exec, s[6:7]
	s_cbranch_execnz .LBB1_21192
; %bb.57029:
	s_getpc_b64 s[14:15]
.Lpost_getpc14178:
	s_add_u32 s14, s14, (.LBB1_6854-.Lpost_getpc14178)&4294967295
	s_addc_u32 s15, s15, (.LBB1_6854-.Lpost_getpc14178)>>32
	s_setpc_b64 s[14:15]
.LBB1_21192:
	v_mov_b32_e32 v3, 0
	v_cmp_ne_u16_sdwa s[8:9], v4, v3 src0_sel:BYTE_0 src1_sel:DWORD
	s_andn2_b64 s[4:5], s[4:5], exec
	s_and_b64 s[8:9], s[8:9], exec
	s_or_b64 s[4:5], s[4:5], s[8:9]
	s_or_b64 exec, exec, s[6:7]
	s_and_saveexec_b64 s[6:7], s[4:5]
	s_cbranch_execz .LBB1_32099
; %bb.57031:
	s_getpc_b64 s[14:15]
.Lpost_getpc14179:
	s_add_u32 s14, s14, (.LBB1_6855-.Lpost_getpc14179)&4294967295
	s_addc_u32 s15, s15, (.LBB1_6855-.Lpost_getpc14179)>>32
	s_setpc_b64 s[14:15]
.LBB1_32099:
	s_getpc_b64 s[14:15]
.Lpost_getpc1713:
	s_add_u32 s14, s14, (.LBB1_6856-.Lpost_getpc1713)&4294967295
	s_addc_u32 s15, s15, (.LBB1_6856-.Lpost_getpc1713)>>32
	s_setpc_b64 s[14:15]
.LBB1_21193:
	s_movk_i32 s4, 0x80
	v_cmp_eq_u16_sdwa s[12:13], v3, s4 src0_sel:BYTE_0 src1_sel:DWORD
	s_mov_b64 s[4:5], -1
                                        ; implicit-def: $sgpr10
	s_and_saveexec_b64 s[8:9], s[12:13]
; %bb.21194:
	s_mov_b32 s10, 0x7f800001
	s_xor_b64 s[4:5], exec, -1
; %bb.21195:
	s_or_b64 exec, exec, s[8:9]
	s_and_b64 s[4:5], s[4:5], exec
	s_or_saveexec_b64 s[6:7], s[6:7]
	v_mov_b32_e32 v2, s10
	s_xor_b64 exec, exec, s[6:7]
	s_cbranch_execnz .LBB1_21196
; %bb.57033:
	s_getpc_b64 s[14:15]
.Lpost_getpc14180:
	s_add_u32 s14, s14, (.LBB1_6858-.Lpost_getpc14180)&4294967295
	s_addc_u32 s15, s15, (.LBB1_6858-.Lpost_getpc14180)>>32
	s_setpc_b64 s[14:15]
.LBB1_21196:
	v_mov_b32_e32 v2, 0
	v_cmp_ne_u16_sdwa s[8:9], v3, v2 src0_sel:BYTE_0 src1_sel:DWORD
	s_andn2_b64 s[4:5], s[4:5], exec
	s_and_b64 s[8:9], s[8:9], exec
	s_or_b64 s[4:5], s[4:5], s[8:9]
	s_or_b64 exec, exec, s[6:7]
	s_and_saveexec_b64 s[6:7], s[4:5]
	s_cbranch_execz .LBB1_32101
; %bb.57035:
	s_getpc_b64 s[14:15]
.Lpost_getpc14181:
	s_add_u32 s14, s14, (.LBB1_6859-.Lpost_getpc14181)&4294967295
	s_addc_u32 s15, s15, (.LBB1_6859-.Lpost_getpc14181)>>32
	s_setpc_b64 s[14:15]
.LBB1_32101:
	s_getpc_b64 s[14:15]
.Lpost_getpc1714:
	s_add_u32 s14, s14, (.LBB1_6860-.Lpost_getpc1714)&4294967295
	s_addc_u32 s15, s15, (.LBB1_6860-.Lpost_getpc1714)>>32
	s_setpc_b64 s[14:15]
.LBB1_21197:
	s_movk_i32 s4, 0x80
	v_cmp_eq_u16_sdwa s[12:13], v3, s4 src0_sel:BYTE_0 src1_sel:DWORD
	s_mov_b64 s[4:5], -1
                                        ; implicit-def: $sgpr10
	s_and_saveexec_b64 s[8:9], s[12:13]
; %bb.21198:
	s_mov_b32 s10, 0x7f800001
	s_xor_b64 s[4:5], exec, -1
; %bb.21199:
	s_or_b64 exec, exec, s[8:9]
	s_and_b64 s[4:5], s[4:5], exec
	s_or_saveexec_b64 s[6:7], s[6:7]
	v_mov_b32_e32 v6, s10
	s_xor_b64 exec, exec, s[6:7]
	s_cbranch_execnz .LBB1_21200
; %bb.57037:
	s_getpc_b64 s[14:15]
.Lpost_getpc14182:
	s_add_u32 s14, s14, (.LBB1_6862-.Lpost_getpc14182)&4294967295
	s_addc_u32 s15, s15, (.LBB1_6862-.Lpost_getpc14182)>>32
	s_setpc_b64 s[14:15]
.LBB1_21200:
	v_mov_b32_e32 v6, 0
	v_cmp_ne_u16_sdwa s[8:9], v3, v6 src0_sel:BYTE_0 src1_sel:DWORD
	s_andn2_b64 s[4:5], s[4:5], exec
	s_and_b64 s[8:9], s[8:9], exec
	s_or_b64 s[4:5], s[4:5], s[8:9]
	s_or_b64 exec, exec, s[6:7]
	s_and_saveexec_b64 s[6:7], s[4:5]
	s_cbranch_execz .LBB1_32103
; %bb.57039:
	s_getpc_b64 s[14:15]
.Lpost_getpc14183:
	s_add_u32 s14, s14, (.LBB1_6863-.Lpost_getpc14183)&4294967295
	s_addc_u32 s15, s15, (.LBB1_6863-.Lpost_getpc14183)>>32
	s_setpc_b64 s[14:15]
.LBB1_32103:
	s_getpc_b64 s[14:15]
.Lpost_getpc1715:
	s_add_u32 s14, s14, (.LBB1_6864-.Lpost_getpc1715)&4294967295
	s_addc_u32 s15, s15, (.LBB1_6864-.Lpost_getpc1715)>>32
	s_setpc_b64 s[14:15]
.LBB1_21201:
	s_movk_i32 s4, 0x80
	v_cmp_eq_u16_e32 vcc, s4, v3
	s_mov_b64 s[4:5], -1
                                        ; implicit-def: $sgpr10
	s_and_saveexec_b64 s[8:9], vcc
; %bb.21202:
	s_mov_b32 s10, 0x7f800001
	s_xor_b64 s[4:5], exec, -1
; %bb.21203:
	s_or_b64 exec, exec, s[8:9]
	s_and_b64 s[4:5], s[4:5], exec
                                        ; implicit-def: $vgpr3
	s_or_saveexec_b64 s[6:7], s[6:7]
	v_mov_b32_e32 v2, s10
	s_xor_b64 exec, exec, s[6:7]
	s_cbranch_execnz .LBB1_21204
; %bb.57041:
	s_getpc_b64 s[14:15]
.Lpost_getpc14184:
	s_add_u32 s14, s14, (.LBB1_6866-.Lpost_getpc14184)&4294967295
	s_addc_u32 s15, s15, (.LBB1_6866-.Lpost_getpc14184)>>32
	s_setpc_b64 s[14:15]
.LBB1_21204:
	v_cmp_ne_u16_e32 vcc, 0, v3
	s_andn2_b64 s[4:5], s[4:5], exec
	s_and_b64 s[8:9], vcc, exec
	v_mov_b32_e32 v2, 0
	s_or_b64 s[4:5], s[4:5], s[8:9]
	s_or_b64 exec, exec, s[6:7]
	s_and_saveexec_b64 s[6:7], s[4:5]
	s_cbranch_execz .LBB1_32105
; %bb.57043:
	s_getpc_b64 s[14:15]
.Lpost_getpc14185:
	s_add_u32 s14, s14, (.LBB1_6867-.Lpost_getpc14185)&4294967295
	s_addc_u32 s15, s15, (.LBB1_6867-.Lpost_getpc14185)>>32
	s_setpc_b64 s[14:15]
.LBB1_32105:
	s_getpc_b64 s[14:15]
.Lpost_getpc1716:
	s_add_u32 s14, s14, (.LBB1_6868-.Lpost_getpc1716)&4294967295
	s_addc_u32 s15, s15, (.LBB1_6868-.Lpost_getpc1716)>>32
	s_setpc_b64 s[14:15]
.LBB1_21205:
	s_movk_i32 s4, 0x80
	v_cmp_eq_u16_e32 vcc, s4, v3
	s_mov_b64 s[4:5], -1
                                        ; implicit-def: $sgpr10
	s_and_saveexec_b64 s[8:9], vcc
; %bb.21206:
	s_mov_b32 s10, 0x7f800001
	s_xor_b64 s[4:5], exec, -1
; %bb.21207:
	s_or_b64 exec, exec, s[8:9]
	s_and_b64 s[4:5], s[4:5], exec
                                        ; implicit-def: $vgpr3
	s_or_saveexec_b64 s[6:7], s[6:7]
	v_mov_b32_e32 v6, s10
	s_xor_b64 exec, exec, s[6:7]
	s_cbranch_execnz .LBB1_21208
; %bb.57045:
	s_getpc_b64 s[14:15]
.Lpost_getpc14186:
	s_add_u32 s14, s14, (.LBB1_6870-.Lpost_getpc14186)&4294967295
	s_addc_u32 s15, s15, (.LBB1_6870-.Lpost_getpc14186)>>32
	s_setpc_b64 s[14:15]
.LBB1_21208:
	v_cmp_ne_u16_e32 vcc, 0, v3
	s_andn2_b64 s[4:5], s[4:5], exec
	s_and_b64 s[8:9], vcc, exec
	v_mov_b32_e32 v6, 0
	s_or_b64 s[4:5], s[4:5], s[8:9]
	s_or_b64 exec, exec, s[6:7]
	s_and_saveexec_b64 s[6:7], s[4:5]
	s_cbranch_execz .LBB1_32107
; %bb.57047:
	s_getpc_b64 s[14:15]
.Lpost_getpc14187:
	s_add_u32 s14, s14, (.LBB1_6871-.Lpost_getpc14187)&4294967295
	s_addc_u32 s15, s15, (.LBB1_6871-.Lpost_getpc14187)>>32
	s_setpc_b64 s[14:15]
.LBB1_32107:
	s_getpc_b64 s[14:15]
.Lpost_getpc1717:
	s_add_u32 s14, s14, (.LBB1_6872-.Lpost_getpc1717)&4294967295
	s_addc_u32 s15, s15, (.LBB1_6872-.Lpost_getpc1717)>>32
	s_setpc_b64 s[14:15]
.LBB1_21209:
	s_movk_i32 s4, 0x80
	v_cmp_eq_u16_sdwa s[12:13], v8, s4 src0_sel:BYTE_3 src1_sel:DWORD
	s_mov_b64 s[4:5], -1
                                        ; implicit-def: $sgpr10
	s_and_saveexec_b64 s[8:9], s[12:13]
; %bb.21210:
	s_mov_b32 s10, 0x7f800001
	s_xor_b64 s[4:5], exec, -1
; %bb.21211:
	s_or_b64 exec, exec, s[8:9]
	s_and_b64 s[4:5], s[4:5], exec
	s_or_saveexec_b64 s[6:7], s[6:7]
	v_mov_b32_e32 v2, s10
	s_xor_b64 exec, exec, s[6:7]
	s_cbranch_execnz .LBB1_21212
; %bb.57049:
	s_getpc_b64 s[14:15]
.Lpost_getpc14188:
	s_add_u32 s14, s14, (.LBB1_6874-.Lpost_getpc14188)&4294967295
	s_addc_u32 s15, s15, (.LBB1_6874-.Lpost_getpc14188)>>32
	s_setpc_b64 s[14:15]
.LBB1_21212:
	v_mov_b32_e32 v2, 0
	v_cmp_ne_u16_sdwa s[8:9], v8, v2 src0_sel:BYTE_3 src1_sel:DWORD
	s_andn2_b64 s[4:5], s[4:5], exec
	s_and_b64 s[8:9], s[8:9], exec
	s_or_b64 s[4:5], s[4:5], s[8:9]
	s_or_b64 exec, exec, s[6:7]
	s_and_saveexec_b64 s[6:7], s[4:5]
	s_cbranch_execz .LBB1_32109
; %bb.57051:
	s_getpc_b64 s[14:15]
.Lpost_getpc14189:
	s_add_u32 s14, s14, (.LBB1_6875-.Lpost_getpc14189)&4294967295
	s_addc_u32 s15, s15, (.LBB1_6875-.Lpost_getpc14189)>>32
	s_setpc_b64 s[14:15]
.LBB1_32109:
	s_getpc_b64 s[14:15]
.Lpost_getpc1718:
	s_add_u32 s14, s14, (.LBB1_6876-.Lpost_getpc1718)&4294967295
	s_addc_u32 s15, s15, (.LBB1_6876-.Lpost_getpc1718)>>32
	s_setpc_b64 s[14:15]
.LBB1_21213:
	s_movk_i32 s4, 0x80
	v_cmp_eq_u16_sdwa s[12:13], v4, s4 src0_sel:BYTE_3 src1_sel:DWORD
	s_mov_b64 s[4:5], -1
                                        ; implicit-def: $sgpr10
	s_and_saveexec_b64 s[8:9], s[12:13]
; %bb.21214:
	s_mov_b32 s10, 0x7f800001
	s_xor_b64 s[4:5], exec, -1
; %bb.21215:
	s_or_b64 exec, exec, s[8:9]
	s_and_b64 s[4:5], s[4:5], exec
	s_or_saveexec_b64 s[6:7], s[6:7]
	v_mov_b32_e32 v3, s10
	s_xor_b64 exec, exec, s[6:7]
	s_cbranch_execnz .LBB1_21216
; %bb.57053:
	s_getpc_b64 s[14:15]
.Lpost_getpc14190:
	s_add_u32 s14, s14, (.LBB1_6878-.Lpost_getpc14190)&4294967295
	s_addc_u32 s15, s15, (.LBB1_6878-.Lpost_getpc14190)>>32
	s_setpc_b64 s[14:15]
.LBB1_21216:
	v_mov_b32_e32 v3, 0
	v_cmp_ne_u16_sdwa s[8:9], v4, v3 src0_sel:BYTE_3 src1_sel:DWORD
	s_andn2_b64 s[4:5], s[4:5], exec
	s_and_b64 s[8:9], s[8:9], exec
	s_or_b64 s[4:5], s[4:5], s[8:9]
	s_or_b64 exec, exec, s[6:7]
	s_and_saveexec_b64 s[6:7], s[4:5]
	s_cbranch_execz .LBB1_32111
; %bb.57055:
	s_getpc_b64 s[14:15]
.Lpost_getpc14191:
	s_add_u32 s14, s14, (.LBB1_6879-.Lpost_getpc14191)&4294967295
	s_addc_u32 s15, s15, (.LBB1_6879-.Lpost_getpc14191)>>32
	s_setpc_b64 s[14:15]
.LBB1_32111:
	s_getpc_b64 s[14:15]
.Lpost_getpc1719:
	s_add_u32 s14, s14, (.LBB1_6880-.Lpost_getpc1719)&4294967295
	s_addc_u32 s15, s15, (.LBB1_6880-.Lpost_getpc1719)>>32
	s_setpc_b64 s[14:15]
.LBB1_21217:
	s_movk_i32 s4, 0x80
	v_cmp_eq_u16_sdwa s[12:13], v9, s4 src0_sel:BYTE_0 src1_sel:DWORD
	s_mov_b64 s[4:5], -1
                                        ; implicit-def: $sgpr10
	s_and_saveexec_b64 s[8:9], s[12:13]
; %bb.21218:
	s_mov_b32 s10, 0x7f800001
	s_xor_b64 s[4:5], exec, -1
; %bb.21219:
	s_or_b64 exec, exec, s[8:9]
	s_and_b64 s[4:5], s[4:5], exec
	s_or_saveexec_b64 s[6:7], s[6:7]
	v_mov_b32_e32 v2, s10
	s_xor_b64 exec, exec, s[6:7]
	s_cbranch_execnz .LBB1_21220
; %bb.57057:
	s_getpc_b64 s[14:15]
.Lpost_getpc14192:
	s_add_u32 s14, s14, (.LBB1_6882-.Lpost_getpc14192)&4294967295
	s_addc_u32 s15, s15, (.LBB1_6882-.Lpost_getpc14192)>>32
	s_setpc_b64 s[14:15]
.LBB1_21220:
	v_mov_b32_e32 v2, 0
	v_cmp_ne_u16_sdwa s[8:9], v9, v2 src0_sel:BYTE_0 src1_sel:DWORD
	s_andn2_b64 s[4:5], s[4:5], exec
	s_and_b64 s[8:9], s[8:9], exec
	s_or_b64 s[4:5], s[4:5], s[8:9]
	s_or_b64 exec, exec, s[6:7]
	s_and_saveexec_b64 s[6:7], s[4:5]
	s_cbranch_execz .LBB1_32113
; %bb.57059:
	s_getpc_b64 s[14:15]
.Lpost_getpc14193:
	s_add_u32 s14, s14, (.LBB1_6883-.Lpost_getpc14193)&4294967295
	s_addc_u32 s15, s15, (.LBB1_6883-.Lpost_getpc14193)>>32
	s_setpc_b64 s[14:15]
.LBB1_32113:
	s_getpc_b64 s[14:15]
.Lpost_getpc1720:
	s_add_u32 s14, s14, (.LBB1_6884-.Lpost_getpc1720)&4294967295
	s_addc_u32 s15, s15, (.LBB1_6884-.Lpost_getpc1720)>>32
	s_setpc_b64 s[14:15]
.LBB1_21221:
	s_movk_i32 s4, 0x80
	v_cmp_eq_u16_sdwa s[12:13], v5, s4 src0_sel:BYTE_0 src1_sel:DWORD
	s_mov_b64 s[4:5], -1
                                        ; implicit-def: $sgpr10
	s_and_saveexec_b64 s[8:9], s[12:13]
; %bb.21222:
	s_mov_b32 s10, 0x7f800001
	s_xor_b64 s[4:5], exec, -1
; %bb.21223:
	s_or_b64 exec, exec, s[8:9]
	s_and_b64 s[4:5], s[4:5], exec
	s_or_saveexec_b64 s[6:7], s[6:7]
	v_mov_b32_e32 v3, s10
	s_xor_b64 exec, exec, s[6:7]
	s_cbranch_execnz .LBB1_21224
; %bb.57061:
	s_getpc_b64 s[14:15]
.Lpost_getpc14194:
	s_add_u32 s14, s14, (.LBB1_6886-.Lpost_getpc14194)&4294967295
	s_addc_u32 s15, s15, (.LBB1_6886-.Lpost_getpc14194)>>32
	s_setpc_b64 s[14:15]
.LBB1_21224:
	v_mov_b32_e32 v3, 0
	v_cmp_ne_u16_sdwa s[8:9], v5, v3 src0_sel:BYTE_0 src1_sel:DWORD
	s_andn2_b64 s[4:5], s[4:5], exec
	s_and_b64 s[8:9], s[8:9], exec
	s_or_b64 s[4:5], s[4:5], s[8:9]
	s_or_b64 exec, exec, s[6:7]
	s_and_saveexec_b64 s[6:7], s[4:5]
	s_cbranch_execz .LBB1_32115
; %bb.57063:
	s_getpc_b64 s[14:15]
.Lpost_getpc14195:
	s_add_u32 s14, s14, (.LBB1_6887-.Lpost_getpc14195)&4294967295
	s_addc_u32 s15, s15, (.LBB1_6887-.Lpost_getpc14195)>>32
	s_setpc_b64 s[14:15]
.LBB1_32115:
	s_getpc_b64 s[14:15]
.Lpost_getpc1721:
	s_add_u32 s14, s14, (.LBB1_6888-.Lpost_getpc1721)&4294967295
	s_addc_u32 s15, s15, (.LBB1_6888-.Lpost_getpc1721)>>32
	s_setpc_b64 s[14:15]
.LBB1_21225:
	s_movk_i32 s4, 0x80
	v_cmp_eq_u16_sdwa s[12:13], v3, s4 src0_sel:BYTE_0 src1_sel:DWORD
	s_mov_b64 s[4:5], -1
                                        ; implicit-def: $sgpr10
	s_and_saveexec_b64 s[8:9], s[12:13]
; %bb.21226:
	s_mov_b32 s10, 0x7f800001
	s_xor_b64 s[4:5], exec, -1
; %bb.21227:
	s_or_b64 exec, exec, s[8:9]
	s_and_b64 s[4:5], s[4:5], exec
	s_or_saveexec_b64 s[6:7], s[6:7]
	v_mov_b32_e32 v2, s10
	s_xor_b64 exec, exec, s[6:7]
	s_cbranch_execnz .LBB1_21228
; %bb.57065:
	s_getpc_b64 s[14:15]
.Lpost_getpc14196:
	s_add_u32 s14, s14, (.LBB1_6890-.Lpost_getpc14196)&4294967295
	s_addc_u32 s15, s15, (.LBB1_6890-.Lpost_getpc14196)>>32
	s_setpc_b64 s[14:15]
.LBB1_21228:
	v_mov_b32_e32 v2, 0
	v_cmp_ne_u16_sdwa s[8:9], v3, v2 src0_sel:BYTE_0 src1_sel:DWORD
	s_andn2_b64 s[4:5], s[4:5], exec
	s_and_b64 s[8:9], s[8:9], exec
	s_or_b64 s[4:5], s[4:5], s[8:9]
	s_or_b64 exec, exec, s[6:7]
	s_and_saveexec_b64 s[6:7], s[4:5]
	s_cbranch_execz .LBB1_32117
; %bb.57067:
	s_getpc_b64 s[14:15]
.Lpost_getpc14197:
	s_add_u32 s14, s14, (.LBB1_6891-.Lpost_getpc14197)&4294967295
	s_addc_u32 s15, s15, (.LBB1_6891-.Lpost_getpc14197)>>32
	s_setpc_b64 s[14:15]
.LBB1_32117:
	s_getpc_b64 s[14:15]
.Lpost_getpc1722:
	s_add_u32 s14, s14, (.LBB1_6892-.Lpost_getpc1722)&4294967295
	s_addc_u32 s15, s15, (.LBB1_6892-.Lpost_getpc1722)>>32
	s_setpc_b64 s[14:15]
.LBB1_21229:
	s_movk_i32 s4, 0x80
	v_cmp_eq_u16_sdwa s[12:13], v3, s4 src0_sel:BYTE_0 src1_sel:DWORD
	s_mov_b64 s[4:5], -1
                                        ; implicit-def: $sgpr10
	s_and_saveexec_b64 s[8:9], s[12:13]
; %bb.21230:
	s_mov_b32 s10, 0x7f800001
	s_xor_b64 s[4:5], exec, -1
; %bb.21231:
	s_or_b64 exec, exec, s[8:9]
	s_and_b64 s[4:5], s[4:5], exec
	s_or_saveexec_b64 s[6:7], s[6:7]
	v_mov_b32_e32 v4, s10
	s_xor_b64 exec, exec, s[6:7]
	s_cbranch_execnz .LBB1_21232
; %bb.57069:
	s_getpc_b64 s[14:15]
.Lpost_getpc14198:
	s_add_u32 s14, s14, (.LBB1_6894-.Lpost_getpc14198)&4294967295
	s_addc_u32 s15, s15, (.LBB1_6894-.Lpost_getpc14198)>>32
	s_setpc_b64 s[14:15]
.LBB1_21232:
	v_mov_b32_e32 v4, 0
	v_cmp_ne_u16_sdwa s[8:9], v3, v4 src0_sel:BYTE_0 src1_sel:DWORD
	s_andn2_b64 s[4:5], s[4:5], exec
	s_and_b64 s[8:9], s[8:9], exec
	s_or_b64 s[4:5], s[4:5], s[8:9]
	s_or_b64 exec, exec, s[6:7]
	s_and_saveexec_b64 s[6:7], s[4:5]
	s_cbranch_execz .LBB1_32119
; %bb.57071:
	s_getpc_b64 s[14:15]
.Lpost_getpc14199:
	s_add_u32 s14, s14, (.LBB1_6895-.Lpost_getpc14199)&4294967295
	s_addc_u32 s15, s15, (.LBB1_6895-.Lpost_getpc14199)>>32
	s_setpc_b64 s[14:15]
.LBB1_32119:
	s_getpc_b64 s[14:15]
.Lpost_getpc1723:
	s_add_u32 s14, s14, (.LBB1_6896-.Lpost_getpc1723)&4294967295
	s_addc_u32 s15, s15, (.LBB1_6896-.Lpost_getpc1723)>>32
	s_setpc_b64 s[14:15]
.LBB1_21233:
	s_movk_i32 s4, 0x80
	v_cmp_eq_u16_e32 vcc, s4, v3
	s_mov_b64 s[4:5], -1
                                        ; implicit-def: $sgpr10
	s_and_saveexec_b64 s[8:9], vcc
; %bb.21234:
	s_mov_b32 s10, 0x7f800001
	s_xor_b64 s[4:5], exec, -1
; %bb.21235:
	s_or_b64 exec, exec, s[8:9]
	s_and_b64 s[4:5], s[4:5], exec
                                        ; implicit-def: $vgpr3
	s_or_saveexec_b64 s[6:7], s[6:7]
	v_mov_b32_e32 v2, s10
	s_xor_b64 exec, exec, s[6:7]
	s_cbranch_execnz .LBB1_21236
; %bb.57073:
	s_getpc_b64 s[14:15]
.Lpost_getpc14200:
	s_add_u32 s14, s14, (.LBB1_6898-.Lpost_getpc14200)&4294967295
	s_addc_u32 s15, s15, (.LBB1_6898-.Lpost_getpc14200)>>32
	s_setpc_b64 s[14:15]
.LBB1_21236:
	v_cmp_ne_u16_e32 vcc, 0, v3
	s_andn2_b64 s[4:5], s[4:5], exec
	s_and_b64 s[8:9], vcc, exec
	v_mov_b32_e32 v2, 0
	s_or_b64 s[4:5], s[4:5], s[8:9]
	s_or_b64 exec, exec, s[6:7]
	s_and_saveexec_b64 s[6:7], s[4:5]
	s_cbranch_execz .LBB1_32121
; %bb.57075:
	s_getpc_b64 s[14:15]
.Lpost_getpc14201:
	s_add_u32 s14, s14, (.LBB1_6899-.Lpost_getpc14201)&4294967295
	s_addc_u32 s15, s15, (.LBB1_6899-.Lpost_getpc14201)>>32
	s_setpc_b64 s[14:15]
.LBB1_32121:
	s_getpc_b64 s[14:15]
.Lpost_getpc1724:
	s_add_u32 s14, s14, (.LBB1_6900-.Lpost_getpc1724)&4294967295
	s_addc_u32 s15, s15, (.LBB1_6900-.Lpost_getpc1724)>>32
	s_setpc_b64 s[14:15]
.LBB1_21237:
	s_movk_i32 s4, 0x80
	v_cmp_eq_u16_e32 vcc, s4, v3
	s_mov_b64 s[4:5], -1
                                        ; implicit-def: $sgpr10
	s_and_saveexec_b64 s[8:9], vcc
; %bb.21238:
	s_mov_b32 s10, 0x7f800001
	s_xor_b64 s[4:5], exec, -1
; %bb.21239:
	s_or_b64 exec, exec, s[8:9]
	s_and_b64 s[4:5], s[4:5], exec
                                        ; implicit-def: $vgpr3
	s_or_saveexec_b64 s[6:7], s[6:7]
	v_mov_b32_e32 v4, s10
	s_xor_b64 exec, exec, s[6:7]
	s_cbranch_execnz .LBB1_21240
; %bb.57077:
	s_getpc_b64 s[14:15]
.Lpost_getpc14202:
	s_add_u32 s14, s14, (.LBB1_6902-.Lpost_getpc14202)&4294967295
	s_addc_u32 s15, s15, (.LBB1_6902-.Lpost_getpc14202)>>32
	s_setpc_b64 s[14:15]
.LBB1_21240:
	v_cmp_ne_u16_e32 vcc, 0, v3
	s_andn2_b64 s[4:5], s[4:5], exec
	s_and_b64 s[8:9], vcc, exec
	v_mov_b32_e32 v4, 0
	s_or_b64 s[4:5], s[4:5], s[8:9]
	s_or_b64 exec, exec, s[6:7]
	s_and_saveexec_b64 s[6:7], s[4:5]
	s_cbranch_execz .LBB1_32123
; %bb.57079:
	s_getpc_b64 s[14:15]
.Lpost_getpc14203:
	s_add_u32 s14, s14, (.LBB1_6903-.Lpost_getpc14203)&4294967295
	s_addc_u32 s15, s15, (.LBB1_6903-.Lpost_getpc14203)>>32
	s_setpc_b64 s[14:15]
.LBB1_32123:
	s_getpc_b64 s[14:15]
.Lpost_getpc1725:
	s_add_u32 s14, s14, (.LBB1_6904-.Lpost_getpc1725)&4294967295
	s_addc_u32 s15, s15, (.LBB1_6904-.Lpost_getpc1725)>>32
	s_setpc_b64 s[14:15]
.LBB1_21241:
	s_movk_i32 s4, 0x80
	v_cmp_eq_u16_sdwa s[12:13], v9, s4 src0_sel:BYTE_3 src1_sel:DWORD
	s_mov_b64 s[4:5], -1
                                        ; implicit-def: $sgpr10
	s_and_saveexec_b64 s[8:9], s[12:13]
; %bb.21242:
	s_mov_b32 s10, 0x7f800001
	s_xor_b64 s[4:5], exec, -1
; %bb.21243:
	s_or_b64 exec, exec, s[8:9]
	s_and_b64 s[4:5], s[4:5], exec
	s_or_saveexec_b64 s[6:7], s[6:7]
	v_mov_b32_e32 v2, s10
	s_xor_b64 exec, exec, s[6:7]
	s_cbranch_execnz .LBB1_21244
; %bb.57081:
	s_getpc_b64 s[14:15]
.Lpost_getpc14204:
	s_add_u32 s14, s14, (.LBB1_6906-.Lpost_getpc14204)&4294967295
	s_addc_u32 s15, s15, (.LBB1_6906-.Lpost_getpc14204)>>32
	s_setpc_b64 s[14:15]
.LBB1_21244:
	v_mov_b32_e32 v2, 0
	v_cmp_ne_u16_sdwa s[8:9], v9, v2 src0_sel:BYTE_3 src1_sel:DWORD
	s_andn2_b64 s[4:5], s[4:5], exec
	s_and_b64 s[8:9], s[8:9], exec
	s_or_b64 s[4:5], s[4:5], s[8:9]
	s_or_b64 exec, exec, s[6:7]
	s_and_saveexec_b64 s[6:7], s[4:5]
	s_cbranch_execz .LBB1_32125
; %bb.57083:
	s_getpc_b64 s[14:15]
.Lpost_getpc14205:
	s_add_u32 s14, s14, (.LBB1_6907-.Lpost_getpc14205)&4294967295
	s_addc_u32 s15, s15, (.LBB1_6907-.Lpost_getpc14205)>>32
	s_setpc_b64 s[14:15]
.LBB1_32125:
	s_getpc_b64 s[14:15]
.Lpost_getpc1726:
	s_add_u32 s14, s14, (.LBB1_6908-.Lpost_getpc1726)&4294967295
	s_addc_u32 s15, s15, (.LBB1_6908-.Lpost_getpc1726)>>32
	s_setpc_b64 s[14:15]
.LBB1_21245:
	s_movk_i32 s4, 0x80
	v_cmp_eq_u16_sdwa s[12:13], v5, s4 src0_sel:BYTE_3 src1_sel:DWORD
	s_mov_b64 s[4:5], -1
                                        ; implicit-def: $sgpr10
	s_and_saveexec_b64 s[8:9], s[12:13]
; %bb.21246:
	s_mov_b32 s10, 0x7f800001
	s_xor_b64 s[4:5], exec, -1
; %bb.21247:
	s_or_b64 exec, exec, s[8:9]
	s_and_b64 s[4:5], s[4:5], exec
	s_or_saveexec_b64 s[6:7], s[6:7]
	v_mov_b32_e32 v3, s10
	s_xor_b64 exec, exec, s[6:7]
	s_cbranch_execnz .LBB1_21248
; %bb.57085:
	s_getpc_b64 s[14:15]
.Lpost_getpc14206:
	s_add_u32 s14, s14, (.LBB1_6910-.Lpost_getpc14206)&4294967295
	s_addc_u32 s15, s15, (.LBB1_6910-.Lpost_getpc14206)>>32
	s_setpc_b64 s[14:15]
.LBB1_21248:
	v_mov_b32_e32 v3, 0
	v_cmp_ne_u16_sdwa s[8:9], v5, v3 src0_sel:BYTE_3 src1_sel:DWORD
	s_andn2_b64 s[4:5], s[4:5], exec
	s_and_b64 s[8:9], s[8:9], exec
	s_or_b64 s[4:5], s[4:5], s[8:9]
	s_or_b64 exec, exec, s[6:7]
	s_and_saveexec_b64 s[6:7], s[4:5]
	s_cbranch_execz .LBB1_32127
; %bb.57087:
	s_getpc_b64 s[14:15]
.Lpost_getpc14207:
	s_add_u32 s14, s14, (.LBB1_6911-.Lpost_getpc14207)&4294967295
	s_addc_u32 s15, s15, (.LBB1_6911-.Lpost_getpc14207)>>32
	s_setpc_b64 s[14:15]
.LBB1_32127:
	s_getpc_b64 s[14:15]
.Lpost_getpc1727:
	s_add_u32 s14, s14, (.LBB1_6912-.Lpost_getpc1727)&4294967295
	s_addc_u32 s15, s15, (.LBB1_6912-.Lpost_getpc1727)>>32
	s_setpc_b64 s[14:15]
.LBB1_21249:
	s_movk_i32 s4, 0x80
	v_cmp_eq_u16_sdwa s[12:13], v6, s4 src0_sel:BYTE_0 src1_sel:DWORD
	s_mov_b64 s[4:5], -1
                                        ; implicit-def: $sgpr10
	s_and_saveexec_b64 s[8:9], s[12:13]
; %bb.21250:
	s_mov_b32 s10, 0x7f800001
	s_xor_b64 s[4:5], exec, -1
; %bb.21251:
	s_or_b64 exec, exec, s[8:9]
	s_and_b64 s[4:5], s[4:5], exec
	s_or_saveexec_b64 s[6:7], s[6:7]
	v_mov_b32_e32 v12, s10
	s_xor_b64 exec, exec, s[6:7]
	s_cbranch_execnz .LBB1_21252
; %bb.57089:
	s_getpc_b64 s[14:15]
.Lpost_getpc14208:
	s_add_u32 s14, s14, (.LBB1_6914-.Lpost_getpc14208)&4294967295
	s_addc_u32 s15, s15, (.LBB1_6914-.Lpost_getpc14208)>>32
	s_setpc_b64 s[14:15]
.LBB1_21252:
	v_mov_b32_e32 v12, 0
	v_cmp_ne_u16_sdwa s[8:9], v6, v12 src0_sel:BYTE_0 src1_sel:DWORD
	s_andn2_b64 s[4:5], s[4:5], exec
	s_and_b64 s[8:9], s[8:9], exec
	s_or_b64 s[4:5], s[4:5], s[8:9]
	s_or_b64 exec, exec, s[6:7]
	s_and_saveexec_b64 s[6:7], s[4:5]
	s_cbranch_execz .LBB1_32129
; %bb.57091:
	s_getpc_b64 s[14:15]
.Lpost_getpc14209:
	s_add_u32 s14, s14, (.LBB1_6915-.Lpost_getpc14209)&4294967295
	s_addc_u32 s15, s15, (.LBB1_6915-.Lpost_getpc14209)>>32
	s_setpc_b64 s[14:15]
.LBB1_32129:
	s_getpc_b64 s[14:15]
.Lpost_getpc1728:
	s_add_u32 s14, s14, (.LBB1_6916-.Lpost_getpc1728)&4294967295
	s_addc_u32 s15, s15, (.LBB1_6916-.Lpost_getpc1728)>>32
	s_setpc_b64 s[14:15]
.LBB1_21253:
	s_movk_i32 s4, 0x80
	v_cmp_eq_u16_sdwa s[12:13], v2, s4 src0_sel:BYTE_0 src1_sel:DWORD
	s_mov_b64 s[4:5], -1
                                        ; implicit-def: $sgpr10
	s_and_saveexec_b64 s[8:9], s[12:13]
; %bb.21254:
	s_mov_b32 s10, 0x7f800001
	s_xor_b64 s[4:5], exec, -1
; %bb.21255:
	s_or_b64 exec, exec, s[8:9]
	s_and_b64 s[4:5], s[4:5], exec
	s_or_saveexec_b64 s[6:7], s[6:7]
	v_mov_b32_e32 v13, s10
	s_xor_b64 exec, exec, s[6:7]
	s_cbranch_execnz .LBB1_21256
; %bb.57093:
	s_getpc_b64 s[14:15]
.Lpost_getpc14210:
	s_add_u32 s14, s14, (.LBB1_6918-.Lpost_getpc14210)&4294967295
	s_addc_u32 s15, s15, (.LBB1_6918-.Lpost_getpc14210)>>32
	s_setpc_b64 s[14:15]
.LBB1_21256:
	v_mov_b32_e32 v13, 0
	v_cmp_ne_u16_sdwa s[8:9], v2, v13 src0_sel:BYTE_0 src1_sel:DWORD
	s_andn2_b64 s[4:5], s[4:5], exec
	s_and_b64 s[8:9], s[8:9], exec
	s_or_b64 s[4:5], s[4:5], s[8:9]
	s_or_b64 exec, exec, s[6:7]
	s_and_saveexec_b64 s[6:7], s[4:5]
	s_cbranch_execz .LBB1_32131
; %bb.57095:
	s_getpc_b64 s[14:15]
.Lpost_getpc14211:
	s_add_u32 s14, s14, (.LBB1_6919-.Lpost_getpc14211)&4294967295
	s_addc_u32 s15, s15, (.LBB1_6919-.Lpost_getpc14211)>>32
	s_setpc_b64 s[14:15]
.LBB1_32131:
	s_getpc_b64 s[14:15]
.Lpost_getpc1729:
	s_add_u32 s14, s14, (.LBB1_6920-.Lpost_getpc1729)&4294967295
	s_addc_u32 s15, s15, (.LBB1_6920-.Lpost_getpc1729)>>32
	s_setpc_b64 s[14:15]
.LBB1_21257:
	s_movk_i32 s4, 0x80
	v_cmp_eq_u16_sdwa s[12:13], v13, s4 src0_sel:BYTE_0 src1_sel:DWORD
	s_mov_b64 s[4:5], -1
                                        ; implicit-def: $sgpr10
	s_and_saveexec_b64 s[8:9], s[12:13]
; %bb.21258:
	s_mov_b32 s10, 0x7f800001
	s_xor_b64 s[4:5], exec, -1
; %bb.21259:
	s_or_b64 exec, exec, s[8:9]
	s_and_b64 s[4:5], s[4:5], exec
	s_or_saveexec_b64 s[6:7], s[6:7]
	v_mov_b32_e32 v12, s10
	s_xor_b64 exec, exec, s[6:7]
	s_cbranch_execnz .LBB1_21260
; %bb.57097:
	s_getpc_b64 s[14:15]
.Lpost_getpc14212:
	s_add_u32 s14, s14, (.LBB1_6922-.Lpost_getpc14212)&4294967295
	s_addc_u32 s15, s15, (.LBB1_6922-.Lpost_getpc14212)>>32
	s_setpc_b64 s[14:15]
.LBB1_21260:
	v_mov_b32_e32 v12, 0
	v_cmp_ne_u16_sdwa s[8:9], v13, v12 src0_sel:BYTE_0 src1_sel:DWORD
	s_andn2_b64 s[4:5], s[4:5], exec
	s_and_b64 s[8:9], s[8:9], exec
	s_or_b64 s[4:5], s[4:5], s[8:9]
	s_or_b64 exec, exec, s[6:7]
	s_and_saveexec_b64 s[6:7], s[4:5]
	s_cbranch_execz .LBB1_32133
; %bb.57099:
	s_getpc_b64 s[14:15]
.Lpost_getpc14213:
	s_add_u32 s14, s14, (.LBB1_6923-.Lpost_getpc14213)&4294967295
	s_addc_u32 s15, s15, (.LBB1_6923-.Lpost_getpc14213)>>32
	s_setpc_b64 s[14:15]
.LBB1_32133:
	s_getpc_b64 s[14:15]
.Lpost_getpc1730:
	s_add_u32 s14, s14, (.LBB1_6924-.Lpost_getpc1730)&4294967295
	s_addc_u32 s15, s15, (.LBB1_6924-.Lpost_getpc1730)>>32
	s_setpc_b64 s[14:15]
.LBB1_21261:
	s_movk_i32 s4, 0x80
	v_cmp_eq_u16_sdwa s[12:13], v13, s4 src0_sel:BYTE_0 src1_sel:DWORD
	s_mov_b64 s[4:5], -1
                                        ; implicit-def: $sgpr10
	s_and_saveexec_b64 s[8:9], s[12:13]
; %bb.21262:
	s_mov_b32 s10, 0x7f800001
	s_xor_b64 s[4:5], exec, -1
; %bb.21263:
	s_or_b64 exec, exec, s[8:9]
	s_and_b64 s[4:5], s[4:5], exec
	s_or_saveexec_b64 s[6:7], s[6:7]
	v_mov_b32_e32 v14, s10
	s_xor_b64 exec, exec, s[6:7]
	s_cbranch_execnz .LBB1_21264
; %bb.57101:
	s_getpc_b64 s[14:15]
.Lpost_getpc14214:
	s_add_u32 s14, s14, (.LBB1_6926-.Lpost_getpc14214)&4294967295
	s_addc_u32 s15, s15, (.LBB1_6926-.Lpost_getpc14214)>>32
	s_setpc_b64 s[14:15]
.LBB1_21264:
	v_mov_b32_e32 v14, 0
	v_cmp_ne_u16_sdwa s[8:9], v13, v14 src0_sel:BYTE_0 src1_sel:DWORD
	s_andn2_b64 s[4:5], s[4:5], exec
	s_and_b64 s[8:9], s[8:9], exec
	s_or_b64 s[4:5], s[4:5], s[8:9]
	s_or_b64 exec, exec, s[6:7]
	s_and_saveexec_b64 s[6:7], s[4:5]
	s_cbranch_execz .LBB1_32135
; %bb.57103:
	s_getpc_b64 s[14:15]
.Lpost_getpc14215:
	s_add_u32 s14, s14, (.LBB1_6927-.Lpost_getpc14215)&4294967295
	s_addc_u32 s15, s15, (.LBB1_6927-.Lpost_getpc14215)>>32
	s_setpc_b64 s[14:15]
.LBB1_32135:
	s_getpc_b64 s[14:15]
.Lpost_getpc1731:
	s_add_u32 s14, s14, (.LBB1_6928-.Lpost_getpc1731)&4294967295
	s_addc_u32 s15, s15, (.LBB1_6928-.Lpost_getpc1731)>>32
	s_setpc_b64 s[14:15]
.LBB1_21265:
	s_movk_i32 s4, 0x80
	v_cmp_eq_u16_e32 vcc, s4, v13
	s_mov_b64 s[4:5], -1
                                        ; implicit-def: $sgpr10
	s_and_saveexec_b64 s[8:9], vcc
; %bb.21266:
	s_mov_b32 s10, 0x7f800001
	s_xor_b64 s[4:5], exec, -1
; %bb.21267:
	s_or_b64 exec, exec, s[8:9]
	s_and_b64 s[4:5], s[4:5], exec
                                        ; implicit-def: $vgpr13
	s_or_saveexec_b64 s[6:7], s[6:7]
	v_mov_b32_e32 v12, s10
	s_xor_b64 exec, exec, s[6:7]
	s_cbranch_execnz .LBB1_21268
; %bb.57105:
	s_getpc_b64 s[14:15]
.Lpost_getpc14216:
	s_add_u32 s14, s14, (.LBB1_6930-.Lpost_getpc14216)&4294967295
	s_addc_u32 s15, s15, (.LBB1_6930-.Lpost_getpc14216)>>32
	s_setpc_b64 s[14:15]
.LBB1_21268:
	v_cmp_ne_u16_e32 vcc, 0, v13
	s_andn2_b64 s[4:5], s[4:5], exec
	s_and_b64 s[8:9], vcc, exec
	v_mov_b32_e32 v12, 0
	s_or_b64 s[4:5], s[4:5], s[8:9]
	s_or_b64 exec, exec, s[6:7]
	s_and_saveexec_b64 s[6:7], s[4:5]
	s_cbranch_execz .LBB1_32137
; %bb.57107:
	s_getpc_b64 s[14:15]
.Lpost_getpc14217:
	s_add_u32 s14, s14, (.LBB1_6931-.Lpost_getpc14217)&4294967295
	s_addc_u32 s15, s15, (.LBB1_6931-.Lpost_getpc14217)>>32
	s_setpc_b64 s[14:15]
.LBB1_32137:
	s_getpc_b64 s[14:15]
.Lpost_getpc1732:
	s_add_u32 s14, s14, (.LBB1_6932-.Lpost_getpc1732)&4294967295
	s_addc_u32 s15, s15, (.LBB1_6932-.Lpost_getpc1732)>>32
	s_setpc_b64 s[14:15]
.LBB1_21269:
	s_movk_i32 s4, 0x80
	v_cmp_eq_u16_e32 vcc, s4, v13
	s_mov_b64 s[4:5], -1
                                        ; implicit-def: $sgpr10
	s_and_saveexec_b64 s[8:9], vcc
; %bb.21270:
	s_mov_b32 s10, 0x7f800001
	s_xor_b64 s[4:5], exec, -1
; %bb.21271:
	s_or_b64 exec, exec, s[8:9]
	s_and_b64 s[4:5], s[4:5], exec
                                        ; implicit-def: $vgpr13
	s_or_saveexec_b64 s[6:7], s[6:7]
	v_mov_b32_e32 v14, s10
	s_xor_b64 exec, exec, s[6:7]
	s_cbranch_execnz .LBB1_21272
; %bb.57109:
	s_getpc_b64 s[14:15]
.Lpost_getpc14218:
	s_add_u32 s14, s14, (.LBB1_6934-.Lpost_getpc14218)&4294967295
	s_addc_u32 s15, s15, (.LBB1_6934-.Lpost_getpc14218)>>32
	s_setpc_b64 s[14:15]
.LBB1_21272:
	v_cmp_ne_u16_e32 vcc, 0, v13
	s_andn2_b64 s[4:5], s[4:5], exec
	s_and_b64 s[8:9], vcc, exec
	v_mov_b32_e32 v14, 0
	s_or_b64 s[4:5], s[4:5], s[8:9]
	s_or_b64 exec, exec, s[6:7]
	s_and_saveexec_b64 s[6:7], s[4:5]
	s_cbranch_execz .LBB1_32139
; %bb.57111:
	s_getpc_b64 s[14:15]
.Lpost_getpc14219:
	s_add_u32 s14, s14, (.LBB1_6935-.Lpost_getpc14219)&4294967295
	s_addc_u32 s15, s15, (.LBB1_6935-.Lpost_getpc14219)>>32
	s_setpc_b64 s[14:15]
.LBB1_32139:
	s_getpc_b64 s[14:15]
.Lpost_getpc1733:
	s_add_u32 s14, s14, (.LBB1_6936-.Lpost_getpc1733)&4294967295
	s_addc_u32 s15, s15, (.LBB1_6936-.Lpost_getpc1733)>>32
	s_setpc_b64 s[14:15]
.LBB1_21273:
	s_movk_i32 s4, 0x80
	v_cmp_eq_u16_sdwa s[12:13], v6, s4 src0_sel:BYTE_3 src1_sel:DWORD
	s_mov_b64 s[4:5], -1
                                        ; implicit-def: $sgpr10
	s_and_saveexec_b64 s[8:9], s[12:13]
; %bb.21274:
	s_mov_b32 s10, 0x7f800001
	s_xor_b64 s[4:5], exec, -1
; %bb.21275:
	s_or_b64 exec, exec, s[8:9]
	s_and_b64 s[4:5], s[4:5], exec
	s_or_saveexec_b64 s[6:7], s[6:7]
	v_mov_b32_e32 v12, s10
	s_xor_b64 exec, exec, s[6:7]
	s_cbranch_execnz .LBB1_21276
; %bb.57113:
	s_getpc_b64 s[14:15]
.Lpost_getpc14220:
	s_add_u32 s14, s14, (.LBB1_6938-.Lpost_getpc14220)&4294967295
	s_addc_u32 s15, s15, (.LBB1_6938-.Lpost_getpc14220)>>32
	s_setpc_b64 s[14:15]
.LBB1_21276:
	v_mov_b32_e32 v12, 0
	v_cmp_ne_u16_sdwa s[8:9], v6, v12 src0_sel:BYTE_3 src1_sel:DWORD
	s_andn2_b64 s[4:5], s[4:5], exec
	s_and_b64 s[8:9], s[8:9], exec
	s_or_b64 s[4:5], s[4:5], s[8:9]
	s_or_b64 exec, exec, s[6:7]
	s_and_saveexec_b64 s[6:7], s[4:5]
	s_cbranch_execz .LBB1_32141
; %bb.57115:
	s_getpc_b64 s[14:15]
.Lpost_getpc14221:
	s_add_u32 s14, s14, (.LBB1_6939-.Lpost_getpc14221)&4294967295
	s_addc_u32 s15, s15, (.LBB1_6939-.Lpost_getpc14221)>>32
	s_setpc_b64 s[14:15]
.LBB1_32141:
	s_getpc_b64 s[14:15]
.Lpost_getpc1734:
	s_add_u32 s14, s14, (.LBB1_6940-.Lpost_getpc1734)&4294967295
	s_addc_u32 s15, s15, (.LBB1_6940-.Lpost_getpc1734)>>32
	s_setpc_b64 s[14:15]
.LBB1_21277:
	s_movk_i32 s4, 0x80
	v_cmp_eq_u16_sdwa s[12:13], v2, s4 src0_sel:BYTE_3 src1_sel:DWORD
	s_mov_b64 s[4:5], -1
                                        ; implicit-def: $sgpr10
	s_and_saveexec_b64 s[8:9], s[12:13]
; %bb.21278:
	s_mov_b32 s10, 0x7f800001
	s_xor_b64 s[4:5], exec, -1
; %bb.21279:
	s_or_b64 exec, exec, s[8:9]
	s_and_b64 s[4:5], s[4:5], exec
	s_or_saveexec_b64 s[6:7], s[6:7]
	v_mov_b32_e32 v6, s10
	s_xor_b64 exec, exec, s[6:7]
	s_cbranch_execnz .LBB1_21280
; %bb.57117:
	s_getpc_b64 s[14:15]
.Lpost_getpc14222:
	s_add_u32 s14, s14, (.LBB1_6942-.Lpost_getpc14222)&4294967295
	s_addc_u32 s15, s15, (.LBB1_6942-.Lpost_getpc14222)>>32
	s_setpc_b64 s[14:15]
.LBB1_21280:
	v_mov_b32_e32 v6, 0
	v_cmp_ne_u16_sdwa s[8:9], v2, v6 src0_sel:BYTE_3 src1_sel:DWORD
	s_andn2_b64 s[4:5], s[4:5], exec
	s_and_b64 s[8:9], s[8:9], exec
	s_or_b64 s[4:5], s[4:5], s[8:9]
	s_or_b64 exec, exec, s[6:7]
	s_and_saveexec_b64 s[6:7], s[4:5]
	s_cbranch_execz .LBB1_32143
; %bb.57119:
	s_getpc_b64 s[14:15]
.Lpost_getpc14223:
	s_add_u32 s14, s14, (.LBB1_6943-.Lpost_getpc14223)&4294967295
	s_addc_u32 s15, s15, (.LBB1_6943-.Lpost_getpc14223)>>32
	s_setpc_b64 s[14:15]
.LBB1_32143:
	s_getpc_b64 s[14:15]
.Lpost_getpc1735:
	s_add_u32 s14, s14, (.LBB1_6944-.Lpost_getpc1735)&4294967295
	s_addc_u32 s15, s15, (.LBB1_6944-.Lpost_getpc1735)>>32
	s_setpc_b64 s[14:15]
.LBB1_21281:
	s_movk_i32 s4, 0x80
	v_cmp_eq_u16_sdwa s[12:13], v7, s4 src0_sel:BYTE_0 src1_sel:DWORD
	s_mov_b64 s[4:5], -1
                                        ; implicit-def: $sgpr10
	s_and_saveexec_b64 s[8:9], s[12:13]
; %bb.21282:
	s_mov_b32 s10, 0x7f800001
	s_xor_b64 s[4:5], exec, -1
; %bb.21283:
	s_or_b64 exec, exec, s[8:9]
	s_and_b64 s[4:5], s[4:5], exec
	s_or_saveexec_b64 s[6:7], s[6:7]
	v_mov_b32_e32 v2, s10
	s_xor_b64 exec, exec, s[6:7]
	s_cbranch_execnz .LBB1_21284
; %bb.57121:
	s_getpc_b64 s[14:15]
.Lpost_getpc14224:
	s_add_u32 s14, s14, (.LBB1_6946-.Lpost_getpc14224)&4294967295
	s_addc_u32 s15, s15, (.LBB1_6946-.Lpost_getpc14224)>>32
	s_setpc_b64 s[14:15]
.LBB1_21284:
	v_mov_b32_e32 v2, 0
	v_cmp_ne_u16_sdwa s[8:9], v7, v2 src0_sel:BYTE_0 src1_sel:DWORD
	s_andn2_b64 s[4:5], s[4:5], exec
	s_and_b64 s[8:9], s[8:9], exec
	s_or_b64 s[4:5], s[4:5], s[8:9]
	s_or_b64 exec, exec, s[6:7]
	s_and_saveexec_b64 s[6:7], s[4:5]
	s_cbranch_execz .LBB1_32145
; %bb.57123:
	s_getpc_b64 s[14:15]
.Lpost_getpc14225:
	s_add_u32 s14, s14, (.LBB1_6947-.Lpost_getpc14225)&4294967295
	s_addc_u32 s15, s15, (.LBB1_6947-.Lpost_getpc14225)>>32
	s_setpc_b64 s[14:15]
.LBB1_32145:
	s_getpc_b64 s[14:15]
.Lpost_getpc1736:
	s_add_u32 s14, s14, (.LBB1_6948-.Lpost_getpc1736)&4294967295
	s_addc_u32 s15, s15, (.LBB1_6948-.Lpost_getpc1736)>>32
	s_setpc_b64 s[14:15]
.LBB1_21285:
	s_movk_i32 s4, 0x80
	v_cmp_eq_u16_sdwa s[12:13], v3, s4 src0_sel:BYTE_0 src1_sel:DWORD
	s_mov_b64 s[4:5], -1
                                        ; implicit-def: $sgpr10
	s_and_saveexec_b64 s[8:9], s[12:13]
; %bb.21286:
	s_mov_b32 s10, 0x7f800001
	s_xor_b64 s[4:5], exec, -1
; %bb.21287:
	s_or_b64 exec, exec, s[8:9]
	s_and_b64 s[4:5], s[4:5], exec
	s_or_saveexec_b64 s[6:7], s[6:7]
	v_mov_b32_e32 v6, s10
	s_xor_b64 exec, exec, s[6:7]
	s_cbranch_execnz .LBB1_21288
; %bb.57125:
	s_getpc_b64 s[14:15]
.Lpost_getpc14226:
	s_add_u32 s14, s14, (.LBB1_6950-.Lpost_getpc14226)&4294967295
	s_addc_u32 s15, s15, (.LBB1_6950-.Lpost_getpc14226)>>32
	s_setpc_b64 s[14:15]
.LBB1_21288:
	v_mov_b32_e32 v6, 0
	v_cmp_ne_u16_sdwa s[8:9], v3, v6 src0_sel:BYTE_0 src1_sel:DWORD
	s_andn2_b64 s[4:5], s[4:5], exec
	s_and_b64 s[8:9], s[8:9], exec
	s_or_b64 s[4:5], s[4:5], s[8:9]
	s_or_b64 exec, exec, s[6:7]
	s_and_saveexec_b64 s[6:7], s[4:5]
	s_cbranch_execz .LBB1_32147
; %bb.57127:
	s_getpc_b64 s[14:15]
.Lpost_getpc14227:
	s_add_u32 s14, s14, (.LBB1_6951-.Lpost_getpc14227)&4294967295
	s_addc_u32 s15, s15, (.LBB1_6951-.Lpost_getpc14227)>>32
	s_setpc_b64 s[14:15]
.LBB1_32147:
	s_getpc_b64 s[14:15]
.Lpost_getpc1737:
	s_add_u32 s14, s14, (.LBB1_6952-.Lpost_getpc1737)&4294967295
	s_addc_u32 s15, s15, (.LBB1_6952-.Lpost_getpc1737)>>32
	s_setpc_b64 s[14:15]
.LBB1_21289:
	s_movk_i32 s4, 0x80
	v_cmp_eq_u16_sdwa s[12:13], v6, s4 src0_sel:BYTE_0 src1_sel:DWORD
	s_mov_b64 s[4:5], -1
                                        ; implicit-def: $sgpr10
	s_and_saveexec_b64 s[8:9], s[12:13]
; %bb.21290:
	s_mov_b32 s10, 0x7f800001
	s_xor_b64 s[4:5], exec, -1
; %bb.21291:
	s_or_b64 exec, exec, s[8:9]
	s_and_b64 s[4:5], s[4:5], exec
	s_or_saveexec_b64 s[6:7], s[6:7]
	v_mov_b32_e32 v2, s10
	s_xor_b64 exec, exec, s[6:7]
	s_cbranch_execnz .LBB1_21292
; %bb.57129:
	s_getpc_b64 s[14:15]
.Lpost_getpc14228:
	s_add_u32 s14, s14, (.LBB1_6954-.Lpost_getpc14228)&4294967295
	s_addc_u32 s15, s15, (.LBB1_6954-.Lpost_getpc14228)>>32
	s_setpc_b64 s[14:15]
.LBB1_21292:
	v_mov_b32_e32 v2, 0
	v_cmp_ne_u16_sdwa s[8:9], v6, v2 src0_sel:BYTE_0 src1_sel:DWORD
	s_andn2_b64 s[4:5], s[4:5], exec
	s_and_b64 s[8:9], s[8:9], exec
	s_or_b64 s[4:5], s[4:5], s[8:9]
	s_or_b64 exec, exec, s[6:7]
	s_and_saveexec_b64 s[6:7], s[4:5]
	s_cbranch_execz .LBB1_32149
; %bb.57131:
	s_getpc_b64 s[14:15]
.Lpost_getpc14229:
	s_add_u32 s14, s14, (.LBB1_6955-.Lpost_getpc14229)&4294967295
	s_addc_u32 s15, s15, (.LBB1_6955-.Lpost_getpc14229)>>32
	s_setpc_b64 s[14:15]
.LBB1_32149:
	s_getpc_b64 s[14:15]
.Lpost_getpc1738:
	s_add_u32 s14, s14, (.LBB1_6956-.Lpost_getpc1738)&4294967295
	s_addc_u32 s15, s15, (.LBB1_6956-.Lpost_getpc1738)>>32
	s_setpc_b64 s[14:15]
.LBB1_21293:
	s_movk_i32 s4, 0x80
	v_cmp_eq_u16_sdwa s[12:13], v6, s4 src0_sel:BYTE_0 src1_sel:DWORD
	s_mov_b64 s[4:5], -1
                                        ; implicit-def: $sgpr10
	s_and_saveexec_b64 s[8:9], s[12:13]
; %bb.21294:
	s_mov_b32 s10, 0x7f800001
	s_xor_b64 s[4:5], exec, -1
; %bb.21295:
	s_or_b64 exec, exec, s[8:9]
	s_and_b64 s[4:5], s[4:5], exec
	s_or_saveexec_b64 s[6:7], s[6:7]
	v_mov_b32_e32 v12, s10
	s_xor_b64 exec, exec, s[6:7]
	s_cbranch_execnz .LBB1_21296
; %bb.57133:
	s_getpc_b64 s[14:15]
.Lpost_getpc14230:
	s_add_u32 s14, s14, (.LBB1_6958-.Lpost_getpc14230)&4294967295
	s_addc_u32 s15, s15, (.LBB1_6958-.Lpost_getpc14230)>>32
	s_setpc_b64 s[14:15]
.LBB1_21296:
	v_mov_b32_e32 v12, 0
	v_cmp_ne_u16_sdwa s[8:9], v6, v12 src0_sel:BYTE_0 src1_sel:DWORD
	s_andn2_b64 s[4:5], s[4:5], exec
	s_and_b64 s[8:9], s[8:9], exec
	s_or_b64 s[4:5], s[4:5], s[8:9]
	s_or_b64 exec, exec, s[6:7]
	s_and_saveexec_b64 s[6:7], s[4:5]
	s_cbranch_execz .LBB1_32151
; %bb.57135:
	s_getpc_b64 s[14:15]
.Lpost_getpc14231:
	s_add_u32 s14, s14, (.LBB1_6959-.Lpost_getpc14231)&4294967295
	s_addc_u32 s15, s15, (.LBB1_6959-.Lpost_getpc14231)>>32
	s_setpc_b64 s[14:15]
.LBB1_32151:
	s_getpc_b64 s[14:15]
.Lpost_getpc1739:
	s_add_u32 s14, s14, (.LBB1_6960-.Lpost_getpc1739)&4294967295
	s_addc_u32 s15, s15, (.LBB1_6960-.Lpost_getpc1739)>>32
	s_setpc_b64 s[14:15]
.LBB1_21297:
	s_movk_i32 s4, 0x80
	v_cmp_eq_u16_e32 vcc, s4, v6
	s_mov_b64 s[4:5], -1
                                        ; implicit-def: $sgpr10
	s_and_saveexec_b64 s[8:9], vcc
; %bb.21298:
	s_mov_b32 s10, 0x7f800001
	s_xor_b64 s[4:5], exec, -1
; %bb.21299:
	s_or_b64 exec, exec, s[8:9]
	s_and_b64 s[4:5], s[4:5], exec
                                        ; implicit-def: $vgpr6
	s_or_saveexec_b64 s[6:7], s[6:7]
	v_mov_b32_e32 v2, s10
	s_xor_b64 exec, exec, s[6:7]
	s_cbranch_execnz .LBB1_21300
; %bb.57137:
	s_getpc_b64 s[14:15]
.Lpost_getpc14232:
	s_add_u32 s14, s14, (.LBB1_6962-.Lpost_getpc14232)&4294967295
	s_addc_u32 s15, s15, (.LBB1_6962-.Lpost_getpc14232)>>32
	s_setpc_b64 s[14:15]
.LBB1_21300:
	v_cmp_ne_u16_e32 vcc, 0, v6
	s_andn2_b64 s[4:5], s[4:5], exec
	s_and_b64 s[8:9], vcc, exec
	v_mov_b32_e32 v2, 0
	s_or_b64 s[4:5], s[4:5], s[8:9]
	s_or_b64 exec, exec, s[6:7]
	s_and_saveexec_b64 s[6:7], s[4:5]
	s_cbranch_execz .LBB1_32153
; %bb.57139:
	s_getpc_b64 s[14:15]
.Lpost_getpc14233:
	s_add_u32 s14, s14, (.LBB1_6963-.Lpost_getpc14233)&4294967295
	s_addc_u32 s15, s15, (.LBB1_6963-.Lpost_getpc14233)>>32
	s_setpc_b64 s[14:15]
.LBB1_32153:
	s_getpc_b64 s[14:15]
.Lpost_getpc1740:
	s_add_u32 s14, s14, (.LBB1_6964-.Lpost_getpc1740)&4294967295
	s_addc_u32 s15, s15, (.LBB1_6964-.Lpost_getpc1740)>>32
	s_setpc_b64 s[14:15]
.LBB1_21301:
	s_movk_i32 s4, 0x80
	v_cmp_eq_u16_e32 vcc, s4, v6
	s_mov_b64 s[4:5], -1
                                        ; implicit-def: $sgpr10
	s_and_saveexec_b64 s[8:9], vcc
; %bb.21302:
	s_mov_b32 s10, 0x7f800001
	s_xor_b64 s[4:5], exec, -1
; %bb.21303:
	s_or_b64 exec, exec, s[8:9]
	s_and_b64 s[4:5], s[4:5], exec
                                        ; implicit-def: $vgpr6
	s_or_saveexec_b64 s[6:7], s[6:7]
	v_mov_b32_e32 v12, s10
	s_xor_b64 exec, exec, s[6:7]
	s_cbranch_execnz .LBB1_21304
; %bb.57141:
	s_getpc_b64 s[14:15]
.Lpost_getpc14234:
	s_add_u32 s14, s14, (.LBB1_6966-.Lpost_getpc14234)&4294967295
	s_addc_u32 s15, s15, (.LBB1_6966-.Lpost_getpc14234)>>32
	s_setpc_b64 s[14:15]
.LBB1_21304:
	v_cmp_ne_u16_e32 vcc, 0, v6
	s_andn2_b64 s[4:5], s[4:5], exec
	s_and_b64 s[8:9], vcc, exec
	v_mov_b32_e32 v12, 0
	s_or_b64 s[4:5], s[4:5], s[8:9]
	s_or_b64 exec, exec, s[6:7]
	s_and_saveexec_b64 s[6:7], s[4:5]
	s_cbranch_execz .LBB1_32155
; %bb.57143:
	s_getpc_b64 s[14:15]
.Lpost_getpc14235:
	s_add_u32 s14, s14, (.LBB1_6967-.Lpost_getpc14235)&4294967295
	s_addc_u32 s15, s15, (.LBB1_6967-.Lpost_getpc14235)>>32
	s_setpc_b64 s[14:15]
.LBB1_32155:
	s_getpc_b64 s[14:15]
.Lpost_getpc1741:
	s_add_u32 s14, s14, (.LBB1_6968-.Lpost_getpc1741)&4294967295
	s_addc_u32 s15, s15, (.LBB1_6968-.Lpost_getpc1741)>>32
	s_setpc_b64 s[14:15]
.LBB1_21305:
	s_movk_i32 s4, 0x80
	v_cmp_eq_u16_sdwa s[12:13], v7, s4 src0_sel:BYTE_3 src1_sel:DWORD
	s_mov_b64 s[4:5], -1
                                        ; implicit-def: $sgpr10
	s_and_saveexec_b64 s[8:9], s[12:13]
; %bb.21306:
	s_mov_b32 s10, 0x7f800001
	s_xor_b64 s[4:5], exec, -1
; %bb.21307:
	s_or_b64 exec, exec, s[8:9]
	s_and_b64 s[4:5], s[4:5], exec
	s_or_saveexec_b64 s[6:7], s[6:7]
	v_mov_b32_e32 v2, s10
	s_xor_b64 exec, exec, s[6:7]
	s_cbranch_execnz .LBB1_21308
; %bb.57145:
	s_getpc_b64 s[14:15]
.Lpost_getpc14236:
	s_add_u32 s14, s14, (.LBB1_6970-.Lpost_getpc14236)&4294967295
	s_addc_u32 s15, s15, (.LBB1_6970-.Lpost_getpc14236)>>32
	s_setpc_b64 s[14:15]
.LBB1_21308:
	v_mov_b32_e32 v2, 0
	v_cmp_ne_u16_sdwa s[8:9], v7, v2 src0_sel:BYTE_3 src1_sel:DWORD
	s_andn2_b64 s[4:5], s[4:5], exec
	s_and_b64 s[8:9], s[8:9], exec
	s_or_b64 s[4:5], s[4:5], s[8:9]
	s_or_b64 exec, exec, s[6:7]
	s_and_saveexec_b64 s[6:7], s[4:5]
	s_cbranch_execz .LBB1_32157
; %bb.57147:
	s_getpc_b64 s[14:15]
.Lpost_getpc14237:
	s_add_u32 s14, s14, (.LBB1_6971-.Lpost_getpc14237)&4294967295
	s_addc_u32 s15, s15, (.LBB1_6971-.Lpost_getpc14237)>>32
	s_setpc_b64 s[14:15]
.LBB1_32157:
	s_getpc_b64 s[14:15]
.Lpost_getpc1742:
	s_add_u32 s14, s14, (.LBB1_6972-.Lpost_getpc1742)&4294967295
	s_addc_u32 s15, s15, (.LBB1_6972-.Lpost_getpc1742)>>32
	s_setpc_b64 s[14:15]
.LBB1_21309:
	s_movk_i32 s4, 0x80
	v_cmp_eq_u16_sdwa s[12:13], v3, s4 src0_sel:BYTE_3 src1_sel:DWORD
	s_mov_b64 s[4:5], -1
                                        ; implicit-def: $sgpr10
	s_and_saveexec_b64 s[8:9], s[12:13]
; %bb.21310:
	s_mov_b32 s10, 0x7f800001
	s_xor_b64 s[4:5], exec, -1
; %bb.21311:
	s_or_b64 exec, exec, s[8:9]
	s_and_b64 s[4:5], s[4:5], exec
	s_or_saveexec_b64 s[6:7], s[6:7]
	v_mov_b32_e32 v6, s10
	s_xor_b64 exec, exec, s[6:7]
	s_cbranch_execnz .LBB1_21312
; %bb.57149:
	s_getpc_b64 s[14:15]
.Lpost_getpc14238:
	s_add_u32 s14, s14, (.LBB1_6974-.Lpost_getpc14238)&4294967295
	s_addc_u32 s15, s15, (.LBB1_6974-.Lpost_getpc14238)>>32
	s_setpc_b64 s[14:15]
.LBB1_21312:
	v_mov_b32_e32 v6, 0
	v_cmp_ne_u16_sdwa s[8:9], v3, v6 src0_sel:BYTE_3 src1_sel:DWORD
	s_andn2_b64 s[4:5], s[4:5], exec
	s_and_b64 s[8:9], s[8:9], exec
	s_or_b64 s[4:5], s[4:5], s[8:9]
	s_or_b64 exec, exec, s[6:7]
	s_and_saveexec_b64 s[6:7], s[4:5]
	s_cbranch_execz .LBB1_32159
; %bb.57151:
	s_getpc_b64 s[14:15]
.Lpost_getpc14239:
	s_add_u32 s14, s14, (.LBB1_6975-.Lpost_getpc14239)&4294967295
	s_addc_u32 s15, s15, (.LBB1_6975-.Lpost_getpc14239)>>32
	s_setpc_b64 s[14:15]
.LBB1_32159:
	s_getpc_b64 s[14:15]
.Lpost_getpc1743:
	s_add_u32 s14, s14, (.LBB1_6976-.Lpost_getpc1743)&4294967295
	s_addc_u32 s15, s15, (.LBB1_6976-.Lpost_getpc1743)>>32
	s_setpc_b64 s[14:15]
.LBB1_21313:
	s_movk_i32 s4, 0x80
	v_cmp_eq_u16_sdwa s[12:13], v8, s4 src0_sel:BYTE_0 src1_sel:DWORD
	s_mov_b64 s[4:5], -1
                                        ; implicit-def: $sgpr10
	s_and_saveexec_b64 s[8:9], s[12:13]
; %bb.21314:
	s_mov_b32 s10, 0x7f800001
	s_xor_b64 s[4:5], exec, -1
; %bb.21315:
	s_or_b64 exec, exec, s[8:9]
	s_and_b64 s[4:5], s[4:5], exec
	s_or_saveexec_b64 s[6:7], s[6:7]
	v_mov_b32_e32 v2, s10
	s_xor_b64 exec, exec, s[6:7]
	s_cbranch_execnz .LBB1_21316
; %bb.57153:
	s_getpc_b64 s[14:15]
.Lpost_getpc14240:
	s_add_u32 s14, s14, (.LBB1_6978-.Lpost_getpc14240)&4294967295
	s_addc_u32 s15, s15, (.LBB1_6978-.Lpost_getpc14240)>>32
	s_setpc_b64 s[14:15]
.LBB1_21316:
	v_mov_b32_e32 v2, 0
	v_cmp_ne_u16_sdwa s[8:9], v8, v2 src0_sel:BYTE_0 src1_sel:DWORD
	s_andn2_b64 s[4:5], s[4:5], exec
	s_and_b64 s[8:9], s[8:9], exec
	s_or_b64 s[4:5], s[4:5], s[8:9]
	s_or_b64 exec, exec, s[6:7]
	s_and_saveexec_b64 s[6:7], s[4:5]
	s_cbranch_execz .LBB1_32161
; %bb.57155:
	s_getpc_b64 s[14:15]
.Lpost_getpc14241:
	s_add_u32 s14, s14, (.LBB1_6979-.Lpost_getpc14241)&4294967295
	s_addc_u32 s15, s15, (.LBB1_6979-.Lpost_getpc14241)>>32
	s_setpc_b64 s[14:15]
.LBB1_32161:
	s_getpc_b64 s[14:15]
.Lpost_getpc1744:
	s_add_u32 s14, s14, (.LBB1_6980-.Lpost_getpc1744)&4294967295
	s_addc_u32 s15, s15, (.LBB1_6980-.Lpost_getpc1744)>>32
	s_setpc_b64 s[14:15]
.LBB1_21317:
	s_movk_i32 s4, 0x80
	v_cmp_eq_u16_sdwa s[12:13], v4, s4 src0_sel:BYTE_0 src1_sel:DWORD
	s_mov_b64 s[4:5], -1
                                        ; implicit-def: $sgpr10
	s_and_saveexec_b64 s[8:9], s[12:13]
; %bb.21318:
	s_mov_b32 s10, 0x7f800001
	s_xor_b64 s[4:5], exec, -1
; %bb.21319:
	s_or_b64 exec, exec, s[8:9]
	s_and_b64 s[4:5], s[4:5], exec
	s_or_saveexec_b64 s[6:7], s[6:7]
	v_mov_b32_e32 v3, s10
	s_xor_b64 exec, exec, s[6:7]
	s_cbranch_execnz .LBB1_21320
; %bb.57157:
	s_getpc_b64 s[14:15]
.Lpost_getpc14242:
	s_add_u32 s14, s14, (.LBB1_6982-.Lpost_getpc14242)&4294967295
	s_addc_u32 s15, s15, (.LBB1_6982-.Lpost_getpc14242)>>32
	s_setpc_b64 s[14:15]
.LBB1_21320:
	v_mov_b32_e32 v3, 0
	v_cmp_ne_u16_sdwa s[8:9], v4, v3 src0_sel:BYTE_0 src1_sel:DWORD
	s_andn2_b64 s[4:5], s[4:5], exec
	s_and_b64 s[8:9], s[8:9], exec
	s_or_b64 s[4:5], s[4:5], s[8:9]
	s_or_b64 exec, exec, s[6:7]
	s_and_saveexec_b64 s[6:7], s[4:5]
	s_cbranch_execz .LBB1_32163
; %bb.57159:
	s_getpc_b64 s[14:15]
.Lpost_getpc14243:
	s_add_u32 s14, s14, (.LBB1_6983-.Lpost_getpc14243)&4294967295
	s_addc_u32 s15, s15, (.LBB1_6983-.Lpost_getpc14243)>>32
	s_setpc_b64 s[14:15]
.LBB1_32163:
	s_getpc_b64 s[14:15]
.Lpost_getpc1745:
	s_add_u32 s14, s14, (.LBB1_6984-.Lpost_getpc1745)&4294967295
	s_addc_u32 s15, s15, (.LBB1_6984-.Lpost_getpc1745)>>32
	s_setpc_b64 s[14:15]
.LBB1_21321:
	s_movk_i32 s4, 0x80
	v_cmp_eq_u16_sdwa s[12:13], v3, s4 src0_sel:BYTE_0 src1_sel:DWORD
	s_mov_b64 s[4:5], -1
                                        ; implicit-def: $sgpr10
	s_and_saveexec_b64 s[8:9], s[12:13]
; %bb.21322:
	s_mov_b32 s10, 0x7f800001
	s_xor_b64 s[4:5], exec, -1
; %bb.21323:
	s_or_b64 exec, exec, s[8:9]
	s_and_b64 s[4:5], s[4:5], exec
	s_or_saveexec_b64 s[6:7], s[6:7]
	v_mov_b32_e32 v2, s10
	s_xor_b64 exec, exec, s[6:7]
	s_cbranch_execnz .LBB1_21324
; %bb.57161:
	s_getpc_b64 s[14:15]
.Lpost_getpc14244:
	s_add_u32 s14, s14, (.LBB1_6986-.Lpost_getpc14244)&4294967295
	s_addc_u32 s15, s15, (.LBB1_6986-.Lpost_getpc14244)>>32
	s_setpc_b64 s[14:15]
.LBB1_21324:
	v_mov_b32_e32 v2, 0
	v_cmp_ne_u16_sdwa s[8:9], v3, v2 src0_sel:BYTE_0 src1_sel:DWORD
	s_andn2_b64 s[4:5], s[4:5], exec
	s_and_b64 s[8:9], s[8:9], exec
	s_or_b64 s[4:5], s[4:5], s[8:9]
	s_or_b64 exec, exec, s[6:7]
	s_and_saveexec_b64 s[6:7], s[4:5]
	s_cbranch_execz .LBB1_32165
; %bb.57163:
	s_getpc_b64 s[14:15]
.Lpost_getpc14245:
	s_add_u32 s14, s14, (.LBB1_6987-.Lpost_getpc14245)&4294967295
	s_addc_u32 s15, s15, (.LBB1_6987-.Lpost_getpc14245)>>32
	s_setpc_b64 s[14:15]
.LBB1_32165:
	s_getpc_b64 s[14:15]
.Lpost_getpc1746:
	s_add_u32 s14, s14, (.LBB1_6988-.Lpost_getpc1746)&4294967295
	s_addc_u32 s15, s15, (.LBB1_6988-.Lpost_getpc1746)>>32
	s_setpc_b64 s[14:15]
.LBB1_21325:
	s_movk_i32 s4, 0x80
	v_cmp_eq_u16_sdwa s[12:13], v3, s4 src0_sel:BYTE_0 src1_sel:DWORD
	s_mov_b64 s[4:5], -1
                                        ; implicit-def: $sgpr10
	s_and_saveexec_b64 s[8:9], s[12:13]
; %bb.21326:
	s_mov_b32 s10, 0x7f800001
	s_xor_b64 s[4:5], exec, -1
; %bb.21327:
	s_or_b64 exec, exec, s[8:9]
	s_and_b64 s[4:5], s[4:5], exec
	s_or_saveexec_b64 s[6:7], s[6:7]
	v_mov_b32_e32 v6, s10
	s_xor_b64 exec, exec, s[6:7]
	s_cbranch_execnz .LBB1_21328
; %bb.57165:
	s_getpc_b64 s[14:15]
.Lpost_getpc14246:
	s_add_u32 s14, s14, (.LBB1_6990-.Lpost_getpc14246)&4294967295
	s_addc_u32 s15, s15, (.LBB1_6990-.Lpost_getpc14246)>>32
	s_setpc_b64 s[14:15]
.LBB1_21328:
	v_mov_b32_e32 v6, 0
	v_cmp_ne_u16_sdwa s[8:9], v3, v6 src0_sel:BYTE_0 src1_sel:DWORD
	s_andn2_b64 s[4:5], s[4:5], exec
	s_and_b64 s[8:9], s[8:9], exec
	s_or_b64 s[4:5], s[4:5], s[8:9]
	s_or_b64 exec, exec, s[6:7]
	s_and_saveexec_b64 s[6:7], s[4:5]
	s_cbranch_execz .LBB1_32167
; %bb.57167:
	s_getpc_b64 s[14:15]
.Lpost_getpc14247:
	s_add_u32 s14, s14, (.LBB1_6991-.Lpost_getpc14247)&4294967295
	s_addc_u32 s15, s15, (.LBB1_6991-.Lpost_getpc14247)>>32
	s_setpc_b64 s[14:15]
.LBB1_32167:
	s_getpc_b64 s[14:15]
.Lpost_getpc1747:
	s_add_u32 s14, s14, (.LBB1_6992-.Lpost_getpc1747)&4294967295
	s_addc_u32 s15, s15, (.LBB1_6992-.Lpost_getpc1747)>>32
	s_setpc_b64 s[14:15]
.LBB1_21329:
	s_movk_i32 s4, 0x80
	v_cmp_eq_u16_e32 vcc, s4, v3
	s_mov_b64 s[4:5], -1
                                        ; implicit-def: $sgpr10
	s_and_saveexec_b64 s[8:9], vcc
; %bb.21330:
	s_mov_b32 s10, 0x7f800001
	s_xor_b64 s[4:5], exec, -1
; %bb.21331:
	s_or_b64 exec, exec, s[8:9]
	s_and_b64 s[4:5], s[4:5], exec
                                        ; implicit-def: $vgpr3
	s_or_saveexec_b64 s[6:7], s[6:7]
	v_mov_b32_e32 v2, s10
	s_xor_b64 exec, exec, s[6:7]
	s_cbranch_execnz .LBB1_21332
; %bb.57169:
	s_getpc_b64 s[14:15]
.Lpost_getpc14248:
	s_add_u32 s14, s14, (.LBB1_6994-.Lpost_getpc14248)&4294967295
	s_addc_u32 s15, s15, (.LBB1_6994-.Lpost_getpc14248)>>32
	s_setpc_b64 s[14:15]
.LBB1_21332:
	v_cmp_ne_u16_e32 vcc, 0, v3
	s_andn2_b64 s[4:5], s[4:5], exec
	s_and_b64 s[8:9], vcc, exec
	v_mov_b32_e32 v2, 0
	s_or_b64 s[4:5], s[4:5], s[8:9]
	s_or_b64 exec, exec, s[6:7]
	s_and_saveexec_b64 s[6:7], s[4:5]
	s_cbranch_execz .LBB1_32169
; %bb.57171:
	s_getpc_b64 s[14:15]
.Lpost_getpc14249:
	s_add_u32 s14, s14, (.LBB1_6995-.Lpost_getpc14249)&4294967295
	s_addc_u32 s15, s15, (.LBB1_6995-.Lpost_getpc14249)>>32
	s_setpc_b64 s[14:15]
.LBB1_32169:
	s_getpc_b64 s[14:15]
.Lpost_getpc1748:
	s_add_u32 s14, s14, (.LBB1_6996-.Lpost_getpc1748)&4294967295
	s_addc_u32 s15, s15, (.LBB1_6996-.Lpost_getpc1748)>>32
	s_setpc_b64 s[14:15]
.LBB1_21333:
	s_movk_i32 s4, 0x80
	v_cmp_eq_u16_e32 vcc, s4, v3
	s_mov_b64 s[4:5], -1
                                        ; implicit-def: $sgpr10
	s_and_saveexec_b64 s[8:9], vcc
; %bb.21334:
	s_mov_b32 s10, 0x7f800001
	s_xor_b64 s[4:5], exec, -1
; %bb.21335:
	s_or_b64 exec, exec, s[8:9]
	s_and_b64 s[4:5], s[4:5], exec
                                        ; implicit-def: $vgpr3
	s_or_saveexec_b64 s[6:7], s[6:7]
	v_mov_b32_e32 v6, s10
	s_xor_b64 exec, exec, s[6:7]
	s_cbranch_execnz .LBB1_21336
; %bb.57173:
	s_getpc_b64 s[14:15]
.Lpost_getpc14250:
	s_add_u32 s14, s14, (.LBB1_6998-.Lpost_getpc14250)&4294967295
	s_addc_u32 s15, s15, (.LBB1_6998-.Lpost_getpc14250)>>32
	s_setpc_b64 s[14:15]
.LBB1_21336:
	v_cmp_ne_u16_e32 vcc, 0, v3
	s_andn2_b64 s[4:5], s[4:5], exec
	s_and_b64 s[8:9], vcc, exec
	v_mov_b32_e32 v6, 0
	s_or_b64 s[4:5], s[4:5], s[8:9]
	s_or_b64 exec, exec, s[6:7]
	s_and_saveexec_b64 s[6:7], s[4:5]
	s_cbranch_execz .LBB1_32171
; %bb.57175:
	s_getpc_b64 s[14:15]
.Lpost_getpc14251:
	s_add_u32 s14, s14, (.LBB1_6999-.Lpost_getpc14251)&4294967295
	s_addc_u32 s15, s15, (.LBB1_6999-.Lpost_getpc14251)>>32
	s_setpc_b64 s[14:15]
.LBB1_32171:
	s_getpc_b64 s[14:15]
.Lpost_getpc1749:
	s_add_u32 s14, s14, (.LBB1_7000-.Lpost_getpc1749)&4294967295
	s_addc_u32 s15, s15, (.LBB1_7000-.Lpost_getpc1749)>>32
	s_setpc_b64 s[14:15]
.LBB1_21337:
	s_movk_i32 s4, 0x80
	v_cmp_eq_u16_sdwa s[12:13], v8, s4 src0_sel:BYTE_3 src1_sel:DWORD
	s_mov_b64 s[4:5], -1
                                        ; implicit-def: $sgpr10
	s_and_saveexec_b64 s[8:9], s[12:13]
; %bb.21338:
	s_mov_b32 s10, 0x7f800001
	s_xor_b64 s[4:5], exec, -1
; %bb.21339:
	s_or_b64 exec, exec, s[8:9]
	s_and_b64 s[4:5], s[4:5], exec
	s_or_saveexec_b64 s[6:7], s[6:7]
	v_mov_b32_e32 v2, s10
	s_xor_b64 exec, exec, s[6:7]
	s_cbranch_execnz .LBB1_21340
; %bb.57177:
	s_getpc_b64 s[14:15]
.Lpost_getpc14252:
	s_add_u32 s14, s14, (.LBB1_7002-.Lpost_getpc14252)&4294967295
	s_addc_u32 s15, s15, (.LBB1_7002-.Lpost_getpc14252)>>32
	s_setpc_b64 s[14:15]
.LBB1_21340:
	v_mov_b32_e32 v2, 0
	v_cmp_ne_u16_sdwa s[8:9], v8, v2 src0_sel:BYTE_3 src1_sel:DWORD
	s_andn2_b64 s[4:5], s[4:5], exec
	s_and_b64 s[8:9], s[8:9], exec
	s_or_b64 s[4:5], s[4:5], s[8:9]
	s_or_b64 exec, exec, s[6:7]
	s_and_saveexec_b64 s[6:7], s[4:5]
	s_cbranch_execz .LBB1_32173
; %bb.57179:
	s_getpc_b64 s[14:15]
.Lpost_getpc14253:
	s_add_u32 s14, s14, (.LBB1_7003-.Lpost_getpc14253)&4294967295
	s_addc_u32 s15, s15, (.LBB1_7003-.Lpost_getpc14253)>>32
	s_setpc_b64 s[14:15]
.LBB1_32173:
	s_getpc_b64 s[14:15]
.Lpost_getpc1750:
	s_add_u32 s14, s14, (.LBB1_7004-.Lpost_getpc1750)&4294967295
	s_addc_u32 s15, s15, (.LBB1_7004-.Lpost_getpc1750)>>32
	s_setpc_b64 s[14:15]
.LBB1_21341:
	s_movk_i32 s4, 0x80
	v_cmp_eq_u16_sdwa s[12:13], v4, s4 src0_sel:BYTE_3 src1_sel:DWORD
	s_mov_b64 s[4:5], -1
                                        ; implicit-def: $sgpr10
	s_and_saveexec_b64 s[8:9], s[12:13]
; %bb.21342:
	s_mov_b32 s10, 0x7f800001
	s_xor_b64 s[4:5], exec, -1
; %bb.21343:
	s_or_b64 exec, exec, s[8:9]
	s_and_b64 s[4:5], s[4:5], exec
	s_or_saveexec_b64 s[6:7], s[6:7]
	v_mov_b32_e32 v3, s10
	s_xor_b64 exec, exec, s[6:7]
	s_cbranch_execnz .LBB1_21344
; %bb.57181:
	s_getpc_b64 s[14:15]
.Lpost_getpc14254:
	s_add_u32 s14, s14, (.LBB1_7006-.Lpost_getpc14254)&4294967295
	s_addc_u32 s15, s15, (.LBB1_7006-.Lpost_getpc14254)>>32
	s_setpc_b64 s[14:15]
.LBB1_21344:
	v_mov_b32_e32 v3, 0
	v_cmp_ne_u16_sdwa s[8:9], v4, v3 src0_sel:BYTE_3 src1_sel:DWORD
	s_andn2_b64 s[4:5], s[4:5], exec
	s_and_b64 s[8:9], s[8:9], exec
	s_or_b64 s[4:5], s[4:5], s[8:9]
	s_or_b64 exec, exec, s[6:7]
	s_and_saveexec_b64 s[6:7], s[4:5]
	s_cbranch_execz .LBB1_32175
; %bb.57183:
	s_getpc_b64 s[14:15]
.Lpost_getpc14255:
	s_add_u32 s14, s14, (.LBB1_7007-.Lpost_getpc14255)&4294967295
	s_addc_u32 s15, s15, (.LBB1_7007-.Lpost_getpc14255)>>32
	s_setpc_b64 s[14:15]
.LBB1_32175:
	s_getpc_b64 s[14:15]
.Lpost_getpc1751:
	s_add_u32 s14, s14, (.LBB1_7008-.Lpost_getpc1751)&4294967295
	s_addc_u32 s15, s15, (.LBB1_7008-.Lpost_getpc1751)>>32
	s_setpc_b64 s[14:15]
.LBB1_21345:
	s_movk_i32 s4, 0x80
	v_cmp_eq_u16_sdwa s[12:13], v9, s4 src0_sel:BYTE_0 src1_sel:DWORD
	s_mov_b64 s[4:5], -1
                                        ; implicit-def: $sgpr10
	s_and_saveexec_b64 s[8:9], s[12:13]
; %bb.21346:
	s_mov_b32 s10, 0x7f800001
	s_xor_b64 s[4:5], exec, -1
; %bb.21347:
	s_or_b64 exec, exec, s[8:9]
	s_and_b64 s[4:5], s[4:5], exec
	s_or_saveexec_b64 s[6:7], s[6:7]
	v_mov_b32_e32 v2, s10
	s_xor_b64 exec, exec, s[6:7]
	s_cbranch_execnz .LBB1_21348
; %bb.57185:
	s_getpc_b64 s[14:15]
.Lpost_getpc14256:
	s_add_u32 s14, s14, (.LBB1_7010-.Lpost_getpc14256)&4294967295
	s_addc_u32 s15, s15, (.LBB1_7010-.Lpost_getpc14256)>>32
	s_setpc_b64 s[14:15]
.LBB1_21348:
	v_mov_b32_e32 v2, 0
	v_cmp_ne_u16_sdwa s[8:9], v9, v2 src0_sel:BYTE_0 src1_sel:DWORD
	s_andn2_b64 s[4:5], s[4:5], exec
	s_and_b64 s[8:9], s[8:9], exec
	s_or_b64 s[4:5], s[4:5], s[8:9]
	s_or_b64 exec, exec, s[6:7]
	s_and_saveexec_b64 s[6:7], s[4:5]
	s_cbranch_execz .LBB1_32177
; %bb.57187:
	s_getpc_b64 s[14:15]
.Lpost_getpc14257:
	s_add_u32 s14, s14, (.LBB1_7011-.Lpost_getpc14257)&4294967295
	s_addc_u32 s15, s15, (.LBB1_7011-.Lpost_getpc14257)>>32
	s_setpc_b64 s[14:15]
.LBB1_32177:
	s_getpc_b64 s[14:15]
.Lpost_getpc1752:
	s_add_u32 s14, s14, (.LBB1_7012-.Lpost_getpc1752)&4294967295
	s_addc_u32 s15, s15, (.LBB1_7012-.Lpost_getpc1752)>>32
	s_setpc_b64 s[14:15]
.LBB1_21349:
	s_movk_i32 s4, 0x80
	v_cmp_eq_u16_sdwa s[12:13], v5, s4 src0_sel:BYTE_0 src1_sel:DWORD
	s_mov_b64 s[4:5], -1
                                        ; implicit-def: $sgpr10
	s_and_saveexec_b64 s[8:9], s[12:13]
; %bb.21350:
	s_mov_b32 s10, 0x7f800001
	s_xor_b64 s[4:5], exec, -1
; %bb.21351:
	s_or_b64 exec, exec, s[8:9]
	s_and_b64 s[4:5], s[4:5], exec
	s_or_saveexec_b64 s[6:7], s[6:7]
	v_mov_b32_e32 v3, s10
	s_xor_b64 exec, exec, s[6:7]
	s_cbranch_execnz .LBB1_21352
; %bb.57189:
	s_getpc_b64 s[14:15]
.Lpost_getpc14258:
	s_add_u32 s14, s14, (.LBB1_7014-.Lpost_getpc14258)&4294967295
	s_addc_u32 s15, s15, (.LBB1_7014-.Lpost_getpc14258)>>32
	s_setpc_b64 s[14:15]
.LBB1_21352:
	v_mov_b32_e32 v3, 0
	v_cmp_ne_u16_sdwa s[8:9], v5, v3 src0_sel:BYTE_0 src1_sel:DWORD
	s_andn2_b64 s[4:5], s[4:5], exec
	s_and_b64 s[8:9], s[8:9], exec
	s_or_b64 s[4:5], s[4:5], s[8:9]
	s_or_b64 exec, exec, s[6:7]
	s_and_saveexec_b64 s[6:7], s[4:5]
	s_cbranch_execz .LBB1_32179
; %bb.57191:
	s_getpc_b64 s[14:15]
.Lpost_getpc14259:
	s_add_u32 s14, s14, (.LBB1_7015-.Lpost_getpc14259)&4294967295
	s_addc_u32 s15, s15, (.LBB1_7015-.Lpost_getpc14259)>>32
	s_setpc_b64 s[14:15]
.LBB1_32179:
	s_getpc_b64 s[14:15]
.Lpost_getpc1753:
	s_add_u32 s14, s14, (.LBB1_7016-.Lpost_getpc1753)&4294967295
	s_addc_u32 s15, s15, (.LBB1_7016-.Lpost_getpc1753)>>32
	s_setpc_b64 s[14:15]
.LBB1_21353:
	s_movk_i32 s4, 0x80
	v_cmp_eq_u16_sdwa s[12:13], v3, s4 src0_sel:BYTE_0 src1_sel:DWORD
	s_mov_b64 s[4:5], -1
                                        ; implicit-def: $sgpr10
	s_and_saveexec_b64 s[8:9], s[12:13]
; %bb.21354:
	s_mov_b32 s10, 0x7f800001
	s_xor_b64 s[4:5], exec, -1
; %bb.21355:
	s_or_b64 exec, exec, s[8:9]
	s_and_b64 s[4:5], s[4:5], exec
	s_or_saveexec_b64 s[6:7], s[6:7]
	v_mov_b32_e32 v2, s10
	s_xor_b64 exec, exec, s[6:7]
	s_cbranch_execnz .LBB1_21356
; %bb.57193:
	s_getpc_b64 s[14:15]
.Lpost_getpc14260:
	s_add_u32 s14, s14, (.LBB1_7018-.Lpost_getpc14260)&4294967295
	s_addc_u32 s15, s15, (.LBB1_7018-.Lpost_getpc14260)>>32
	s_setpc_b64 s[14:15]
.LBB1_21356:
	v_mov_b32_e32 v2, 0
	v_cmp_ne_u16_sdwa s[8:9], v3, v2 src0_sel:BYTE_0 src1_sel:DWORD
	s_andn2_b64 s[4:5], s[4:5], exec
	s_and_b64 s[8:9], s[8:9], exec
	s_or_b64 s[4:5], s[4:5], s[8:9]
	s_or_b64 exec, exec, s[6:7]
	s_and_saveexec_b64 s[6:7], s[4:5]
	s_cbranch_execz .LBB1_32181
; %bb.57195:
	s_getpc_b64 s[14:15]
.Lpost_getpc14261:
	s_add_u32 s14, s14, (.LBB1_7019-.Lpost_getpc14261)&4294967295
	s_addc_u32 s15, s15, (.LBB1_7019-.Lpost_getpc14261)>>32
	s_setpc_b64 s[14:15]
.LBB1_32181:
	s_getpc_b64 s[14:15]
.Lpost_getpc1754:
	s_add_u32 s14, s14, (.LBB1_7020-.Lpost_getpc1754)&4294967295
	s_addc_u32 s15, s15, (.LBB1_7020-.Lpost_getpc1754)>>32
	s_setpc_b64 s[14:15]
.LBB1_21357:
	s_movk_i32 s4, 0x80
	v_cmp_eq_u16_sdwa s[12:13], v3, s4 src0_sel:BYTE_0 src1_sel:DWORD
	s_mov_b64 s[4:5], -1
                                        ; implicit-def: $sgpr10
	s_and_saveexec_b64 s[8:9], s[12:13]
; %bb.21358:
	s_mov_b32 s10, 0x7f800001
	s_xor_b64 s[4:5], exec, -1
; %bb.21359:
	s_or_b64 exec, exec, s[8:9]
	s_and_b64 s[4:5], s[4:5], exec
	s_or_saveexec_b64 s[6:7], s[6:7]
	v_mov_b32_e32 v4, s10
	s_xor_b64 exec, exec, s[6:7]
	s_cbranch_execnz .LBB1_21360
; %bb.57197:
	s_getpc_b64 s[14:15]
.Lpost_getpc14262:
	s_add_u32 s14, s14, (.LBB1_7022-.Lpost_getpc14262)&4294967295
	s_addc_u32 s15, s15, (.LBB1_7022-.Lpost_getpc14262)>>32
	s_setpc_b64 s[14:15]
.LBB1_21360:
	v_mov_b32_e32 v4, 0
	v_cmp_ne_u16_sdwa s[8:9], v3, v4 src0_sel:BYTE_0 src1_sel:DWORD
	s_andn2_b64 s[4:5], s[4:5], exec
	s_and_b64 s[8:9], s[8:9], exec
	s_or_b64 s[4:5], s[4:5], s[8:9]
	s_or_b64 exec, exec, s[6:7]
	s_and_saveexec_b64 s[6:7], s[4:5]
	s_cbranch_execz .LBB1_32183
; %bb.57199:
	s_getpc_b64 s[14:15]
.Lpost_getpc14263:
	s_add_u32 s14, s14, (.LBB1_7023-.Lpost_getpc14263)&4294967295
	s_addc_u32 s15, s15, (.LBB1_7023-.Lpost_getpc14263)>>32
	s_setpc_b64 s[14:15]
.LBB1_32183:
	s_getpc_b64 s[14:15]
.Lpost_getpc1755:
	s_add_u32 s14, s14, (.LBB1_7024-.Lpost_getpc1755)&4294967295
	s_addc_u32 s15, s15, (.LBB1_7024-.Lpost_getpc1755)>>32
	s_setpc_b64 s[14:15]
.LBB1_21361:
	s_movk_i32 s4, 0x80
	v_cmp_eq_u16_e32 vcc, s4, v3
	s_mov_b64 s[4:5], -1
                                        ; implicit-def: $sgpr10
	s_and_saveexec_b64 s[8:9], vcc
; %bb.21362:
	s_mov_b32 s10, 0x7f800001
	s_xor_b64 s[4:5], exec, -1
; %bb.21363:
	s_or_b64 exec, exec, s[8:9]
	s_and_b64 s[4:5], s[4:5], exec
                                        ; implicit-def: $vgpr3
	s_or_saveexec_b64 s[6:7], s[6:7]
	v_mov_b32_e32 v2, s10
	s_xor_b64 exec, exec, s[6:7]
	s_cbranch_execnz .LBB1_21364
; %bb.57201:
	s_getpc_b64 s[14:15]
.Lpost_getpc14264:
	s_add_u32 s14, s14, (.LBB1_7026-.Lpost_getpc14264)&4294967295
	s_addc_u32 s15, s15, (.LBB1_7026-.Lpost_getpc14264)>>32
	s_setpc_b64 s[14:15]
.LBB1_21364:
	v_cmp_ne_u16_e32 vcc, 0, v3
	s_andn2_b64 s[4:5], s[4:5], exec
	s_and_b64 s[8:9], vcc, exec
	v_mov_b32_e32 v2, 0
	s_or_b64 s[4:5], s[4:5], s[8:9]
	s_or_b64 exec, exec, s[6:7]
	s_and_saveexec_b64 s[6:7], s[4:5]
	s_cbranch_execz .LBB1_32185
; %bb.57203:
	s_getpc_b64 s[14:15]
.Lpost_getpc14265:
	s_add_u32 s14, s14, (.LBB1_7027-.Lpost_getpc14265)&4294967295
	s_addc_u32 s15, s15, (.LBB1_7027-.Lpost_getpc14265)>>32
	s_setpc_b64 s[14:15]
.LBB1_32185:
	s_getpc_b64 s[14:15]
.Lpost_getpc1756:
	s_add_u32 s14, s14, (.LBB1_7028-.Lpost_getpc1756)&4294967295
	s_addc_u32 s15, s15, (.LBB1_7028-.Lpost_getpc1756)>>32
	s_setpc_b64 s[14:15]
.LBB1_21365:
	s_movk_i32 s4, 0x80
	v_cmp_eq_u16_e32 vcc, s4, v3
	s_mov_b64 s[4:5], -1
                                        ; implicit-def: $sgpr10
	s_and_saveexec_b64 s[8:9], vcc
; %bb.21366:
	s_mov_b32 s10, 0x7f800001
	s_xor_b64 s[4:5], exec, -1
; %bb.21367:
	s_or_b64 exec, exec, s[8:9]
	s_and_b64 s[4:5], s[4:5], exec
                                        ; implicit-def: $vgpr3
	s_or_saveexec_b64 s[6:7], s[6:7]
	v_mov_b32_e32 v4, s10
	s_xor_b64 exec, exec, s[6:7]
	s_cbranch_execnz .LBB1_21368
; %bb.57205:
	s_getpc_b64 s[14:15]
.Lpost_getpc14266:
	s_add_u32 s14, s14, (.LBB1_7030-.Lpost_getpc14266)&4294967295
	s_addc_u32 s15, s15, (.LBB1_7030-.Lpost_getpc14266)>>32
	s_setpc_b64 s[14:15]
.LBB1_21368:
	v_cmp_ne_u16_e32 vcc, 0, v3
	s_andn2_b64 s[4:5], s[4:5], exec
	s_and_b64 s[8:9], vcc, exec
	v_mov_b32_e32 v4, 0
	s_or_b64 s[4:5], s[4:5], s[8:9]
	s_or_b64 exec, exec, s[6:7]
	s_and_saveexec_b64 s[6:7], s[4:5]
	s_cbranch_execz .LBB1_32187
; %bb.57207:
	s_getpc_b64 s[14:15]
.Lpost_getpc14267:
	s_add_u32 s14, s14, (.LBB1_7031-.Lpost_getpc14267)&4294967295
	s_addc_u32 s15, s15, (.LBB1_7031-.Lpost_getpc14267)>>32
	s_setpc_b64 s[14:15]
.LBB1_32187:
	s_getpc_b64 s[14:15]
.Lpost_getpc1757:
	s_add_u32 s14, s14, (.LBB1_7032-.Lpost_getpc1757)&4294967295
	s_addc_u32 s15, s15, (.LBB1_7032-.Lpost_getpc1757)>>32
	s_setpc_b64 s[14:15]
.LBB1_21369:
	s_movk_i32 s4, 0x80
	v_cmp_eq_u16_sdwa s[12:13], v9, s4 src0_sel:BYTE_3 src1_sel:DWORD
	s_mov_b64 s[4:5], -1
                                        ; implicit-def: $sgpr10
	s_and_saveexec_b64 s[8:9], s[12:13]
; %bb.21370:
	s_mov_b32 s10, 0x7f800001
	s_xor_b64 s[4:5], exec, -1
; %bb.21371:
	s_or_b64 exec, exec, s[8:9]
	s_and_b64 s[4:5], s[4:5], exec
	s_or_saveexec_b64 s[6:7], s[6:7]
	v_mov_b32_e32 v2, s10
	s_xor_b64 exec, exec, s[6:7]
	s_cbranch_execnz .LBB1_21372
; %bb.57209:
	s_getpc_b64 s[14:15]
.Lpost_getpc14268:
	s_add_u32 s14, s14, (.LBB1_7034-.Lpost_getpc14268)&4294967295
	s_addc_u32 s15, s15, (.LBB1_7034-.Lpost_getpc14268)>>32
	s_setpc_b64 s[14:15]
.LBB1_21372:
	v_mov_b32_e32 v2, 0
	v_cmp_ne_u16_sdwa s[8:9], v9, v2 src0_sel:BYTE_3 src1_sel:DWORD
	s_andn2_b64 s[4:5], s[4:5], exec
	s_and_b64 s[8:9], s[8:9], exec
	s_or_b64 s[4:5], s[4:5], s[8:9]
	s_or_b64 exec, exec, s[6:7]
	s_and_saveexec_b64 s[6:7], s[4:5]
	s_cbranch_execz .LBB1_32189
; %bb.57211:
	s_getpc_b64 s[14:15]
.Lpost_getpc14269:
	s_add_u32 s14, s14, (.LBB1_7035-.Lpost_getpc14269)&4294967295
	s_addc_u32 s15, s15, (.LBB1_7035-.Lpost_getpc14269)>>32
	s_setpc_b64 s[14:15]
.LBB1_32189:
	s_getpc_b64 s[14:15]
.Lpost_getpc1758:
	s_add_u32 s14, s14, (.LBB1_7036-.Lpost_getpc1758)&4294967295
	s_addc_u32 s15, s15, (.LBB1_7036-.Lpost_getpc1758)>>32
	s_setpc_b64 s[14:15]
.LBB1_21373:
	s_movk_i32 s4, 0x80
	v_cmp_eq_u16_sdwa s[12:13], v5, s4 src0_sel:BYTE_3 src1_sel:DWORD
	s_mov_b64 s[4:5], -1
                                        ; implicit-def: $sgpr10
	s_and_saveexec_b64 s[8:9], s[12:13]
; %bb.21374:
	s_mov_b32 s10, 0x7f800001
	s_xor_b64 s[4:5], exec, -1
; %bb.21375:
	s_or_b64 exec, exec, s[8:9]
	s_and_b64 s[4:5], s[4:5], exec
	s_or_saveexec_b64 s[6:7], s[6:7]
	v_mov_b32_e32 v3, s10
	s_xor_b64 exec, exec, s[6:7]
	s_cbranch_execnz .LBB1_21376
; %bb.57213:
	s_getpc_b64 s[14:15]
.Lpost_getpc14270:
	s_add_u32 s14, s14, (.LBB1_7038-.Lpost_getpc14270)&4294967295
	s_addc_u32 s15, s15, (.LBB1_7038-.Lpost_getpc14270)>>32
	s_setpc_b64 s[14:15]
.LBB1_21376:
	v_mov_b32_e32 v3, 0
	v_cmp_ne_u16_sdwa s[8:9], v5, v3 src0_sel:BYTE_3 src1_sel:DWORD
	s_andn2_b64 s[4:5], s[4:5], exec
	s_and_b64 s[8:9], s[8:9], exec
	s_or_b64 s[4:5], s[4:5], s[8:9]
	s_or_b64 exec, exec, s[6:7]
	s_and_saveexec_b64 s[6:7], s[4:5]
	s_cbranch_execz .LBB1_32191
; %bb.57215:
	s_getpc_b64 s[14:15]
.Lpost_getpc14271:
	s_add_u32 s14, s14, (.LBB1_7039-.Lpost_getpc14271)&4294967295
	s_addc_u32 s15, s15, (.LBB1_7039-.Lpost_getpc14271)>>32
	s_setpc_b64 s[14:15]
.LBB1_32191:
	s_getpc_b64 s[14:15]
.Lpost_getpc1759:
	s_add_u32 s14, s14, (.LBB1_7040-.Lpost_getpc1759)&4294967295
	s_addc_u32 s15, s15, (.LBB1_7040-.Lpost_getpc1759)>>32
	s_setpc_b64 s[14:15]
.LBB1_21377:
	s_movk_i32 s4, 0x80
	v_cmp_eq_u16_sdwa s[12:13], v6, s4 src0_sel:BYTE_0 src1_sel:DWORD
	s_mov_b64 s[4:5], -1
                                        ; implicit-def: $sgpr10
	s_and_saveexec_b64 s[8:9], s[12:13]
; %bb.21378:
	s_mov_b32 s10, 0x7f800001
	s_xor_b64 s[4:5], exec, -1
; %bb.21379:
	s_or_b64 exec, exec, s[8:9]
	s_and_b64 s[4:5], s[4:5], exec
	s_or_saveexec_b64 s[6:7], s[6:7]
	v_mov_b32_e32 v12, s10
	s_xor_b64 exec, exec, s[6:7]
	s_cbranch_execnz .LBB1_21380
; %bb.57217:
	s_getpc_b64 s[14:15]
.Lpost_getpc14272:
	s_add_u32 s14, s14, (.LBB1_7042-.Lpost_getpc14272)&4294967295
	s_addc_u32 s15, s15, (.LBB1_7042-.Lpost_getpc14272)>>32
	s_setpc_b64 s[14:15]
.LBB1_21380:
	v_mov_b32_e32 v12, 0
	v_cmp_ne_u16_sdwa s[8:9], v6, v12 src0_sel:BYTE_0 src1_sel:DWORD
	s_andn2_b64 s[4:5], s[4:5], exec
	s_and_b64 s[8:9], s[8:9], exec
	s_or_b64 s[4:5], s[4:5], s[8:9]
	s_or_b64 exec, exec, s[6:7]
	s_and_saveexec_b64 s[6:7], s[4:5]
	s_cbranch_execz .LBB1_32193
; %bb.57219:
	s_getpc_b64 s[14:15]
.Lpost_getpc14273:
	s_add_u32 s14, s14, (.LBB1_7043-.Lpost_getpc14273)&4294967295
	s_addc_u32 s15, s15, (.LBB1_7043-.Lpost_getpc14273)>>32
	s_setpc_b64 s[14:15]
.LBB1_32193:
	s_getpc_b64 s[14:15]
.Lpost_getpc1760:
	s_add_u32 s14, s14, (.LBB1_7044-.Lpost_getpc1760)&4294967295
	s_addc_u32 s15, s15, (.LBB1_7044-.Lpost_getpc1760)>>32
	s_setpc_b64 s[14:15]
.LBB1_21381:
	s_movk_i32 s4, 0x80
	v_cmp_eq_u16_sdwa s[12:13], v2, s4 src0_sel:BYTE_0 src1_sel:DWORD
	s_mov_b64 s[4:5], -1
                                        ; implicit-def: $sgpr10
	s_and_saveexec_b64 s[8:9], s[12:13]
; %bb.21382:
	s_mov_b32 s10, 0x7f800001
	s_xor_b64 s[4:5], exec, -1
; %bb.21383:
	s_or_b64 exec, exec, s[8:9]
	s_and_b64 s[4:5], s[4:5], exec
	s_or_saveexec_b64 s[6:7], s[6:7]
	v_mov_b32_e32 v13, s10
	s_xor_b64 exec, exec, s[6:7]
	s_cbranch_execnz .LBB1_21384
; %bb.57221:
	s_getpc_b64 s[14:15]
.Lpost_getpc14274:
	s_add_u32 s14, s14, (.LBB1_7046-.Lpost_getpc14274)&4294967295
	s_addc_u32 s15, s15, (.LBB1_7046-.Lpost_getpc14274)>>32
	s_setpc_b64 s[14:15]
.LBB1_21384:
	v_mov_b32_e32 v13, 0
	v_cmp_ne_u16_sdwa s[8:9], v2, v13 src0_sel:BYTE_0 src1_sel:DWORD
	s_andn2_b64 s[4:5], s[4:5], exec
	s_and_b64 s[8:9], s[8:9], exec
	s_or_b64 s[4:5], s[4:5], s[8:9]
	s_or_b64 exec, exec, s[6:7]
	s_and_saveexec_b64 s[6:7], s[4:5]
	s_cbranch_execz .LBB1_32195
; %bb.57223:
	s_getpc_b64 s[14:15]
.Lpost_getpc14275:
	s_add_u32 s14, s14, (.LBB1_7047-.Lpost_getpc14275)&4294967295
	s_addc_u32 s15, s15, (.LBB1_7047-.Lpost_getpc14275)>>32
	s_setpc_b64 s[14:15]
.LBB1_32195:
	s_getpc_b64 s[14:15]
.Lpost_getpc1761:
	s_add_u32 s14, s14, (.LBB1_7048-.Lpost_getpc1761)&4294967295
	s_addc_u32 s15, s15, (.LBB1_7048-.Lpost_getpc1761)>>32
	s_setpc_b64 s[14:15]
.LBB1_21385:
	s_movk_i32 s4, 0x80
	v_cmp_eq_u16_sdwa s[12:13], v13, s4 src0_sel:BYTE_0 src1_sel:DWORD
	s_mov_b64 s[4:5], -1
                                        ; implicit-def: $sgpr10
	s_and_saveexec_b64 s[8:9], s[12:13]
; %bb.21386:
	s_mov_b32 s10, 0x7f800001
	s_xor_b64 s[4:5], exec, -1
; %bb.21387:
	s_or_b64 exec, exec, s[8:9]
	s_and_b64 s[4:5], s[4:5], exec
	s_or_saveexec_b64 s[6:7], s[6:7]
	v_mov_b32_e32 v12, s10
	s_xor_b64 exec, exec, s[6:7]
	s_cbranch_execnz .LBB1_21388
; %bb.57225:
	s_getpc_b64 s[14:15]
.Lpost_getpc14276:
	s_add_u32 s14, s14, (.LBB1_7050-.Lpost_getpc14276)&4294967295
	s_addc_u32 s15, s15, (.LBB1_7050-.Lpost_getpc14276)>>32
	s_setpc_b64 s[14:15]
.LBB1_21388:
	v_mov_b32_e32 v12, 0
	v_cmp_ne_u16_sdwa s[8:9], v13, v12 src0_sel:BYTE_0 src1_sel:DWORD
	s_andn2_b64 s[4:5], s[4:5], exec
	s_and_b64 s[8:9], s[8:9], exec
	s_or_b64 s[4:5], s[4:5], s[8:9]
	s_or_b64 exec, exec, s[6:7]
	s_and_saveexec_b64 s[6:7], s[4:5]
	s_cbranch_execz .LBB1_32197
; %bb.57227:
	s_getpc_b64 s[14:15]
.Lpost_getpc14277:
	s_add_u32 s14, s14, (.LBB1_7051-.Lpost_getpc14277)&4294967295
	s_addc_u32 s15, s15, (.LBB1_7051-.Lpost_getpc14277)>>32
	s_setpc_b64 s[14:15]
.LBB1_32197:
	s_getpc_b64 s[14:15]
.Lpost_getpc1762:
	s_add_u32 s14, s14, (.LBB1_7052-.Lpost_getpc1762)&4294967295
	s_addc_u32 s15, s15, (.LBB1_7052-.Lpost_getpc1762)>>32
	s_setpc_b64 s[14:15]
.LBB1_21389:
	s_movk_i32 s4, 0x80
	v_cmp_eq_u16_sdwa s[12:13], v13, s4 src0_sel:BYTE_0 src1_sel:DWORD
	s_mov_b64 s[4:5], -1
                                        ; implicit-def: $sgpr10
	s_and_saveexec_b64 s[8:9], s[12:13]
; %bb.21390:
	s_mov_b32 s10, 0x7f800001
	s_xor_b64 s[4:5], exec, -1
; %bb.21391:
	s_or_b64 exec, exec, s[8:9]
	s_and_b64 s[4:5], s[4:5], exec
	s_or_saveexec_b64 s[6:7], s[6:7]
	v_mov_b32_e32 v14, s10
	s_xor_b64 exec, exec, s[6:7]
	s_cbranch_execnz .LBB1_21392
; %bb.57229:
	s_getpc_b64 s[14:15]
.Lpost_getpc14278:
	s_add_u32 s14, s14, (.LBB1_7054-.Lpost_getpc14278)&4294967295
	s_addc_u32 s15, s15, (.LBB1_7054-.Lpost_getpc14278)>>32
	s_setpc_b64 s[14:15]
.LBB1_21392:
	v_mov_b32_e32 v14, 0
	v_cmp_ne_u16_sdwa s[8:9], v13, v14 src0_sel:BYTE_0 src1_sel:DWORD
	s_andn2_b64 s[4:5], s[4:5], exec
	s_and_b64 s[8:9], s[8:9], exec
	s_or_b64 s[4:5], s[4:5], s[8:9]
	s_or_b64 exec, exec, s[6:7]
	s_and_saveexec_b64 s[6:7], s[4:5]
	s_cbranch_execz .LBB1_32199
; %bb.57231:
	s_getpc_b64 s[14:15]
.Lpost_getpc14279:
	s_add_u32 s14, s14, (.LBB1_7055-.Lpost_getpc14279)&4294967295
	s_addc_u32 s15, s15, (.LBB1_7055-.Lpost_getpc14279)>>32
	s_setpc_b64 s[14:15]
.LBB1_32199:
	s_getpc_b64 s[14:15]
.Lpost_getpc1763:
	s_add_u32 s14, s14, (.LBB1_7056-.Lpost_getpc1763)&4294967295
	s_addc_u32 s15, s15, (.LBB1_7056-.Lpost_getpc1763)>>32
	s_setpc_b64 s[14:15]
.LBB1_21393:
	s_movk_i32 s4, 0x80
	v_cmp_eq_u16_e32 vcc, s4, v13
	s_mov_b64 s[4:5], -1
                                        ; implicit-def: $sgpr10
	s_and_saveexec_b64 s[8:9], vcc
; %bb.21394:
	s_mov_b32 s10, 0x7f800001
	s_xor_b64 s[4:5], exec, -1
; %bb.21395:
	s_or_b64 exec, exec, s[8:9]
	s_and_b64 s[4:5], s[4:5], exec
                                        ; implicit-def: $vgpr13
	s_or_saveexec_b64 s[6:7], s[6:7]
	v_mov_b32_e32 v12, s10
	s_xor_b64 exec, exec, s[6:7]
	s_cbranch_execnz .LBB1_21396
; %bb.57233:
	s_getpc_b64 s[14:15]
.Lpost_getpc14280:
	s_add_u32 s14, s14, (.LBB1_7058-.Lpost_getpc14280)&4294967295
	s_addc_u32 s15, s15, (.LBB1_7058-.Lpost_getpc14280)>>32
	s_setpc_b64 s[14:15]
.LBB1_21396:
	v_cmp_ne_u16_e32 vcc, 0, v13
	s_andn2_b64 s[4:5], s[4:5], exec
	s_and_b64 s[8:9], vcc, exec
	v_mov_b32_e32 v12, 0
	s_or_b64 s[4:5], s[4:5], s[8:9]
	s_or_b64 exec, exec, s[6:7]
	s_and_saveexec_b64 s[6:7], s[4:5]
	s_cbranch_execz .LBB1_32201
; %bb.57235:
	s_getpc_b64 s[14:15]
.Lpost_getpc14281:
	s_add_u32 s14, s14, (.LBB1_7059-.Lpost_getpc14281)&4294967295
	s_addc_u32 s15, s15, (.LBB1_7059-.Lpost_getpc14281)>>32
	s_setpc_b64 s[14:15]
.LBB1_32201:
	s_getpc_b64 s[14:15]
.Lpost_getpc1764:
	s_add_u32 s14, s14, (.LBB1_7060-.Lpost_getpc1764)&4294967295
	s_addc_u32 s15, s15, (.LBB1_7060-.Lpost_getpc1764)>>32
	s_setpc_b64 s[14:15]
.LBB1_21397:
	s_movk_i32 s4, 0x80
	v_cmp_eq_u16_e32 vcc, s4, v13
	s_mov_b64 s[4:5], -1
                                        ; implicit-def: $sgpr10
	s_and_saveexec_b64 s[8:9], vcc
; %bb.21398:
	s_mov_b32 s10, 0x7f800001
	s_xor_b64 s[4:5], exec, -1
; %bb.21399:
	s_or_b64 exec, exec, s[8:9]
	s_and_b64 s[4:5], s[4:5], exec
                                        ; implicit-def: $vgpr13
	s_or_saveexec_b64 s[6:7], s[6:7]
	v_mov_b32_e32 v14, s10
	s_xor_b64 exec, exec, s[6:7]
	s_cbranch_execnz .LBB1_21400
; %bb.57237:
	s_getpc_b64 s[14:15]
.Lpost_getpc14282:
	s_add_u32 s14, s14, (.LBB1_7062-.Lpost_getpc14282)&4294967295
	s_addc_u32 s15, s15, (.LBB1_7062-.Lpost_getpc14282)>>32
	s_setpc_b64 s[14:15]
.LBB1_21400:
	v_cmp_ne_u16_e32 vcc, 0, v13
	s_andn2_b64 s[4:5], s[4:5], exec
	s_and_b64 s[8:9], vcc, exec
	v_mov_b32_e32 v14, 0
	s_or_b64 s[4:5], s[4:5], s[8:9]
	s_or_b64 exec, exec, s[6:7]
	s_and_saveexec_b64 s[6:7], s[4:5]
	s_cbranch_execz .LBB1_32203
; %bb.57239:
	s_getpc_b64 s[14:15]
.Lpost_getpc14283:
	s_add_u32 s14, s14, (.LBB1_7063-.Lpost_getpc14283)&4294967295
	s_addc_u32 s15, s15, (.LBB1_7063-.Lpost_getpc14283)>>32
	s_setpc_b64 s[14:15]
.LBB1_32203:
	s_getpc_b64 s[14:15]
.Lpost_getpc1765:
	s_add_u32 s14, s14, (.LBB1_7064-.Lpost_getpc1765)&4294967295
	s_addc_u32 s15, s15, (.LBB1_7064-.Lpost_getpc1765)>>32
	s_setpc_b64 s[14:15]
.LBB1_21401:
	s_movk_i32 s4, 0x80
	v_cmp_eq_u16_sdwa s[12:13], v6, s4 src0_sel:BYTE_3 src1_sel:DWORD
	s_mov_b64 s[4:5], -1
                                        ; implicit-def: $sgpr10
	s_and_saveexec_b64 s[8:9], s[12:13]
; %bb.21402:
	s_mov_b32 s10, 0x7f800001
	s_xor_b64 s[4:5], exec, -1
; %bb.21403:
	s_or_b64 exec, exec, s[8:9]
	s_and_b64 s[4:5], s[4:5], exec
	s_or_saveexec_b64 s[6:7], s[6:7]
	v_mov_b32_e32 v12, s10
	s_xor_b64 exec, exec, s[6:7]
	s_cbranch_execnz .LBB1_21404
; %bb.57241:
	s_getpc_b64 s[14:15]
.Lpost_getpc14284:
	s_add_u32 s14, s14, (.LBB1_7066-.Lpost_getpc14284)&4294967295
	s_addc_u32 s15, s15, (.LBB1_7066-.Lpost_getpc14284)>>32
	s_setpc_b64 s[14:15]
.LBB1_21404:
	v_mov_b32_e32 v12, 0
	v_cmp_ne_u16_sdwa s[8:9], v6, v12 src0_sel:BYTE_3 src1_sel:DWORD
	s_andn2_b64 s[4:5], s[4:5], exec
	s_and_b64 s[8:9], s[8:9], exec
	s_or_b64 s[4:5], s[4:5], s[8:9]
	s_or_b64 exec, exec, s[6:7]
	s_and_saveexec_b64 s[6:7], s[4:5]
	s_cbranch_execz .LBB1_32205
; %bb.57243:
	s_getpc_b64 s[14:15]
.Lpost_getpc14285:
	s_add_u32 s14, s14, (.LBB1_7067-.Lpost_getpc14285)&4294967295
	s_addc_u32 s15, s15, (.LBB1_7067-.Lpost_getpc14285)>>32
	s_setpc_b64 s[14:15]
.LBB1_32205:
	s_getpc_b64 s[14:15]
.Lpost_getpc1766:
	s_add_u32 s14, s14, (.LBB1_7068-.Lpost_getpc1766)&4294967295
	s_addc_u32 s15, s15, (.LBB1_7068-.Lpost_getpc1766)>>32
	s_setpc_b64 s[14:15]
.LBB1_21405:
	s_movk_i32 s4, 0x80
	v_cmp_eq_u16_sdwa s[12:13], v2, s4 src0_sel:BYTE_3 src1_sel:DWORD
	s_mov_b64 s[4:5], -1
                                        ; implicit-def: $sgpr10
	s_and_saveexec_b64 s[8:9], s[12:13]
; %bb.21406:
	s_mov_b32 s10, 0x7f800001
	s_xor_b64 s[4:5], exec, -1
; %bb.21407:
	s_or_b64 exec, exec, s[8:9]
	s_and_b64 s[4:5], s[4:5], exec
	s_or_saveexec_b64 s[6:7], s[6:7]
	v_mov_b32_e32 v6, s10
	s_xor_b64 exec, exec, s[6:7]
	s_cbranch_execnz .LBB1_21408
; %bb.57245:
	s_getpc_b64 s[14:15]
.Lpost_getpc14286:
	s_add_u32 s14, s14, (.LBB1_7070-.Lpost_getpc14286)&4294967295
	s_addc_u32 s15, s15, (.LBB1_7070-.Lpost_getpc14286)>>32
	s_setpc_b64 s[14:15]
.LBB1_21408:
	v_mov_b32_e32 v6, 0
	v_cmp_ne_u16_sdwa s[8:9], v2, v6 src0_sel:BYTE_3 src1_sel:DWORD
	s_andn2_b64 s[4:5], s[4:5], exec
	s_and_b64 s[8:9], s[8:9], exec
	s_or_b64 s[4:5], s[4:5], s[8:9]
	s_or_b64 exec, exec, s[6:7]
	s_and_saveexec_b64 s[6:7], s[4:5]
	s_cbranch_execz .LBB1_32207
; %bb.57247:
	s_getpc_b64 s[14:15]
.Lpost_getpc14287:
	s_add_u32 s14, s14, (.LBB1_7071-.Lpost_getpc14287)&4294967295
	s_addc_u32 s15, s15, (.LBB1_7071-.Lpost_getpc14287)>>32
	s_setpc_b64 s[14:15]
.LBB1_32207:
	s_getpc_b64 s[14:15]
.Lpost_getpc1767:
	s_add_u32 s14, s14, (.LBB1_7072-.Lpost_getpc1767)&4294967295
	s_addc_u32 s15, s15, (.LBB1_7072-.Lpost_getpc1767)>>32
	s_setpc_b64 s[14:15]
.LBB1_21409:
	s_movk_i32 s4, 0x80
	v_cmp_eq_u16_sdwa s[12:13], v7, s4 src0_sel:BYTE_0 src1_sel:DWORD
	s_mov_b64 s[4:5], -1
                                        ; implicit-def: $sgpr10
	s_and_saveexec_b64 s[8:9], s[12:13]
; %bb.21410:
	s_mov_b32 s10, 0x7f800001
	s_xor_b64 s[4:5], exec, -1
; %bb.21411:
	s_or_b64 exec, exec, s[8:9]
	s_and_b64 s[4:5], s[4:5], exec
	s_or_saveexec_b64 s[6:7], s[6:7]
	v_mov_b32_e32 v2, s10
	s_xor_b64 exec, exec, s[6:7]
	s_cbranch_execnz .LBB1_21412
; %bb.57249:
	s_getpc_b64 s[14:15]
.Lpost_getpc14288:
	s_add_u32 s14, s14, (.LBB1_7074-.Lpost_getpc14288)&4294967295
	s_addc_u32 s15, s15, (.LBB1_7074-.Lpost_getpc14288)>>32
	s_setpc_b64 s[14:15]
.LBB1_21412:
	v_mov_b32_e32 v2, 0
	v_cmp_ne_u16_sdwa s[8:9], v7, v2 src0_sel:BYTE_0 src1_sel:DWORD
	s_andn2_b64 s[4:5], s[4:5], exec
	s_and_b64 s[8:9], s[8:9], exec
	s_or_b64 s[4:5], s[4:5], s[8:9]
	s_or_b64 exec, exec, s[6:7]
	s_and_saveexec_b64 s[6:7], s[4:5]
	s_cbranch_execz .LBB1_32209
; %bb.57251:
	s_getpc_b64 s[14:15]
.Lpost_getpc14289:
	s_add_u32 s14, s14, (.LBB1_7075-.Lpost_getpc14289)&4294967295
	s_addc_u32 s15, s15, (.LBB1_7075-.Lpost_getpc14289)>>32
	s_setpc_b64 s[14:15]
.LBB1_32209:
	s_getpc_b64 s[14:15]
.Lpost_getpc1768:
	s_add_u32 s14, s14, (.LBB1_7076-.Lpost_getpc1768)&4294967295
	s_addc_u32 s15, s15, (.LBB1_7076-.Lpost_getpc1768)>>32
	s_setpc_b64 s[14:15]
.LBB1_21413:
	s_movk_i32 s4, 0x80
	v_cmp_eq_u16_sdwa s[12:13], v3, s4 src0_sel:BYTE_0 src1_sel:DWORD
	s_mov_b64 s[4:5], -1
                                        ; implicit-def: $sgpr10
	s_and_saveexec_b64 s[8:9], s[12:13]
; %bb.21414:
	s_mov_b32 s10, 0x7f800001
	s_xor_b64 s[4:5], exec, -1
; %bb.21415:
	s_or_b64 exec, exec, s[8:9]
	s_and_b64 s[4:5], s[4:5], exec
	s_or_saveexec_b64 s[6:7], s[6:7]
	v_mov_b32_e32 v6, s10
	s_xor_b64 exec, exec, s[6:7]
	s_cbranch_execnz .LBB1_21416
; %bb.57253:
	s_getpc_b64 s[14:15]
.Lpost_getpc14290:
	s_add_u32 s14, s14, (.LBB1_7078-.Lpost_getpc14290)&4294967295
	s_addc_u32 s15, s15, (.LBB1_7078-.Lpost_getpc14290)>>32
	s_setpc_b64 s[14:15]
.LBB1_21416:
	v_mov_b32_e32 v6, 0
	v_cmp_ne_u16_sdwa s[8:9], v3, v6 src0_sel:BYTE_0 src1_sel:DWORD
	s_andn2_b64 s[4:5], s[4:5], exec
	s_and_b64 s[8:9], s[8:9], exec
	s_or_b64 s[4:5], s[4:5], s[8:9]
	s_or_b64 exec, exec, s[6:7]
	s_and_saveexec_b64 s[6:7], s[4:5]
	s_cbranch_execz .LBB1_32211
; %bb.57255:
	s_getpc_b64 s[14:15]
.Lpost_getpc14291:
	s_add_u32 s14, s14, (.LBB1_7079-.Lpost_getpc14291)&4294967295
	s_addc_u32 s15, s15, (.LBB1_7079-.Lpost_getpc14291)>>32
	s_setpc_b64 s[14:15]
.LBB1_32211:
	s_getpc_b64 s[14:15]
.Lpost_getpc1769:
	s_add_u32 s14, s14, (.LBB1_7080-.Lpost_getpc1769)&4294967295
	s_addc_u32 s15, s15, (.LBB1_7080-.Lpost_getpc1769)>>32
	s_setpc_b64 s[14:15]
.LBB1_21417:
	s_movk_i32 s4, 0x80
	v_cmp_eq_u16_sdwa s[12:13], v6, s4 src0_sel:BYTE_0 src1_sel:DWORD
	s_mov_b64 s[4:5], -1
                                        ; implicit-def: $sgpr10
	s_and_saveexec_b64 s[8:9], s[12:13]
; %bb.21418:
	s_mov_b32 s10, 0x7f800001
	s_xor_b64 s[4:5], exec, -1
; %bb.21419:
	s_or_b64 exec, exec, s[8:9]
	s_and_b64 s[4:5], s[4:5], exec
	s_or_saveexec_b64 s[6:7], s[6:7]
	v_mov_b32_e32 v2, s10
	s_xor_b64 exec, exec, s[6:7]
	s_cbranch_execnz .LBB1_21420
; %bb.57257:
	s_getpc_b64 s[14:15]
.Lpost_getpc14292:
	s_add_u32 s14, s14, (.LBB1_7082-.Lpost_getpc14292)&4294967295
	s_addc_u32 s15, s15, (.LBB1_7082-.Lpost_getpc14292)>>32
	s_setpc_b64 s[14:15]
.LBB1_21420:
	v_mov_b32_e32 v2, 0
	v_cmp_ne_u16_sdwa s[8:9], v6, v2 src0_sel:BYTE_0 src1_sel:DWORD
	s_andn2_b64 s[4:5], s[4:5], exec
	s_and_b64 s[8:9], s[8:9], exec
	s_or_b64 s[4:5], s[4:5], s[8:9]
	s_or_b64 exec, exec, s[6:7]
	s_and_saveexec_b64 s[6:7], s[4:5]
	s_cbranch_execz .LBB1_32213
; %bb.57259:
	s_getpc_b64 s[14:15]
.Lpost_getpc14293:
	s_add_u32 s14, s14, (.LBB1_7083-.Lpost_getpc14293)&4294967295
	s_addc_u32 s15, s15, (.LBB1_7083-.Lpost_getpc14293)>>32
	s_setpc_b64 s[14:15]
.LBB1_32213:
	s_getpc_b64 s[14:15]
.Lpost_getpc1770:
	s_add_u32 s14, s14, (.LBB1_7084-.Lpost_getpc1770)&4294967295
	s_addc_u32 s15, s15, (.LBB1_7084-.Lpost_getpc1770)>>32
	s_setpc_b64 s[14:15]
.LBB1_21421:
	s_movk_i32 s4, 0x80
	v_cmp_eq_u16_sdwa s[12:13], v6, s4 src0_sel:BYTE_0 src1_sel:DWORD
	s_mov_b64 s[4:5], -1
                                        ; implicit-def: $sgpr10
	s_and_saveexec_b64 s[8:9], s[12:13]
; %bb.21422:
	s_mov_b32 s10, 0x7f800001
	s_xor_b64 s[4:5], exec, -1
; %bb.21423:
	s_or_b64 exec, exec, s[8:9]
	s_and_b64 s[4:5], s[4:5], exec
	s_or_saveexec_b64 s[6:7], s[6:7]
	v_mov_b32_e32 v12, s10
	s_xor_b64 exec, exec, s[6:7]
	s_cbranch_execnz .LBB1_21424
; %bb.57261:
	s_getpc_b64 s[14:15]
.Lpost_getpc14294:
	s_add_u32 s14, s14, (.LBB1_7086-.Lpost_getpc14294)&4294967295
	s_addc_u32 s15, s15, (.LBB1_7086-.Lpost_getpc14294)>>32
	s_setpc_b64 s[14:15]
.LBB1_21424:
	v_mov_b32_e32 v12, 0
	v_cmp_ne_u16_sdwa s[8:9], v6, v12 src0_sel:BYTE_0 src1_sel:DWORD
	s_andn2_b64 s[4:5], s[4:5], exec
	s_and_b64 s[8:9], s[8:9], exec
	s_or_b64 s[4:5], s[4:5], s[8:9]
	s_or_b64 exec, exec, s[6:7]
	s_and_saveexec_b64 s[6:7], s[4:5]
	s_cbranch_execz .LBB1_32215
; %bb.57263:
	s_getpc_b64 s[14:15]
.Lpost_getpc14295:
	s_add_u32 s14, s14, (.LBB1_7087-.Lpost_getpc14295)&4294967295
	s_addc_u32 s15, s15, (.LBB1_7087-.Lpost_getpc14295)>>32
	s_setpc_b64 s[14:15]
.LBB1_32215:
	s_getpc_b64 s[14:15]
.Lpost_getpc1771:
	s_add_u32 s14, s14, (.LBB1_7088-.Lpost_getpc1771)&4294967295
	s_addc_u32 s15, s15, (.LBB1_7088-.Lpost_getpc1771)>>32
	s_setpc_b64 s[14:15]
.LBB1_21425:
	s_movk_i32 s4, 0x80
	v_cmp_eq_u16_e32 vcc, s4, v6
	s_mov_b64 s[4:5], -1
                                        ; implicit-def: $sgpr10
	s_and_saveexec_b64 s[8:9], vcc
; %bb.21426:
	s_mov_b32 s10, 0x7f800001
	s_xor_b64 s[4:5], exec, -1
; %bb.21427:
	s_or_b64 exec, exec, s[8:9]
	s_and_b64 s[4:5], s[4:5], exec
                                        ; implicit-def: $vgpr6
	s_or_saveexec_b64 s[6:7], s[6:7]
	v_mov_b32_e32 v2, s10
	s_xor_b64 exec, exec, s[6:7]
	s_cbranch_execnz .LBB1_21428
; %bb.57265:
	s_getpc_b64 s[14:15]
.Lpost_getpc14296:
	s_add_u32 s14, s14, (.LBB1_7090-.Lpost_getpc14296)&4294967295
	s_addc_u32 s15, s15, (.LBB1_7090-.Lpost_getpc14296)>>32
	s_setpc_b64 s[14:15]
.LBB1_21428:
	v_cmp_ne_u16_e32 vcc, 0, v6
	s_andn2_b64 s[4:5], s[4:5], exec
	s_and_b64 s[8:9], vcc, exec
	v_mov_b32_e32 v2, 0
	s_or_b64 s[4:5], s[4:5], s[8:9]
	s_or_b64 exec, exec, s[6:7]
	s_and_saveexec_b64 s[6:7], s[4:5]
	s_cbranch_execz .LBB1_32217
; %bb.57267:
	s_getpc_b64 s[14:15]
.Lpost_getpc14297:
	s_add_u32 s14, s14, (.LBB1_7091-.Lpost_getpc14297)&4294967295
	s_addc_u32 s15, s15, (.LBB1_7091-.Lpost_getpc14297)>>32
	s_setpc_b64 s[14:15]
.LBB1_32217:
	s_getpc_b64 s[14:15]
.Lpost_getpc1772:
	s_add_u32 s14, s14, (.LBB1_7092-.Lpost_getpc1772)&4294967295
	s_addc_u32 s15, s15, (.LBB1_7092-.Lpost_getpc1772)>>32
	s_setpc_b64 s[14:15]
.LBB1_21429:
	s_movk_i32 s4, 0x80
	v_cmp_eq_u16_e32 vcc, s4, v6
	s_mov_b64 s[4:5], -1
                                        ; implicit-def: $sgpr10
	s_and_saveexec_b64 s[8:9], vcc
; %bb.21430:
	s_mov_b32 s10, 0x7f800001
	s_xor_b64 s[4:5], exec, -1
; %bb.21431:
	s_or_b64 exec, exec, s[8:9]
	s_and_b64 s[4:5], s[4:5], exec
                                        ; implicit-def: $vgpr6
	s_or_saveexec_b64 s[6:7], s[6:7]
	v_mov_b32_e32 v12, s10
	s_xor_b64 exec, exec, s[6:7]
	s_cbranch_execnz .LBB1_21432
; %bb.57269:
	s_getpc_b64 s[14:15]
.Lpost_getpc14298:
	s_add_u32 s14, s14, (.LBB1_7094-.Lpost_getpc14298)&4294967295
	s_addc_u32 s15, s15, (.LBB1_7094-.Lpost_getpc14298)>>32
	s_setpc_b64 s[14:15]
.LBB1_21432:
	v_cmp_ne_u16_e32 vcc, 0, v6
	s_andn2_b64 s[4:5], s[4:5], exec
	s_and_b64 s[8:9], vcc, exec
	v_mov_b32_e32 v12, 0
	s_or_b64 s[4:5], s[4:5], s[8:9]
	s_or_b64 exec, exec, s[6:7]
	s_and_saveexec_b64 s[6:7], s[4:5]
	s_cbranch_execz .LBB1_32219
; %bb.57271:
	s_getpc_b64 s[14:15]
.Lpost_getpc14299:
	s_add_u32 s14, s14, (.LBB1_7095-.Lpost_getpc14299)&4294967295
	s_addc_u32 s15, s15, (.LBB1_7095-.Lpost_getpc14299)>>32
	s_setpc_b64 s[14:15]
.LBB1_32219:
	s_getpc_b64 s[14:15]
.Lpost_getpc1773:
	s_add_u32 s14, s14, (.LBB1_7096-.Lpost_getpc1773)&4294967295
	s_addc_u32 s15, s15, (.LBB1_7096-.Lpost_getpc1773)>>32
	s_setpc_b64 s[14:15]
.LBB1_21433:
	s_movk_i32 s4, 0x80
	v_cmp_eq_u16_sdwa s[12:13], v7, s4 src0_sel:BYTE_3 src1_sel:DWORD
	s_mov_b64 s[4:5], -1
                                        ; implicit-def: $sgpr10
	s_and_saveexec_b64 s[8:9], s[12:13]
; %bb.21434:
	s_mov_b32 s10, 0x7f800001
	s_xor_b64 s[4:5], exec, -1
; %bb.21435:
	s_or_b64 exec, exec, s[8:9]
	s_and_b64 s[4:5], s[4:5], exec
	s_or_saveexec_b64 s[6:7], s[6:7]
	v_mov_b32_e32 v2, s10
	s_xor_b64 exec, exec, s[6:7]
	s_cbranch_execnz .LBB1_21436
; %bb.57273:
	s_getpc_b64 s[14:15]
.Lpost_getpc14300:
	s_add_u32 s14, s14, (.LBB1_7098-.Lpost_getpc14300)&4294967295
	s_addc_u32 s15, s15, (.LBB1_7098-.Lpost_getpc14300)>>32
	s_setpc_b64 s[14:15]
.LBB1_21436:
	v_mov_b32_e32 v2, 0
	v_cmp_ne_u16_sdwa s[8:9], v7, v2 src0_sel:BYTE_3 src1_sel:DWORD
	s_andn2_b64 s[4:5], s[4:5], exec
	s_and_b64 s[8:9], s[8:9], exec
	s_or_b64 s[4:5], s[4:5], s[8:9]
	s_or_b64 exec, exec, s[6:7]
	s_and_saveexec_b64 s[6:7], s[4:5]
	s_cbranch_execz .LBB1_32221
; %bb.57275:
	s_getpc_b64 s[14:15]
.Lpost_getpc14301:
	s_add_u32 s14, s14, (.LBB1_7099-.Lpost_getpc14301)&4294967295
	s_addc_u32 s15, s15, (.LBB1_7099-.Lpost_getpc14301)>>32
	s_setpc_b64 s[14:15]
.LBB1_32221:
	s_getpc_b64 s[14:15]
.Lpost_getpc1774:
	s_add_u32 s14, s14, (.LBB1_7100-.Lpost_getpc1774)&4294967295
	s_addc_u32 s15, s15, (.LBB1_7100-.Lpost_getpc1774)>>32
	s_setpc_b64 s[14:15]
.LBB1_21437:
	s_movk_i32 s4, 0x80
	v_cmp_eq_u16_sdwa s[12:13], v3, s4 src0_sel:BYTE_3 src1_sel:DWORD
	s_mov_b64 s[4:5], -1
                                        ; implicit-def: $sgpr10
	s_and_saveexec_b64 s[8:9], s[12:13]
; %bb.21438:
	s_mov_b32 s10, 0x7f800001
	s_xor_b64 s[4:5], exec, -1
; %bb.21439:
	s_or_b64 exec, exec, s[8:9]
	s_and_b64 s[4:5], s[4:5], exec
	s_or_saveexec_b64 s[6:7], s[6:7]
	v_mov_b32_e32 v6, s10
	s_xor_b64 exec, exec, s[6:7]
	s_cbranch_execnz .LBB1_21440
; %bb.57277:
	s_getpc_b64 s[14:15]
.Lpost_getpc14302:
	s_add_u32 s14, s14, (.LBB1_7102-.Lpost_getpc14302)&4294967295
	s_addc_u32 s15, s15, (.LBB1_7102-.Lpost_getpc14302)>>32
	s_setpc_b64 s[14:15]
.LBB1_21440:
	v_mov_b32_e32 v6, 0
	v_cmp_ne_u16_sdwa s[8:9], v3, v6 src0_sel:BYTE_3 src1_sel:DWORD
	s_andn2_b64 s[4:5], s[4:5], exec
	s_and_b64 s[8:9], s[8:9], exec
	s_or_b64 s[4:5], s[4:5], s[8:9]
	s_or_b64 exec, exec, s[6:7]
	s_and_saveexec_b64 s[6:7], s[4:5]
	s_cbranch_execz .LBB1_32223
; %bb.57279:
	s_getpc_b64 s[14:15]
.Lpost_getpc14303:
	s_add_u32 s14, s14, (.LBB1_7103-.Lpost_getpc14303)&4294967295
	s_addc_u32 s15, s15, (.LBB1_7103-.Lpost_getpc14303)>>32
	s_setpc_b64 s[14:15]
.LBB1_32223:
	s_getpc_b64 s[14:15]
.Lpost_getpc1775:
	s_add_u32 s14, s14, (.LBB1_7104-.Lpost_getpc1775)&4294967295
	s_addc_u32 s15, s15, (.LBB1_7104-.Lpost_getpc1775)>>32
	s_setpc_b64 s[14:15]
.LBB1_21441:
	s_movk_i32 s4, 0x80
	v_cmp_eq_u16_sdwa s[12:13], v8, s4 src0_sel:BYTE_0 src1_sel:DWORD
	s_mov_b64 s[4:5], -1
                                        ; implicit-def: $sgpr10
	s_and_saveexec_b64 s[8:9], s[12:13]
; %bb.21442:
	s_mov_b32 s10, 0x7f800001
	s_xor_b64 s[4:5], exec, -1
; %bb.21443:
	s_or_b64 exec, exec, s[8:9]
	s_and_b64 s[4:5], s[4:5], exec
	s_or_saveexec_b64 s[6:7], s[6:7]
	v_mov_b32_e32 v2, s10
	s_xor_b64 exec, exec, s[6:7]
	s_cbranch_execnz .LBB1_21444
; %bb.57281:
	s_getpc_b64 s[14:15]
.Lpost_getpc14304:
	s_add_u32 s14, s14, (.LBB1_7106-.Lpost_getpc14304)&4294967295
	s_addc_u32 s15, s15, (.LBB1_7106-.Lpost_getpc14304)>>32
	s_setpc_b64 s[14:15]
.LBB1_21444:
	v_mov_b32_e32 v2, 0
	v_cmp_ne_u16_sdwa s[8:9], v8, v2 src0_sel:BYTE_0 src1_sel:DWORD
	s_andn2_b64 s[4:5], s[4:5], exec
	s_and_b64 s[8:9], s[8:9], exec
	s_or_b64 s[4:5], s[4:5], s[8:9]
	s_or_b64 exec, exec, s[6:7]
	s_and_saveexec_b64 s[6:7], s[4:5]
	s_cbranch_execz .LBB1_32225
; %bb.57283:
	s_getpc_b64 s[14:15]
.Lpost_getpc14305:
	s_add_u32 s14, s14, (.LBB1_7107-.Lpost_getpc14305)&4294967295
	s_addc_u32 s15, s15, (.LBB1_7107-.Lpost_getpc14305)>>32
	s_setpc_b64 s[14:15]
.LBB1_32225:
	s_getpc_b64 s[14:15]
.Lpost_getpc1776:
	s_add_u32 s14, s14, (.LBB1_7108-.Lpost_getpc1776)&4294967295
	s_addc_u32 s15, s15, (.LBB1_7108-.Lpost_getpc1776)>>32
	s_setpc_b64 s[14:15]
.LBB1_21445:
	s_movk_i32 s4, 0x80
	v_cmp_eq_u16_sdwa s[12:13], v4, s4 src0_sel:BYTE_0 src1_sel:DWORD
	s_mov_b64 s[4:5], -1
                                        ; implicit-def: $sgpr10
	s_and_saveexec_b64 s[8:9], s[12:13]
; %bb.21446:
	s_mov_b32 s10, 0x7f800001
	s_xor_b64 s[4:5], exec, -1
; %bb.21447:
	s_or_b64 exec, exec, s[8:9]
	s_and_b64 s[4:5], s[4:5], exec
	s_or_saveexec_b64 s[6:7], s[6:7]
	v_mov_b32_e32 v3, s10
	s_xor_b64 exec, exec, s[6:7]
	s_cbranch_execnz .LBB1_21448
; %bb.57285:
	s_getpc_b64 s[14:15]
.Lpost_getpc14306:
	s_add_u32 s14, s14, (.LBB1_7110-.Lpost_getpc14306)&4294967295
	s_addc_u32 s15, s15, (.LBB1_7110-.Lpost_getpc14306)>>32
	s_setpc_b64 s[14:15]
.LBB1_21448:
	v_mov_b32_e32 v3, 0
	v_cmp_ne_u16_sdwa s[8:9], v4, v3 src0_sel:BYTE_0 src1_sel:DWORD
	s_andn2_b64 s[4:5], s[4:5], exec
	s_and_b64 s[8:9], s[8:9], exec
	s_or_b64 s[4:5], s[4:5], s[8:9]
	s_or_b64 exec, exec, s[6:7]
	s_and_saveexec_b64 s[6:7], s[4:5]
	s_cbranch_execz .LBB1_32227
; %bb.57287:
	s_getpc_b64 s[14:15]
.Lpost_getpc14307:
	s_add_u32 s14, s14, (.LBB1_7111-.Lpost_getpc14307)&4294967295
	s_addc_u32 s15, s15, (.LBB1_7111-.Lpost_getpc14307)>>32
	s_setpc_b64 s[14:15]
.LBB1_32227:
	s_getpc_b64 s[14:15]
.Lpost_getpc1777:
	s_add_u32 s14, s14, (.LBB1_7112-.Lpost_getpc1777)&4294967295
	s_addc_u32 s15, s15, (.LBB1_7112-.Lpost_getpc1777)>>32
	s_setpc_b64 s[14:15]
.LBB1_21449:
	s_movk_i32 s4, 0x80
	v_cmp_eq_u16_sdwa s[12:13], v3, s4 src0_sel:BYTE_0 src1_sel:DWORD
	s_mov_b64 s[4:5], -1
                                        ; implicit-def: $sgpr10
	s_and_saveexec_b64 s[8:9], s[12:13]
; %bb.21450:
	s_mov_b32 s10, 0x7f800001
	s_xor_b64 s[4:5], exec, -1
; %bb.21451:
	s_or_b64 exec, exec, s[8:9]
	s_and_b64 s[4:5], s[4:5], exec
	s_or_saveexec_b64 s[6:7], s[6:7]
	v_mov_b32_e32 v2, s10
	s_xor_b64 exec, exec, s[6:7]
	s_cbranch_execnz .LBB1_21452
; %bb.57289:
	s_getpc_b64 s[14:15]
.Lpost_getpc14308:
	s_add_u32 s14, s14, (.LBB1_7114-.Lpost_getpc14308)&4294967295
	s_addc_u32 s15, s15, (.LBB1_7114-.Lpost_getpc14308)>>32
	s_setpc_b64 s[14:15]
.LBB1_21452:
	v_mov_b32_e32 v2, 0
	v_cmp_ne_u16_sdwa s[8:9], v3, v2 src0_sel:BYTE_0 src1_sel:DWORD
	s_andn2_b64 s[4:5], s[4:5], exec
	s_and_b64 s[8:9], s[8:9], exec
	s_or_b64 s[4:5], s[4:5], s[8:9]
	s_or_b64 exec, exec, s[6:7]
	s_and_saveexec_b64 s[6:7], s[4:5]
	s_cbranch_execz .LBB1_32229
; %bb.57291:
	s_getpc_b64 s[14:15]
.Lpost_getpc14309:
	s_add_u32 s14, s14, (.LBB1_7115-.Lpost_getpc14309)&4294967295
	s_addc_u32 s15, s15, (.LBB1_7115-.Lpost_getpc14309)>>32
	s_setpc_b64 s[14:15]
.LBB1_32229:
	s_getpc_b64 s[14:15]
.Lpost_getpc1778:
	s_add_u32 s14, s14, (.LBB1_7116-.Lpost_getpc1778)&4294967295
	s_addc_u32 s15, s15, (.LBB1_7116-.Lpost_getpc1778)>>32
	s_setpc_b64 s[14:15]
.LBB1_21453:
	s_movk_i32 s4, 0x80
	v_cmp_eq_u16_sdwa s[12:13], v3, s4 src0_sel:BYTE_0 src1_sel:DWORD
	s_mov_b64 s[4:5], -1
                                        ; implicit-def: $sgpr10
	s_and_saveexec_b64 s[8:9], s[12:13]
; %bb.21454:
	s_mov_b32 s10, 0x7f800001
	s_xor_b64 s[4:5], exec, -1
; %bb.21455:
	s_or_b64 exec, exec, s[8:9]
	s_and_b64 s[4:5], s[4:5], exec
	s_or_saveexec_b64 s[6:7], s[6:7]
	v_mov_b32_e32 v6, s10
	s_xor_b64 exec, exec, s[6:7]
	s_cbranch_execnz .LBB1_21456
; %bb.57293:
	s_getpc_b64 s[14:15]
.Lpost_getpc14310:
	s_add_u32 s14, s14, (.LBB1_7118-.Lpost_getpc14310)&4294967295
	s_addc_u32 s15, s15, (.LBB1_7118-.Lpost_getpc14310)>>32
	s_setpc_b64 s[14:15]
.LBB1_21456:
	v_mov_b32_e32 v6, 0
	v_cmp_ne_u16_sdwa s[8:9], v3, v6 src0_sel:BYTE_0 src1_sel:DWORD
	s_andn2_b64 s[4:5], s[4:5], exec
	s_and_b64 s[8:9], s[8:9], exec
	s_or_b64 s[4:5], s[4:5], s[8:9]
	s_or_b64 exec, exec, s[6:7]
	s_and_saveexec_b64 s[6:7], s[4:5]
	s_cbranch_execz .LBB1_32231
; %bb.57295:
	s_getpc_b64 s[14:15]
.Lpost_getpc14311:
	s_add_u32 s14, s14, (.LBB1_7119-.Lpost_getpc14311)&4294967295
	s_addc_u32 s15, s15, (.LBB1_7119-.Lpost_getpc14311)>>32
	s_setpc_b64 s[14:15]
.LBB1_32231:
	s_getpc_b64 s[14:15]
.Lpost_getpc1779:
	s_add_u32 s14, s14, (.LBB1_7120-.Lpost_getpc1779)&4294967295
	s_addc_u32 s15, s15, (.LBB1_7120-.Lpost_getpc1779)>>32
	s_setpc_b64 s[14:15]
.LBB1_21457:
	s_movk_i32 s4, 0x80
	v_cmp_eq_u16_e32 vcc, s4, v3
	s_mov_b64 s[4:5], -1
                                        ; implicit-def: $sgpr10
	s_and_saveexec_b64 s[8:9], vcc
; %bb.21458:
	s_mov_b32 s10, 0x7f800001
	s_xor_b64 s[4:5], exec, -1
; %bb.21459:
	s_or_b64 exec, exec, s[8:9]
	s_and_b64 s[4:5], s[4:5], exec
                                        ; implicit-def: $vgpr3
	s_or_saveexec_b64 s[6:7], s[6:7]
	v_mov_b32_e32 v2, s10
	s_xor_b64 exec, exec, s[6:7]
	s_cbranch_execnz .LBB1_21460
; %bb.57297:
	s_getpc_b64 s[14:15]
.Lpost_getpc14312:
	s_add_u32 s14, s14, (.LBB1_7122-.Lpost_getpc14312)&4294967295
	s_addc_u32 s15, s15, (.LBB1_7122-.Lpost_getpc14312)>>32
	s_setpc_b64 s[14:15]
.LBB1_21460:
	v_cmp_ne_u16_e32 vcc, 0, v3
	s_andn2_b64 s[4:5], s[4:5], exec
	s_and_b64 s[8:9], vcc, exec
	v_mov_b32_e32 v2, 0
	s_or_b64 s[4:5], s[4:5], s[8:9]
	s_or_b64 exec, exec, s[6:7]
	s_and_saveexec_b64 s[6:7], s[4:5]
	s_cbranch_execz .LBB1_32233
; %bb.57299:
	s_getpc_b64 s[14:15]
.Lpost_getpc14313:
	s_add_u32 s14, s14, (.LBB1_7123-.Lpost_getpc14313)&4294967295
	s_addc_u32 s15, s15, (.LBB1_7123-.Lpost_getpc14313)>>32
	s_setpc_b64 s[14:15]
.LBB1_32233:
	s_getpc_b64 s[14:15]
.Lpost_getpc1780:
	s_add_u32 s14, s14, (.LBB1_7124-.Lpost_getpc1780)&4294967295
	s_addc_u32 s15, s15, (.LBB1_7124-.Lpost_getpc1780)>>32
	s_setpc_b64 s[14:15]
.LBB1_21461:
	s_movk_i32 s4, 0x80
	v_cmp_eq_u16_e32 vcc, s4, v3
	s_mov_b64 s[4:5], -1
                                        ; implicit-def: $sgpr10
	s_and_saveexec_b64 s[8:9], vcc
; %bb.21462:
	s_mov_b32 s10, 0x7f800001
	s_xor_b64 s[4:5], exec, -1
; %bb.21463:
	s_or_b64 exec, exec, s[8:9]
	s_and_b64 s[4:5], s[4:5], exec
                                        ; implicit-def: $vgpr3
	s_or_saveexec_b64 s[6:7], s[6:7]
	v_mov_b32_e32 v6, s10
	s_xor_b64 exec, exec, s[6:7]
	s_cbranch_execnz .LBB1_21464
; %bb.57301:
	s_getpc_b64 s[14:15]
.Lpost_getpc14314:
	s_add_u32 s14, s14, (.LBB1_7126-.Lpost_getpc14314)&4294967295
	s_addc_u32 s15, s15, (.LBB1_7126-.Lpost_getpc14314)>>32
	s_setpc_b64 s[14:15]
.LBB1_21464:
	v_cmp_ne_u16_e32 vcc, 0, v3
	s_andn2_b64 s[4:5], s[4:5], exec
	s_and_b64 s[8:9], vcc, exec
	v_mov_b32_e32 v6, 0
	s_or_b64 s[4:5], s[4:5], s[8:9]
	s_or_b64 exec, exec, s[6:7]
	s_and_saveexec_b64 s[6:7], s[4:5]
	s_cbranch_execz .LBB1_32235
; %bb.57303:
	s_getpc_b64 s[14:15]
.Lpost_getpc14315:
	s_add_u32 s14, s14, (.LBB1_7127-.Lpost_getpc14315)&4294967295
	s_addc_u32 s15, s15, (.LBB1_7127-.Lpost_getpc14315)>>32
	s_setpc_b64 s[14:15]
.LBB1_32235:
	s_getpc_b64 s[14:15]
.Lpost_getpc1781:
	s_add_u32 s14, s14, (.LBB1_7128-.Lpost_getpc1781)&4294967295
	s_addc_u32 s15, s15, (.LBB1_7128-.Lpost_getpc1781)>>32
	s_setpc_b64 s[14:15]
.LBB1_21465:
	s_movk_i32 s4, 0x80
	v_cmp_eq_u16_sdwa s[12:13], v8, s4 src0_sel:BYTE_3 src1_sel:DWORD
	s_mov_b64 s[4:5], -1
                                        ; implicit-def: $sgpr10
	s_and_saveexec_b64 s[8:9], s[12:13]
; %bb.21466:
	s_mov_b32 s10, 0x7f800001
	s_xor_b64 s[4:5], exec, -1
; %bb.21467:
	s_or_b64 exec, exec, s[8:9]
	s_and_b64 s[4:5], s[4:5], exec
	s_or_saveexec_b64 s[6:7], s[6:7]
	v_mov_b32_e32 v2, s10
	s_xor_b64 exec, exec, s[6:7]
	s_cbranch_execnz .LBB1_21468
; %bb.57305:
	s_getpc_b64 s[14:15]
.Lpost_getpc14316:
	s_add_u32 s14, s14, (.LBB1_7130-.Lpost_getpc14316)&4294967295
	s_addc_u32 s15, s15, (.LBB1_7130-.Lpost_getpc14316)>>32
	s_setpc_b64 s[14:15]
.LBB1_21468:
	v_mov_b32_e32 v2, 0
	v_cmp_ne_u16_sdwa s[8:9], v8, v2 src0_sel:BYTE_3 src1_sel:DWORD
	s_andn2_b64 s[4:5], s[4:5], exec
	s_and_b64 s[8:9], s[8:9], exec
	s_or_b64 s[4:5], s[4:5], s[8:9]
	s_or_b64 exec, exec, s[6:7]
	s_and_saveexec_b64 s[6:7], s[4:5]
	s_cbranch_execz .LBB1_32237
; %bb.57307:
	s_getpc_b64 s[14:15]
.Lpost_getpc14317:
	s_add_u32 s14, s14, (.LBB1_7131-.Lpost_getpc14317)&4294967295
	s_addc_u32 s15, s15, (.LBB1_7131-.Lpost_getpc14317)>>32
	s_setpc_b64 s[14:15]
.LBB1_32237:
	s_getpc_b64 s[14:15]
.Lpost_getpc1782:
	s_add_u32 s14, s14, (.LBB1_7132-.Lpost_getpc1782)&4294967295
	s_addc_u32 s15, s15, (.LBB1_7132-.Lpost_getpc1782)>>32
	s_setpc_b64 s[14:15]
.LBB1_21469:
	s_movk_i32 s4, 0x80
	v_cmp_eq_u16_sdwa s[12:13], v4, s4 src0_sel:BYTE_3 src1_sel:DWORD
	s_mov_b64 s[4:5], -1
                                        ; implicit-def: $sgpr10
	s_and_saveexec_b64 s[8:9], s[12:13]
; %bb.21470:
	s_mov_b32 s10, 0x7f800001
	s_xor_b64 s[4:5], exec, -1
; %bb.21471:
	s_or_b64 exec, exec, s[8:9]
	s_and_b64 s[4:5], s[4:5], exec
	s_or_saveexec_b64 s[6:7], s[6:7]
	v_mov_b32_e32 v3, s10
	s_xor_b64 exec, exec, s[6:7]
	s_cbranch_execnz .LBB1_21472
; %bb.57309:
	s_getpc_b64 s[14:15]
.Lpost_getpc14318:
	s_add_u32 s14, s14, (.LBB1_7134-.Lpost_getpc14318)&4294967295
	s_addc_u32 s15, s15, (.LBB1_7134-.Lpost_getpc14318)>>32
	s_setpc_b64 s[14:15]
.LBB1_21472:
	v_mov_b32_e32 v3, 0
	v_cmp_ne_u16_sdwa s[8:9], v4, v3 src0_sel:BYTE_3 src1_sel:DWORD
	s_andn2_b64 s[4:5], s[4:5], exec
	s_and_b64 s[8:9], s[8:9], exec
	s_or_b64 s[4:5], s[4:5], s[8:9]
	s_or_b64 exec, exec, s[6:7]
	s_and_saveexec_b64 s[6:7], s[4:5]
	s_cbranch_execz .LBB1_32239
; %bb.57311:
	s_getpc_b64 s[14:15]
.Lpost_getpc14319:
	s_add_u32 s14, s14, (.LBB1_7135-.Lpost_getpc14319)&4294967295
	s_addc_u32 s15, s15, (.LBB1_7135-.Lpost_getpc14319)>>32
	s_setpc_b64 s[14:15]
.LBB1_32239:
	s_getpc_b64 s[14:15]
.Lpost_getpc1783:
	s_add_u32 s14, s14, (.LBB1_7136-.Lpost_getpc1783)&4294967295
	s_addc_u32 s15, s15, (.LBB1_7136-.Lpost_getpc1783)>>32
	s_setpc_b64 s[14:15]
.LBB1_21473:
	s_movk_i32 s4, 0x80
	v_cmp_eq_u16_sdwa s[12:13], v9, s4 src0_sel:BYTE_0 src1_sel:DWORD
	s_mov_b64 s[4:5], -1
                                        ; implicit-def: $sgpr10
	s_and_saveexec_b64 s[8:9], s[12:13]
; %bb.21474:
	s_mov_b32 s10, 0x7f800001
	s_xor_b64 s[4:5], exec, -1
; %bb.21475:
	s_or_b64 exec, exec, s[8:9]
	s_and_b64 s[4:5], s[4:5], exec
	s_or_saveexec_b64 s[6:7], s[6:7]
	v_mov_b32_e32 v2, s10
	s_xor_b64 exec, exec, s[6:7]
	s_cbranch_execnz .LBB1_21476
; %bb.57313:
	s_getpc_b64 s[14:15]
.Lpost_getpc14320:
	s_add_u32 s14, s14, (.LBB1_7138-.Lpost_getpc14320)&4294967295
	s_addc_u32 s15, s15, (.LBB1_7138-.Lpost_getpc14320)>>32
	s_setpc_b64 s[14:15]
.LBB1_21476:
	v_mov_b32_e32 v2, 0
	v_cmp_ne_u16_sdwa s[8:9], v9, v2 src0_sel:BYTE_0 src1_sel:DWORD
	s_andn2_b64 s[4:5], s[4:5], exec
	s_and_b64 s[8:9], s[8:9], exec
	s_or_b64 s[4:5], s[4:5], s[8:9]
	s_or_b64 exec, exec, s[6:7]
	s_and_saveexec_b64 s[6:7], s[4:5]
	s_cbranch_execz .LBB1_32241
; %bb.57315:
	s_getpc_b64 s[14:15]
.Lpost_getpc14321:
	s_add_u32 s14, s14, (.LBB1_7139-.Lpost_getpc14321)&4294967295
	s_addc_u32 s15, s15, (.LBB1_7139-.Lpost_getpc14321)>>32
	s_setpc_b64 s[14:15]
.LBB1_32241:
	s_getpc_b64 s[14:15]
.Lpost_getpc1784:
	s_add_u32 s14, s14, (.LBB1_7140-.Lpost_getpc1784)&4294967295
	s_addc_u32 s15, s15, (.LBB1_7140-.Lpost_getpc1784)>>32
	s_setpc_b64 s[14:15]
.LBB1_21477:
	s_movk_i32 s4, 0x80
	v_cmp_eq_u16_sdwa s[12:13], v5, s4 src0_sel:BYTE_0 src1_sel:DWORD
	s_mov_b64 s[4:5], -1
                                        ; implicit-def: $sgpr10
	s_and_saveexec_b64 s[8:9], s[12:13]
; %bb.21478:
	s_mov_b32 s10, 0x7f800001
	s_xor_b64 s[4:5], exec, -1
; %bb.21479:
	s_or_b64 exec, exec, s[8:9]
	s_and_b64 s[4:5], s[4:5], exec
	s_or_saveexec_b64 s[6:7], s[6:7]
	v_mov_b32_e32 v3, s10
	s_xor_b64 exec, exec, s[6:7]
	s_cbranch_execnz .LBB1_21480
; %bb.57317:
	s_getpc_b64 s[14:15]
.Lpost_getpc14322:
	s_add_u32 s14, s14, (.LBB1_7142-.Lpost_getpc14322)&4294967295
	s_addc_u32 s15, s15, (.LBB1_7142-.Lpost_getpc14322)>>32
	s_setpc_b64 s[14:15]
.LBB1_21480:
	v_mov_b32_e32 v3, 0
	v_cmp_ne_u16_sdwa s[8:9], v5, v3 src0_sel:BYTE_0 src1_sel:DWORD
	s_andn2_b64 s[4:5], s[4:5], exec
	s_and_b64 s[8:9], s[8:9], exec
	s_or_b64 s[4:5], s[4:5], s[8:9]
	s_or_b64 exec, exec, s[6:7]
	s_and_saveexec_b64 s[6:7], s[4:5]
	s_cbranch_execz .LBB1_32243
; %bb.57319:
	s_getpc_b64 s[14:15]
.Lpost_getpc14323:
	s_add_u32 s14, s14, (.LBB1_7143-.Lpost_getpc14323)&4294967295
	s_addc_u32 s15, s15, (.LBB1_7143-.Lpost_getpc14323)>>32
	s_setpc_b64 s[14:15]
.LBB1_32243:
	s_getpc_b64 s[14:15]
.Lpost_getpc1785:
	s_add_u32 s14, s14, (.LBB1_7144-.Lpost_getpc1785)&4294967295
	s_addc_u32 s15, s15, (.LBB1_7144-.Lpost_getpc1785)>>32
	s_setpc_b64 s[14:15]
.LBB1_21481:
	s_movk_i32 s4, 0x80
	v_cmp_eq_u16_sdwa s[12:13], v3, s4 src0_sel:BYTE_0 src1_sel:DWORD
	s_mov_b64 s[4:5], -1
                                        ; implicit-def: $sgpr10
	s_and_saveexec_b64 s[8:9], s[12:13]
; %bb.21482:
	s_mov_b32 s10, 0x7f800001
	s_xor_b64 s[4:5], exec, -1
; %bb.21483:
	s_or_b64 exec, exec, s[8:9]
	s_and_b64 s[4:5], s[4:5], exec
	s_or_saveexec_b64 s[6:7], s[6:7]
	v_mov_b32_e32 v2, s10
	s_xor_b64 exec, exec, s[6:7]
	s_cbranch_execnz .LBB1_21484
; %bb.57321:
	s_getpc_b64 s[14:15]
.Lpost_getpc14324:
	s_add_u32 s14, s14, (.LBB1_7146-.Lpost_getpc14324)&4294967295
	s_addc_u32 s15, s15, (.LBB1_7146-.Lpost_getpc14324)>>32
	s_setpc_b64 s[14:15]
.LBB1_21484:
	v_mov_b32_e32 v2, 0
	v_cmp_ne_u16_sdwa s[8:9], v3, v2 src0_sel:BYTE_0 src1_sel:DWORD
	s_andn2_b64 s[4:5], s[4:5], exec
	s_and_b64 s[8:9], s[8:9], exec
	s_or_b64 s[4:5], s[4:5], s[8:9]
	s_or_b64 exec, exec, s[6:7]
	s_and_saveexec_b64 s[6:7], s[4:5]
	s_cbranch_execz .LBB1_32245
; %bb.57323:
	s_getpc_b64 s[14:15]
.Lpost_getpc14325:
	s_add_u32 s14, s14, (.LBB1_7147-.Lpost_getpc14325)&4294967295
	s_addc_u32 s15, s15, (.LBB1_7147-.Lpost_getpc14325)>>32
	s_setpc_b64 s[14:15]
.LBB1_32245:
	s_getpc_b64 s[14:15]
.Lpost_getpc1786:
	s_add_u32 s14, s14, (.LBB1_7148-.Lpost_getpc1786)&4294967295
	s_addc_u32 s15, s15, (.LBB1_7148-.Lpost_getpc1786)>>32
	s_setpc_b64 s[14:15]
.LBB1_21485:
	s_movk_i32 s4, 0x80
	v_cmp_eq_u16_sdwa s[12:13], v3, s4 src0_sel:BYTE_0 src1_sel:DWORD
	s_mov_b64 s[4:5], -1
                                        ; implicit-def: $sgpr10
	s_and_saveexec_b64 s[8:9], s[12:13]
; %bb.21486:
	s_mov_b32 s10, 0x7f800001
	s_xor_b64 s[4:5], exec, -1
; %bb.21487:
	s_or_b64 exec, exec, s[8:9]
	s_and_b64 s[4:5], s[4:5], exec
	s_or_saveexec_b64 s[6:7], s[6:7]
	v_mov_b32_e32 v4, s10
	s_xor_b64 exec, exec, s[6:7]
	s_cbranch_execnz .LBB1_21488
; %bb.57325:
	s_getpc_b64 s[14:15]
.Lpost_getpc14326:
	s_add_u32 s14, s14, (.LBB1_7150-.Lpost_getpc14326)&4294967295
	s_addc_u32 s15, s15, (.LBB1_7150-.Lpost_getpc14326)>>32
	s_setpc_b64 s[14:15]
.LBB1_21488:
	v_mov_b32_e32 v4, 0
	v_cmp_ne_u16_sdwa s[8:9], v3, v4 src0_sel:BYTE_0 src1_sel:DWORD
	s_andn2_b64 s[4:5], s[4:5], exec
	s_and_b64 s[8:9], s[8:9], exec
	s_or_b64 s[4:5], s[4:5], s[8:9]
	s_or_b64 exec, exec, s[6:7]
	s_and_saveexec_b64 s[6:7], s[4:5]
	s_cbranch_execz .LBB1_32247
; %bb.57327:
	s_getpc_b64 s[14:15]
.Lpost_getpc14327:
	s_add_u32 s14, s14, (.LBB1_7151-.Lpost_getpc14327)&4294967295
	s_addc_u32 s15, s15, (.LBB1_7151-.Lpost_getpc14327)>>32
	s_setpc_b64 s[14:15]
.LBB1_32247:
	s_getpc_b64 s[14:15]
.Lpost_getpc1787:
	s_add_u32 s14, s14, (.LBB1_7152-.Lpost_getpc1787)&4294967295
	s_addc_u32 s15, s15, (.LBB1_7152-.Lpost_getpc1787)>>32
	s_setpc_b64 s[14:15]
.LBB1_21489:
	s_movk_i32 s4, 0x80
	v_cmp_eq_u16_e32 vcc, s4, v3
	s_mov_b64 s[4:5], -1
                                        ; implicit-def: $sgpr10
	s_and_saveexec_b64 s[8:9], vcc
; %bb.21490:
	s_mov_b32 s10, 0x7f800001
	s_xor_b64 s[4:5], exec, -1
; %bb.21491:
	s_or_b64 exec, exec, s[8:9]
	s_and_b64 s[4:5], s[4:5], exec
                                        ; implicit-def: $vgpr3
	s_or_saveexec_b64 s[6:7], s[6:7]
	v_mov_b32_e32 v2, s10
	s_xor_b64 exec, exec, s[6:7]
	s_cbranch_execnz .LBB1_21492
; %bb.57329:
	s_getpc_b64 s[14:15]
.Lpost_getpc14328:
	s_add_u32 s14, s14, (.LBB1_7154-.Lpost_getpc14328)&4294967295
	s_addc_u32 s15, s15, (.LBB1_7154-.Lpost_getpc14328)>>32
	s_setpc_b64 s[14:15]
.LBB1_21492:
	v_cmp_ne_u16_e32 vcc, 0, v3
	s_andn2_b64 s[4:5], s[4:5], exec
	s_and_b64 s[8:9], vcc, exec
	v_mov_b32_e32 v2, 0
	s_or_b64 s[4:5], s[4:5], s[8:9]
	s_or_b64 exec, exec, s[6:7]
	s_and_saveexec_b64 s[6:7], s[4:5]
	s_cbranch_execz .LBB1_32249
; %bb.57331:
	s_getpc_b64 s[14:15]
.Lpost_getpc14329:
	s_add_u32 s14, s14, (.LBB1_7155-.Lpost_getpc14329)&4294967295
	s_addc_u32 s15, s15, (.LBB1_7155-.Lpost_getpc14329)>>32
	s_setpc_b64 s[14:15]
.LBB1_32249:
	s_getpc_b64 s[14:15]
.Lpost_getpc1788:
	s_add_u32 s14, s14, (.LBB1_7156-.Lpost_getpc1788)&4294967295
	s_addc_u32 s15, s15, (.LBB1_7156-.Lpost_getpc1788)>>32
	s_setpc_b64 s[14:15]
.LBB1_21493:
	s_movk_i32 s4, 0x80
	v_cmp_eq_u16_e32 vcc, s4, v3
	s_mov_b64 s[4:5], -1
                                        ; implicit-def: $sgpr10
	s_and_saveexec_b64 s[8:9], vcc
; %bb.21494:
	s_mov_b32 s10, 0x7f800001
	s_xor_b64 s[4:5], exec, -1
; %bb.21495:
	s_or_b64 exec, exec, s[8:9]
	s_and_b64 s[4:5], s[4:5], exec
                                        ; implicit-def: $vgpr3
	s_or_saveexec_b64 s[6:7], s[6:7]
	v_mov_b32_e32 v4, s10
	s_xor_b64 exec, exec, s[6:7]
	s_cbranch_execnz .LBB1_21496
; %bb.57333:
	s_getpc_b64 s[14:15]
.Lpost_getpc14330:
	s_add_u32 s14, s14, (.LBB1_7158-.Lpost_getpc14330)&4294967295
	s_addc_u32 s15, s15, (.LBB1_7158-.Lpost_getpc14330)>>32
	s_setpc_b64 s[14:15]
.LBB1_21496:
	v_cmp_ne_u16_e32 vcc, 0, v3
	s_andn2_b64 s[4:5], s[4:5], exec
	s_and_b64 s[8:9], vcc, exec
	v_mov_b32_e32 v4, 0
	s_or_b64 s[4:5], s[4:5], s[8:9]
	s_or_b64 exec, exec, s[6:7]
	s_and_saveexec_b64 s[6:7], s[4:5]
	s_cbranch_execz .LBB1_32251
; %bb.57335:
	s_getpc_b64 s[14:15]
.Lpost_getpc14331:
	s_add_u32 s14, s14, (.LBB1_7159-.Lpost_getpc14331)&4294967295
	s_addc_u32 s15, s15, (.LBB1_7159-.Lpost_getpc14331)>>32
	s_setpc_b64 s[14:15]
.LBB1_32251:
	s_getpc_b64 s[14:15]
.Lpost_getpc1789:
	s_add_u32 s14, s14, (.LBB1_7160-.Lpost_getpc1789)&4294967295
	s_addc_u32 s15, s15, (.LBB1_7160-.Lpost_getpc1789)>>32
	s_setpc_b64 s[14:15]
.LBB1_21497:
	s_movk_i32 s4, 0x80
	v_cmp_eq_u16_sdwa s[12:13], v9, s4 src0_sel:BYTE_3 src1_sel:DWORD
	s_mov_b64 s[4:5], -1
                                        ; implicit-def: $sgpr10
	s_and_saveexec_b64 s[8:9], s[12:13]
; %bb.21498:
	s_mov_b32 s10, 0x7f800001
	s_xor_b64 s[4:5], exec, -1
; %bb.21499:
	s_or_b64 exec, exec, s[8:9]
	s_and_b64 s[4:5], s[4:5], exec
	s_or_saveexec_b64 s[6:7], s[6:7]
	v_mov_b32_e32 v2, s10
	s_xor_b64 exec, exec, s[6:7]
	s_cbranch_execnz .LBB1_21500
; %bb.57337:
	s_getpc_b64 s[14:15]
.Lpost_getpc14332:
	s_add_u32 s14, s14, (.LBB1_7162-.Lpost_getpc14332)&4294967295
	s_addc_u32 s15, s15, (.LBB1_7162-.Lpost_getpc14332)>>32
	s_setpc_b64 s[14:15]
.LBB1_21500:
	v_mov_b32_e32 v2, 0
	v_cmp_ne_u16_sdwa s[8:9], v9, v2 src0_sel:BYTE_3 src1_sel:DWORD
	s_andn2_b64 s[4:5], s[4:5], exec
	s_and_b64 s[8:9], s[8:9], exec
	s_or_b64 s[4:5], s[4:5], s[8:9]
	s_or_b64 exec, exec, s[6:7]
	s_and_saveexec_b64 s[6:7], s[4:5]
	s_cbranch_execz .LBB1_32253
; %bb.57339:
	s_getpc_b64 s[14:15]
.Lpost_getpc14333:
	s_add_u32 s14, s14, (.LBB1_7163-.Lpost_getpc14333)&4294967295
	s_addc_u32 s15, s15, (.LBB1_7163-.Lpost_getpc14333)>>32
	s_setpc_b64 s[14:15]
.LBB1_32253:
	s_getpc_b64 s[14:15]
.Lpost_getpc1790:
	s_add_u32 s14, s14, (.LBB1_7164-.Lpost_getpc1790)&4294967295
	s_addc_u32 s15, s15, (.LBB1_7164-.Lpost_getpc1790)>>32
	s_setpc_b64 s[14:15]
.LBB1_21501:
	s_movk_i32 s4, 0x80
	v_cmp_eq_u16_sdwa s[12:13], v5, s4 src0_sel:BYTE_3 src1_sel:DWORD
	s_mov_b64 s[4:5], -1
                                        ; implicit-def: $sgpr10
	s_and_saveexec_b64 s[8:9], s[12:13]
; %bb.21502:
	s_mov_b32 s10, 0x7f800001
	s_xor_b64 s[4:5], exec, -1
; %bb.21503:
	s_or_b64 exec, exec, s[8:9]
	s_and_b64 s[4:5], s[4:5], exec
	s_or_saveexec_b64 s[6:7], s[6:7]
	v_mov_b32_e32 v3, s10
	s_xor_b64 exec, exec, s[6:7]
	s_cbranch_execnz .LBB1_21504
; %bb.57341:
	s_getpc_b64 s[14:15]
.Lpost_getpc14334:
	s_add_u32 s14, s14, (.LBB1_7166-.Lpost_getpc14334)&4294967295
	s_addc_u32 s15, s15, (.LBB1_7166-.Lpost_getpc14334)>>32
	s_setpc_b64 s[14:15]
.LBB1_21504:
	v_mov_b32_e32 v3, 0
	v_cmp_ne_u16_sdwa s[8:9], v5, v3 src0_sel:BYTE_3 src1_sel:DWORD
	s_andn2_b64 s[4:5], s[4:5], exec
	s_and_b64 s[8:9], s[8:9], exec
	s_or_b64 s[4:5], s[4:5], s[8:9]
	s_or_b64 exec, exec, s[6:7]
	s_and_saveexec_b64 s[6:7], s[4:5]
	s_cbranch_execz .LBB1_32255
; %bb.57343:
	s_getpc_b64 s[14:15]
.Lpost_getpc14335:
	s_add_u32 s14, s14, (.LBB1_7167-.Lpost_getpc14335)&4294967295
	s_addc_u32 s15, s15, (.LBB1_7167-.Lpost_getpc14335)>>32
	s_setpc_b64 s[14:15]
.LBB1_32255:
	s_getpc_b64 s[14:15]
.Lpost_getpc1791:
	s_add_u32 s14, s14, (.LBB1_7168-.Lpost_getpc1791)&4294967295
	s_addc_u32 s15, s15, (.LBB1_7168-.Lpost_getpc1791)>>32
	s_setpc_b64 s[14:15]
.LBB1_21505:
	s_movk_i32 s4, 0x80
	v_cmp_eq_u16_sdwa s[12:13], v6, s4 src0_sel:BYTE_0 src1_sel:DWORD
	s_mov_b64 s[4:5], -1
                                        ; implicit-def: $sgpr10
	s_and_saveexec_b64 s[8:9], s[12:13]
; %bb.21506:
	s_mov_b32 s10, 0x7f800001
	s_xor_b64 s[4:5], exec, -1
; %bb.21507:
	s_or_b64 exec, exec, s[8:9]
	s_and_b64 s[4:5], s[4:5], exec
	s_or_saveexec_b64 s[6:7], s[6:7]
	v_mov_b32_e32 v12, s10
	s_xor_b64 exec, exec, s[6:7]
	s_cbranch_execnz .LBB1_21508
; %bb.57345:
	s_getpc_b64 s[14:15]
.Lpost_getpc14336:
	s_add_u32 s14, s14, (.LBB1_7170-.Lpost_getpc14336)&4294967295
	s_addc_u32 s15, s15, (.LBB1_7170-.Lpost_getpc14336)>>32
	s_setpc_b64 s[14:15]
.LBB1_21508:
	v_mov_b32_e32 v12, 0
	v_cmp_ne_u16_sdwa s[8:9], v6, v12 src0_sel:BYTE_0 src1_sel:DWORD
	s_andn2_b64 s[4:5], s[4:5], exec
	s_and_b64 s[8:9], s[8:9], exec
	s_or_b64 s[4:5], s[4:5], s[8:9]
	s_or_b64 exec, exec, s[6:7]
	s_and_saveexec_b64 s[6:7], s[4:5]
	s_cbranch_execz .LBB1_32257
; %bb.57347:
	s_getpc_b64 s[14:15]
.Lpost_getpc14337:
	s_add_u32 s14, s14, (.LBB1_7171-.Lpost_getpc14337)&4294967295
	s_addc_u32 s15, s15, (.LBB1_7171-.Lpost_getpc14337)>>32
	s_setpc_b64 s[14:15]
.LBB1_32257:
	s_getpc_b64 s[14:15]
.Lpost_getpc1792:
	s_add_u32 s14, s14, (.LBB1_7172-.Lpost_getpc1792)&4294967295
	s_addc_u32 s15, s15, (.LBB1_7172-.Lpost_getpc1792)>>32
	s_setpc_b64 s[14:15]
.LBB1_21509:
	s_movk_i32 s4, 0x80
	v_cmp_eq_u16_sdwa s[12:13], v2, s4 src0_sel:BYTE_0 src1_sel:DWORD
	s_mov_b64 s[4:5], -1
                                        ; implicit-def: $sgpr10
	s_and_saveexec_b64 s[8:9], s[12:13]
; %bb.21510:
	s_mov_b32 s10, 0x7f800001
	s_xor_b64 s[4:5], exec, -1
; %bb.21511:
	s_or_b64 exec, exec, s[8:9]
	s_and_b64 s[4:5], s[4:5], exec
	s_or_saveexec_b64 s[6:7], s[6:7]
	v_mov_b32_e32 v13, s10
	s_xor_b64 exec, exec, s[6:7]
	s_cbranch_execnz .LBB1_21512
; %bb.57349:
	s_getpc_b64 s[14:15]
.Lpost_getpc14338:
	s_add_u32 s14, s14, (.LBB1_7174-.Lpost_getpc14338)&4294967295
	s_addc_u32 s15, s15, (.LBB1_7174-.Lpost_getpc14338)>>32
	s_setpc_b64 s[14:15]
.LBB1_21512:
	v_mov_b32_e32 v13, 0
	v_cmp_ne_u16_sdwa s[8:9], v2, v13 src0_sel:BYTE_0 src1_sel:DWORD
	s_andn2_b64 s[4:5], s[4:5], exec
	s_and_b64 s[8:9], s[8:9], exec
	s_or_b64 s[4:5], s[4:5], s[8:9]
	s_or_b64 exec, exec, s[6:7]
	s_and_saveexec_b64 s[6:7], s[4:5]
	s_cbranch_execz .LBB1_32259
; %bb.57351:
	s_getpc_b64 s[14:15]
.Lpost_getpc14339:
	s_add_u32 s14, s14, (.LBB1_7175-.Lpost_getpc14339)&4294967295
	s_addc_u32 s15, s15, (.LBB1_7175-.Lpost_getpc14339)>>32
	s_setpc_b64 s[14:15]
.LBB1_32259:
	s_getpc_b64 s[14:15]
.Lpost_getpc1793:
	s_add_u32 s14, s14, (.LBB1_7176-.Lpost_getpc1793)&4294967295
	s_addc_u32 s15, s15, (.LBB1_7176-.Lpost_getpc1793)>>32
	s_setpc_b64 s[14:15]
.LBB1_21513:
	s_movk_i32 s4, 0x80
	v_cmp_eq_u16_sdwa s[12:13], v13, s4 src0_sel:BYTE_0 src1_sel:DWORD
	s_mov_b64 s[4:5], -1
                                        ; implicit-def: $sgpr10
	s_and_saveexec_b64 s[8:9], s[12:13]
; %bb.21514:
	s_mov_b32 s10, 0x7f800001
	s_xor_b64 s[4:5], exec, -1
; %bb.21515:
	s_or_b64 exec, exec, s[8:9]
	s_and_b64 s[4:5], s[4:5], exec
	s_or_saveexec_b64 s[6:7], s[6:7]
	v_mov_b32_e32 v12, s10
	s_xor_b64 exec, exec, s[6:7]
	s_cbranch_execnz .LBB1_21516
; %bb.57353:
	s_getpc_b64 s[14:15]
.Lpost_getpc14340:
	s_add_u32 s14, s14, (.LBB1_7178-.Lpost_getpc14340)&4294967295
	s_addc_u32 s15, s15, (.LBB1_7178-.Lpost_getpc14340)>>32
	s_setpc_b64 s[14:15]
.LBB1_21516:
	v_mov_b32_e32 v12, 0
	v_cmp_ne_u16_sdwa s[8:9], v13, v12 src0_sel:BYTE_0 src1_sel:DWORD
	s_andn2_b64 s[4:5], s[4:5], exec
	s_and_b64 s[8:9], s[8:9], exec
	s_or_b64 s[4:5], s[4:5], s[8:9]
	s_or_b64 exec, exec, s[6:7]
	s_and_saveexec_b64 s[6:7], s[4:5]
	s_cbranch_execz .LBB1_32261
; %bb.57355:
	s_getpc_b64 s[14:15]
.Lpost_getpc14341:
	s_add_u32 s14, s14, (.LBB1_7179-.Lpost_getpc14341)&4294967295
	s_addc_u32 s15, s15, (.LBB1_7179-.Lpost_getpc14341)>>32
	s_setpc_b64 s[14:15]
.LBB1_32261:
	s_getpc_b64 s[14:15]
.Lpost_getpc1794:
	s_add_u32 s14, s14, (.LBB1_7180-.Lpost_getpc1794)&4294967295
	s_addc_u32 s15, s15, (.LBB1_7180-.Lpost_getpc1794)>>32
	s_setpc_b64 s[14:15]
.LBB1_21517:
	s_movk_i32 s4, 0x80
	v_cmp_eq_u16_sdwa s[12:13], v13, s4 src0_sel:BYTE_0 src1_sel:DWORD
	s_mov_b64 s[4:5], -1
                                        ; implicit-def: $sgpr10
	s_and_saveexec_b64 s[8:9], s[12:13]
; %bb.21518:
	s_mov_b32 s10, 0x7f800001
	s_xor_b64 s[4:5], exec, -1
; %bb.21519:
	s_or_b64 exec, exec, s[8:9]
	s_and_b64 s[4:5], s[4:5], exec
	s_or_saveexec_b64 s[6:7], s[6:7]
	v_mov_b32_e32 v14, s10
	s_xor_b64 exec, exec, s[6:7]
	s_cbranch_execnz .LBB1_21520
; %bb.57357:
	s_getpc_b64 s[14:15]
.Lpost_getpc14342:
	s_add_u32 s14, s14, (.LBB1_7182-.Lpost_getpc14342)&4294967295
	s_addc_u32 s15, s15, (.LBB1_7182-.Lpost_getpc14342)>>32
	s_setpc_b64 s[14:15]
.LBB1_21520:
	v_mov_b32_e32 v14, 0
	v_cmp_ne_u16_sdwa s[8:9], v13, v14 src0_sel:BYTE_0 src1_sel:DWORD
	s_andn2_b64 s[4:5], s[4:5], exec
	s_and_b64 s[8:9], s[8:9], exec
	s_or_b64 s[4:5], s[4:5], s[8:9]
	s_or_b64 exec, exec, s[6:7]
	s_and_saveexec_b64 s[6:7], s[4:5]
	s_cbranch_execz .LBB1_32263
; %bb.57359:
	s_getpc_b64 s[14:15]
.Lpost_getpc14343:
	s_add_u32 s14, s14, (.LBB1_7183-.Lpost_getpc14343)&4294967295
	s_addc_u32 s15, s15, (.LBB1_7183-.Lpost_getpc14343)>>32
	s_setpc_b64 s[14:15]
.LBB1_32263:
	s_getpc_b64 s[14:15]
.Lpost_getpc1795:
	s_add_u32 s14, s14, (.LBB1_7184-.Lpost_getpc1795)&4294967295
	s_addc_u32 s15, s15, (.LBB1_7184-.Lpost_getpc1795)>>32
	s_setpc_b64 s[14:15]
.LBB1_21521:
	s_movk_i32 s4, 0x80
	v_cmp_eq_u16_e32 vcc, s4, v13
	s_mov_b64 s[4:5], -1
                                        ; implicit-def: $sgpr10
	s_and_saveexec_b64 s[8:9], vcc
; %bb.21522:
	s_mov_b32 s10, 0x7f800001
	s_xor_b64 s[4:5], exec, -1
; %bb.21523:
	s_or_b64 exec, exec, s[8:9]
	s_and_b64 s[4:5], s[4:5], exec
                                        ; implicit-def: $vgpr13
	s_or_saveexec_b64 s[6:7], s[6:7]
	v_mov_b32_e32 v12, s10
	s_xor_b64 exec, exec, s[6:7]
	s_cbranch_execnz .LBB1_21524
; %bb.57361:
	s_getpc_b64 s[14:15]
.Lpost_getpc14344:
	s_add_u32 s14, s14, (.LBB1_7186-.Lpost_getpc14344)&4294967295
	s_addc_u32 s15, s15, (.LBB1_7186-.Lpost_getpc14344)>>32
	s_setpc_b64 s[14:15]
.LBB1_21524:
	v_cmp_ne_u16_e32 vcc, 0, v13
	s_andn2_b64 s[4:5], s[4:5], exec
	s_and_b64 s[8:9], vcc, exec
	v_mov_b32_e32 v12, 0
	s_or_b64 s[4:5], s[4:5], s[8:9]
	s_or_b64 exec, exec, s[6:7]
	s_and_saveexec_b64 s[6:7], s[4:5]
	s_cbranch_execz .LBB1_32265
; %bb.57363:
	s_getpc_b64 s[14:15]
.Lpost_getpc14345:
	s_add_u32 s14, s14, (.LBB1_7187-.Lpost_getpc14345)&4294967295
	s_addc_u32 s15, s15, (.LBB1_7187-.Lpost_getpc14345)>>32
	s_setpc_b64 s[14:15]
.LBB1_32265:
	s_getpc_b64 s[14:15]
.Lpost_getpc1796:
	s_add_u32 s14, s14, (.LBB1_7188-.Lpost_getpc1796)&4294967295
	s_addc_u32 s15, s15, (.LBB1_7188-.Lpost_getpc1796)>>32
	s_setpc_b64 s[14:15]
.LBB1_21525:
	s_movk_i32 s4, 0x80
	v_cmp_eq_u16_e32 vcc, s4, v13
	s_mov_b64 s[4:5], -1
                                        ; implicit-def: $sgpr10
	s_and_saveexec_b64 s[8:9], vcc
; %bb.21526:
	s_mov_b32 s10, 0x7f800001
	s_xor_b64 s[4:5], exec, -1
; %bb.21527:
	s_or_b64 exec, exec, s[8:9]
	s_and_b64 s[4:5], s[4:5], exec
                                        ; implicit-def: $vgpr13
	s_or_saveexec_b64 s[6:7], s[6:7]
	v_mov_b32_e32 v14, s10
	s_xor_b64 exec, exec, s[6:7]
	s_cbranch_execnz .LBB1_21528
; %bb.57365:
	s_getpc_b64 s[14:15]
.Lpost_getpc14346:
	s_add_u32 s14, s14, (.LBB1_7190-.Lpost_getpc14346)&4294967295
	s_addc_u32 s15, s15, (.LBB1_7190-.Lpost_getpc14346)>>32
	s_setpc_b64 s[14:15]
.LBB1_21528:
	v_cmp_ne_u16_e32 vcc, 0, v13
	s_andn2_b64 s[4:5], s[4:5], exec
	s_and_b64 s[8:9], vcc, exec
	v_mov_b32_e32 v14, 0
	s_or_b64 s[4:5], s[4:5], s[8:9]
	s_or_b64 exec, exec, s[6:7]
	s_and_saveexec_b64 s[6:7], s[4:5]
	s_cbranch_execz .LBB1_32267
; %bb.57367:
	s_getpc_b64 s[14:15]
.Lpost_getpc14347:
	s_add_u32 s14, s14, (.LBB1_7191-.Lpost_getpc14347)&4294967295
	s_addc_u32 s15, s15, (.LBB1_7191-.Lpost_getpc14347)>>32
	s_setpc_b64 s[14:15]
.LBB1_32267:
	s_getpc_b64 s[14:15]
.Lpost_getpc1797:
	s_add_u32 s14, s14, (.LBB1_7192-.Lpost_getpc1797)&4294967295
	s_addc_u32 s15, s15, (.LBB1_7192-.Lpost_getpc1797)>>32
	s_setpc_b64 s[14:15]
.LBB1_21529:
	s_movk_i32 s4, 0x80
	v_cmp_eq_u16_sdwa s[12:13], v6, s4 src0_sel:BYTE_3 src1_sel:DWORD
	s_mov_b64 s[4:5], -1
                                        ; implicit-def: $sgpr10
	s_and_saveexec_b64 s[8:9], s[12:13]
; %bb.21530:
	s_mov_b32 s10, 0x7f800001
	s_xor_b64 s[4:5], exec, -1
; %bb.21531:
	s_or_b64 exec, exec, s[8:9]
	s_and_b64 s[4:5], s[4:5], exec
	s_or_saveexec_b64 s[6:7], s[6:7]
	v_mov_b32_e32 v12, s10
	s_xor_b64 exec, exec, s[6:7]
	s_cbranch_execnz .LBB1_21532
; %bb.57369:
	s_getpc_b64 s[14:15]
.Lpost_getpc14348:
	s_add_u32 s14, s14, (.LBB1_7194-.Lpost_getpc14348)&4294967295
	s_addc_u32 s15, s15, (.LBB1_7194-.Lpost_getpc14348)>>32
	s_setpc_b64 s[14:15]
.LBB1_21532:
	v_mov_b32_e32 v12, 0
	v_cmp_ne_u16_sdwa s[8:9], v6, v12 src0_sel:BYTE_3 src1_sel:DWORD
	s_andn2_b64 s[4:5], s[4:5], exec
	s_and_b64 s[8:9], s[8:9], exec
	s_or_b64 s[4:5], s[4:5], s[8:9]
	s_or_b64 exec, exec, s[6:7]
	s_and_saveexec_b64 s[6:7], s[4:5]
	s_cbranch_execz .LBB1_32269
; %bb.57371:
	s_getpc_b64 s[14:15]
.Lpost_getpc14349:
	s_add_u32 s14, s14, (.LBB1_7195-.Lpost_getpc14349)&4294967295
	s_addc_u32 s15, s15, (.LBB1_7195-.Lpost_getpc14349)>>32
	s_setpc_b64 s[14:15]
.LBB1_32269:
	s_getpc_b64 s[14:15]
.Lpost_getpc1798:
	s_add_u32 s14, s14, (.LBB1_7196-.Lpost_getpc1798)&4294967295
	s_addc_u32 s15, s15, (.LBB1_7196-.Lpost_getpc1798)>>32
	s_setpc_b64 s[14:15]
.LBB1_21533:
	s_movk_i32 s4, 0x80
	v_cmp_eq_u16_sdwa s[12:13], v2, s4 src0_sel:BYTE_3 src1_sel:DWORD
	s_mov_b64 s[4:5], -1
                                        ; implicit-def: $sgpr10
	s_and_saveexec_b64 s[8:9], s[12:13]
; %bb.21534:
	s_mov_b32 s10, 0x7f800001
	s_xor_b64 s[4:5], exec, -1
; %bb.21535:
	s_or_b64 exec, exec, s[8:9]
	s_and_b64 s[4:5], s[4:5], exec
	s_or_saveexec_b64 s[6:7], s[6:7]
	v_mov_b32_e32 v6, s10
	s_xor_b64 exec, exec, s[6:7]
	s_cbranch_execnz .LBB1_21536
; %bb.57373:
	s_getpc_b64 s[14:15]
.Lpost_getpc14350:
	s_add_u32 s14, s14, (.LBB1_7198-.Lpost_getpc14350)&4294967295
	s_addc_u32 s15, s15, (.LBB1_7198-.Lpost_getpc14350)>>32
	s_setpc_b64 s[14:15]
.LBB1_21536:
	v_mov_b32_e32 v6, 0
	v_cmp_ne_u16_sdwa s[8:9], v2, v6 src0_sel:BYTE_3 src1_sel:DWORD
	s_andn2_b64 s[4:5], s[4:5], exec
	s_and_b64 s[8:9], s[8:9], exec
	s_or_b64 s[4:5], s[4:5], s[8:9]
	s_or_b64 exec, exec, s[6:7]
	s_and_saveexec_b64 s[6:7], s[4:5]
	s_cbranch_execz .LBB1_32271
; %bb.57375:
	s_getpc_b64 s[14:15]
.Lpost_getpc14351:
	s_add_u32 s14, s14, (.LBB1_7199-.Lpost_getpc14351)&4294967295
	s_addc_u32 s15, s15, (.LBB1_7199-.Lpost_getpc14351)>>32
	s_setpc_b64 s[14:15]
.LBB1_32271:
	s_getpc_b64 s[14:15]
.Lpost_getpc1799:
	s_add_u32 s14, s14, (.LBB1_7200-.Lpost_getpc1799)&4294967295
	s_addc_u32 s15, s15, (.LBB1_7200-.Lpost_getpc1799)>>32
	s_setpc_b64 s[14:15]
.LBB1_21537:
	s_movk_i32 s4, 0x80
	v_cmp_eq_u16_sdwa s[12:13], v7, s4 src0_sel:BYTE_0 src1_sel:DWORD
	s_mov_b64 s[4:5], -1
                                        ; implicit-def: $sgpr10
	s_and_saveexec_b64 s[8:9], s[12:13]
; %bb.21538:
	s_mov_b32 s10, 0x7f800001
	s_xor_b64 s[4:5], exec, -1
; %bb.21539:
	s_or_b64 exec, exec, s[8:9]
	s_and_b64 s[4:5], s[4:5], exec
	s_or_saveexec_b64 s[6:7], s[6:7]
	v_mov_b32_e32 v2, s10
	s_xor_b64 exec, exec, s[6:7]
	s_cbranch_execnz .LBB1_21540
; %bb.57377:
	s_getpc_b64 s[14:15]
.Lpost_getpc14352:
	s_add_u32 s14, s14, (.LBB1_7202-.Lpost_getpc14352)&4294967295
	s_addc_u32 s15, s15, (.LBB1_7202-.Lpost_getpc14352)>>32
	s_setpc_b64 s[14:15]
.LBB1_21540:
	v_mov_b32_e32 v2, 0
	v_cmp_ne_u16_sdwa s[8:9], v7, v2 src0_sel:BYTE_0 src1_sel:DWORD
	s_andn2_b64 s[4:5], s[4:5], exec
	s_and_b64 s[8:9], s[8:9], exec
	s_or_b64 s[4:5], s[4:5], s[8:9]
	s_or_b64 exec, exec, s[6:7]
	s_and_saveexec_b64 s[6:7], s[4:5]
	s_cbranch_execz .LBB1_32273
; %bb.57379:
	s_getpc_b64 s[14:15]
.Lpost_getpc14353:
	s_add_u32 s14, s14, (.LBB1_7203-.Lpost_getpc14353)&4294967295
	s_addc_u32 s15, s15, (.LBB1_7203-.Lpost_getpc14353)>>32
	s_setpc_b64 s[14:15]
.LBB1_32273:
	s_getpc_b64 s[14:15]
.Lpost_getpc1800:
	s_add_u32 s14, s14, (.LBB1_7204-.Lpost_getpc1800)&4294967295
	s_addc_u32 s15, s15, (.LBB1_7204-.Lpost_getpc1800)>>32
	s_setpc_b64 s[14:15]
.LBB1_21541:
	s_movk_i32 s4, 0x80
	v_cmp_eq_u16_sdwa s[12:13], v3, s4 src0_sel:BYTE_0 src1_sel:DWORD
	s_mov_b64 s[4:5], -1
                                        ; implicit-def: $sgpr10
	s_and_saveexec_b64 s[8:9], s[12:13]
; %bb.21542:
	s_mov_b32 s10, 0x7f800001
	s_xor_b64 s[4:5], exec, -1
; %bb.21543:
	s_or_b64 exec, exec, s[8:9]
	s_and_b64 s[4:5], s[4:5], exec
	s_or_saveexec_b64 s[6:7], s[6:7]
	v_mov_b32_e32 v6, s10
	s_xor_b64 exec, exec, s[6:7]
	s_cbranch_execnz .LBB1_21544
; %bb.57381:
	s_getpc_b64 s[14:15]
.Lpost_getpc14354:
	s_add_u32 s14, s14, (.LBB1_7206-.Lpost_getpc14354)&4294967295
	s_addc_u32 s15, s15, (.LBB1_7206-.Lpost_getpc14354)>>32
	s_setpc_b64 s[14:15]
.LBB1_21544:
	v_mov_b32_e32 v6, 0
	v_cmp_ne_u16_sdwa s[8:9], v3, v6 src0_sel:BYTE_0 src1_sel:DWORD
	s_andn2_b64 s[4:5], s[4:5], exec
	s_and_b64 s[8:9], s[8:9], exec
	s_or_b64 s[4:5], s[4:5], s[8:9]
	s_or_b64 exec, exec, s[6:7]
	s_and_saveexec_b64 s[6:7], s[4:5]
	s_cbranch_execz .LBB1_32275
; %bb.57383:
	s_getpc_b64 s[14:15]
.Lpost_getpc14355:
	s_add_u32 s14, s14, (.LBB1_7207-.Lpost_getpc14355)&4294967295
	s_addc_u32 s15, s15, (.LBB1_7207-.Lpost_getpc14355)>>32
	s_setpc_b64 s[14:15]
.LBB1_32275:
	s_getpc_b64 s[14:15]
.Lpost_getpc1801:
	s_add_u32 s14, s14, (.LBB1_7208-.Lpost_getpc1801)&4294967295
	s_addc_u32 s15, s15, (.LBB1_7208-.Lpost_getpc1801)>>32
	s_setpc_b64 s[14:15]
.LBB1_21545:
	s_movk_i32 s4, 0x80
	v_cmp_eq_u16_sdwa s[12:13], v6, s4 src0_sel:BYTE_0 src1_sel:DWORD
	s_mov_b64 s[4:5], -1
                                        ; implicit-def: $sgpr10
	s_and_saveexec_b64 s[8:9], s[12:13]
; %bb.21546:
	s_mov_b32 s10, 0x7f800001
	s_xor_b64 s[4:5], exec, -1
; %bb.21547:
	s_or_b64 exec, exec, s[8:9]
	s_and_b64 s[4:5], s[4:5], exec
	s_or_saveexec_b64 s[6:7], s[6:7]
	v_mov_b32_e32 v2, s10
	s_xor_b64 exec, exec, s[6:7]
	s_cbranch_execnz .LBB1_21548
; %bb.57385:
	s_getpc_b64 s[14:15]
.Lpost_getpc14356:
	s_add_u32 s14, s14, (.LBB1_7210-.Lpost_getpc14356)&4294967295
	s_addc_u32 s15, s15, (.LBB1_7210-.Lpost_getpc14356)>>32
	s_setpc_b64 s[14:15]
.LBB1_21548:
	v_mov_b32_e32 v2, 0
	v_cmp_ne_u16_sdwa s[8:9], v6, v2 src0_sel:BYTE_0 src1_sel:DWORD
	s_andn2_b64 s[4:5], s[4:5], exec
	s_and_b64 s[8:9], s[8:9], exec
	s_or_b64 s[4:5], s[4:5], s[8:9]
	s_or_b64 exec, exec, s[6:7]
	s_and_saveexec_b64 s[6:7], s[4:5]
	s_cbranch_execz .LBB1_32277
; %bb.57387:
	s_getpc_b64 s[14:15]
.Lpost_getpc14357:
	s_add_u32 s14, s14, (.LBB1_7211-.Lpost_getpc14357)&4294967295
	s_addc_u32 s15, s15, (.LBB1_7211-.Lpost_getpc14357)>>32
	s_setpc_b64 s[14:15]
.LBB1_32277:
	s_getpc_b64 s[14:15]
.Lpost_getpc1802:
	s_add_u32 s14, s14, (.LBB1_7212-.Lpost_getpc1802)&4294967295
	s_addc_u32 s15, s15, (.LBB1_7212-.Lpost_getpc1802)>>32
	s_setpc_b64 s[14:15]
.LBB1_21549:
	s_movk_i32 s4, 0x80
	v_cmp_eq_u16_sdwa s[12:13], v6, s4 src0_sel:BYTE_0 src1_sel:DWORD
	s_mov_b64 s[4:5], -1
                                        ; implicit-def: $sgpr10
	s_and_saveexec_b64 s[8:9], s[12:13]
; %bb.21550:
	s_mov_b32 s10, 0x7f800001
	s_xor_b64 s[4:5], exec, -1
; %bb.21551:
	s_or_b64 exec, exec, s[8:9]
	s_and_b64 s[4:5], s[4:5], exec
	s_or_saveexec_b64 s[6:7], s[6:7]
	v_mov_b32_e32 v12, s10
	s_xor_b64 exec, exec, s[6:7]
	s_cbranch_execnz .LBB1_21552
; %bb.57389:
	s_getpc_b64 s[14:15]
.Lpost_getpc14358:
	s_add_u32 s14, s14, (.LBB1_7214-.Lpost_getpc14358)&4294967295
	s_addc_u32 s15, s15, (.LBB1_7214-.Lpost_getpc14358)>>32
	s_setpc_b64 s[14:15]
.LBB1_21552:
	v_mov_b32_e32 v12, 0
	v_cmp_ne_u16_sdwa s[8:9], v6, v12 src0_sel:BYTE_0 src1_sel:DWORD
	s_andn2_b64 s[4:5], s[4:5], exec
	s_and_b64 s[8:9], s[8:9], exec
	s_or_b64 s[4:5], s[4:5], s[8:9]
	s_or_b64 exec, exec, s[6:7]
	s_and_saveexec_b64 s[6:7], s[4:5]
	s_cbranch_execz .LBB1_32279
; %bb.57391:
	s_getpc_b64 s[14:15]
.Lpost_getpc14359:
	s_add_u32 s14, s14, (.LBB1_7215-.Lpost_getpc14359)&4294967295
	s_addc_u32 s15, s15, (.LBB1_7215-.Lpost_getpc14359)>>32
	s_setpc_b64 s[14:15]
.LBB1_32279:
	s_getpc_b64 s[14:15]
.Lpost_getpc1803:
	s_add_u32 s14, s14, (.LBB1_7216-.Lpost_getpc1803)&4294967295
	s_addc_u32 s15, s15, (.LBB1_7216-.Lpost_getpc1803)>>32
	s_setpc_b64 s[14:15]
.LBB1_21553:
	s_movk_i32 s4, 0x80
	v_cmp_eq_u16_e32 vcc, s4, v6
	s_mov_b64 s[4:5], -1
                                        ; implicit-def: $sgpr10
	s_and_saveexec_b64 s[8:9], vcc
; %bb.21554:
	s_mov_b32 s10, 0x7f800001
	s_xor_b64 s[4:5], exec, -1
; %bb.21555:
	s_or_b64 exec, exec, s[8:9]
	s_and_b64 s[4:5], s[4:5], exec
                                        ; implicit-def: $vgpr6
	s_or_saveexec_b64 s[6:7], s[6:7]
	v_mov_b32_e32 v2, s10
	s_xor_b64 exec, exec, s[6:7]
	s_cbranch_execnz .LBB1_21556
; %bb.57393:
	s_getpc_b64 s[14:15]
.Lpost_getpc14360:
	s_add_u32 s14, s14, (.LBB1_7218-.Lpost_getpc14360)&4294967295
	s_addc_u32 s15, s15, (.LBB1_7218-.Lpost_getpc14360)>>32
	s_setpc_b64 s[14:15]
.LBB1_21556:
	v_cmp_ne_u16_e32 vcc, 0, v6
	s_andn2_b64 s[4:5], s[4:5], exec
	s_and_b64 s[8:9], vcc, exec
	v_mov_b32_e32 v2, 0
	s_or_b64 s[4:5], s[4:5], s[8:9]
	s_or_b64 exec, exec, s[6:7]
	s_and_saveexec_b64 s[6:7], s[4:5]
	s_cbranch_execz .LBB1_32281
; %bb.57395:
	s_getpc_b64 s[14:15]
.Lpost_getpc14361:
	s_add_u32 s14, s14, (.LBB1_7219-.Lpost_getpc14361)&4294967295
	s_addc_u32 s15, s15, (.LBB1_7219-.Lpost_getpc14361)>>32
	s_setpc_b64 s[14:15]
.LBB1_32281:
	s_getpc_b64 s[14:15]
.Lpost_getpc1804:
	s_add_u32 s14, s14, (.LBB1_7220-.Lpost_getpc1804)&4294967295
	s_addc_u32 s15, s15, (.LBB1_7220-.Lpost_getpc1804)>>32
	s_setpc_b64 s[14:15]
.LBB1_21557:
	s_movk_i32 s4, 0x80
	v_cmp_eq_u16_e32 vcc, s4, v6
	s_mov_b64 s[4:5], -1
                                        ; implicit-def: $sgpr10
	s_and_saveexec_b64 s[8:9], vcc
; %bb.21558:
	s_mov_b32 s10, 0x7f800001
	s_xor_b64 s[4:5], exec, -1
; %bb.21559:
	s_or_b64 exec, exec, s[8:9]
	s_and_b64 s[4:5], s[4:5], exec
                                        ; implicit-def: $vgpr6
	s_or_saveexec_b64 s[6:7], s[6:7]
	v_mov_b32_e32 v12, s10
	s_xor_b64 exec, exec, s[6:7]
	s_cbranch_execnz .LBB1_21560
; %bb.57397:
	s_getpc_b64 s[14:15]
.Lpost_getpc14362:
	s_add_u32 s14, s14, (.LBB1_7222-.Lpost_getpc14362)&4294967295
	s_addc_u32 s15, s15, (.LBB1_7222-.Lpost_getpc14362)>>32
	s_setpc_b64 s[14:15]
.LBB1_21560:
	v_cmp_ne_u16_e32 vcc, 0, v6
	s_andn2_b64 s[4:5], s[4:5], exec
	s_and_b64 s[8:9], vcc, exec
	v_mov_b32_e32 v12, 0
	s_or_b64 s[4:5], s[4:5], s[8:9]
	s_or_b64 exec, exec, s[6:7]
	s_and_saveexec_b64 s[6:7], s[4:5]
	s_cbranch_execz .LBB1_32283
; %bb.57399:
	s_getpc_b64 s[14:15]
.Lpost_getpc14363:
	s_add_u32 s14, s14, (.LBB1_7223-.Lpost_getpc14363)&4294967295
	s_addc_u32 s15, s15, (.LBB1_7223-.Lpost_getpc14363)>>32
	s_setpc_b64 s[14:15]
.LBB1_32283:
	s_getpc_b64 s[14:15]
.Lpost_getpc1805:
	s_add_u32 s14, s14, (.LBB1_7224-.Lpost_getpc1805)&4294967295
	s_addc_u32 s15, s15, (.LBB1_7224-.Lpost_getpc1805)>>32
	s_setpc_b64 s[14:15]
.LBB1_21561:
	s_movk_i32 s4, 0x80
	v_cmp_eq_u16_sdwa s[12:13], v7, s4 src0_sel:BYTE_3 src1_sel:DWORD
	s_mov_b64 s[4:5], -1
                                        ; implicit-def: $sgpr10
	s_and_saveexec_b64 s[8:9], s[12:13]
; %bb.21562:
	s_mov_b32 s10, 0x7f800001
	s_xor_b64 s[4:5], exec, -1
; %bb.21563:
	s_or_b64 exec, exec, s[8:9]
	s_and_b64 s[4:5], s[4:5], exec
	s_or_saveexec_b64 s[6:7], s[6:7]
	v_mov_b32_e32 v2, s10
	s_xor_b64 exec, exec, s[6:7]
	s_cbranch_execnz .LBB1_21564
; %bb.57401:
	s_getpc_b64 s[14:15]
.Lpost_getpc14364:
	s_add_u32 s14, s14, (.LBB1_7226-.Lpost_getpc14364)&4294967295
	s_addc_u32 s15, s15, (.LBB1_7226-.Lpost_getpc14364)>>32
	s_setpc_b64 s[14:15]
.LBB1_21564:
	v_mov_b32_e32 v2, 0
	v_cmp_ne_u16_sdwa s[8:9], v7, v2 src0_sel:BYTE_3 src1_sel:DWORD
	s_andn2_b64 s[4:5], s[4:5], exec
	s_and_b64 s[8:9], s[8:9], exec
	s_or_b64 s[4:5], s[4:5], s[8:9]
	s_or_b64 exec, exec, s[6:7]
	s_and_saveexec_b64 s[6:7], s[4:5]
	s_cbranch_execz .LBB1_32285
; %bb.57403:
	s_getpc_b64 s[14:15]
.Lpost_getpc14365:
	s_add_u32 s14, s14, (.LBB1_7227-.Lpost_getpc14365)&4294967295
	s_addc_u32 s15, s15, (.LBB1_7227-.Lpost_getpc14365)>>32
	s_setpc_b64 s[14:15]
.LBB1_32285:
	s_getpc_b64 s[14:15]
.Lpost_getpc1806:
	s_add_u32 s14, s14, (.LBB1_7228-.Lpost_getpc1806)&4294967295
	s_addc_u32 s15, s15, (.LBB1_7228-.Lpost_getpc1806)>>32
	s_setpc_b64 s[14:15]
.LBB1_21565:
	s_movk_i32 s4, 0x80
	v_cmp_eq_u16_sdwa s[12:13], v3, s4 src0_sel:BYTE_3 src1_sel:DWORD
	s_mov_b64 s[4:5], -1
                                        ; implicit-def: $sgpr10
	s_and_saveexec_b64 s[8:9], s[12:13]
; %bb.21566:
	s_mov_b32 s10, 0x7f800001
	s_xor_b64 s[4:5], exec, -1
; %bb.21567:
	s_or_b64 exec, exec, s[8:9]
	s_and_b64 s[4:5], s[4:5], exec
	s_or_saveexec_b64 s[6:7], s[6:7]
	v_mov_b32_e32 v6, s10
	s_xor_b64 exec, exec, s[6:7]
	s_cbranch_execnz .LBB1_21568
; %bb.57405:
	s_getpc_b64 s[14:15]
.Lpost_getpc14366:
	s_add_u32 s14, s14, (.LBB1_7230-.Lpost_getpc14366)&4294967295
	s_addc_u32 s15, s15, (.LBB1_7230-.Lpost_getpc14366)>>32
	s_setpc_b64 s[14:15]
.LBB1_21568:
	v_mov_b32_e32 v6, 0
	v_cmp_ne_u16_sdwa s[8:9], v3, v6 src0_sel:BYTE_3 src1_sel:DWORD
	s_andn2_b64 s[4:5], s[4:5], exec
	s_and_b64 s[8:9], s[8:9], exec
	s_or_b64 s[4:5], s[4:5], s[8:9]
	s_or_b64 exec, exec, s[6:7]
	s_and_saveexec_b64 s[6:7], s[4:5]
	s_cbranch_execz .LBB1_32287
; %bb.57407:
	s_getpc_b64 s[14:15]
.Lpost_getpc14367:
	s_add_u32 s14, s14, (.LBB1_7231-.Lpost_getpc14367)&4294967295
	s_addc_u32 s15, s15, (.LBB1_7231-.Lpost_getpc14367)>>32
	s_setpc_b64 s[14:15]
.LBB1_32287:
	s_getpc_b64 s[14:15]
.Lpost_getpc1807:
	s_add_u32 s14, s14, (.LBB1_7232-.Lpost_getpc1807)&4294967295
	s_addc_u32 s15, s15, (.LBB1_7232-.Lpost_getpc1807)>>32
	s_setpc_b64 s[14:15]
.LBB1_21569:
	s_movk_i32 s4, 0x80
	v_cmp_eq_u16_sdwa s[12:13], v8, s4 src0_sel:BYTE_0 src1_sel:DWORD
	s_mov_b64 s[4:5], -1
                                        ; implicit-def: $sgpr10
	s_and_saveexec_b64 s[8:9], s[12:13]
; %bb.21570:
	s_mov_b32 s10, 0x7f800001
	s_xor_b64 s[4:5], exec, -1
; %bb.21571:
	s_or_b64 exec, exec, s[8:9]
	s_and_b64 s[4:5], s[4:5], exec
	s_or_saveexec_b64 s[6:7], s[6:7]
	v_mov_b32_e32 v2, s10
	s_xor_b64 exec, exec, s[6:7]
	s_cbranch_execnz .LBB1_21572
; %bb.57409:
	s_getpc_b64 s[14:15]
.Lpost_getpc14368:
	s_add_u32 s14, s14, (.LBB1_7234-.Lpost_getpc14368)&4294967295
	s_addc_u32 s15, s15, (.LBB1_7234-.Lpost_getpc14368)>>32
	s_setpc_b64 s[14:15]
.LBB1_21572:
	v_mov_b32_e32 v2, 0
	v_cmp_ne_u16_sdwa s[8:9], v8, v2 src0_sel:BYTE_0 src1_sel:DWORD
	s_andn2_b64 s[4:5], s[4:5], exec
	s_and_b64 s[8:9], s[8:9], exec
	s_or_b64 s[4:5], s[4:5], s[8:9]
	s_or_b64 exec, exec, s[6:7]
	s_and_saveexec_b64 s[6:7], s[4:5]
	s_cbranch_execz .LBB1_32289
; %bb.57411:
	s_getpc_b64 s[14:15]
.Lpost_getpc14369:
	s_add_u32 s14, s14, (.LBB1_7235-.Lpost_getpc14369)&4294967295
	s_addc_u32 s15, s15, (.LBB1_7235-.Lpost_getpc14369)>>32
	s_setpc_b64 s[14:15]
.LBB1_32289:
	s_getpc_b64 s[14:15]
.Lpost_getpc1808:
	s_add_u32 s14, s14, (.LBB1_7236-.Lpost_getpc1808)&4294967295
	s_addc_u32 s15, s15, (.LBB1_7236-.Lpost_getpc1808)>>32
	s_setpc_b64 s[14:15]
.LBB1_21573:
	s_movk_i32 s4, 0x80
	v_cmp_eq_u16_sdwa s[12:13], v4, s4 src0_sel:BYTE_0 src1_sel:DWORD
	s_mov_b64 s[4:5], -1
                                        ; implicit-def: $sgpr10
	s_and_saveexec_b64 s[8:9], s[12:13]
; %bb.21574:
	s_mov_b32 s10, 0x7f800001
	s_xor_b64 s[4:5], exec, -1
; %bb.21575:
	s_or_b64 exec, exec, s[8:9]
	s_and_b64 s[4:5], s[4:5], exec
	s_or_saveexec_b64 s[6:7], s[6:7]
	v_mov_b32_e32 v3, s10
	s_xor_b64 exec, exec, s[6:7]
	s_cbranch_execnz .LBB1_21576
; %bb.57413:
	s_getpc_b64 s[14:15]
.Lpost_getpc14370:
	s_add_u32 s14, s14, (.LBB1_7238-.Lpost_getpc14370)&4294967295
	s_addc_u32 s15, s15, (.LBB1_7238-.Lpost_getpc14370)>>32
	s_setpc_b64 s[14:15]
.LBB1_21576:
	v_mov_b32_e32 v3, 0
	v_cmp_ne_u16_sdwa s[8:9], v4, v3 src0_sel:BYTE_0 src1_sel:DWORD
	s_andn2_b64 s[4:5], s[4:5], exec
	s_and_b64 s[8:9], s[8:9], exec
	s_or_b64 s[4:5], s[4:5], s[8:9]
	s_or_b64 exec, exec, s[6:7]
	s_and_saveexec_b64 s[6:7], s[4:5]
	s_cbranch_execz .LBB1_32291
; %bb.57415:
	s_getpc_b64 s[14:15]
.Lpost_getpc14371:
	s_add_u32 s14, s14, (.LBB1_7239-.Lpost_getpc14371)&4294967295
	s_addc_u32 s15, s15, (.LBB1_7239-.Lpost_getpc14371)>>32
	s_setpc_b64 s[14:15]
.LBB1_32291:
	s_getpc_b64 s[14:15]
.Lpost_getpc1809:
	s_add_u32 s14, s14, (.LBB1_7240-.Lpost_getpc1809)&4294967295
	s_addc_u32 s15, s15, (.LBB1_7240-.Lpost_getpc1809)>>32
	s_setpc_b64 s[14:15]
.LBB1_21577:
	s_movk_i32 s4, 0x80
	v_cmp_eq_u16_sdwa s[12:13], v3, s4 src0_sel:BYTE_0 src1_sel:DWORD
	s_mov_b64 s[4:5], -1
                                        ; implicit-def: $sgpr10
	s_and_saveexec_b64 s[8:9], s[12:13]
; %bb.21578:
	s_mov_b32 s10, 0x7f800001
	s_xor_b64 s[4:5], exec, -1
; %bb.21579:
	s_or_b64 exec, exec, s[8:9]
	s_and_b64 s[4:5], s[4:5], exec
	s_or_saveexec_b64 s[6:7], s[6:7]
	v_mov_b32_e32 v2, s10
	s_xor_b64 exec, exec, s[6:7]
	s_cbranch_execnz .LBB1_21580
; %bb.57417:
	s_getpc_b64 s[14:15]
.Lpost_getpc14372:
	s_add_u32 s14, s14, (.LBB1_7242-.Lpost_getpc14372)&4294967295
	s_addc_u32 s15, s15, (.LBB1_7242-.Lpost_getpc14372)>>32
	s_setpc_b64 s[14:15]
.LBB1_21580:
	v_mov_b32_e32 v2, 0
	v_cmp_ne_u16_sdwa s[8:9], v3, v2 src0_sel:BYTE_0 src1_sel:DWORD
	s_andn2_b64 s[4:5], s[4:5], exec
	s_and_b64 s[8:9], s[8:9], exec
	s_or_b64 s[4:5], s[4:5], s[8:9]
	s_or_b64 exec, exec, s[6:7]
	s_and_saveexec_b64 s[6:7], s[4:5]
	s_cbranch_execz .LBB1_32293
; %bb.57419:
	s_getpc_b64 s[14:15]
.Lpost_getpc14373:
	s_add_u32 s14, s14, (.LBB1_7243-.Lpost_getpc14373)&4294967295
	s_addc_u32 s15, s15, (.LBB1_7243-.Lpost_getpc14373)>>32
	s_setpc_b64 s[14:15]
.LBB1_32293:
	s_getpc_b64 s[14:15]
.Lpost_getpc1810:
	s_add_u32 s14, s14, (.LBB1_7244-.Lpost_getpc1810)&4294967295
	s_addc_u32 s15, s15, (.LBB1_7244-.Lpost_getpc1810)>>32
	s_setpc_b64 s[14:15]
.LBB1_21581:
	s_movk_i32 s4, 0x80
	v_cmp_eq_u16_sdwa s[12:13], v3, s4 src0_sel:BYTE_0 src1_sel:DWORD
	s_mov_b64 s[4:5], -1
                                        ; implicit-def: $sgpr10
	s_and_saveexec_b64 s[8:9], s[12:13]
; %bb.21582:
	s_mov_b32 s10, 0x7f800001
	s_xor_b64 s[4:5], exec, -1
; %bb.21583:
	s_or_b64 exec, exec, s[8:9]
	s_and_b64 s[4:5], s[4:5], exec
	s_or_saveexec_b64 s[6:7], s[6:7]
	v_mov_b32_e32 v6, s10
	s_xor_b64 exec, exec, s[6:7]
	s_cbranch_execnz .LBB1_21584
; %bb.57421:
	s_getpc_b64 s[14:15]
.Lpost_getpc14374:
	s_add_u32 s14, s14, (.LBB1_7246-.Lpost_getpc14374)&4294967295
	s_addc_u32 s15, s15, (.LBB1_7246-.Lpost_getpc14374)>>32
	s_setpc_b64 s[14:15]
.LBB1_21584:
	v_mov_b32_e32 v6, 0
	v_cmp_ne_u16_sdwa s[8:9], v3, v6 src0_sel:BYTE_0 src1_sel:DWORD
	s_andn2_b64 s[4:5], s[4:5], exec
	s_and_b64 s[8:9], s[8:9], exec
	s_or_b64 s[4:5], s[4:5], s[8:9]
	s_or_b64 exec, exec, s[6:7]
	s_and_saveexec_b64 s[6:7], s[4:5]
	s_cbranch_execz .LBB1_32295
; %bb.57423:
	s_getpc_b64 s[14:15]
.Lpost_getpc14375:
	s_add_u32 s14, s14, (.LBB1_7247-.Lpost_getpc14375)&4294967295
	s_addc_u32 s15, s15, (.LBB1_7247-.Lpost_getpc14375)>>32
	s_setpc_b64 s[14:15]
.LBB1_32295:
	s_getpc_b64 s[14:15]
.Lpost_getpc1811:
	s_add_u32 s14, s14, (.LBB1_7248-.Lpost_getpc1811)&4294967295
	s_addc_u32 s15, s15, (.LBB1_7248-.Lpost_getpc1811)>>32
	s_setpc_b64 s[14:15]
.LBB1_21585:
	s_movk_i32 s4, 0x80
	v_cmp_eq_u16_e32 vcc, s4, v3
	s_mov_b64 s[4:5], -1
                                        ; implicit-def: $sgpr10
	s_and_saveexec_b64 s[8:9], vcc
; %bb.21586:
	s_mov_b32 s10, 0x7f800001
	s_xor_b64 s[4:5], exec, -1
; %bb.21587:
	s_or_b64 exec, exec, s[8:9]
	s_and_b64 s[4:5], s[4:5], exec
                                        ; implicit-def: $vgpr3
	s_or_saveexec_b64 s[6:7], s[6:7]
	v_mov_b32_e32 v2, s10
	s_xor_b64 exec, exec, s[6:7]
	s_cbranch_execnz .LBB1_21588
; %bb.57425:
	s_getpc_b64 s[14:15]
.Lpost_getpc14376:
	s_add_u32 s14, s14, (.LBB1_7250-.Lpost_getpc14376)&4294967295
	s_addc_u32 s15, s15, (.LBB1_7250-.Lpost_getpc14376)>>32
	s_setpc_b64 s[14:15]
.LBB1_21588:
	v_cmp_ne_u16_e32 vcc, 0, v3
	s_andn2_b64 s[4:5], s[4:5], exec
	s_and_b64 s[8:9], vcc, exec
	v_mov_b32_e32 v2, 0
	s_or_b64 s[4:5], s[4:5], s[8:9]
	s_or_b64 exec, exec, s[6:7]
	s_and_saveexec_b64 s[6:7], s[4:5]
	s_cbranch_execz .LBB1_32297
; %bb.57427:
	s_getpc_b64 s[14:15]
.Lpost_getpc14377:
	s_add_u32 s14, s14, (.LBB1_7251-.Lpost_getpc14377)&4294967295
	s_addc_u32 s15, s15, (.LBB1_7251-.Lpost_getpc14377)>>32
	s_setpc_b64 s[14:15]
.LBB1_32297:
	s_getpc_b64 s[14:15]
.Lpost_getpc1812:
	s_add_u32 s14, s14, (.LBB1_7252-.Lpost_getpc1812)&4294967295
	s_addc_u32 s15, s15, (.LBB1_7252-.Lpost_getpc1812)>>32
	s_setpc_b64 s[14:15]
.LBB1_21589:
	s_movk_i32 s4, 0x80
	v_cmp_eq_u16_e32 vcc, s4, v3
	s_mov_b64 s[4:5], -1
                                        ; implicit-def: $sgpr10
	s_and_saveexec_b64 s[8:9], vcc
; %bb.21590:
	s_mov_b32 s10, 0x7f800001
	s_xor_b64 s[4:5], exec, -1
; %bb.21591:
	s_or_b64 exec, exec, s[8:9]
	s_and_b64 s[4:5], s[4:5], exec
                                        ; implicit-def: $vgpr3
	s_or_saveexec_b64 s[6:7], s[6:7]
	v_mov_b32_e32 v6, s10
	s_xor_b64 exec, exec, s[6:7]
	s_cbranch_execnz .LBB1_21592
; %bb.57429:
	s_getpc_b64 s[14:15]
.Lpost_getpc14378:
	s_add_u32 s14, s14, (.LBB1_7254-.Lpost_getpc14378)&4294967295
	s_addc_u32 s15, s15, (.LBB1_7254-.Lpost_getpc14378)>>32
	s_setpc_b64 s[14:15]
.LBB1_21592:
	v_cmp_ne_u16_e32 vcc, 0, v3
	s_andn2_b64 s[4:5], s[4:5], exec
	s_and_b64 s[8:9], vcc, exec
	v_mov_b32_e32 v6, 0
	s_or_b64 s[4:5], s[4:5], s[8:9]
	s_or_b64 exec, exec, s[6:7]
	s_and_saveexec_b64 s[6:7], s[4:5]
	s_cbranch_execz .LBB1_32299
; %bb.57431:
	s_getpc_b64 s[14:15]
.Lpost_getpc14379:
	s_add_u32 s14, s14, (.LBB1_7255-.Lpost_getpc14379)&4294967295
	s_addc_u32 s15, s15, (.LBB1_7255-.Lpost_getpc14379)>>32
	s_setpc_b64 s[14:15]
.LBB1_32299:
	s_getpc_b64 s[14:15]
.Lpost_getpc1813:
	s_add_u32 s14, s14, (.LBB1_7256-.Lpost_getpc1813)&4294967295
	s_addc_u32 s15, s15, (.LBB1_7256-.Lpost_getpc1813)>>32
	s_setpc_b64 s[14:15]
.LBB1_21593:
	s_movk_i32 s4, 0x80
	v_cmp_eq_u16_sdwa s[12:13], v8, s4 src0_sel:BYTE_3 src1_sel:DWORD
	s_mov_b64 s[4:5], -1
                                        ; implicit-def: $sgpr10
	s_and_saveexec_b64 s[8:9], s[12:13]
; %bb.21594:
	s_mov_b32 s10, 0x7f800001
	s_xor_b64 s[4:5], exec, -1
; %bb.21595:
	s_or_b64 exec, exec, s[8:9]
	s_and_b64 s[4:5], s[4:5], exec
	s_or_saveexec_b64 s[6:7], s[6:7]
	v_mov_b32_e32 v2, s10
	s_xor_b64 exec, exec, s[6:7]
	s_cbranch_execnz .LBB1_21596
; %bb.57433:
	s_getpc_b64 s[14:15]
.Lpost_getpc14380:
	s_add_u32 s14, s14, (.LBB1_7258-.Lpost_getpc14380)&4294967295
	s_addc_u32 s15, s15, (.LBB1_7258-.Lpost_getpc14380)>>32
	s_setpc_b64 s[14:15]
.LBB1_21596:
	v_mov_b32_e32 v2, 0
	v_cmp_ne_u16_sdwa s[8:9], v8, v2 src0_sel:BYTE_3 src1_sel:DWORD
	s_andn2_b64 s[4:5], s[4:5], exec
	s_and_b64 s[8:9], s[8:9], exec
	s_or_b64 s[4:5], s[4:5], s[8:9]
	s_or_b64 exec, exec, s[6:7]
	s_and_saveexec_b64 s[6:7], s[4:5]
	s_cbranch_execz .LBB1_32301
; %bb.57435:
	s_getpc_b64 s[14:15]
.Lpost_getpc14381:
	s_add_u32 s14, s14, (.LBB1_7259-.Lpost_getpc14381)&4294967295
	s_addc_u32 s15, s15, (.LBB1_7259-.Lpost_getpc14381)>>32
	s_setpc_b64 s[14:15]
.LBB1_32301:
	s_getpc_b64 s[14:15]
.Lpost_getpc1814:
	s_add_u32 s14, s14, (.LBB1_7260-.Lpost_getpc1814)&4294967295
	s_addc_u32 s15, s15, (.LBB1_7260-.Lpost_getpc1814)>>32
	s_setpc_b64 s[14:15]
.LBB1_21597:
	s_movk_i32 s4, 0x80
	v_cmp_eq_u16_sdwa s[12:13], v4, s4 src0_sel:BYTE_3 src1_sel:DWORD
	s_mov_b64 s[4:5], -1
                                        ; implicit-def: $sgpr10
	s_and_saveexec_b64 s[8:9], s[12:13]
; %bb.21598:
	s_mov_b32 s10, 0x7f800001
	s_xor_b64 s[4:5], exec, -1
; %bb.21599:
	s_or_b64 exec, exec, s[8:9]
	s_and_b64 s[4:5], s[4:5], exec
	s_or_saveexec_b64 s[6:7], s[6:7]
	v_mov_b32_e32 v3, s10
	s_xor_b64 exec, exec, s[6:7]
	s_cbranch_execnz .LBB1_21600
; %bb.57437:
	s_getpc_b64 s[14:15]
.Lpost_getpc14382:
	s_add_u32 s14, s14, (.LBB1_7262-.Lpost_getpc14382)&4294967295
	s_addc_u32 s15, s15, (.LBB1_7262-.Lpost_getpc14382)>>32
	s_setpc_b64 s[14:15]
.LBB1_21600:
	v_mov_b32_e32 v3, 0
	v_cmp_ne_u16_sdwa s[8:9], v4, v3 src0_sel:BYTE_3 src1_sel:DWORD
	s_andn2_b64 s[4:5], s[4:5], exec
	s_and_b64 s[8:9], s[8:9], exec
	s_or_b64 s[4:5], s[4:5], s[8:9]
	s_or_b64 exec, exec, s[6:7]
	s_and_saveexec_b64 s[6:7], s[4:5]
	s_cbranch_execz .LBB1_32303
; %bb.57439:
	s_getpc_b64 s[14:15]
.Lpost_getpc14383:
	s_add_u32 s14, s14, (.LBB1_7263-.Lpost_getpc14383)&4294967295
	s_addc_u32 s15, s15, (.LBB1_7263-.Lpost_getpc14383)>>32
	s_setpc_b64 s[14:15]
.LBB1_32303:
	s_getpc_b64 s[14:15]
.Lpost_getpc1815:
	s_add_u32 s14, s14, (.LBB1_7264-.Lpost_getpc1815)&4294967295
	s_addc_u32 s15, s15, (.LBB1_7264-.Lpost_getpc1815)>>32
	s_setpc_b64 s[14:15]
.LBB1_21601:
	s_movk_i32 s4, 0x80
	v_cmp_eq_u16_sdwa s[12:13], v9, s4 src0_sel:BYTE_0 src1_sel:DWORD
	s_mov_b64 s[4:5], -1
                                        ; implicit-def: $sgpr10
	s_and_saveexec_b64 s[8:9], s[12:13]
; %bb.21602:
	s_mov_b32 s10, 0x7f800001
	s_xor_b64 s[4:5], exec, -1
; %bb.21603:
	s_or_b64 exec, exec, s[8:9]
	s_and_b64 s[4:5], s[4:5], exec
	s_or_saveexec_b64 s[6:7], s[6:7]
	v_mov_b32_e32 v2, s10
	s_xor_b64 exec, exec, s[6:7]
	s_cbranch_execnz .LBB1_21604
; %bb.57441:
	s_getpc_b64 s[14:15]
.Lpost_getpc14384:
	s_add_u32 s14, s14, (.LBB1_7266-.Lpost_getpc14384)&4294967295
	s_addc_u32 s15, s15, (.LBB1_7266-.Lpost_getpc14384)>>32
	s_setpc_b64 s[14:15]
.LBB1_21604:
	v_mov_b32_e32 v2, 0
	v_cmp_ne_u16_sdwa s[8:9], v9, v2 src0_sel:BYTE_0 src1_sel:DWORD
	s_andn2_b64 s[4:5], s[4:5], exec
	s_and_b64 s[8:9], s[8:9], exec
	s_or_b64 s[4:5], s[4:5], s[8:9]
	s_or_b64 exec, exec, s[6:7]
	s_and_saveexec_b64 s[6:7], s[4:5]
	s_cbranch_execz .LBB1_32305
; %bb.57443:
	s_getpc_b64 s[14:15]
.Lpost_getpc14385:
	s_add_u32 s14, s14, (.LBB1_7267-.Lpost_getpc14385)&4294967295
	s_addc_u32 s15, s15, (.LBB1_7267-.Lpost_getpc14385)>>32
	s_setpc_b64 s[14:15]
.LBB1_32305:
	s_getpc_b64 s[14:15]
.Lpost_getpc1816:
	s_add_u32 s14, s14, (.LBB1_7268-.Lpost_getpc1816)&4294967295
	s_addc_u32 s15, s15, (.LBB1_7268-.Lpost_getpc1816)>>32
	s_setpc_b64 s[14:15]
.LBB1_21605:
	s_movk_i32 s4, 0x80
	v_cmp_eq_u16_sdwa s[12:13], v5, s4 src0_sel:BYTE_0 src1_sel:DWORD
	s_mov_b64 s[4:5], -1
                                        ; implicit-def: $sgpr10
	s_and_saveexec_b64 s[8:9], s[12:13]
; %bb.21606:
	s_mov_b32 s10, 0x7f800001
	s_xor_b64 s[4:5], exec, -1
; %bb.21607:
	s_or_b64 exec, exec, s[8:9]
	s_and_b64 s[4:5], s[4:5], exec
	s_or_saveexec_b64 s[6:7], s[6:7]
	v_mov_b32_e32 v3, s10
	s_xor_b64 exec, exec, s[6:7]
	s_cbranch_execnz .LBB1_21608
; %bb.57445:
	s_getpc_b64 s[14:15]
.Lpost_getpc14386:
	s_add_u32 s14, s14, (.LBB1_7270-.Lpost_getpc14386)&4294967295
	s_addc_u32 s15, s15, (.LBB1_7270-.Lpost_getpc14386)>>32
	s_setpc_b64 s[14:15]
.LBB1_21608:
	v_mov_b32_e32 v3, 0
	v_cmp_ne_u16_sdwa s[8:9], v5, v3 src0_sel:BYTE_0 src1_sel:DWORD
	s_andn2_b64 s[4:5], s[4:5], exec
	s_and_b64 s[8:9], s[8:9], exec
	s_or_b64 s[4:5], s[4:5], s[8:9]
	s_or_b64 exec, exec, s[6:7]
	s_and_saveexec_b64 s[6:7], s[4:5]
	s_cbranch_execz .LBB1_32307
; %bb.57447:
	s_getpc_b64 s[14:15]
.Lpost_getpc14387:
	s_add_u32 s14, s14, (.LBB1_7271-.Lpost_getpc14387)&4294967295
	s_addc_u32 s15, s15, (.LBB1_7271-.Lpost_getpc14387)>>32
	s_setpc_b64 s[14:15]
.LBB1_32307:
	s_getpc_b64 s[14:15]
.Lpost_getpc1817:
	s_add_u32 s14, s14, (.LBB1_7272-.Lpost_getpc1817)&4294967295
	s_addc_u32 s15, s15, (.LBB1_7272-.Lpost_getpc1817)>>32
	s_setpc_b64 s[14:15]
.LBB1_21609:
	s_movk_i32 s4, 0x80
	v_cmp_eq_u16_sdwa s[12:13], v3, s4 src0_sel:BYTE_0 src1_sel:DWORD
	s_mov_b64 s[4:5], -1
                                        ; implicit-def: $sgpr10
	s_and_saveexec_b64 s[8:9], s[12:13]
; %bb.21610:
	s_mov_b32 s10, 0x7f800001
	s_xor_b64 s[4:5], exec, -1
; %bb.21611:
	s_or_b64 exec, exec, s[8:9]
	s_and_b64 s[4:5], s[4:5], exec
	s_or_saveexec_b64 s[6:7], s[6:7]
	v_mov_b32_e32 v2, s10
	s_xor_b64 exec, exec, s[6:7]
	s_cbranch_execnz .LBB1_21612
; %bb.57449:
	s_getpc_b64 s[14:15]
.Lpost_getpc14388:
	s_add_u32 s14, s14, (.LBB1_7274-.Lpost_getpc14388)&4294967295
	s_addc_u32 s15, s15, (.LBB1_7274-.Lpost_getpc14388)>>32
	s_setpc_b64 s[14:15]
.LBB1_21612:
	v_mov_b32_e32 v2, 0
	v_cmp_ne_u16_sdwa s[8:9], v3, v2 src0_sel:BYTE_0 src1_sel:DWORD
	s_andn2_b64 s[4:5], s[4:5], exec
	s_and_b64 s[8:9], s[8:9], exec
	s_or_b64 s[4:5], s[4:5], s[8:9]
	s_or_b64 exec, exec, s[6:7]
	s_and_saveexec_b64 s[6:7], s[4:5]
	s_cbranch_execz .LBB1_32309
; %bb.57451:
	s_getpc_b64 s[14:15]
.Lpost_getpc14389:
	s_add_u32 s14, s14, (.LBB1_7275-.Lpost_getpc14389)&4294967295
	s_addc_u32 s15, s15, (.LBB1_7275-.Lpost_getpc14389)>>32
	s_setpc_b64 s[14:15]
.LBB1_32309:
	s_getpc_b64 s[14:15]
.Lpost_getpc1818:
	s_add_u32 s14, s14, (.LBB1_7276-.Lpost_getpc1818)&4294967295
	s_addc_u32 s15, s15, (.LBB1_7276-.Lpost_getpc1818)>>32
	s_setpc_b64 s[14:15]
.LBB1_21613:
	s_movk_i32 s4, 0x80
	v_cmp_eq_u16_sdwa s[12:13], v3, s4 src0_sel:BYTE_0 src1_sel:DWORD
	s_mov_b64 s[4:5], -1
                                        ; implicit-def: $sgpr10
	s_and_saveexec_b64 s[8:9], s[12:13]
; %bb.21614:
	s_mov_b32 s10, 0x7f800001
	s_xor_b64 s[4:5], exec, -1
; %bb.21615:
	s_or_b64 exec, exec, s[8:9]
	s_and_b64 s[4:5], s[4:5], exec
	s_or_saveexec_b64 s[6:7], s[6:7]
	v_mov_b32_e32 v4, s10
	s_xor_b64 exec, exec, s[6:7]
	s_cbranch_execnz .LBB1_21616
; %bb.57453:
	s_getpc_b64 s[14:15]
.Lpost_getpc14390:
	s_add_u32 s14, s14, (.LBB1_7278-.Lpost_getpc14390)&4294967295
	s_addc_u32 s15, s15, (.LBB1_7278-.Lpost_getpc14390)>>32
	s_setpc_b64 s[14:15]
.LBB1_21616:
	v_mov_b32_e32 v4, 0
	v_cmp_ne_u16_sdwa s[8:9], v3, v4 src0_sel:BYTE_0 src1_sel:DWORD
	s_andn2_b64 s[4:5], s[4:5], exec
	s_and_b64 s[8:9], s[8:9], exec
	s_or_b64 s[4:5], s[4:5], s[8:9]
	s_or_b64 exec, exec, s[6:7]
	s_and_saveexec_b64 s[6:7], s[4:5]
	s_cbranch_execz .LBB1_32311
; %bb.57455:
	s_getpc_b64 s[14:15]
.Lpost_getpc14391:
	s_add_u32 s14, s14, (.LBB1_7279-.Lpost_getpc14391)&4294967295
	s_addc_u32 s15, s15, (.LBB1_7279-.Lpost_getpc14391)>>32
	s_setpc_b64 s[14:15]
.LBB1_32311:
	s_getpc_b64 s[14:15]
.Lpost_getpc1819:
	s_add_u32 s14, s14, (.LBB1_7280-.Lpost_getpc1819)&4294967295
	s_addc_u32 s15, s15, (.LBB1_7280-.Lpost_getpc1819)>>32
	s_setpc_b64 s[14:15]
.LBB1_21617:
	s_movk_i32 s4, 0x80
	v_cmp_eq_u16_e32 vcc, s4, v3
	s_mov_b64 s[4:5], -1
                                        ; implicit-def: $sgpr10
	s_and_saveexec_b64 s[8:9], vcc
; %bb.21618:
	s_mov_b32 s10, 0x7f800001
	s_xor_b64 s[4:5], exec, -1
; %bb.21619:
	s_or_b64 exec, exec, s[8:9]
	s_and_b64 s[4:5], s[4:5], exec
                                        ; implicit-def: $vgpr3
	s_or_saveexec_b64 s[6:7], s[6:7]
	v_mov_b32_e32 v2, s10
	s_xor_b64 exec, exec, s[6:7]
	s_cbranch_execnz .LBB1_21620
; %bb.57457:
	s_getpc_b64 s[14:15]
.Lpost_getpc14392:
	s_add_u32 s14, s14, (.LBB1_7282-.Lpost_getpc14392)&4294967295
	s_addc_u32 s15, s15, (.LBB1_7282-.Lpost_getpc14392)>>32
	s_setpc_b64 s[14:15]
.LBB1_21620:
	v_cmp_ne_u16_e32 vcc, 0, v3
	s_andn2_b64 s[4:5], s[4:5], exec
	s_and_b64 s[8:9], vcc, exec
	v_mov_b32_e32 v2, 0
	s_or_b64 s[4:5], s[4:5], s[8:9]
	s_or_b64 exec, exec, s[6:7]
	s_and_saveexec_b64 s[6:7], s[4:5]
	s_cbranch_execz .LBB1_32313
; %bb.57459:
	s_getpc_b64 s[14:15]
.Lpost_getpc14393:
	s_add_u32 s14, s14, (.LBB1_7283-.Lpost_getpc14393)&4294967295
	s_addc_u32 s15, s15, (.LBB1_7283-.Lpost_getpc14393)>>32
	s_setpc_b64 s[14:15]
.LBB1_32313:
	s_getpc_b64 s[14:15]
.Lpost_getpc1820:
	s_add_u32 s14, s14, (.LBB1_7284-.Lpost_getpc1820)&4294967295
	s_addc_u32 s15, s15, (.LBB1_7284-.Lpost_getpc1820)>>32
	s_setpc_b64 s[14:15]
.LBB1_21621:
	s_movk_i32 s4, 0x80
	v_cmp_eq_u16_e32 vcc, s4, v3
	s_mov_b64 s[4:5], -1
                                        ; implicit-def: $sgpr10
	s_and_saveexec_b64 s[8:9], vcc
; %bb.21622:
	s_mov_b32 s10, 0x7f800001
	s_xor_b64 s[4:5], exec, -1
; %bb.21623:
	s_or_b64 exec, exec, s[8:9]
	s_and_b64 s[4:5], s[4:5], exec
                                        ; implicit-def: $vgpr3
	s_or_saveexec_b64 s[6:7], s[6:7]
	v_mov_b32_e32 v4, s10
	s_xor_b64 exec, exec, s[6:7]
	s_cbranch_execnz .LBB1_21624
; %bb.57461:
	s_getpc_b64 s[14:15]
.Lpost_getpc14394:
	s_add_u32 s14, s14, (.LBB1_7286-.Lpost_getpc14394)&4294967295
	s_addc_u32 s15, s15, (.LBB1_7286-.Lpost_getpc14394)>>32
	s_setpc_b64 s[14:15]
.LBB1_21624:
	v_cmp_ne_u16_e32 vcc, 0, v3
	s_andn2_b64 s[4:5], s[4:5], exec
	s_and_b64 s[8:9], vcc, exec
	v_mov_b32_e32 v4, 0
	s_or_b64 s[4:5], s[4:5], s[8:9]
	s_or_b64 exec, exec, s[6:7]
	s_and_saveexec_b64 s[6:7], s[4:5]
	s_cbranch_execz .LBB1_32315
; %bb.57463:
	s_getpc_b64 s[14:15]
.Lpost_getpc14395:
	s_add_u32 s14, s14, (.LBB1_7287-.Lpost_getpc14395)&4294967295
	s_addc_u32 s15, s15, (.LBB1_7287-.Lpost_getpc14395)>>32
	s_setpc_b64 s[14:15]
.LBB1_32315:
	s_getpc_b64 s[14:15]
.Lpost_getpc1821:
	s_add_u32 s14, s14, (.LBB1_7288-.Lpost_getpc1821)&4294967295
	s_addc_u32 s15, s15, (.LBB1_7288-.Lpost_getpc1821)>>32
	s_setpc_b64 s[14:15]
.LBB1_21625:
	s_movk_i32 s4, 0x80
	v_cmp_eq_u16_sdwa s[12:13], v9, s4 src0_sel:BYTE_3 src1_sel:DWORD
	s_mov_b64 s[4:5], -1
                                        ; implicit-def: $sgpr10
	s_and_saveexec_b64 s[8:9], s[12:13]
; %bb.21626:
	s_mov_b32 s10, 0x7f800001
	s_xor_b64 s[4:5], exec, -1
; %bb.21627:
	s_or_b64 exec, exec, s[8:9]
	s_and_b64 s[4:5], s[4:5], exec
	s_or_saveexec_b64 s[6:7], s[6:7]
	v_mov_b32_e32 v2, s10
	s_xor_b64 exec, exec, s[6:7]
	s_cbranch_execnz .LBB1_21628
; %bb.57465:
	s_getpc_b64 s[14:15]
.Lpost_getpc14396:
	s_add_u32 s14, s14, (.LBB1_7290-.Lpost_getpc14396)&4294967295
	s_addc_u32 s15, s15, (.LBB1_7290-.Lpost_getpc14396)>>32
	s_setpc_b64 s[14:15]
.LBB1_21628:
	v_mov_b32_e32 v2, 0
	v_cmp_ne_u16_sdwa s[8:9], v9, v2 src0_sel:BYTE_3 src1_sel:DWORD
	s_andn2_b64 s[4:5], s[4:5], exec
	s_and_b64 s[8:9], s[8:9], exec
	s_or_b64 s[4:5], s[4:5], s[8:9]
	s_or_b64 exec, exec, s[6:7]
	s_and_saveexec_b64 s[6:7], s[4:5]
	s_cbranch_execz .LBB1_32317
; %bb.57467:
	s_getpc_b64 s[14:15]
.Lpost_getpc14397:
	s_add_u32 s14, s14, (.LBB1_7291-.Lpost_getpc14397)&4294967295
	s_addc_u32 s15, s15, (.LBB1_7291-.Lpost_getpc14397)>>32
	s_setpc_b64 s[14:15]
.LBB1_32317:
	s_getpc_b64 s[14:15]
.Lpost_getpc1822:
	s_add_u32 s14, s14, (.LBB1_7292-.Lpost_getpc1822)&4294967295
	s_addc_u32 s15, s15, (.LBB1_7292-.Lpost_getpc1822)>>32
	s_setpc_b64 s[14:15]
.LBB1_21629:
	s_movk_i32 s4, 0x80
	v_cmp_eq_u16_sdwa s[12:13], v5, s4 src0_sel:BYTE_3 src1_sel:DWORD
	s_mov_b64 s[4:5], -1
                                        ; implicit-def: $sgpr10
	s_and_saveexec_b64 s[8:9], s[12:13]
; %bb.21630:
	s_mov_b32 s10, 0x7f800001
	s_xor_b64 s[4:5], exec, -1
; %bb.21631:
	s_or_b64 exec, exec, s[8:9]
	s_and_b64 s[4:5], s[4:5], exec
	s_or_saveexec_b64 s[6:7], s[6:7]
	v_mov_b32_e32 v3, s10
	s_xor_b64 exec, exec, s[6:7]
	s_cbranch_execnz .LBB1_21632
; %bb.57469:
	s_getpc_b64 s[14:15]
.Lpost_getpc14398:
	s_add_u32 s14, s14, (.LBB1_7294-.Lpost_getpc14398)&4294967295
	s_addc_u32 s15, s15, (.LBB1_7294-.Lpost_getpc14398)>>32
	s_setpc_b64 s[14:15]
.LBB1_21632:
	v_mov_b32_e32 v3, 0
	v_cmp_ne_u16_sdwa s[8:9], v5, v3 src0_sel:BYTE_3 src1_sel:DWORD
	s_andn2_b64 s[4:5], s[4:5], exec
	s_and_b64 s[8:9], s[8:9], exec
	s_or_b64 s[4:5], s[4:5], s[8:9]
	s_or_b64 exec, exec, s[6:7]
	s_and_saveexec_b64 s[6:7], s[4:5]
	s_cbranch_execz .LBB1_32319
; %bb.57471:
	s_getpc_b64 s[14:15]
.Lpost_getpc14399:
	s_add_u32 s14, s14, (.LBB1_7295-.Lpost_getpc14399)&4294967295
	s_addc_u32 s15, s15, (.LBB1_7295-.Lpost_getpc14399)>>32
	s_setpc_b64 s[14:15]
.LBB1_32319:
	s_getpc_b64 s[14:15]
.Lpost_getpc1823:
	s_add_u32 s14, s14, (.LBB1_7296-.Lpost_getpc1823)&4294967295
	s_addc_u32 s15, s15, (.LBB1_7296-.Lpost_getpc1823)>>32
	s_setpc_b64 s[14:15]
.LBB1_21633:
	s_movk_i32 s4, 0x80
	v_cmp_eq_u16_sdwa s[12:13], v6, s4 src0_sel:BYTE_0 src1_sel:DWORD
	s_mov_b64 s[4:5], -1
                                        ; implicit-def: $sgpr10
	s_and_saveexec_b64 s[8:9], s[12:13]
; %bb.21634:
	s_mov_b32 s10, 0x7f800001
	s_xor_b64 s[4:5], exec, -1
; %bb.21635:
	s_or_b64 exec, exec, s[8:9]
	s_and_b64 s[4:5], s[4:5], exec
	s_or_saveexec_b64 s[6:7], s[6:7]
	v_mov_b32_e32 v12, s10
	s_xor_b64 exec, exec, s[6:7]
	s_cbranch_execnz .LBB1_21636
; %bb.57473:
	s_getpc_b64 s[14:15]
.Lpost_getpc14400:
	s_add_u32 s14, s14, (.LBB1_7298-.Lpost_getpc14400)&4294967295
	s_addc_u32 s15, s15, (.LBB1_7298-.Lpost_getpc14400)>>32
	s_setpc_b64 s[14:15]
.LBB1_21636:
	v_mov_b32_e32 v12, 0
	v_cmp_ne_u16_sdwa s[8:9], v6, v12 src0_sel:BYTE_0 src1_sel:DWORD
	s_andn2_b64 s[4:5], s[4:5], exec
	s_and_b64 s[8:9], s[8:9], exec
	s_or_b64 s[4:5], s[4:5], s[8:9]
	s_or_b64 exec, exec, s[6:7]
	s_and_saveexec_b64 s[6:7], s[4:5]
	s_cbranch_execz .LBB1_32321
; %bb.57475:
	s_getpc_b64 s[14:15]
.Lpost_getpc14401:
	s_add_u32 s14, s14, (.LBB1_7299-.Lpost_getpc14401)&4294967295
	s_addc_u32 s15, s15, (.LBB1_7299-.Lpost_getpc14401)>>32
	s_setpc_b64 s[14:15]
.LBB1_32321:
	s_getpc_b64 s[14:15]
.Lpost_getpc1824:
	s_add_u32 s14, s14, (.LBB1_7300-.Lpost_getpc1824)&4294967295
	s_addc_u32 s15, s15, (.LBB1_7300-.Lpost_getpc1824)>>32
	s_setpc_b64 s[14:15]
.LBB1_21637:
	s_movk_i32 s4, 0x80
	v_cmp_eq_u16_sdwa s[12:13], v2, s4 src0_sel:BYTE_0 src1_sel:DWORD
	s_mov_b64 s[4:5], -1
                                        ; implicit-def: $sgpr10
	s_and_saveexec_b64 s[8:9], s[12:13]
; %bb.21638:
	s_mov_b32 s10, 0x7f800001
	s_xor_b64 s[4:5], exec, -1
; %bb.21639:
	s_or_b64 exec, exec, s[8:9]
	s_and_b64 s[4:5], s[4:5], exec
	s_or_saveexec_b64 s[6:7], s[6:7]
	v_mov_b32_e32 v13, s10
	s_xor_b64 exec, exec, s[6:7]
	s_cbranch_execnz .LBB1_21640
; %bb.57477:
	s_getpc_b64 s[14:15]
.Lpost_getpc14402:
	s_add_u32 s14, s14, (.LBB1_7302-.Lpost_getpc14402)&4294967295
	s_addc_u32 s15, s15, (.LBB1_7302-.Lpost_getpc14402)>>32
	s_setpc_b64 s[14:15]
.LBB1_21640:
	v_mov_b32_e32 v13, 0
	v_cmp_ne_u16_sdwa s[8:9], v2, v13 src0_sel:BYTE_0 src1_sel:DWORD
	s_andn2_b64 s[4:5], s[4:5], exec
	s_and_b64 s[8:9], s[8:9], exec
	s_or_b64 s[4:5], s[4:5], s[8:9]
	s_or_b64 exec, exec, s[6:7]
	s_and_saveexec_b64 s[6:7], s[4:5]
	s_cbranch_execz .LBB1_32323
; %bb.57479:
	s_getpc_b64 s[14:15]
.Lpost_getpc14403:
	s_add_u32 s14, s14, (.LBB1_7303-.Lpost_getpc14403)&4294967295
	s_addc_u32 s15, s15, (.LBB1_7303-.Lpost_getpc14403)>>32
	s_setpc_b64 s[14:15]
.LBB1_32323:
	s_getpc_b64 s[14:15]
.Lpost_getpc1825:
	s_add_u32 s14, s14, (.LBB1_7304-.Lpost_getpc1825)&4294967295
	s_addc_u32 s15, s15, (.LBB1_7304-.Lpost_getpc1825)>>32
	s_setpc_b64 s[14:15]
.LBB1_21641:
	s_movk_i32 s4, 0x80
	v_cmp_eq_u16_sdwa s[12:13], v13, s4 src0_sel:BYTE_0 src1_sel:DWORD
	s_mov_b64 s[4:5], -1
                                        ; implicit-def: $sgpr10
	s_and_saveexec_b64 s[8:9], s[12:13]
; %bb.21642:
	s_mov_b32 s10, 0x7f800001
	s_xor_b64 s[4:5], exec, -1
; %bb.21643:
	s_or_b64 exec, exec, s[8:9]
	s_and_b64 s[4:5], s[4:5], exec
	s_or_saveexec_b64 s[6:7], s[6:7]
	v_mov_b32_e32 v12, s10
	s_xor_b64 exec, exec, s[6:7]
	s_cbranch_execnz .LBB1_21644
; %bb.57481:
	s_getpc_b64 s[14:15]
.Lpost_getpc14404:
	s_add_u32 s14, s14, (.LBB1_7306-.Lpost_getpc14404)&4294967295
	s_addc_u32 s15, s15, (.LBB1_7306-.Lpost_getpc14404)>>32
	s_setpc_b64 s[14:15]
.LBB1_21644:
	v_mov_b32_e32 v12, 0
	v_cmp_ne_u16_sdwa s[8:9], v13, v12 src0_sel:BYTE_0 src1_sel:DWORD
	s_andn2_b64 s[4:5], s[4:5], exec
	s_and_b64 s[8:9], s[8:9], exec
	s_or_b64 s[4:5], s[4:5], s[8:9]
	s_or_b64 exec, exec, s[6:7]
	s_and_saveexec_b64 s[6:7], s[4:5]
	s_cbranch_execz .LBB1_32325
; %bb.57483:
	s_getpc_b64 s[14:15]
.Lpost_getpc14405:
	s_add_u32 s14, s14, (.LBB1_7307-.Lpost_getpc14405)&4294967295
	s_addc_u32 s15, s15, (.LBB1_7307-.Lpost_getpc14405)>>32
	s_setpc_b64 s[14:15]
.LBB1_32325:
	s_getpc_b64 s[14:15]
.Lpost_getpc1826:
	s_add_u32 s14, s14, (.LBB1_7308-.Lpost_getpc1826)&4294967295
	s_addc_u32 s15, s15, (.LBB1_7308-.Lpost_getpc1826)>>32
	s_setpc_b64 s[14:15]
.LBB1_21645:
	s_movk_i32 s4, 0x80
	v_cmp_eq_u16_sdwa s[12:13], v13, s4 src0_sel:BYTE_0 src1_sel:DWORD
	s_mov_b64 s[4:5], -1
                                        ; implicit-def: $sgpr10
	s_and_saveexec_b64 s[8:9], s[12:13]
; %bb.21646:
	s_mov_b32 s10, 0x7f800001
	s_xor_b64 s[4:5], exec, -1
; %bb.21647:
	s_or_b64 exec, exec, s[8:9]
	s_and_b64 s[4:5], s[4:5], exec
	s_or_saveexec_b64 s[6:7], s[6:7]
	v_mov_b32_e32 v14, s10
	s_xor_b64 exec, exec, s[6:7]
	s_cbranch_execnz .LBB1_21648
; %bb.57485:
	s_getpc_b64 s[14:15]
.Lpost_getpc14406:
	s_add_u32 s14, s14, (.LBB1_7310-.Lpost_getpc14406)&4294967295
	s_addc_u32 s15, s15, (.LBB1_7310-.Lpost_getpc14406)>>32
	s_setpc_b64 s[14:15]
.LBB1_21648:
	v_mov_b32_e32 v14, 0
	v_cmp_ne_u16_sdwa s[8:9], v13, v14 src0_sel:BYTE_0 src1_sel:DWORD
	s_andn2_b64 s[4:5], s[4:5], exec
	s_and_b64 s[8:9], s[8:9], exec
	s_or_b64 s[4:5], s[4:5], s[8:9]
	s_or_b64 exec, exec, s[6:7]
	s_and_saveexec_b64 s[6:7], s[4:5]
	s_cbranch_execz .LBB1_32327
; %bb.57487:
	s_getpc_b64 s[14:15]
.Lpost_getpc14407:
	s_add_u32 s14, s14, (.LBB1_7311-.Lpost_getpc14407)&4294967295
	s_addc_u32 s15, s15, (.LBB1_7311-.Lpost_getpc14407)>>32
	s_setpc_b64 s[14:15]
.LBB1_32327:
	s_getpc_b64 s[14:15]
.Lpost_getpc1827:
	s_add_u32 s14, s14, (.LBB1_7312-.Lpost_getpc1827)&4294967295
	s_addc_u32 s15, s15, (.LBB1_7312-.Lpost_getpc1827)>>32
	s_setpc_b64 s[14:15]
.LBB1_21649:
	s_movk_i32 s4, 0x80
	v_cmp_eq_u16_e32 vcc, s4, v13
	s_mov_b64 s[4:5], -1
                                        ; implicit-def: $sgpr10
	s_and_saveexec_b64 s[8:9], vcc
; %bb.21650:
	s_mov_b32 s10, 0x7f800001
	s_xor_b64 s[4:5], exec, -1
; %bb.21651:
	s_or_b64 exec, exec, s[8:9]
	s_and_b64 s[4:5], s[4:5], exec
                                        ; implicit-def: $vgpr13
	s_or_saveexec_b64 s[6:7], s[6:7]
	v_mov_b32_e32 v12, s10
	s_xor_b64 exec, exec, s[6:7]
	s_cbranch_execnz .LBB1_21652
; %bb.57489:
	s_getpc_b64 s[14:15]
.Lpost_getpc14408:
	s_add_u32 s14, s14, (.LBB1_7314-.Lpost_getpc14408)&4294967295
	s_addc_u32 s15, s15, (.LBB1_7314-.Lpost_getpc14408)>>32
	s_setpc_b64 s[14:15]
.LBB1_21652:
	v_cmp_ne_u16_e32 vcc, 0, v13
	s_andn2_b64 s[4:5], s[4:5], exec
	s_and_b64 s[8:9], vcc, exec
	v_mov_b32_e32 v12, 0
	s_or_b64 s[4:5], s[4:5], s[8:9]
	s_or_b64 exec, exec, s[6:7]
	s_and_saveexec_b64 s[6:7], s[4:5]
	s_cbranch_execz .LBB1_32329
; %bb.57491:
	s_getpc_b64 s[14:15]
.Lpost_getpc14409:
	s_add_u32 s14, s14, (.LBB1_7315-.Lpost_getpc14409)&4294967295
	s_addc_u32 s15, s15, (.LBB1_7315-.Lpost_getpc14409)>>32
	s_setpc_b64 s[14:15]
.LBB1_32329:
	s_getpc_b64 s[14:15]
.Lpost_getpc1828:
	s_add_u32 s14, s14, (.LBB1_7316-.Lpost_getpc1828)&4294967295
	s_addc_u32 s15, s15, (.LBB1_7316-.Lpost_getpc1828)>>32
	s_setpc_b64 s[14:15]
.LBB1_21653:
	s_movk_i32 s4, 0x80
	v_cmp_eq_u16_e32 vcc, s4, v13
	s_mov_b64 s[4:5], -1
                                        ; implicit-def: $sgpr10
	s_and_saveexec_b64 s[8:9], vcc
; %bb.21654:
	s_mov_b32 s10, 0x7f800001
	s_xor_b64 s[4:5], exec, -1
; %bb.21655:
	s_or_b64 exec, exec, s[8:9]
	s_and_b64 s[4:5], s[4:5], exec
                                        ; implicit-def: $vgpr13
	s_or_saveexec_b64 s[6:7], s[6:7]
	v_mov_b32_e32 v14, s10
	s_xor_b64 exec, exec, s[6:7]
	s_cbranch_execnz .LBB1_21656
; %bb.57493:
	s_getpc_b64 s[14:15]
.Lpost_getpc14410:
	s_add_u32 s14, s14, (.LBB1_7318-.Lpost_getpc14410)&4294967295
	s_addc_u32 s15, s15, (.LBB1_7318-.Lpost_getpc14410)>>32
	s_setpc_b64 s[14:15]
.LBB1_21656:
	v_cmp_ne_u16_e32 vcc, 0, v13
	s_andn2_b64 s[4:5], s[4:5], exec
	s_and_b64 s[8:9], vcc, exec
	v_mov_b32_e32 v14, 0
	s_or_b64 s[4:5], s[4:5], s[8:9]
	s_or_b64 exec, exec, s[6:7]
	s_and_saveexec_b64 s[6:7], s[4:5]
	s_cbranch_execz .LBB1_32331
; %bb.57495:
	s_getpc_b64 s[14:15]
.Lpost_getpc14411:
	s_add_u32 s14, s14, (.LBB1_7319-.Lpost_getpc14411)&4294967295
	s_addc_u32 s15, s15, (.LBB1_7319-.Lpost_getpc14411)>>32
	s_setpc_b64 s[14:15]
.LBB1_32331:
	s_getpc_b64 s[14:15]
.Lpost_getpc1829:
	s_add_u32 s14, s14, (.LBB1_7320-.Lpost_getpc1829)&4294967295
	s_addc_u32 s15, s15, (.LBB1_7320-.Lpost_getpc1829)>>32
	s_setpc_b64 s[14:15]
.LBB1_21657:
	s_movk_i32 s4, 0x80
	v_cmp_eq_u16_sdwa s[12:13], v6, s4 src0_sel:BYTE_3 src1_sel:DWORD
	s_mov_b64 s[4:5], -1
                                        ; implicit-def: $sgpr10
	s_and_saveexec_b64 s[8:9], s[12:13]
; %bb.21658:
	s_mov_b32 s10, 0x7f800001
	s_xor_b64 s[4:5], exec, -1
; %bb.21659:
	s_or_b64 exec, exec, s[8:9]
	s_and_b64 s[4:5], s[4:5], exec
	s_or_saveexec_b64 s[6:7], s[6:7]
	v_mov_b32_e32 v12, s10
	s_xor_b64 exec, exec, s[6:7]
	s_cbranch_execnz .LBB1_21660
; %bb.57497:
	s_getpc_b64 s[14:15]
.Lpost_getpc14412:
	s_add_u32 s14, s14, (.LBB1_7322-.Lpost_getpc14412)&4294967295
	s_addc_u32 s15, s15, (.LBB1_7322-.Lpost_getpc14412)>>32
	s_setpc_b64 s[14:15]
.LBB1_21660:
	v_mov_b32_e32 v12, 0
	v_cmp_ne_u16_sdwa s[8:9], v6, v12 src0_sel:BYTE_3 src1_sel:DWORD
	s_andn2_b64 s[4:5], s[4:5], exec
	s_and_b64 s[8:9], s[8:9], exec
	s_or_b64 s[4:5], s[4:5], s[8:9]
	s_or_b64 exec, exec, s[6:7]
	s_and_saveexec_b64 s[6:7], s[4:5]
	s_cbranch_execz .LBB1_32333
; %bb.57499:
	s_getpc_b64 s[14:15]
.Lpost_getpc14413:
	s_add_u32 s14, s14, (.LBB1_7323-.Lpost_getpc14413)&4294967295
	s_addc_u32 s15, s15, (.LBB1_7323-.Lpost_getpc14413)>>32
	s_setpc_b64 s[14:15]
.LBB1_32333:
	s_getpc_b64 s[14:15]
.Lpost_getpc1830:
	s_add_u32 s14, s14, (.LBB1_7324-.Lpost_getpc1830)&4294967295
	s_addc_u32 s15, s15, (.LBB1_7324-.Lpost_getpc1830)>>32
	s_setpc_b64 s[14:15]
.LBB1_21661:
	s_movk_i32 s4, 0x80
	v_cmp_eq_u16_sdwa s[12:13], v2, s4 src0_sel:BYTE_3 src1_sel:DWORD
	s_mov_b64 s[4:5], -1
                                        ; implicit-def: $sgpr10
	s_and_saveexec_b64 s[8:9], s[12:13]
; %bb.21662:
	s_mov_b32 s10, 0x7f800001
	s_xor_b64 s[4:5], exec, -1
; %bb.21663:
	s_or_b64 exec, exec, s[8:9]
	s_and_b64 s[4:5], s[4:5], exec
	s_or_saveexec_b64 s[6:7], s[6:7]
	v_mov_b32_e32 v6, s10
	s_xor_b64 exec, exec, s[6:7]
	s_cbranch_execnz .LBB1_21664
; %bb.57501:
	s_getpc_b64 s[14:15]
.Lpost_getpc14414:
	s_add_u32 s14, s14, (.LBB1_7326-.Lpost_getpc14414)&4294967295
	s_addc_u32 s15, s15, (.LBB1_7326-.Lpost_getpc14414)>>32
	s_setpc_b64 s[14:15]
.LBB1_21664:
	v_mov_b32_e32 v6, 0
	v_cmp_ne_u16_sdwa s[8:9], v2, v6 src0_sel:BYTE_3 src1_sel:DWORD
	s_andn2_b64 s[4:5], s[4:5], exec
	s_and_b64 s[8:9], s[8:9], exec
	s_or_b64 s[4:5], s[4:5], s[8:9]
	s_or_b64 exec, exec, s[6:7]
	s_and_saveexec_b64 s[6:7], s[4:5]
	s_cbranch_execz .LBB1_32335
; %bb.57503:
	s_getpc_b64 s[14:15]
.Lpost_getpc14415:
	s_add_u32 s14, s14, (.LBB1_7327-.Lpost_getpc14415)&4294967295
	s_addc_u32 s15, s15, (.LBB1_7327-.Lpost_getpc14415)>>32
	s_setpc_b64 s[14:15]
.LBB1_32335:
	s_getpc_b64 s[14:15]
.Lpost_getpc1831:
	s_add_u32 s14, s14, (.LBB1_7328-.Lpost_getpc1831)&4294967295
	s_addc_u32 s15, s15, (.LBB1_7328-.Lpost_getpc1831)>>32
	s_setpc_b64 s[14:15]
.LBB1_21665:
	s_movk_i32 s4, 0x80
	v_cmp_eq_u16_sdwa s[12:13], v7, s4 src0_sel:BYTE_0 src1_sel:DWORD
	s_mov_b64 s[4:5], -1
                                        ; implicit-def: $sgpr10
	s_and_saveexec_b64 s[8:9], s[12:13]
; %bb.21666:
	s_mov_b32 s10, 0x7f800001
	s_xor_b64 s[4:5], exec, -1
; %bb.21667:
	s_or_b64 exec, exec, s[8:9]
	s_and_b64 s[4:5], s[4:5], exec
	s_or_saveexec_b64 s[6:7], s[6:7]
	v_mov_b32_e32 v2, s10
	s_xor_b64 exec, exec, s[6:7]
	s_cbranch_execnz .LBB1_21668
; %bb.57505:
	s_getpc_b64 s[14:15]
.Lpost_getpc14416:
	s_add_u32 s14, s14, (.LBB1_7330-.Lpost_getpc14416)&4294967295
	s_addc_u32 s15, s15, (.LBB1_7330-.Lpost_getpc14416)>>32
	s_setpc_b64 s[14:15]
.LBB1_21668:
	v_mov_b32_e32 v2, 0
	v_cmp_ne_u16_sdwa s[8:9], v7, v2 src0_sel:BYTE_0 src1_sel:DWORD
	s_andn2_b64 s[4:5], s[4:5], exec
	s_and_b64 s[8:9], s[8:9], exec
	s_or_b64 s[4:5], s[4:5], s[8:9]
	s_or_b64 exec, exec, s[6:7]
	s_and_saveexec_b64 s[6:7], s[4:5]
	s_cbranch_execz .LBB1_32337
; %bb.57507:
	s_getpc_b64 s[14:15]
.Lpost_getpc14417:
	s_add_u32 s14, s14, (.LBB1_7331-.Lpost_getpc14417)&4294967295
	s_addc_u32 s15, s15, (.LBB1_7331-.Lpost_getpc14417)>>32
	s_setpc_b64 s[14:15]
.LBB1_32337:
	s_getpc_b64 s[14:15]
.Lpost_getpc1832:
	s_add_u32 s14, s14, (.LBB1_7332-.Lpost_getpc1832)&4294967295
	s_addc_u32 s15, s15, (.LBB1_7332-.Lpost_getpc1832)>>32
	s_setpc_b64 s[14:15]
.LBB1_21669:
	s_movk_i32 s4, 0x80
	v_cmp_eq_u16_sdwa s[12:13], v3, s4 src0_sel:BYTE_0 src1_sel:DWORD
	s_mov_b64 s[4:5], -1
                                        ; implicit-def: $sgpr10
	s_and_saveexec_b64 s[8:9], s[12:13]
; %bb.21670:
	s_mov_b32 s10, 0x7f800001
	s_xor_b64 s[4:5], exec, -1
; %bb.21671:
	s_or_b64 exec, exec, s[8:9]
	s_and_b64 s[4:5], s[4:5], exec
	s_or_saveexec_b64 s[6:7], s[6:7]
	v_mov_b32_e32 v6, s10
	s_xor_b64 exec, exec, s[6:7]
	s_cbranch_execnz .LBB1_21672
; %bb.57509:
	s_getpc_b64 s[14:15]
.Lpost_getpc14418:
	s_add_u32 s14, s14, (.LBB1_7334-.Lpost_getpc14418)&4294967295
	s_addc_u32 s15, s15, (.LBB1_7334-.Lpost_getpc14418)>>32
	s_setpc_b64 s[14:15]
.LBB1_21672:
	v_mov_b32_e32 v6, 0
	v_cmp_ne_u16_sdwa s[8:9], v3, v6 src0_sel:BYTE_0 src1_sel:DWORD
	s_andn2_b64 s[4:5], s[4:5], exec
	s_and_b64 s[8:9], s[8:9], exec
	s_or_b64 s[4:5], s[4:5], s[8:9]
	s_or_b64 exec, exec, s[6:7]
	s_and_saveexec_b64 s[6:7], s[4:5]
	s_cbranch_execz .LBB1_32339
; %bb.57511:
	s_getpc_b64 s[14:15]
.Lpost_getpc14419:
	s_add_u32 s14, s14, (.LBB1_7335-.Lpost_getpc14419)&4294967295
	s_addc_u32 s15, s15, (.LBB1_7335-.Lpost_getpc14419)>>32
	s_setpc_b64 s[14:15]
.LBB1_32339:
	s_getpc_b64 s[14:15]
.Lpost_getpc1833:
	s_add_u32 s14, s14, (.LBB1_7336-.Lpost_getpc1833)&4294967295
	s_addc_u32 s15, s15, (.LBB1_7336-.Lpost_getpc1833)>>32
	s_setpc_b64 s[14:15]
.LBB1_21673:
	s_movk_i32 s4, 0x80
	v_cmp_eq_u16_sdwa s[12:13], v6, s4 src0_sel:BYTE_0 src1_sel:DWORD
	s_mov_b64 s[4:5], -1
                                        ; implicit-def: $sgpr10
	s_and_saveexec_b64 s[8:9], s[12:13]
; %bb.21674:
	s_mov_b32 s10, 0x7f800001
	s_xor_b64 s[4:5], exec, -1
; %bb.21675:
	s_or_b64 exec, exec, s[8:9]
	s_and_b64 s[4:5], s[4:5], exec
	s_or_saveexec_b64 s[6:7], s[6:7]
	v_mov_b32_e32 v2, s10
	s_xor_b64 exec, exec, s[6:7]
	s_cbranch_execnz .LBB1_21676
; %bb.57513:
	s_getpc_b64 s[14:15]
.Lpost_getpc14420:
	s_add_u32 s14, s14, (.LBB1_7338-.Lpost_getpc14420)&4294967295
	s_addc_u32 s15, s15, (.LBB1_7338-.Lpost_getpc14420)>>32
	s_setpc_b64 s[14:15]
.LBB1_21676:
	v_mov_b32_e32 v2, 0
	v_cmp_ne_u16_sdwa s[8:9], v6, v2 src0_sel:BYTE_0 src1_sel:DWORD
	s_andn2_b64 s[4:5], s[4:5], exec
	s_and_b64 s[8:9], s[8:9], exec
	s_or_b64 s[4:5], s[4:5], s[8:9]
	s_or_b64 exec, exec, s[6:7]
	s_and_saveexec_b64 s[6:7], s[4:5]
	s_cbranch_execz .LBB1_32341
; %bb.57515:
	s_getpc_b64 s[14:15]
.Lpost_getpc14421:
	s_add_u32 s14, s14, (.LBB1_7339-.Lpost_getpc14421)&4294967295
	s_addc_u32 s15, s15, (.LBB1_7339-.Lpost_getpc14421)>>32
	s_setpc_b64 s[14:15]
.LBB1_32341:
	s_getpc_b64 s[14:15]
.Lpost_getpc1834:
	s_add_u32 s14, s14, (.LBB1_7340-.Lpost_getpc1834)&4294967295
	s_addc_u32 s15, s15, (.LBB1_7340-.Lpost_getpc1834)>>32
	s_setpc_b64 s[14:15]
.LBB1_21677:
	s_movk_i32 s4, 0x80
	v_cmp_eq_u16_sdwa s[12:13], v6, s4 src0_sel:BYTE_0 src1_sel:DWORD
	s_mov_b64 s[4:5], -1
                                        ; implicit-def: $sgpr10
	s_and_saveexec_b64 s[8:9], s[12:13]
; %bb.21678:
	s_mov_b32 s10, 0x7f800001
	s_xor_b64 s[4:5], exec, -1
; %bb.21679:
	s_or_b64 exec, exec, s[8:9]
	s_and_b64 s[4:5], s[4:5], exec
	s_or_saveexec_b64 s[6:7], s[6:7]
	v_mov_b32_e32 v12, s10
	s_xor_b64 exec, exec, s[6:7]
	s_cbranch_execnz .LBB1_21680
; %bb.57517:
	s_getpc_b64 s[14:15]
.Lpost_getpc14422:
	s_add_u32 s14, s14, (.LBB1_7342-.Lpost_getpc14422)&4294967295
	s_addc_u32 s15, s15, (.LBB1_7342-.Lpost_getpc14422)>>32
	s_setpc_b64 s[14:15]
.LBB1_21680:
	v_mov_b32_e32 v12, 0
	v_cmp_ne_u16_sdwa s[8:9], v6, v12 src0_sel:BYTE_0 src1_sel:DWORD
	s_andn2_b64 s[4:5], s[4:5], exec
	s_and_b64 s[8:9], s[8:9], exec
	s_or_b64 s[4:5], s[4:5], s[8:9]
	s_or_b64 exec, exec, s[6:7]
	s_and_saveexec_b64 s[6:7], s[4:5]
	s_cbranch_execz .LBB1_32343
; %bb.57519:
	s_getpc_b64 s[14:15]
.Lpost_getpc14423:
	s_add_u32 s14, s14, (.LBB1_7343-.Lpost_getpc14423)&4294967295
	s_addc_u32 s15, s15, (.LBB1_7343-.Lpost_getpc14423)>>32
	s_setpc_b64 s[14:15]
.LBB1_32343:
	s_getpc_b64 s[14:15]
.Lpost_getpc1835:
	s_add_u32 s14, s14, (.LBB1_7344-.Lpost_getpc1835)&4294967295
	s_addc_u32 s15, s15, (.LBB1_7344-.Lpost_getpc1835)>>32
	s_setpc_b64 s[14:15]
.LBB1_21681:
	s_movk_i32 s4, 0x80
	v_cmp_eq_u16_e32 vcc, s4, v6
	s_mov_b64 s[4:5], -1
                                        ; implicit-def: $sgpr10
	s_and_saveexec_b64 s[8:9], vcc
; %bb.21682:
	s_mov_b32 s10, 0x7f800001
	s_xor_b64 s[4:5], exec, -1
; %bb.21683:
	s_or_b64 exec, exec, s[8:9]
	s_and_b64 s[4:5], s[4:5], exec
                                        ; implicit-def: $vgpr6
	s_or_saveexec_b64 s[6:7], s[6:7]
	v_mov_b32_e32 v2, s10
	s_xor_b64 exec, exec, s[6:7]
	s_cbranch_execnz .LBB1_21684
; %bb.57521:
	s_getpc_b64 s[14:15]
.Lpost_getpc14424:
	s_add_u32 s14, s14, (.LBB1_7346-.Lpost_getpc14424)&4294967295
	s_addc_u32 s15, s15, (.LBB1_7346-.Lpost_getpc14424)>>32
	s_setpc_b64 s[14:15]
.LBB1_21684:
	v_cmp_ne_u16_e32 vcc, 0, v6
	s_andn2_b64 s[4:5], s[4:5], exec
	s_and_b64 s[8:9], vcc, exec
	v_mov_b32_e32 v2, 0
	s_or_b64 s[4:5], s[4:5], s[8:9]
	s_or_b64 exec, exec, s[6:7]
	s_and_saveexec_b64 s[6:7], s[4:5]
	s_cbranch_execz .LBB1_32345
; %bb.57523:
	s_getpc_b64 s[14:15]
.Lpost_getpc14425:
	s_add_u32 s14, s14, (.LBB1_7347-.Lpost_getpc14425)&4294967295
	s_addc_u32 s15, s15, (.LBB1_7347-.Lpost_getpc14425)>>32
	s_setpc_b64 s[14:15]
.LBB1_32345:
	s_getpc_b64 s[14:15]
.Lpost_getpc1836:
	s_add_u32 s14, s14, (.LBB1_7348-.Lpost_getpc1836)&4294967295
	s_addc_u32 s15, s15, (.LBB1_7348-.Lpost_getpc1836)>>32
	s_setpc_b64 s[14:15]
.LBB1_21685:
	s_movk_i32 s4, 0x80
	v_cmp_eq_u16_e32 vcc, s4, v6
	s_mov_b64 s[4:5], -1
                                        ; implicit-def: $sgpr10
	s_and_saveexec_b64 s[8:9], vcc
; %bb.21686:
	s_mov_b32 s10, 0x7f800001
	s_xor_b64 s[4:5], exec, -1
; %bb.21687:
	s_or_b64 exec, exec, s[8:9]
	s_and_b64 s[4:5], s[4:5], exec
                                        ; implicit-def: $vgpr6
	s_or_saveexec_b64 s[6:7], s[6:7]
	v_mov_b32_e32 v12, s10
	s_xor_b64 exec, exec, s[6:7]
	s_cbranch_execnz .LBB1_21688
; %bb.57525:
	s_getpc_b64 s[14:15]
.Lpost_getpc14426:
	s_add_u32 s14, s14, (.LBB1_7350-.Lpost_getpc14426)&4294967295
	s_addc_u32 s15, s15, (.LBB1_7350-.Lpost_getpc14426)>>32
	s_setpc_b64 s[14:15]
.LBB1_21688:
	v_cmp_ne_u16_e32 vcc, 0, v6
	s_andn2_b64 s[4:5], s[4:5], exec
	s_and_b64 s[8:9], vcc, exec
	v_mov_b32_e32 v12, 0
	s_or_b64 s[4:5], s[4:5], s[8:9]
	s_or_b64 exec, exec, s[6:7]
	s_and_saveexec_b64 s[6:7], s[4:5]
	s_cbranch_execz .LBB1_32347
; %bb.57527:
	s_getpc_b64 s[14:15]
.Lpost_getpc14427:
	s_add_u32 s14, s14, (.LBB1_7351-.Lpost_getpc14427)&4294967295
	s_addc_u32 s15, s15, (.LBB1_7351-.Lpost_getpc14427)>>32
	s_setpc_b64 s[14:15]
.LBB1_32347:
	s_getpc_b64 s[14:15]
.Lpost_getpc1837:
	s_add_u32 s14, s14, (.LBB1_7352-.Lpost_getpc1837)&4294967295
	s_addc_u32 s15, s15, (.LBB1_7352-.Lpost_getpc1837)>>32
	s_setpc_b64 s[14:15]
.LBB1_21689:
	s_movk_i32 s4, 0x80
	v_cmp_eq_u16_sdwa s[12:13], v7, s4 src0_sel:BYTE_3 src1_sel:DWORD
	s_mov_b64 s[4:5], -1
                                        ; implicit-def: $sgpr10
	s_and_saveexec_b64 s[8:9], s[12:13]
; %bb.21690:
	s_mov_b32 s10, 0x7f800001
	s_xor_b64 s[4:5], exec, -1
; %bb.21691:
	s_or_b64 exec, exec, s[8:9]
	s_and_b64 s[4:5], s[4:5], exec
	s_or_saveexec_b64 s[6:7], s[6:7]
	v_mov_b32_e32 v2, s10
	s_xor_b64 exec, exec, s[6:7]
	s_cbranch_execnz .LBB1_21692
; %bb.57529:
	s_getpc_b64 s[14:15]
.Lpost_getpc14428:
	s_add_u32 s14, s14, (.LBB1_7354-.Lpost_getpc14428)&4294967295
	s_addc_u32 s15, s15, (.LBB1_7354-.Lpost_getpc14428)>>32
	s_setpc_b64 s[14:15]
.LBB1_21692:
	v_mov_b32_e32 v2, 0
	v_cmp_ne_u16_sdwa s[8:9], v7, v2 src0_sel:BYTE_3 src1_sel:DWORD
	s_andn2_b64 s[4:5], s[4:5], exec
	s_and_b64 s[8:9], s[8:9], exec
	s_or_b64 s[4:5], s[4:5], s[8:9]
	s_or_b64 exec, exec, s[6:7]
	s_and_saveexec_b64 s[6:7], s[4:5]
	s_cbranch_execz .LBB1_32349
; %bb.57531:
	s_getpc_b64 s[14:15]
.Lpost_getpc14429:
	s_add_u32 s14, s14, (.LBB1_7355-.Lpost_getpc14429)&4294967295
	s_addc_u32 s15, s15, (.LBB1_7355-.Lpost_getpc14429)>>32
	s_setpc_b64 s[14:15]
.LBB1_32349:
	s_getpc_b64 s[14:15]
.Lpost_getpc1838:
	s_add_u32 s14, s14, (.LBB1_7356-.Lpost_getpc1838)&4294967295
	s_addc_u32 s15, s15, (.LBB1_7356-.Lpost_getpc1838)>>32
	s_setpc_b64 s[14:15]
.LBB1_21693:
	s_movk_i32 s4, 0x80
	v_cmp_eq_u16_sdwa s[12:13], v3, s4 src0_sel:BYTE_3 src1_sel:DWORD
	s_mov_b64 s[4:5], -1
                                        ; implicit-def: $sgpr10
	s_and_saveexec_b64 s[8:9], s[12:13]
; %bb.21694:
	s_mov_b32 s10, 0x7f800001
	s_xor_b64 s[4:5], exec, -1
; %bb.21695:
	s_or_b64 exec, exec, s[8:9]
	s_and_b64 s[4:5], s[4:5], exec
	s_or_saveexec_b64 s[6:7], s[6:7]
	v_mov_b32_e32 v6, s10
	s_xor_b64 exec, exec, s[6:7]
	s_cbranch_execnz .LBB1_21696
; %bb.57533:
	s_getpc_b64 s[14:15]
.Lpost_getpc14430:
	s_add_u32 s14, s14, (.LBB1_7358-.Lpost_getpc14430)&4294967295
	s_addc_u32 s15, s15, (.LBB1_7358-.Lpost_getpc14430)>>32
	s_setpc_b64 s[14:15]
.LBB1_21696:
	v_mov_b32_e32 v6, 0
	v_cmp_ne_u16_sdwa s[8:9], v3, v6 src0_sel:BYTE_3 src1_sel:DWORD
	s_andn2_b64 s[4:5], s[4:5], exec
	s_and_b64 s[8:9], s[8:9], exec
	s_or_b64 s[4:5], s[4:5], s[8:9]
	s_or_b64 exec, exec, s[6:7]
	s_and_saveexec_b64 s[6:7], s[4:5]
	s_cbranch_execz .LBB1_32351
; %bb.57535:
	s_getpc_b64 s[14:15]
.Lpost_getpc14431:
	s_add_u32 s14, s14, (.LBB1_7359-.Lpost_getpc14431)&4294967295
	s_addc_u32 s15, s15, (.LBB1_7359-.Lpost_getpc14431)>>32
	s_setpc_b64 s[14:15]
.LBB1_32351:
	s_getpc_b64 s[14:15]
.Lpost_getpc1839:
	s_add_u32 s14, s14, (.LBB1_7360-.Lpost_getpc1839)&4294967295
	s_addc_u32 s15, s15, (.LBB1_7360-.Lpost_getpc1839)>>32
	s_setpc_b64 s[14:15]
.LBB1_21697:
	s_movk_i32 s4, 0x80
	v_cmp_eq_u16_sdwa s[12:13], v8, s4 src0_sel:BYTE_0 src1_sel:DWORD
	s_mov_b64 s[4:5], -1
                                        ; implicit-def: $sgpr10
	s_and_saveexec_b64 s[8:9], s[12:13]
; %bb.21698:
	s_mov_b32 s10, 0x7f800001
	s_xor_b64 s[4:5], exec, -1
; %bb.21699:
	s_or_b64 exec, exec, s[8:9]
	s_and_b64 s[4:5], s[4:5], exec
	s_or_saveexec_b64 s[6:7], s[6:7]
	v_mov_b32_e32 v2, s10
	s_xor_b64 exec, exec, s[6:7]
	s_cbranch_execnz .LBB1_21700
; %bb.57537:
	s_getpc_b64 s[14:15]
.Lpost_getpc14432:
	s_add_u32 s14, s14, (.LBB1_7362-.Lpost_getpc14432)&4294967295
	s_addc_u32 s15, s15, (.LBB1_7362-.Lpost_getpc14432)>>32
	s_setpc_b64 s[14:15]
.LBB1_21700:
	v_mov_b32_e32 v2, 0
	v_cmp_ne_u16_sdwa s[8:9], v8, v2 src0_sel:BYTE_0 src1_sel:DWORD
	s_andn2_b64 s[4:5], s[4:5], exec
	s_and_b64 s[8:9], s[8:9], exec
	s_or_b64 s[4:5], s[4:5], s[8:9]
	s_or_b64 exec, exec, s[6:7]
	s_and_saveexec_b64 s[6:7], s[4:5]
	s_cbranch_execz .LBB1_32353
; %bb.57539:
	s_getpc_b64 s[14:15]
.Lpost_getpc14433:
	s_add_u32 s14, s14, (.LBB1_7363-.Lpost_getpc14433)&4294967295
	s_addc_u32 s15, s15, (.LBB1_7363-.Lpost_getpc14433)>>32
	s_setpc_b64 s[14:15]
.LBB1_32353:
	s_getpc_b64 s[14:15]
.Lpost_getpc1840:
	s_add_u32 s14, s14, (.LBB1_7364-.Lpost_getpc1840)&4294967295
	s_addc_u32 s15, s15, (.LBB1_7364-.Lpost_getpc1840)>>32
	s_setpc_b64 s[14:15]
.LBB1_21701:
	s_movk_i32 s4, 0x80
	v_cmp_eq_u16_sdwa s[12:13], v4, s4 src0_sel:BYTE_0 src1_sel:DWORD
	s_mov_b64 s[4:5], -1
                                        ; implicit-def: $sgpr10
	s_and_saveexec_b64 s[8:9], s[12:13]
; %bb.21702:
	s_mov_b32 s10, 0x7f800001
	s_xor_b64 s[4:5], exec, -1
; %bb.21703:
	s_or_b64 exec, exec, s[8:9]
	s_and_b64 s[4:5], s[4:5], exec
	s_or_saveexec_b64 s[6:7], s[6:7]
	v_mov_b32_e32 v3, s10
	s_xor_b64 exec, exec, s[6:7]
	s_cbranch_execnz .LBB1_21704
; %bb.57541:
	s_getpc_b64 s[14:15]
.Lpost_getpc14434:
	s_add_u32 s14, s14, (.LBB1_7366-.Lpost_getpc14434)&4294967295
	s_addc_u32 s15, s15, (.LBB1_7366-.Lpost_getpc14434)>>32
	s_setpc_b64 s[14:15]
.LBB1_21704:
	v_mov_b32_e32 v3, 0
	v_cmp_ne_u16_sdwa s[8:9], v4, v3 src0_sel:BYTE_0 src1_sel:DWORD
	s_andn2_b64 s[4:5], s[4:5], exec
	s_and_b64 s[8:9], s[8:9], exec
	s_or_b64 s[4:5], s[4:5], s[8:9]
	s_or_b64 exec, exec, s[6:7]
	s_and_saveexec_b64 s[6:7], s[4:5]
	s_cbranch_execz .LBB1_32355
; %bb.57543:
	s_getpc_b64 s[14:15]
.Lpost_getpc14435:
	s_add_u32 s14, s14, (.LBB1_7367-.Lpost_getpc14435)&4294967295
	s_addc_u32 s15, s15, (.LBB1_7367-.Lpost_getpc14435)>>32
	s_setpc_b64 s[14:15]
.LBB1_32355:
	s_getpc_b64 s[14:15]
.Lpost_getpc1841:
	s_add_u32 s14, s14, (.LBB1_7368-.Lpost_getpc1841)&4294967295
	s_addc_u32 s15, s15, (.LBB1_7368-.Lpost_getpc1841)>>32
	s_setpc_b64 s[14:15]
.LBB1_21705:
	s_movk_i32 s4, 0x80
	v_cmp_eq_u16_sdwa s[12:13], v3, s4 src0_sel:BYTE_0 src1_sel:DWORD
	s_mov_b64 s[4:5], -1
                                        ; implicit-def: $sgpr10
	s_and_saveexec_b64 s[8:9], s[12:13]
; %bb.21706:
	s_mov_b32 s10, 0x7f800001
	s_xor_b64 s[4:5], exec, -1
; %bb.21707:
	s_or_b64 exec, exec, s[8:9]
	s_and_b64 s[4:5], s[4:5], exec
	s_or_saveexec_b64 s[6:7], s[6:7]
	v_mov_b32_e32 v2, s10
	s_xor_b64 exec, exec, s[6:7]
	s_cbranch_execnz .LBB1_21708
; %bb.57545:
	s_getpc_b64 s[14:15]
.Lpost_getpc14436:
	s_add_u32 s14, s14, (.LBB1_7370-.Lpost_getpc14436)&4294967295
	s_addc_u32 s15, s15, (.LBB1_7370-.Lpost_getpc14436)>>32
	s_setpc_b64 s[14:15]
.LBB1_21708:
	v_mov_b32_e32 v2, 0
	v_cmp_ne_u16_sdwa s[8:9], v3, v2 src0_sel:BYTE_0 src1_sel:DWORD
	s_andn2_b64 s[4:5], s[4:5], exec
	s_and_b64 s[8:9], s[8:9], exec
	s_or_b64 s[4:5], s[4:5], s[8:9]
	s_or_b64 exec, exec, s[6:7]
	s_and_saveexec_b64 s[6:7], s[4:5]
	s_cbranch_execz .LBB1_32357
; %bb.57547:
	s_getpc_b64 s[14:15]
.Lpost_getpc14437:
	s_add_u32 s14, s14, (.LBB1_7371-.Lpost_getpc14437)&4294967295
	s_addc_u32 s15, s15, (.LBB1_7371-.Lpost_getpc14437)>>32
	s_setpc_b64 s[14:15]
.LBB1_32357:
	s_getpc_b64 s[14:15]
.Lpost_getpc1842:
	s_add_u32 s14, s14, (.LBB1_7372-.Lpost_getpc1842)&4294967295
	s_addc_u32 s15, s15, (.LBB1_7372-.Lpost_getpc1842)>>32
	s_setpc_b64 s[14:15]
.LBB1_21709:
	s_movk_i32 s4, 0x80
	v_cmp_eq_u16_sdwa s[12:13], v3, s4 src0_sel:BYTE_0 src1_sel:DWORD
	s_mov_b64 s[4:5], -1
                                        ; implicit-def: $sgpr10
	s_and_saveexec_b64 s[8:9], s[12:13]
; %bb.21710:
	s_mov_b32 s10, 0x7f800001
	s_xor_b64 s[4:5], exec, -1
; %bb.21711:
	s_or_b64 exec, exec, s[8:9]
	s_and_b64 s[4:5], s[4:5], exec
	s_or_saveexec_b64 s[6:7], s[6:7]
	v_mov_b32_e32 v6, s10
	s_xor_b64 exec, exec, s[6:7]
	s_cbranch_execnz .LBB1_21712
; %bb.57549:
	s_getpc_b64 s[14:15]
.Lpost_getpc14438:
	s_add_u32 s14, s14, (.LBB1_7374-.Lpost_getpc14438)&4294967295
	s_addc_u32 s15, s15, (.LBB1_7374-.Lpost_getpc14438)>>32
	s_setpc_b64 s[14:15]
.LBB1_21712:
	v_mov_b32_e32 v6, 0
	v_cmp_ne_u16_sdwa s[8:9], v3, v6 src0_sel:BYTE_0 src1_sel:DWORD
	s_andn2_b64 s[4:5], s[4:5], exec
	s_and_b64 s[8:9], s[8:9], exec
	s_or_b64 s[4:5], s[4:5], s[8:9]
	s_or_b64 exec, exec, s[6:7]
	s_and_saveexec_b64 s[6:7], s[4:5]
	s_cbranch_execz .LBB1_32359
; %bb.57551:
	s_getpc_b64 s[14:15]
.Lpost_getpc14439:
	s_add_u32 s14, s14, (.LBB1_7375-.Lpost_getpc14439)&4294967295
	s_addc_u32 s15, s15, (.LBB1_7375-.Lpost_getpc14439)>>32
	s_setpc_b64 s[14:15]
.LBB1_32359:
	s_getpc_b64 s[14:15]
.Lpost_getpc1843:
	s_add_u32 s14, s14, (.LBB1_7376-.Lpost_getpc1843)&4294967295
	s_addc_u32 s15, s15, (.LBB1_7376-.Lpost_getpc1843)>>32
	s_setpc_b64 s[14:15]
.LBB1_21713:
	s_movk_i32 s4, 0x80
	v_cmp_eq_u16_e32 vcc, s4, v3
	s_mov_b64 s[4:5], -1
                                        ; implicit-def: $sgpr10
	s_and_saveexec_b64 s[8:9], vcc
; %bb.21714:
	s_mov_b32 s10, 0x7f800001
	s_xor_b64 s[4:5], exec, -1
; %bb.21715:
	s_or_b64 exec, exec, s[8:9]
	s_and_b64 s[4:5], s[4:5], exec
                                        ; implicit-def: $vgpr3
	s_or_saveexec_b64 s[6:7], s[6:7]
	v_mov_b32_e32 v2, s10
	s_xor_b64 exec, exec, s[6:7]
	s_cbranch_execnz .LBB1_21716
; %bb.57553:
	s_getpc_b64 s[14:15]
.Lpost_getpc14440:
	s_add_u32 s14, s14, (.LBB1_7378-.Lpost_getpc14440)&4294967295
	s_addc_u32 s15, s15, (.LBB1_7378-.Lpost_getpc14440)>>32
	s_setpc_b64 s[14:15]
.LBB1_21716:
	v_cmp_ne_u16_e32 vcc, 0, v3
	s_andn2_b64 s[4:5], s[4:5], exec
	s_and_b64 s[8:9], vcc, exec
	v_mov_b32_e32 v2, 0
	s_or_b64 s[4:5], s[4:5], s[8:9]
	s_or_b64 exec, exec, s[6:7]
	s_and_saveexec_b64 s[6:7], s[4:5]
	s_cbranch_execz .LBB1_32361
; %bb.57555:
	s_getpc_b64 s[14:15]
.Lpost_getpc14441:
	s_add_u32 s14, s14, (.LBB1_7379-.Lpost_getpc14441)&4294967295
	s_addc_u32 s15, s15, (.LBB1_7379-.Lpost_getpc14441)>>32
	s_setpc_b64 s[14:15]
.LBB1_32361:
	s_getpc_b64 s[14:15]
.Lpost_getpc1844:
	s_add_u32 s14, s14, (.LBB1_7380-.Lpost_getpc1844)&4294967295
	s_addc_u32 s15, s15, (.LBB1_7380-.Lpost_getpc1844)>>32
	s_setpc_b64 s[14:15]
.LBB1_21717:
	s_movk_i32 s4, 0x80
	v_cmp_eq_u16_e32 vcc, s4, v3
	s_mov_b64 s[4:5], -1
                                        ; implicit-def: $sgpr10
	s_and_saveexec_b64 s[8:9], vcc
; %bb.21718:
	s_mov_b32 s10, 0x7f800001
	s_xor_b64 s[4:5], exec, -1
; %bb.21719:
	s_or_b64 exec, exec, s[8:9]
	s_and_b64 s[4:5], s[4:5], exec
                                        ; implicit-def: $vgpr3
	s_or_saveexec_b64 s[6:7], s[6:7]
	v_mov_b32_e32 v6, s10
	s_xor_b64 exec, exec, s[6:7]
	s_cbranch_execnz .LBB1_21720
; %bb.57557:
	s_getpc_b64 s[14:15]
.Lpost_getpc14442:
	s_add_u32 s14, s14, (.LBB1_7382-.Lpost_getpc14442)&4294967295
	s_addc_u32 s15, s15, (.LBB1_7382-.Lpost_getpc14442)>>32
	s_setpc_b64 s[14:15]
.LBB1_21720:
	v_cmp_ne_u16_e32 vcc, 0, v3
	s_andn2_b64 s[4:5], s[4:5], exec
	s_and_b64 s[8:9], vcc, exec
	v_mov_b32_e32 v6, 0
	s_or_b64 s[4:5], s[4:5], s[8:9]
	s_or_b64 exec, exec, s[6:7]
	s_and_saveexec_b64 s[6:7], s[4:5]
	s_cbranch_execz .LBB1_32363
; %bb.57559:
	s_getpc_b64 s[14:15]
.Lpost_getpc14443:
	s_add_u32 s14, s14, (.LBB1_7383-.Lpost_getpc14443)&4294967295
	s_addc_u32 s15, s15, (.LBB1_7383-.Lpost_getpc14443)>>32
	s_setpc_b64 s[14:15]
.LBB1_32363:
	s_getpc_b64 s[14:15]
.Lpost_getpc1845:
	s_add_u32 s14, s14, (.LBB1_7384-.Lpost_getpc1845)&4294967295
	s_addc_u32 s15, s15, (.LBB1_7384-.Lpost_getpc1845)>>32
	s_setpc_b64 s[14:15]
.LBB1_21721:
	s_movk_i32 s4, 0x80
	v_cmp_eq_u16_sdwa s[12:13], v8, s4 src0_sel:BYTE_3 src1_sel:DWORD
	s_mov_b64 s[4:5], -1
                                        ; implicit-def: $sgpr10
	s_and_saveexec_b64 s[8:9], s[12:13]
; %bb.21722:
	s_mov_b32 s10, 0x7f800001
	s_xor_b64 s[4:5], exec, -1
; %bb.21723:
	s_or_b64 exec, exec, s[8:9]
	s_and_b64 s[4:5], s[4:5], exec
	s_or_saveexec_b64 s[6:7], s[6:7]
	v_mov_b32_e32 v2, s10
	s_xor_b64 exec, exec, s[6:7]
	s_cbranch_execnz .LBB1_21724
; %bb.57561:
	s_getpc_b64 s[14:15]
.Lpost_getpc14444:
	s_add_u32 s14, s14, (.LBB1_7386-.Lpost_getpc14444)&4294967295
	s_addc_u32 s15, s15, (.LBB1_7386-.Lpost_getpc14444)>>32
	s_setpc_b64 s[14:15]
.LBB1_21724:
	v_mov_b32_e32 v2, 0
	v_cmp_ne_u16_sdwa s[8:9], v8, v2 src0_sel:BYTE_3 src1_sel:DWORD
	s_andn2_b64 s[4:5], s[4:5], exec
	s_and_b64 s[8:9], s[8:9], exec
	s_or_b64 s[4:5], s[4:5], s[8:9]
	s_or_b64 exec, exec, s[6:7]
	s_and_saveexec_b64 s[6:7], s[4:5]
	s_cbranch_execz .LBB1_32365
; %bb.57563:
	s_getpc_b64 s[14:15]
.Lpost_getpc14445:
	s_add_u32 s14, s14, (.LBB1_7387-.Lpost_getpc14445)&4294967295
	s_addc_u32 s15, s15, (.LBB1_7387-.Lpost_getpc14445)>>32
	s_setpc_b64 s[14:15]
.LBB1_32365:
	s_getpc_b64 s[14:15]
.Lpost_getpc1846:
	s_add_u32 s14, s14, (.LBB1_7388-.Lpost_getpc1846)&4294967295
	s_addc_u32 s15, s15, (.LBB1_7388-.Lpost_getpc1846)>>32
	s_setpc_b64 s[14:15]
.LBB1_21725:
	s_movk_i32 s4, 0x80
	v_cmp_eq_u16_sdwa s[12:13], v4, s4 src0_sel:BYTE_3 src1_sel:DWORD
	s_mov_b64 s[4:5], -1
                                        ; implicit-def: $sgpr10
	s_and_saveexec_b64 s[8:9], s[12:13]
; %bb.21726:
	s_mov_b32 s10, 0x7f800001
	s_xor_b64 s[4:5], exec, -1
; %bb.21727:
	s_or_b64 exec, exec, s[8:9]
	s_and_b64 s[4:5], s[4:5], exec
	s_or_saveexec_b64 s[6:7], s[6:7]
	v_mov_b32_e32 v3, s10
	s_xor_b64 exec, exec, s[6:7]
	s_cbranch_execnz .LBB1_21728
; %bb.57565:
	s_getpc_b64 s[14:15]
.Lpost_getpc14446:
	s_add_u32 s14, s14, (.LBB1_7390-.Lpost_getpc14446)&4294967295
	s_addc_u32 s15, s15, (.LBB1_7390-.Lpost_getpc14446)>>32
	s_setpc_b64 s[14:15]
.LBB1_21728:
	v_mov_b32_e32 v3, 0
	v_cmp_ne_u16_sdwa s[8:9], v4, v3 src0_sel:BYTE_3 src1_sel:DWORD
	s_andn2_b64 s[4:5], s[4:5], exec
	s_and_b64 s[8:9], s[8:9], exec
	s_or_b64 s[4:5], s[4:5], s[8:9]
	s_or_b64 exec, exec, s[6:7]
	s_and_saveexec_b64 s[6:7], s[4:5]
	s_cbranch_execz .LBB1_32367
; %bb.57567:
	s_getpc_b64 s[14:15]
.Lpost_getpc14447:
	s_add_u32 s14, s14, (.LBB1_7391-.Lpost_getpc14447)&4294967295
	s_addc_u32 s15, s15, (.LBB1_7391-.Lpost_getpc14447)>>32
	s_setpc_b64 s[14:15]
.LBB1_32367:
	s_getpc_b64 s[14:15]
.Lpost_getpc1847:
	s_add_u32 s14, s14, (.LBB1_7392-.Lpost_getpc1847)&4294967295
	s_addc_u32 s15, s15, (.LBB1_7392-.Lpost_getpc1847)>>32
	s_setpc_b64 s[14:15]
.LBB1_21729:
	s_movk_i32 s4, 0x80
	v_cmp_eq_u16_sdwa s[12:13], v9, s4 src0_sel:BYTE_0 src1_sel:DWORD
	s_mov_b64 s[4:5], -1
                                        ; implicit-def: $sgpr10
	s_and_saveexec_b64 s[8:9], s[12:13]
; %bb.21730:
	s_mov_b32 s10, 0x7f800001
	s_xor_b64 s[4:5], exec, -1
; %bb.21731:
	s_or_b64 exec, exec, s[8:9]
	s_and_b64 s[4:5], s[4:5], exec
	s_or_saveexec_b64 s[6:7], s[6:7]
	v_mov_b32_e32 v2, s10
	s_xor_b64 exec, exec, s[6:7]
	s_cbranch_execnz .LBB1_21732
; %bb.57569:
	s_getpc_b64 s[14:15]
.Lpost_getpc14448:
	s_add_u32 s14, s14, (.LBB1_7394-.Lpost_getpc14448)&4294967295
	s_addc_u32 s15, s15, (.LBB1_7394-.Lpost_getpc14448)>>32
	s_setpc_b64 s[14:15]
.LBB1_21732:
	v_mov_b32_e32 v2, 0
	v_cmp_ne_u16_sdwa s[8:9], v9, v2 src0_sel:BYTE_0 src1_sel:DWORD
	s_andn2_b64 s[4:5], s[4:5], exec
	s_and_b64 s[8:9], s[8:9], exec
	s_or_b64 s[4:5], s[4:5], s[8:9]
	s_or_b64 exec, exec, s[6:7]
	s_and_saveexec_b64 s[6:7], s[4:5]
	s_cbranch_execz .LBB1_32369
; %bb.57571:
	s_getpc_b64 s[14:15]
.Lpost_getpc14449:
	s_add_u32 s14, s14, (.LBB1_7395-.Lpost_getpc14449)&4294967295
	s_addc_u32 s15, s15, (.LBB1_7395-.Lpost_getpc14449)>>32
	s_setpc_b64 s[14:15]
.LBB1_32369:
	s_getpc_b64 s[14:15]
.Lpost_getpc1848:
	s_add_u32 s14, s14, (.LBB1_7396-.Lpost_getpc1848)&4294967295
	s_addc_u32 s15, s15, (.LBB1_7396-.Lpost_getpc1848)>>32
	s_setpc_b64 s[14:15]
.LBB1_21733:
	s_movk_i32 s4, 0x80
	v_cmp_eq_u16_sdwa s[12:13], v5, s4 src0_sel:BYTE_0 src1_sel:DWORD
	s_mov_b64 s[4:5], -1
                                        ; implicit-def: $sgpr10
	s_and_saveexec_b64 s[8:9], s[12:13]
; %bb.21734:
	s_mov_b32 s10, 0x7f800001
	s_xor_b64 s[4:5], exec, -1
; %bb.21735:
	s_or_b64 exec, exec, s[8:9]
	s_and_b64 s[4:5], s[4:5], exec
	s_or_saveexec_b64 s[6:7], s[6:7]
	v_mov_b32_e32 v3, s10
	s_xor_b64 exec, exec, s[6:7]
	s_cbranch_execnz .LBB1_21736
; %bb.57573:
	s_getpc_b64 s[14:15]
.Lpost_getpc14450:
	s_add_u32 s14, s14, (.LBB1_7398-.Lpost_getpc14450)&4294967295
	s_addc_u32 s15, s15, (.LBB1_7398-.Lpost_getpc14450)>>32
	s_setpc_b64 s[14:15]
.LBB1_21736:
	v_mov_b32_e32 v3, 0
	v_cmp_ne_u16_sdwa s[8:9], v5, v3 src0_sel:BYTE_0 src1_sel:DWORD
	s_andn2_b64 s[4:5], s[4:5], exec
	s_and_b64 s[8:9], s[8:9], exec
	s_or_b64 s[4:5], s[4:5], s[8:9]
	s_or_b64 exec, exec, s[6:7]
	s_and_saveexec_b64 s[6:7], s[4:5]
	s_cbranch_execz .LBB1_32371
; %bb.57575:
	s_getpc_b64 s[14:15]
.Lpost_getpc14451:
	s_add_u32 s14, s14, (.LBB1_7399-.Lpost_getpc14451)&4294967295
	s_addc_u32 s15, s15, (.LBB1_7399-.Lpost_getpc14451)>>32
	s_setpc_b64 s[14:15]
.LBB1_32371:
	s_getpc_b64 s[14:15]
.Lpost_getpc1849:
	s_add_u32 s14, s14, (.LBB1_7400-.Lpost_getpc1849)&4294967295
	s_addc_u32 s15, s15, (.LBB1_7400-.Lpost_getpc1849)>>32
	s_setpc_b64 s[14:15]
.LBB1_21737:
	s_movk_i32 s4, 0x80
	v_cmp_eq_u16_sdwa s[12:13], v3, s4 src0_sel:BYTE_0 src1_sel:DWORD
	s_mov_b64 s[4:5], -1
                                        ; implicit-def: $sgpr10
	s_and_saveexec_b64 s[8:9], s[12:13]
; %bb.21738:
	s_mov_b32 s10, 0x7f800001
	s_xor_b64 s[4:5], exec, -1
; %bb.21739:
	s_or_b64 exec, exec, s[8:9]
	s_and_b64 s[4:5], s[4:5], exec
	s_or_saveexec_b64 s[6:7], s[6:7]
	v_mov_b32_e32 v2, s10
	s_xor_b64 exec, exec, s[6:7]
	s_cbranch_execnz .LBB1_21740
; %bb.57577:
	s_getpc_b64 s[14:15]
.Lpost_getpc14452:
	s_add_u32 s14, s14, (.LBB1_7402-.Lpost_getpc14452)&4294967295
	s_addc_u32 s15, s15, (.LBB1_7402-.Lpost_getpc14452)>>32
	s_setpc_b64 s[14:15]
.LBB1_21740:
	v_mov_b32_e32 v2, 0
	v_cmp_ne_u16_sdwa s[8:9], v3, v2 src0_sel:BYTE_0 src1_sel:DWORD
	s_andn2_b64 s[4:5], s[4:5], exec
	s_and_b64 s[8:9], s[8:9], exec
	s_or_b64 s[4:5], s[4:5], s[8:9]
	s_or_b64 exec, exec, s[6:7]
	s_and_saveexec_b64 s[6:7], s[4:5]
	s_cbranch_execz .LBB1_32373
; %bb.57579:
	s_getpc_b64 s[14:15]
.Lpost_getpc14453:
	s_add_u32 s14, s14, (.LBB1_7403-.Lpost_getpc14453)&4294967295
	s_addc_u32 s15, s15, (.LBB1_7403-.Lpost_getpc14453)>>32
	s_setpc_b64 s[14:15]
.LBB1_32373:
	s_getpc_b64 s[14:15]
.Lpost_getpc1850:
	s_add_u32 s14, s14, (.LBB1_7404-.Lpost_getpc1850)&4294967295
	s_addc_u32 s15, s15, (.LBB1_7404-.Lpost_getpc1850)>>32
	s_setpc_b64 s[14:15]
.LBB1_21741:
	s_movk_i32 s4, 0x80
	v_cmp_eq_u16_sdwa s[12:13], v3, s4 src0_sel:BYTE_0 src1_sel:DWORD
	s_mov_b64 s[4:5], -1
                                        ; implicit-def: $sgpr10
	s_and_saveexec_b64 s[8:9], s[12:13]
; %bb.21742:
	s_mov_b32 s10, 0x7f800001
	s_xor_b64 s[4:5], exec, -1
; %bb.21743:
	s_or_b64 exec, exec, s[8:9]
	s_and_b64 s[4:5], s[4:5], exec
	s_or_saveexec_b64 s[6:7], s[6:7]
	v_mov_b32_e32 v4, s10
	s_xor_b64 exec, exec, s[6:7]
	s_cbranch_execnz .LBB1_21744
; %bb.57581:
	s_getpc_b64 s[14:15]
.Lpost_getpc14454:
	s_add_u32 s14, s14, (.LBB1_7406-.Lpost_getpc14454)&4294967295
	s_addc_u32 s15, s15, (.LBB1_7406-.Lpost_getpc14454)>>32
	s_setpc_b64 s[14:15]
.LBB1_21744:
	v_mov_b32_e32 v4, 0
	v_cmp_ne_u16_sdwa s[8:9], v3, v4 src0_sel:BYTE_0 src1_sel:DWORD
	s_andn2_b64 s[4:5], s[4:5], exec
	s_and_b64 s[8:9], s[8:9], exec
	s_or_b64 s[4:5], s[4:5], s[8:9]
	s_or_b64 exec, exec, s[6:7]
	s_and_saveexec_b64 s[6:7], s[4:5]
	s_cbranch_execz .LBB1_32375
; %bb.57583:
	s_getpc_b64 s[14:15]
.Lpost_getpc14455:
	s_add_u32 s14, s14, (.LBB1_7407-.Lpost_getpc14455)&4294967295
	s_addc_u32 s15, s15, (.LBB1_7407-.Lpost_getpc14455)>>32
	s_setpc_b64 s[14:15]
.LBB1_32375:
	s_getpc_b64 s[14:15]
.Lpost_getpc1851:
	s_add_u32 s14, s14, (.LBB1_7408-.Lpost_getpc1851)&4294967295
	s_addc_u32 s15, s15, (.LBB1_7408-.Lpost_getpc1851)>>32
	s_setpc_b64 s[14:15]
.LBB1_21745:
	s_movk_i32 s4, 0x80
	v_cmp_eq_u16_e32 vcc, s4, v3
	s_mov_b64 s[4:5], -1
                                        ; implicit-def: $sgpr10
	s_and_saveexec_b64 s[8:9], vcc
; %bb.21746:
	s_mov_b32 s10, 0x7f800001
	s_xor_b64 s[4:5], exec, -1
; %bb.21747:
	s_or_b64 exec, exec, s[8:9]
	s_and_b64 s[4:5], s[4:5], exec
                                        ; implicit-def: $vgpr3
	s_or_saveexec_b64 s[6:7], s[6:7]
	v_mov_b32_e32 v2, s10
	s_xor_b64 exec, exec, s[6:7]
	s_cbranch_execnz .LBB1_21748
; %bb.57585:
	s_getpc_b64 s[14:15]
.Lpost_getpc14456:
	s_add_u32 s14, s14, (.LBB1_7410-.Lpost_getpc14456)&4294967295
	s_addc_u32 s15, s15, (.LBB1_7410-.Lpost_getpc14456)>>32
	s_setpc_b64 s[14:15]
.LBB1_21748:
	v_cmp_ne_u16_e32 vcc, 0, v3
	s_andn2_b64 s[4:5], s[4:5], exec
	s_and_b64 s[8:9], vcc, exec
	v_mov_b32_e32 v2, 0
	s_or_b64 s[4:5], s[4:5], s[8:9]
	s_or_b64 exec, exec, s[6:7]
	s_and_saveexec_b64 s[6:7], s[4:5]
	s_cbranch_execz .LBB1_32377
; %bb.57587:
	s_getpc_b64 s[14:15]
.Lpost_getpc14457:
	s_add_u32 s14, s14, (.LBB1_7411-.Lpost_getpc14457)&4294967295
	s_addc_u32 s15, s15, (.LBB1_7411-.Lpost_getpc14457)>>32
	s_setpc_b64 s[14:15]
.LBB1_32377:
	s_getpc_b64 s[14:15]
.Lpost_getpc1852:
	s_add_u32 s14, s14, (.LBB1_7412-.Lpost_getpc1852)&4294967295
	s_addc_u32 s15, s15, (.LBB1_7412-.Lpost_getpc1852)>>32
	s_setpc_b64 s[14:15]
.LBB1_21749:
	s_movk_i32 s4, 0x80
	v_cmp_eq_u16_e32 vcc, s4, v3
	s_mov_b64 s[4:5], -1
                                        ; implicit-def: $sgpr10
	s_and_saveexec_b64 s[8:9], vcc
; %bb.21750:
	s_mov_b32 s10, 0x7f800001
	s_xor_b64 s[4:5], exec, -1
; %bb.21751:
	s_or_b64 exec, exec, s[8:9]
	s_and_b64 s[4:5], s[4:5], exec
                                        ; implicit-def: $vgpr3
	s_or_saveexec_b64 s[6:7], s[6:7]
	v_mov_b32_e32 v4, s10
	s_xor_b64 exec, exec, s[6:7]
	s_cbranch_execnz .LBB1_21752
; %bb.57589:
	s_getpc_b64 s[14:15]
.Lpost_getpc14458:
	s_add_u32 s14, s14, (.LBB1_7414-.Lpost_getpc14458)&4294967295
	s_addc_u32 s15, s15, (.LBB1_7414-.Lpost_getpc14458)>>32
	s_setpc_b64 s[14:15]
.LBB1_21752:
	v_cmp_ne_u16_e32 vcc, 0, v3
	s_andn2_b64 s[4:5], s[4:5], exec
	s_and_b64 s[8:9], vcc, exec
	v_mov_b32_e32 v4, 0
	s_or_b64 s[4:5], s[4:5], s[8:9]
	s_or_b64 exec, exec, s[6:7]
	s_and_saveexec_b64 s[6:7], s[4:5]
	s_cbranch_execz .LBB1_32379
; %bb.57591:
	s_getpc_b64 s[14:15]
.Lpost_getpc14459:
	s_add_u32 s14, s14, (.LBB1_7415-.Lpost_getpc14459)&4294967295
	s_addc_u32 s15, s15, (.LBB1_7415-.Lpost_getpc14459)>>32
	s_setpc_b64 s[14:15]
.LBB1_32379:
	s_getpc_b64 s[14:15]
.Lpost_getpc1853:
	s_add_u32 s14, s14, (.LBB1_7416-.Lpost_getpc1853)&4294967295
	s_addc_u32 s15, s15, (.LBB1_7416-.Lpost_getpc1853)>>32
	s_setpc_b64 s[14:15]
.LBB1_21753:
	s_movk_i32 s4, 0x80
	v_cmp_eq_u16_sdwa s[12:13], v9, s4 src0_sel:BYTE_3 src1_sel:DWORD
	s_mov_b64 s[4:5], -1
                                        ; implicit-def: $sgpr10
	s_and_saveexec_b64 s[8:9], s[12:13]
; %bb.21754:
	s_mov_b32 s10, 0x7f800001
	s_xor_b64 s[4:5], exec, -1
; %bb.21755:
	s_or_b64 exec, exec, s[8:9]
	s_and_b64 s[4:5], s[4:5], exec
	s_or_saveexec_b64 s[6:7], s[6:7]
	v_mov_b32_e32 v2, s10
	s_xor_b64 exec, exec, s[6:7]
	s_cbranch_execnz .LBB1_21756
; %bb.57593:
	s_getpc_b64 s[14:15]
.Lpost_getpc14460:
	s_add_u32 s14, s14, (.LBB1_7418-.Lpost_getpc14460)&4294967295
	s_addc_u32 s15, s15, (.LBB1_7418-.Lpost_getpc14460)>>32
	s_setpc_b64 s[14:15]
.LBB1_21756:
	v_mov_b32_e32 v2, 0
	v_cmp_ne_u16_sdwa s[8:9], v9, v2 src0_sel:BYTE_3 src1_sel:DWORD
	s_andn2_b64 s[4:5], s[4:5], exec
	s_and_b64 s[8:9], s[8:9], exec
	s_or_b64 s[4:5], s[4:5], s[8:9]
	s_or_b64 exec, exec, s[6:7]
	s_and_saveexec_b64 s[6:7], s[4:5]
	s_cbranch_execz .LBB1_32381
; %bb.57595:
	s_getpc_b64 s[14:15]
.Lpost_getpc14461:
	s_add_u32 s14, s14, (.LBB1_7419-.Lpost_getpc14461)&4294967295
	s_addc_u32 s15, s15, (.LBB1_7419-.Lpost_getpc14461)>>32
	s_setpc_b64 s[14:15]
.LBB1_32381:
	s_getpc_b64 s[14:15]
.Lpost_getpc1854:
	s_add_u32 s14, s14, (.LBB1_7420-.Lpost_getpc1854)&4294967295
	s_addc_u32 s15, s15, (.LBB1_7420-.Lpost_getpc1854)>>32
	s_setpc_b64 s[14:15]
.LBB1_21757:
	s_movk_i32 s4, 0x80
	v_cmp_eq_u16_sdwa s[12:13], v5, s4 src0_sel:BYTE_3 src1_sel:DWORD
	s_mov_b64 s[4:5], -1
                                        ; implicit-def: $sgpr10
	s_and_saveexec_b64 s[8:9], s[12:13]
; %bb.21758:
	s_mov_b32 s10, 0x7f800001
	s_xor_b64 s[4:5], exec, -1
; %bb.21759:
	s_or_b64 exec, exec, s[8:9]
	s_and_b64 s[4:5], s[4:5], exec
	s_or_saveexec_b64 s[6:7], s[6:7]
	v_mov_b32_e32 v3, s10
	s_xor_b64 exec, exec, s[6:7]
	s_cbranch_execnz .LBB1_21760
; %bb.57597:
	s_getpc_b64 s[14:15]
.Lpost_getpc14462:
	s_add_u32 s14, s14, (.LBB1_7422-.Lpost_getpc14462)&4294967295
	s_addc_u32 s15, s15, (.LBB1_7422-.Lpost_getpc14462)>>32
	s_setpc_b64 s[14:15]
.LBB1_21760:
	v_mov_b32_e32 v3, 0
	v_cmp_ne_u16_sdwa s[8:9], v5, v3 src0_sel:BYTE_3 src1_sel:DWORD
	s_andn2_b64 s[4:5], s[4:5], exec
	s_and_b64 s[8:9], s[8:9], exec
	s_or_b64 s[4:5], s[4:5], s[8:9]
	s_or_b64 exec, exec, s[6:7]
	s_and_saveexec_b64 s[6:7], s[4:5]
	s_cbranch_execz .LBB1_32383
; %bb.57599:
	s_getpc_b64 s[14:15]
.Lpost_getpc14463:
	s_add_u32 s14, s14, (.LBB1_7423-.Lpost_getpc14463)&4294967295
	s_addc_u32 s15, s15, (.LBB1_7423-.Lpost_getpc14463)>>32
	s_setpc_b64 s[14:15]
.LBB1_32383:
	s_getpc_b64 s[14:15]
.Lpost_getpc1855:
	s_add_u32 s14, s14, (.LBB1_7424-.Lpost_getpc1855)&4294967295
	s_addc_u32 s15, s15, (.LBB1_7424-.Lpost_getpc1855)>>32
	s_setpc_b64 s[14:15]
.LBB1_21761:
	s_movk_i32 s4, 0x80
	v_cmp_eq_u16_sdwa s[12:13], v6, s4 src0_sel:BYTE_0 src1_sel:DWORD
	s_mov_b64 s[4:5], -1
                                        ; implicit-def: $sgpr10
	s_and_saveexec_b64 s[8:9], s[12:13]
; %bb.21762:
	s_mov_b32 s10, 0x7f800001
	s_xor_b64 s[4:5], exec, -1
; %bb.21763:
	s_or_b64 exec, exec, s[8:9]
	s_and_b64 s[4:5], s[4:5], exec
	s_or_saveexec_b64 s[6:7], s[6:7]
	v_mov_b32_e32 v12, s10
	s_xor_b64 exec, exec, s[6:7]
	s_cbranch_execnz .LBB1_21764
; %bb.57601:
	s_getpc_b64 s[14:15]
.Lpost_getpc14464:
	s_add_u32 s14, s14, (.LBB1_7426-.Lpost_getpc14464)&4294967295
	s_addc_u32 s15, s15, (.LBB1_7426-.Lpost_getpc14464)>>32
	s_setpc_b64 s[14:15]
.LBB1_21764:
	v_mov_b32_e32 v12, 0
	v_cmp_ne_u16_sdwa s[8:9], v6, v12 src0_sel:BYTE_0 src1_sel:DWORD
	s_andn2_b64 s[4:5], s[4:5], exec
	s_and_b64 s[8:9], s[8:9], exec
	s_or_b64 s[4:5], s[4:5], s[8:9]
	s_or_b64 exec, exec, s[6:7]
	s_and_saveexec_b64 s[6:7], s[4:5]
	s_cbranch_execz .LBB1_32385
; %bb.57603:
	s_getpc_b64 s[14:15]
.Lpost_getpc14465:
	s_add_u32 s14, s14, (.LBB1_7427-.Lpost_getpc14465)&4294967295
	s_addc_u32 s15, s15, (.LBB1_7427-.Lpost_getpc14465)>>32
	s_setpc_b64 s[14:15]
.LBB1_32385:
	s_getpc_b64 s[14:15]
.Lpost_getpc1856:
	s_add_u32 s14, s14, (.LBB1_7428-.Lpost_getpc1856)&4294967295
	s_addc_u32 s15, s15, (.LBB1_7428-.Lpost_getpc1856)>>32
	s_setpc_b64 s[14:15]
.LBB1_21765:
	s_movk_i32 s4, 0x80
	v_cmp_eq_u16_sdwa s[12:13], v2, s4 src0_sel:BYTE_0 src1_sel:DWORD
	s_mov_b64 s[4:5], -1
                                        ; implicit-def: $sgpr10
	s_and_saveexec_b64 s[8:9], s[12:13]
; %bb.21766:
	s_mov_b32 s10, 0x7f800001
	s_xor_b64 s[4:5], exec, -1
; %bb.21767:
	s_or_b64 exec, exec, s[8:9]
	s_and_b64 s[4:5], s[4:5], exec
	s_or_saveexec_b64 s[6:7], s[6:7]
	v_mov_b32_e32 v13, s10
	s_xor_b64 exec, exec, s[6:7]
	s_cbranch_execnz .LBB1_21768
; %bb.57605:
	s_getpc_b64 s[14:15]
.Lpost_getpc14466:
	s_add_u32 s14, s14, (.LBB1_7430-.Lpost_getpc14466)&4294967295
	s_addc_u32 s15, s15, (.LBB1_7430-.Lpost_getpc14466)>>32
	s_setpc_b64 s[14:15]
.LBB1_21768:
	v_mov_b32_e32 v13, 0
	v_cmp_ne_u16_sdwa s[8:9], v2, v13 src0_sel:BYTE_0 src1_sel:DWORD
	s_andn2_b64 s[4:5], s[4:5], exec
	s_and_b64 s[8:9], s[8:9], exec
	s_or_b64 s[4:5], s[4:5], s[8:9]
	s_or_b64 exec, exec, s[6:7]
	s_and_saveexec_b64 s[6:7], s[4:5]
	s_cbranch_execz .LBB1_32387
; %bb.57607:
	s_getpc_b64 s[14:15]
.Lpost_getpc14467:
	s_add_u32 s14, s14, (.LBB1_7431-.Lpost_getpc14467)&4294967295
	s_addc_u32 s15, s15, (.LBB1_7431-.Lpost_getpc14467)>>32
	s_setpc_b64 s[14:15]
.LBB1_32387:
	s_getpc_b64 s[14:15]
.Lpost_getpc1857:
	s_add_u32 s14, s14, (.LBB1_7432-.Lpost_getpc1857)&4294967295
	s_addc_u32 s15, s15, (.LBB1_7432-.Lpost_getpc1857)>>32
	s_setpc_b64 s[14:15]
.LBB1_21769:
	s_movk_i32 s4, 0x80
	v_cmp_eq_u16_sdwa s[12:13], v13, s4 src0_sel:BYTE_0 src1_sel:DWORD
	s_mov_b64 s[4:5], -1
                                        ; implicit-def: $sgpr10
	s_and_saveexec_b64 s[8:9], s[12:13]
; %bb.21770:
	s_mov_b32 s10, 0x7f800001
	s_xor_b64 s[4:5], exec, -1
; %bb.21771:
	s_or_b64 exec, exec, s[8:9]
	s_and_b64 s[4:5], s[4:5], exec
	s_or_saveexec_b64 s[6:7], s[6:7]
	v_mov_b32_e32 v12, s10
	s_xor_b64 exec, exec, s[6:7]
	s_cbranch_execnz .LBB1_21772
; %bb.57609:
	s_getpc_b64 s[14:15]
.Lpost_getpc14468:
	s_add_u32 s14, s14, (.LBB1_7434-.Lpost_getpc14468)&4294967295
	s_addc_u32 s15, s15, (.LBB1_7434-.Lpost_getpc14468)>>32
	s_setpc_b64 s[14:15]
.LBB1_21772:
	v_mov_b32_e32 v12, 0
	v_cmp_ne_u16_sdwa s[8:9], v13, v12 src0_sel:BYTE_0 src1_sel:DWORD
	s_andn2_b64 s[4:5], s[4:5], exec
	s_and_b64 s[8:9], s[8:9], exec
	s_or_b64 s[4:5], s[4:5], s[8:9]
	s_or_b64 exec, exec, s[6:7]
	s_and_saveexec_b64 s[6:7], s[4:5]
	s_cbranch_execz .LBB1_32389
; %bb.57611:
	s_getpc_b64 s[14:15]
.Lpost_getpc14469:
	s_add_u32 s14, s14, (.LBB1_7435-.Lpost_getpc14469)&4294967295
	s_addc_u32 s15, s15, (.LBB1_7435-.Lpost_getpc14469)>>32
	s_setpc_b64 s[14:15]
.LBB1_32389:
	s_getpc_b64 s[14:15]
.Lpost_getpc1858:
	s_add_u32 s14, s14, (.LBB1_7436-.Lpost_getpc1858)&4294967295
	s_addc_u32 s15, s15, (.LBB1_7436-.Lpost_getpc1858)>>32
	s_setpc_b64 s[14:15]
.LBB1_21773:
	s_movk_i32 s4, 0x80
	v_cmp_eq_u16_sdwa s[12:13], v13, s4 src0_sel:BYTE_0 src1_sel:DWORD
	s_mov_b64 s[4:5], -1
                                        ; implicit-def: $sgpr10
	s_and_saveexec_b64 s[8:9], s[12:13]
; %bb.21774:
	s_mov_b32 s10, 0x7f800001
	s_xor_b64 s[4:5], exec, -1
; %bb.21775:
	s_or_b64 exec, exec, s[8:9]
	s_and_b64 s[4:5], s[4:5], exec
	s_or_saveexec_b64 s[6:7], s[6:7]
	v_mov_b32_e32 v14, s10
	s_xor_b64 exec, exec, s[6:7]
	s_cbranch_execnz .LBB1_21776
; %bb.57613:
	s_getpc_b64 s[14:15]
.Lpost_getpc14470:
	s_add_u32 s14, s14, (.LBB1_7438-.Lpost_getpc14470)&4294967295
	s_addc_u32 s15, s15, (.LBB1_7438-.Lpost_getpc14470)>>32
	s_setpc_b64 s[14:15]
.LBB1_21776:
	v_mov_b32_e32 v14, 0
	v_cmp_ne_u16_sdwa s[8:9], v13, v14 src0_sel:BYTE_0 src1_sel:DWORD
	s_andn2_b64 s[4:5], s[4:5], exec
	s_and_b64 s[8:9], s[8:9], exec
	s_or_b64 s[4:5], s[4:5], s[8:9]
	s_or_b64 exec, exec, s[6:7]
	s_and_saveexec_b64 s[6:7], s[4:5]
	s_cbranch_execz .LBB1_32391
; %bb.57615:
	s_getpc_b64 s[14:15]
.Lpost_getpc14471:
	s_add_u32 s14, s14, (.LBB1_7439-.Lpost_getpc14471)&4294967295
	s_addc_u32 s15, s15, (.LBB1_7439-.Lpost_getpc14471)>>32
	s_setpc_b64 s[14:15]
.LBB1_32391:
	s_getpc_b64 s[14:15]
.Lpost_getpc1859:
	s_add_u32 s14, s14, (.LBB1_7440-.Lpost_getpc1859)&4294967295
	s_addc_u32 s15, s15, (.LBB1_7440-.Lpost_getpc1859)>>32
	s_setpc_b64 s[14:15]
.LBB1_21777:
	s_movk_i32 s4, 0x80
	v_cmp_eq_u16_e32 vcc, s4, v13
	s_mov_b64 s[4:5], -1
                                        ; implicit-def: $sgpr10
	s_and_saveexec_b64 s[8:9], vcc
; %bb.21778:
	s_mov_b32 s10, 0x7f800001
	s_xor_b64 s[4:5], exec, -1
; %bb.21779:
	s_or_b64 exec, exec, s[8:9]
	s_and_b64 s[4:5], s[4:5], exec
                                        ; implicit-def: $vgpr13
	s_or_saveexec_b64 s[6:7], s[6:7]
	v_mov_b32_e32 v12, s10
	s_xor_b64 exec, exec, s[6:7]
	s_cbranch_execnz .LBB1_21780
; %bb.57617:
	s_getpc_b64 s[14:15]
.Lpost_getpc14472:
	s_add_u32 s14, s14, (.LBB1_7442-.Lpost_getpc14472)&4294967295
	s_addc_u32 s15, s15, (.LBB1_7442-.Lpost_getpc14472)>>32
	s_setpc_b64 s[14:15]
.LBB1_21780:
	v_cmp_ne_u16_e32 vcc, 0, v13
	s_andn2_b64 s[4:5], s[4:5], exec
	s_and_b64 s[8:9], vcc, exec
	v_mov_b32_e32 v12, 0
	s_or_b64 s[4:5], s[4:5], s[8:9]
	s_or_b64 exec, exec, s[6:7]
	s_and_saveexec_b64 s[6:7], s[4:5]
	s_cbranch_execz .LBB1_32393
; %bb.57619:
	s_getpc_b64 s[14:15]
.Lpost_getpc14473:
	s_add_u32 s14, s14, (.LBB1_7443-.Lpost_getpc14473)&4294967295
	s_addc_u32 s15, s15, (.LBB1_7443-.Lpost_getpc14473)>>32
	s_setpc_b64 s[14:15]
.LBB1_32393:
	s_getpc_b64 s[14:15]
.Lpost_getpc1860:
	s_add_u32 s14, s14, (.LBB1_7444-.Lpost_getpc1860)&4294967295
	s_addc_u32 s15, s15, (.LBB1_7444-.Lpost_getpc1860)>>32
	s_setpc_b64 s[14:15]
.LBB1_21781:
	s_movk_i32 s4, 0x80
	v_cmp_eq_u16_e32 vcc, s4, v13
	s_mov_b64 s[4:5], -1
                                        ; implicit-def: $sgpr10
	s_and_saveexec_b64 s[8:9], vcc
; %bb.21782:
	s_mov_b32 s10, 0x7f800001
	s_xor_b64 s[4:5], exec, -1
; %bb.21783:
	s_or_b64 exec, exec, s[8:9]
	s_and_b64 s[4:5], s[4:5], exec
                                        ; implicit-def: $vgpr13
	s_or_saveexec_b64 s[6:7], s[6:7]
	v_mov_b32_e32 v14, s10
	s_xor_b64 exec, exec, s[6:7]
	s_cbranch_execnz .LBB1_21784
; %bb.57621:
	s_getpc_b64 s[14:15]
.Lpost_getpc14474:
	s_add_u32 s14, s14, (.LBB1_7446-.Lpost_getpc14474)&4294967295
	s_addc_u32 s15, s15, (.LBB1_7446-.Lpost_getpc14474)>>32
	s_setpc_b64 s[14:15]
.LBB1_21784:
	v_cmp_ne_u16_e32 vcc, 0, v13
	s_andn2_b64 s[4:5], s[4:5], exec
	s_and_b64 s[8:9], vcc, exec
	v_mov_b32_e32 v14, 0
	s_or_b64 s[4:5], s[4:5], s[8:9]
	s_or_b64 exec, exec, s[6:7]
	s_and_saveexec_b64 s[6:7], s[4:5]
	s_cbranch_execz .LBB1_32395
; %bb.57623:
	s_getpc_b64 s[14:15]
.Lpost_getpc14475:
	s_add_u32 s14, s14, (.LBB1_7447-.Lpost_getpc14475)&4294967295
	s_addc_u32 s15, s15, (.LBB1_7447-.Lpost_getpc14475)>>32
	s_setpc_b64 s[14:15]
.LBB1_32395:
	s_getpc_b64 s[14:15]
.Lpost_getpc1861:
	s_add_u32 s14, s14, (.LBB1_7448-.Lpost_getpc1861)&4294967295
	s_addc_u32 s15, s15, (.LBB1_7448-.Lpost_getpc1861)>>32
	s_setpc_b64 s[14:15]
.LBB1_21785:
	s_movk_i32 s4, 0x80
	v_cmp_eq_u16_sdwa s[12:13], v6, s4 src0_sel:BYTE_3 src1_sel:DWORD
	s_mov_b64 s[4:5], -1
                                        ; implicit-def: $sgpr10
	s_and_saveexec_b64 s[8:9], s[12:13]
; %bb.21786:
	s_mov_b32 s10, 0x7f800001
	s_xor_b64 s[4:5], exec, -1
; %bb.21787:
	s_or_b64 exec, exec, s[8:9]
	s_and_b64 s[4:5], s[4:5], exec
	s_or_saveexec_b64 s[6:7], s[6:7]
	v_mov_b32_e32 v12, s10
	s_xor_b64 exec, exec, s[6:7]
	s_cbranch_execnz .LBB1_21788
; %bb.57625:
	s_getpc_b64 s[14:15]
.Lpost_getpc14476:
	s_add_u32 s14, s14, (.LBB1_7450-.Lpost_getpc14476)&4294967295
	s_addc_u32 s15, s15, (.LBB1_7450-.Lpost_getpc14476)>>32
	s_setpc_b64 s[14:15]
.LBB1_21788:
	v_mov_b32_e32 v12, 0
	v_cmp_ne_u16_sdwa s[8:9], v6, v12 src0_sel:BYTE_3 src1_sel:DWORD
	s_andn2_b64 s[4:5], s[4:5], exec
	s_and_b64 s[8:9], s[8:9], exec
	s_or_b64 s[4:5], s[4:5], s[8:9]
	s_or_b64 exec, exec, s[6:7]
	s_and_saveexec_b64 s[6:7], s[4:5]
	s_cbranch_execz .LBB1_32397
; %bb.57627:
	s_getpc_b64 s[14:15]
.Lpost_getpc14477:
	s_add_u32 s14, s14, (.LBB1_7451-.Lpost_getpc14477)&4294967295
	s_addc_u32 s15, s15, (.LBB1_7451-.Lpost_getpc14477)>>32
	s_setpc_b64 s[14:15]
.LBB1_32397:
	s_getpc_b64 s[14:15]
.Lpost_getpc1862:
	s_add_u32 s14, s14, (.LBB1_7452-.Lpost_getpc1862)&4294967295
	s_addc_u32 s15, s15, (.LBB1_7452-.Lpost_getpc1862)>>32
	s_setpc_b64 s[14:15]
.LBB1_21789:
	s_movk_i32 s4, 0x80
	v_cmp_eq_u16_sdwa s[12:13], v2, s4 src0_sel:BYTE_3 src1_sel:DWORD
	s_mov_b64 s[4:5], -1
                                        ; implicit-def: $sgpr10
	s_and_saveexec_b64 s[8:9], s[12:13]
; %bb.21790:
	s_mov_b32 s10, 0x7f800001
	s_xor_b64 s[4:5], exec, -1
; %bb.21791:
	s_or_b64 exec, exec, s[8:9]
	s_and_b64 s[4:5], s[4:5], exec
	s_or_saveexec_b64 s[6:7], s[6:7]
	v_mov_b32_e32 v6, s10
	s_xor_b64 exec, exec, s[6:7]
	s_cbranch_execnz .LBB1_21792
; %bb.57629:
	s_getpc_b64 s[14:15]
.Lpost_getpc14478:
	s_add_u32 s14, s14, (.LBB1_7454-.Lpost_getpc14478)&4294967295
	s_addc_u32 s15, s15, (.LBB1_7454-.Lpost_getpc14478)>>32
	s_setpc_b64 s[14:15]
.LBB1_21792:
	v_mov_b32_e32 v6, 0
	v_cmp_ne_u16_sdwa s[8:9], v2, v6 src0_sel:BYTE_3 src1_sel:DWORD
	s_andn2_b64 s[4:5], s[4:5], exec
	s_and_b64 s[8:9], s[8:9], exec
	s_or_b64 s[4:5], s[4:5], s[8:9]
	s_or_b64 exec, exec, s[6:7]
	s_and_saveexec_b64 s[6:7], s[4:5]
	s_cbranch_execz .LBB1_32399
; %bb.57631:
	s_getpc_b64 s[14:15]
.Lpost_getpc14479:
	s_add_u32 s14, s14, (.LBB1_7455-.Lpost_getpc14479)&4294967295
	s_addc_u32 s15, s15, (.LBB1_7455-.Lpost_getpc14479)>>32
	s_setpc_b64 s[14:15]
.LBB1_32399:
	s_getpc_b64 s[14:15]
.Lpost_getpc1863:
	s_add_u32 s14, s14, (.LBB1_7456-.Lpost_getpc1863)&4294967295
	s_addc_u32 s15, s15, (.LBB1_7456-.Lpost_getpc1863)>>32
	s_setpc_b64 s[14:15]
.LBB1_21793:
	s_movk_i32 s4, 0x80
	v_cmp_eq_u16_sdwa s[12:13], v7, s4 src0_sel:BYTE_0 src1_sel:DWORD
	s_mov_b64 s[4:5], -1
                                        ; implicit-def: $sgpr10
	s_and_saveexec_b64 s[8:9], s[12:13]
; %bb.21794:
	s_mov_b32 s10, 0x7f800001
	s_xor_b64 s[4:5], exec, -1
; %bb.21795:
	s_or_b64 exec, exec, s[8:9]
	s_and_b64 s[4:5], s[4:5], exec
	s_or_saveexec_b64 s[6:7], s[6:7]
	v_mov_b32_e32 v2, s10
	s_xor_b64 exec, exec, s[6:7]
	s_cbranch_execnz .LBB1_21796
; %bb.57633:
	s_getpc_b64 s[14:15]
.Lpost_getpc14480:
	s_add_u32 s14, s14, (.LBB1_7458-.Lpost_getpc14480)&4294967295
	s_addc_u32 s15, s15, (.LBB1_7458-.Lpost_getpc14480)>>32
	s_setpc_b64 s[14:15]
.LBB1_21796:
	v_mov_b32_e32 v2, 0
	v_cmp_ne_u16_sdwa s[8:9], v7, v2 src0_sel:BYTE_0 src1_sel:DWORD
	s_andn2_b64 s[4:5], s[4:5], exec
	s_and_b64 s[8:9], s[8:9], exec
	s_or_b64 s[4:5], s[4:5], s[8:9]
	s_or_b64 exec, exec, s[6:7]
	s_and_saveexec_b64 s[6:7], s[4:5]
	s_cbranch_execz .LBB1_32401
; %bb.57635:
	s_getpc_b64 s[14:15]
.Lpost_getpc14481:
	s_add_u32 s14, s14, (.LBB1_7459-.Lpost_getpc14481)&4294967295
	s_addc_u32 s15, s15, (.LBB1_7459-.Lpost_getpc14481)>>32
	s_setpc_b64 s[14:15]
.LBB1_32401:
	s_getpc_b64 s[14:15]
.Lpost_getpc1864:
	s_add_u32 s14, s14, (.LBB1_7460-.Lpost_getpc1864)&4294967295
	s_addc_u32 s15, s15, (.LBB1_7460-.Lpost_getpc1864)>>32
	s_setpc_b64 s[14:15]
.LBB1_21797:
	s_movk_i32 s4, 0x80
	v_cmp_eq_u16_sdwa s[12:13], v3, s4 src0_sel:BYTE_0 src1_sel:DWORD
	s_mov_b64 s[4:5], -1
                                        ; implicit-def: $sgpr10
	s_and_saveexec_b64 s[8:9], s[12:13]
; %bb.21798:
	s_mov_b32 s10, 0x7f800001
	s_xor_b64 s[4:5], exec, -1
; %bb.21799:
	s_or_b64 exec, exec, s[8:9]
	s_and_b64 s[4:5], s[4:5], exec
	s_or_saveexec_b64 s[6:7], s[6:7]
	v_mov_b32_e32 v6, s10
	s_xor_b64 exec, exec, s[6:7]
	s_cbranch_execnz .LBB1_21800
; %bb.57637:
	s_getpc_b64 s[14:15]
.Lpost_getpc14482:
	s_add_u32 s14, s14, (.LBB1_7462-.Lpost_getpc14482)&4294967295
	s_addc_u32 s15, s15, (.LBB1_7462-.Lpost_getpc14482)>>32
	s_setpc_b64 s[14:15]
.LBB1_21800:
	v_mov_b32_e32 v6, 0
	v_cmp_ne_u16_sdwa s[8:9], v3, v6 src0_sel:BYTE_0 src1_sel:DWORD
	s_andn2_b64 s[4:5], s[4:5], exec
	s_and_b64 s[8:9], s[8:9], exec
	s_or_b64 s[4:5], s[4:5], s[8:9]
	s_or_b64 exec, exec, s[6:7]
	s_and_saveexec_b64 s[6:7], s[4:5]
	s_cbranch_execz .LBB1_32403
; %bb.57639:
	s_getpc_b64 s[14:15]
.Lpost_getpc14483:
	s_add_u32 s14, s14, (.LBB1_7463-.Lpost_getpc14483)&4294967295
	s_addc_u32 s15, s15, (.LBB1_7463-.Lpost_getpc14483)>>32
	s_setpc_b64 s[14:15]
.LBB1_32403:
	s_getpc_b64 s[14:15]
.Lpost_getpc1865:
	s_add_u32 s14, s14, (.LBB1_7464-.Lpost_getpc1865)&4294967295
	s_addc_u32 s15, s15, (.LBB1_7464-.Lpost_getpc1865)>>32
	s_setpc_b64 s[14:15]
.LBB1_21801:
	s_movk_i32 s4, 0x80
	v_cmp_eq_u16_sdwa s[12:13], v6, s4 src0_sel:BYTE_0 src1_sel:DWORD
	s_mov_b64 s[4:5], -1
                                        ; implicit-def: $sgpr10
	s_and_saveexec_b64 s[8:9], s[12:13]
; %bb.21802:
	s_mov_b32 s10, 0x7f800001
	s_xor_b64 s[4:5], exec, -1
; %bb.21803:
	s_or_b64 exec, exec, s[8:9]
	s_and_b64 s[4:5], s[4:5], exec
	s_or_saveexec_b64 s[6:7], s[6:7]
	v_mov_b32_e32 v2, s10
	s_xor_b64 exec, exec, s[6:7]
	s_cbranch_execnz .LBB1_21804
; %bb.57641:
	s_getpc_b64 s[14:15]
.Lpost_getpc14484:
	s_add_u32 s14, s14, (.LBB1_7466-.Lpost_getpc14484)&4294967295
	s_addc_u32 s15, s15, (.LBB1_7466-.Lpost_getpc14484)>>32
	s_setpc_b64 s[14:15]
.LBB1_21804:
	v_mov_b32_e32 v2, 0
	v_cmp_ne_u16_sdwa s[8:9], v6, v2 src0_sel:BYTE_0 src1_sel:DWORD
	s_andn2_b64 s[4:5], s[4:5], exec
	s_and_b64 s[8:9], s[8:9], exec
	s_or_b64 s[4:5], s[4:5], s[8:9]
	s_or_b64 exec, exec, s[6:7]
	s_and_saveexec_b64 s[6:7], s[4:5]
	s_cbranch_execz .LBB1_32405
; %bb.57643:
	s_getpc_b64 s[14:15]
.Lpost_getpc14485:
	s_add_u32 s14, s14, (.LBB1_7467-.Lpost_getpc14485)&4294967295
	s_addc_u32 s15, s15, (.LBB1_7467-.Lpost_getpc14485)>>32
	s_setpc_b64 s[14:15]
.LBB1_32405:
	s_getpc_b64 s[14:15]
.Lpost_getpc1866:
	s_add_u32 s14, s14, (.LBB1_7468-.Lpost_getpc1866)&4294967295
	s_addc_u32 s15, s15, (.LBB1_7468-.Lpost_getpc1866)>>32
	s_setpc_b64 s[14:15]
.LBB1_21805:
	s_movk_i32 s4, 0x80
	v_cmp_eq_u16_sdwa s[12:13], v6, s4 src0_sel:BYTE_0 src1_sel:DWORD
	s_mov_b64 s[4:5], -1
                                        ; implicit-def: $sgpr10
	s_and_saveexec_b64 s[8:9], s[12:13]
; %bb.21806:
	s_mov_b32 s10, 0x7f800001
	s_xor_b64 s[4:5], exec, -1
; %bb.21807:
	s_or_b64 exec, exec, s[8:9]
	s_and_b64 s[4:5], s[4:5], exec
	s_or_saveexec_b64 s[6:7], s[6:7]
	v_mov_b32_e32 v12, s10
	s_xor_b64 exec, exec, s[6:7]
	s_cbranch_execnz .LBB1_21808
; %bb.57645:
	s_getpc_b64 s[14:15]
.Lpost_getpc14486:
	s_add_u32 s14, s14, (.LBB1_7470-.Lpost_getpc14486)&4294967295
	s_addc_u32 s15, s15, (.LBB1_7470-.Lpost_getpc14486)>>32
	s_setpc_b64 s[14:15]
.LBB1_21808:
	v_mov_b32_e32 v12, 0
	v_cmp_ne_u16_sdwa s[8:9], v6, v12 src0_sel:BYTE_0 src1_sel:DWORD
	s_andn2_b64 s[4:5], s[4:5], exec
	s_and_b64 s[8:9], s[8:9], exec
	s_or_b64 s[4:5], s[4:5], s[8:9]
	s_or_b64 exec, exec, s[6:7]
	s_and_saveexec_b64 s[6:7], s[4:5]
	s_cbranch_execz .LBB1_32407
; %bb.57647:
	s_getpc_b64 s[14:15]
.Lpost_getpc14487:
	s_add_u32 s14, s14, (.LBB1_7471-.Lpost_getpc14487)&4294967295
	s_addc_u32 s15, s15, (.LBB1_7471-.Lpost_getpc14487)>>32
	s_setpc_b64 s[14:15]
.LBB1_32407:
	s_getpc_b64 s[14:15]
.Lpost_getpc1867:
	s_add_u32 s14, s14, (.LBB1_7472-.Lpost_getpc1867)&4294967295
	s_addc_u32 s15, s15, (.LBB1_7472-.Lpost_getpc1867)>>32
	s_setpc_b64 s[14:15]
.LBB1_21809:
	s_movk_i32 s4, 0x80
	v_cmp_eq_u16_e32 vcc, s4, v6
	s_mov_b64 s[4:5], -1
                                        ; implicit-def: $sgpr10
	s_and_saveexec_b64 s[8:9], vcc
; %bb.21810:
	s_mov_b32 s10, 0x7f800001
	s_xor_b64 s[4:5], exec, -1
; %bb.21811:
	s_or_b64 exec, exec, s[8:9]
	s_and_b64 s[4:5], s[4:5], exec
                                        ; implicit-def: $vgpr6
	s_or_saveexec_b64 s[6:7], s[6:7]
	v_mov_b32_e32 v2, s10
	s_xor_b64 exec, exec, s[6:7]
	s_cbranch_execnz .LBB1_21812
; %bb.57649:
	s_getpc_b64 s[14:15]
.Lpost_getpc14488:
	s_add_u32 s14, s14, (.LBB1_7474-.Lpost_getpc14488)&4294967295
	s_addc_u32 s15, s15, (.LBB1_7474-.Lpost_getpc14488)>>32
	s_setpc_b64 s[14:15]
.LBB1_21812:
	v_cmp_ne_u16_e32 vcc, 0, v6
	s_andn2_b64 s[4:5], s[4:5], exec
	s_and_b64 s[8:9], vcc, exec
	v_mov_b32_e32 v2, 0
	s_or_b64 s[4:5], s[4:5], s[8:9]
	s_or_b64 exec, exec, s[6:7]
	s_and_saveexec_b64 s[6:7], s[4:5]
	s_cbranch_execz .LBB1_32409
; %bb.57651:
	s_getpc_b64 s[14:15]
.Lpost_getpc14489:
	s_add_u32 s14, s14, (.LBB1_7475-.Lpost_getpc14489)&4294967295
	s_addc_u32 s15, s15, (.LBB1_7475-.Lpost_getpc14489)>>32
	s_setpc_b64 s[14:15]
.LBB1_32409:
	s_getpc_b64 s[14:15]
.Lpost_getpc1868:
	s_add_u32 s14, s14, (.LBB1_7476-.Lpost_getpc1868)&4294967295
	s_addc_u32 s15, s15, (.LBB1_7476-.Lpost_getpc1868)>>32
	s_setpc_b64 s[14:15]
.LBB1_21813:
	s_movk_i32 s4, 0x80
	v_cmp_eq_u16_e32 vcc, s4, v6
	s_mov_b64 s[4:5], -1
                                        ; implicit-def: $sgpr10
	s_and_saveexec_b64 s[8:9], vcc
; %bb.21814:
	s_mov_b32 s10, 0x7f800001
	s_xor_b64 s[4:5], exec, -1
; %bb.21815:
	s_or_b64 exec, exec, s[8:9]
	s_and_b64 s[4:5], s[4:5], exec
                                        ; implicit-def: $vgpr6
	s_or_saveexec_b64 s[6:7], s[6:7]
	v_mov_b32_e32 v12, s10
	s_xor_b64 exec, exec, s[6:7]
	s_cbranch_execnz .LBB1_21816
; %bb.57653:
	s_getpc_b64 s[14:15]
.Lpost_getpc14490:
	s_add_u32 s14, s14, (.LBB1_7478-.Lpost_getpc14490)&4294967295
	s_addc_u32 s15, s15, (.LBB1_7478-.Lpost_getpc14490)>>32
	s_setpc_b64 s[14:15]
.LBB1_21816:
	v_cmp_ne_u16_e32 vcc, 0, v6
	s_andn2_b64 s[4:5], s[4:5], exec
	s_and_b64 s[8:9], vcc, exec
	v_mov_b32_e32 v12, 0
	s_or_b64 s[4:5], s[4:5], s[8:9]
	s_or_b64 exec, exec, s[6:7]
	s_and_saveexec_b64 s[6:7], s[4:5]
	s_cbranch_execz .LBB1_32411
; %bb.57655:
	s_getpc_b64 s[14:15]
.Lpost_getpc14491:
	s_add_u32 s14, s14, (.LBB1_7479-.Lpost_getpc14491)&4294967295
	s_addc_u32 s15, s15, (.LBB1_7479-.Lpost_getpc14491)>>32
	s_setpc_b64 s[14:15]
.LBB1_32411:
	s_getpc_b64 s[14:15]
.Lpost_getpc1869:
	s_add_u32 s14, s14, (.LBB1_7480-.Lpost_getpc1869)&4294967295
	s_addc_u32 s15, s15, (.LBB1_7480-.Lpost_getpc1869)>>32
	s_setpc_b64 s[14:15]
.LBB1_21817:
	s_movk_i32 s4, 0x80
	v_cmp_eq_u16_sdwa s[12:13], v7, s4 src0_sel:BYTE_3 src1_sel:DWORD
	s_mov_b64 s[4:5], -1
                                        ; implicit-def: $sgpr10
	s_and_saveexec_b64 s[8:9], s[12:13]
; %bb.21818:
	s_mov_b32 s10, 0x7f800001
	s_xor_b64 s[4:5], exec, -1
; %bb.21819:
	s_or_b64 exec, exec, s[8:9]
	s_and_b64 s[4:5], s[4:5], exec
	s_or_saveexec_b64 s[6:7], s[6:7]
	v_mov_b32_e32 v2, s10
	s_xor_b64 exec, exec, s[6:7]
	s_cbranch_execnz .LBB1_21820
; %bb.57657:
	s_getpc_b64 s[14:15]
.Lpost_getpc14492:
	s_add_u32 s14, s14, (.LBB1_7482-.Lpost_getpc14492)&4294967295
	s_addc_u32 s15, s15, (.LBB1_7482-.Lpost_getpc14492)>>32
	s_setpc_b64 s[14:15]
.LBB1_21820:
	v_mov_b32_e32 v2, 0
	v_cmp_ne_u16_sdwa s[8:9], v7, v2 src0_sel:BYTE_3 src1_sel:DWORD
	s_andn2_b64 s[4:5], s[4:5], exec
	s_and_b64 s[8:9], s[8:9], exec
	s_or_b64 s[4:5], s[4:5], s[8:9]
	s_or_b64 exec, exec, s[6:7]
	s_and_saveexec_b64 s[6:7], s[4:5]
	s_cbranch_execz .LBB1_32413
; %bb.57659:
	s_getpc_b64 s[14:15]
.Lpost_getpc14493:
	s_add_u32 s14, s14, (.LBB1_7483-.Lpost_getpc14493)&4294967295
	s_addc_u32 s15, s15, (.LBB1_7483-.Lpost_getpc14493)>>32
	s_setpc_b64 s[14:15]
.LBB1_32413:
	s_getpc_b64 s[14:15]
.Lpost_getpc1870:
	s_add_u32 s14, s14, (.LBB1_7484-.Lpost_getpc1870)&4294967295
	s_addc_u32 s15, s15, (.LBB1_7484-.Lpost_getpc1870)>>32
	s_setpc_b64 s[14:15]
.LBB1_21821:
	s_movk_i32 s4, 0x80
	v_cmp_eq_u16_sdwa s[12:13], v3, s4 src0_sel:BYTE_3 src1_sel:DWORD
	s_mov_b64 s[4:5], -1
                                        ; implicit-def: $sgpr10
	s_and_saveexec_b64 s[8:9], s[12:13]
; %bb.21822:
	s_mov_b32 s10, 0x7f800001
	s_xor_b64 s[4:5], exec, -1
; %bb.21823:
	s_or_b64 exec, exec, s[8:9]
	s_and_b64 s[4:5], s[4:5], exec
	s_or_saveexec_b64 s[6:7], s[6:7]
	v_mov_b32_e32 v6, s10
	s_xor_b64 exec, exec, s[6:7]
	s_cbranch_execnz .LBB1_21824
; %bb.57661:
	s_getpc_b64 s[14:15]
.Lpost_getpc14494:
	s_add_u32 s14, s14, (.LBB1_7486-.Lpost_getpc14494)&4294967295
	s_addc_u32 s15, s15, (.LBB1_7486-.Lpost_getpc14494)>>32
	s_setpc_b64 s[14:15]
.LBB1_21824:
	v_mov_b32_e32 v6, 0
	v_cmp_ne_u16_sdwa s[8:9], v3, v6 src0_sel:BYTE_3 src1_sel:DWORD
	s_andn2_b64 s[4:5], s[4:5], exec
	s_and_b64 s[8:9], s[8:9], exec
	s_or_b64 s[4:5], s[4:5], s[8:9]
	s_or_b64 exec, exec, s[6:7]
	s_and_saveexec_b64 s[6:7], s[4:5]
	s_cbranch_execz .LBB1_32415
; %bb.57663:
	s_getpc_b64 s[14:15]
.Lpost_getpc14495:
	s_add_u32 s14, s14, (.LBB1_7487-.Lpost_getpc14495)&4294967295
	s_addc_u32 s15, s15, (.LBB1_7487-.Lpost_getpc14495)>>32
	s_setpc_b64 s[14:15]
.LBB1_32415:
	s_getpc_b64 s[14:15]
.Lpost_getpc1871:
	s_add_u32 s14, s14, (.LBB1_7488-.Lpost_getpc1871)&4294967295
	s_addc_u32 s15, s15, (.LBB1_7488-.Lpost_getpc1871)>>32
	s_setpc_b64 s[14:15]
.LBB1_21825:
	s_movk_i32 s4, 0x80
	v_cmp_eq_u16_sdwa s[12:13], v8, s4 src0_sel:BYTE_0 src1_sel:DWORD
	s_mov_b64 s[4:5], -1
                                        ; implicit-def: $sgpr10
	s_and_saveexec_b64 s[8:9], s[12:13]
; %bb.21826:
	s_mov_b32 s10, 0x7f800001
	s_xor_b64 s[4:5], exec, -1
; %bb.21827:
	s_or_b64 exec, exec, s[8:9]
	s_and_b64 s[4:5], s[4:5], exec
	s_or_saveexec_b64 s[6:7], s[6:7]
	v_mov_b32_e32 v2, s10
	s_xor_b64 exec, exec, s[6:7]
	s_cbranch_execnz .LBB1_21828
; %bb.57665:
	s_getpc_b64 s[14:15]
.Lpost_getpc14496:
	s_add_u32 s14, s14, (.LBB1_7490-.Lpost_getpc14496)&4294967295
	s_addc_u32 s15, s15, (.LBB1_7490-.Lpost_getpc14496)>>32
	s_setpc_b64 s[14:15]
.LBB1_21828:
	v_mov_b32_e32 v2, 0
	v_cmp_ne_u16_sdwa s[8:9], v8, v2 src0_sel:BYTE_0 src1_sel:DWORD
	s_andn2_b64 s[4:5], s[4:5], exec
	s_and_b64 s[8:9], s[8:9], exec
	s_or_b64 s[4:5], s[4:5], s[8:9]
	s_or_b64 exec, exec, s[6:7]
	s_and_saveexec_b64 s[6:7], s[4:5]
	s_cbranch_execz .LBB1_32417
; %bb.57667:
	s_getpc_b64 s[14:15]
.Lpost_getpc14497:
	s_add_u32 s14, s14, (.LBB1_7491-.Lpost_getpc14497)&4294967295
	s_addc_u32 s15, s15, (.LBB1_7491-.Lpost_getpc14497)>>32
	s_setpc_b64 s[14:15]
.LBB1_32417:
	s_getpc_b64 s[14:15]
.Lpost_getpc1872:
	s_add_u32 s14, s14, (.LBB1_7492-.Lpost_getpc1872)&4294967295
	s_addc_u32 s15, s15, (.LBB1_7492-.Lpost_getpc1872)>>32
	s_setpc_b64 s[14:15]
.LBB1_21829:
	s_movk_i32 s4, 0x80
	v_cmp_eq_u16_sdwa s[12:13], v4, s4 src0_sel:BYTE_0 src1_sel:DWORD
	s_mov_b64 s[4:5], -1
                                        ; implicit-def: $sgpr10
	s_and_saveexec_b64 s[8:9], s[12:13]
; %bb.21830:
	s_mov_b32 s10, 0x7f800001
	s_xor_b64 s[4:5], exec, -1
; %bb.21831:
	s_or_b64 exec, exec, s[8:9]
	s_and_b64 s[4:5], s[4:5], exec
	s_or_saveexec_b64 s[6:7], s[6:7]
	v_mov_b32_e32 v3, s10
	s_xor_b64 exec, exec, s[6:7]
	s_cbranch_execnz .LBB1_21832
; %bb.57669:
	s_getpc_b64 s[14:15]
.Lpost_getpc14498:
	s_add_u32 s14, s14, (.LBB1_7494-.Lpost_getpc14498)&4294967295
	s_addc_u32 s15, s15, (.LBB1_7494-.Lpost_getpc14498)>>32
	s_setpc_b64 s[14:15]
.LBB1_21832:
	v_mov_b32_e32 v3, 0
	v_cmp_ne_u16_sdwa s[8:9], v4, v3 src0_sel:BYTE_0 src1_sel:DWORD
	s_andn2_b64 s[4:5], s[4:5], exec
	s_and_b64 s[8:9], s[8:9], exec
	s_or_b64 s[4:5], s[4:5], s[8:9]
	s_or_b64 exec, exec, s[6:7]
	s_and_saveexec_b64 s[6:7], s[4:5]
	s_cbranch_execz .LBB1_32419
; %bb.57671:
	s_getpc_b64 s[14:15]
.Lpost_getpc14499:
	s_add_u32 s14, s14, (.LBB1_7495-.Lpost_getpc14499)&4294967295
	s_addc_u32 s15, s15, (.LBB1_7495-.Lpost_getpc14499)>>32
	s_setpc_b64 s[14:15]
.LBB1_32419:
	s_getpc_b64 s[14:15]
.Lpost_getpc1873:
	s_add_u32 s14, s14, (.LBB1_7496-.Lpost_getpc1873)&4294967295
	s_addc_u32 s15, s15, (.LBB1_7496-.Lpost_getpc1873)>>32
	s_setpc_b64 s[14:15]
.LBB1_21833:
	s_movk_i32 s4, 0x80
	v_cmp_eq_u16_sdwa s[12:13], v3, s4 src0_sel:BYTE_0 src1_sel:DWORD
	s_mov_b64 s[4:5], -1
                                        ; implicit-def: $sgpr10
	s_and_saveexec_b64 s[8:9], s[12:13]
; %bb.21834:
	s_mov_b32 s10, 0x7f800001
	s_xor_b64 s[4:5], exec, -1
; %bb.21835:
	s_or_b64 exec, exec, s[8:9]
	s_and_b64 s[4:5], s[4:5], exec
	s_or_saveexec_b64 s[6:7], s[6:7]
	v_mov_b32_e32 v2, s10
	s_xor_b64 exec, exec, s[6:7]
	s_cbranch_execnz .LBB1_21836
; %bb.57673:
	s_getpc_b64 s[14:15]
.Lpost_getpc14500:
	s_add_u32 s14, s14, (.LBB1_7498-.Lpost_getpc14500)&4294967295
	s_addc_u32 s15, s15, (.LBB1_7498-.Lpost_getpc14500)>>32
	s_setpc_b64 s[14:15]
.LBB1_21836:
	v_mov_b32_e32 v2, 0
	v_cmp_ne_u16_sdwa s[8:9], v3, v2 src0_sel:BYTE_0 src1_sel:DWORD
	s_andn2_b64 s[4:5], s[4:5], exec
	s_and_b64 s[8:9], s[8:9], exec
	s_or_b64 s[4:5], s[4:5], s[8:9]
	s_or_b64 exec, exec, s[6:7]
	s_and_saveexec_b64 s[6:7], s[4:5]
	s_cbranch_execz .LBB1_32421
; %bb.57675:
	s_getpc_b64 s[14:15]
.Lpost_getpc14501:
	s_add_u32 s14, s14, (.LBB1_7499-.Lpost_getpc14501)&4294967295
	s_addc_u32 s15, s15, (.LBB1_7499-.Lpost_getpc14501)>>32
	s_setpc_b64 s[14:15]
.LBB1_32421:
	s_getpc_b64 s[14:15]
.Lpost_getpc1874:
	s_add_u32 s14, s14, (.LBB1_7500-.Lpost_getpc1874)&4294967295
	s_addc_u32 s15, s15, (.LBB1_7500-.Lpost_getpc1874)>>32
	s_setpc_b64 s[14:15]
.LBB1_21837:
	s_movk_i32 s4, 0x80
	v_cmp_eq_u16_sdwa s[12:13], v3, s4 src0_sel:BYTE_0 src1_sel:DWORD
	s_mov_b64 s[4:5], -1
                                        ; implicit-def: $sgpr10
	s_and_saveexec_b64 s[8:9], s[12:13]
; %bb.21838:
	s_mov_b32 s10, 0x7f800001
	s_xor_b64 s[4:5], exec, -1
; %bb.21839:
	s_or_b64 exec, exec, s[8:9]
	s_and_b64 s[4:5], s[4:5], exec
	s_or_saveexec_b64 s[6:7], s[6:7]
	v_mov_b32_e32 v6, s10
	s_xor_b64 exec, exec, s[6:7]
	s_cbranch_execnz .LBB1_21840
; %bb.57677:
	s_getpc_b64 s[14:15]
.Lpost_getpc14502:
	s_add_u32 s14, s14, (.LBB1_7502-.Lpost_getpc14502)&4294967295
	s_addc_u32 s15, s15, (.LBB1_7502-.Lpost_getpc14502)>>32
	s_setpc_b64 s[14:15]
.LBB1_21840:
	v_mov_b32_e32 v6, 0
	v_cmp_ne_u16_sdwa s[8:9], v3, v6 src0_sel:BYTE_0 src1_sel:DWORD
	s_andn2_b64 s[4:5], s[4:5], exec
	s_and_b64 s[8:9], s[8:9], exec
	s_or_b64 s[4:5], s[4:5], s[8:9]
	s_or_b64 exec, exec, s[6:7]
	s_and_saveexec_b64 s[6:7], s[4:5]
	s_cbranch_execz .LBB1_32423
; %bb.57679:
	s_getpc_b64 s[14:15]
.Lpost_getpc14503:
	s_add_u32 s14, s14, (.LBB1_7503-.Lpost_getpc14503)&4294967295
	s_addc_u32 s15, s15, (.LBB1_7503-.Lpost_getpc14503)>>32
	s_setpc_b64 s[14:15]
.LBB1_32423:
	s_getpc_b64 s[14:15]
.Lpost_getpc1875:
	s_add_u32 s14, s14, (.LBB1_7504-.Lpost_getpc1875)&4294967295
	s_addc_u32 s15, s15, (.LBB1_7504-.Lpost_getpc1875)>>32
	s_setpc_b64 s[14:15]
.LBB1_21841:
	s_movk_i32 s4, 0x80
	v_cmp_eq_u16_e32 vcc, s4, v3
	s_mov_b64 s[4:5], -1
                                        ; implicit-def: $sgpr10
	s_and_saveexec_b64 s[8:9], vcc
; %bb.21842:
	s_mov_b32 s10, 0x7f800001
	s_xor_b64 s[4:5], exec, -1
; %bb.21843:
	s_or_b64 exec, exec, s[8:9]
	s_and_b64 s[4:5], s[4:5], exec
                                        ; implicit-def: $vgpr3
	s_or_saveexec_b64 s[6:7], s[6:7]
	v_mov_b32_e32 v2, s10
	s_xor_b64 exec, exec, s[6:7]
	s_cbranch_execnz .LBB1_21844
; %bb.57681:
	s_getpc_b64 s[14:15]
.Lpost_getpc14504:
	s_add_u32 s14, s14, (.LBB1_7506-.Lpost_getpc14504)&4294967295
	s_addc_u32 s15, s15, (.LBB1_7506-.Lpost_getpc14504)>>32
	s_setpc_b64 s[14:15]
.LBB1_21844:
	v_cmp_ne_u16_e32 vcc, 0, v3
	s_andn2_b64 s[4:5], s[4:5], exec
	s_and_b64 s[8:9], vcc, exec
	v_mov_b32_e32 v2, 0
	s_or_b64 s[4:5], s[4:5], s[8:9]
	s_or_b64 exec, exec, s[6:7]
	s_and_saveexec_b64 s[6:7], s[4:5]
	s_cbranch_execz .LBB1_32425
; %bb.57683:
	s_getpc_b64 s[14:15]
.Lpost_getpc14505:
	s_add_u32 s14, s14, (.LBB1_7507-.Lpost_getpc14505)&4294967295
	s_addc_u32 s15, s15, (.LBB1_7507-.Lpost_getpc14505)>>32
	s_setpc_b64 s[14:15]
.LBB1_32425:
	s_getpc_b64 s[14:15]
.Lpost_getpc1876:
	s_add_u32 s14, s14, (.LBB1_7508-.Lpost_getpc1876)&4294967295
	s_addc_u32 s15, s15, (.LBB1_7508-.Lpost_getpc1876)>>32
	s_setpc_b64 s[14:15]
.LBB1_21845:
	s_movk_i32 s4, 0x80
	v_cmp_eq_u16_e32 vcc, s4, v3
	s_mov_b64 s[4:5], -1
                                        ; implicit-def: $sgpr10
	s_and_saveexec_b64 s[8:9], vcc
; %bb.21846:
	s_mov_b32 s10, 0x7f800001
	s_xor_b64 s[4:5], exec, -1
; %bb.21847:
	s_or_b64 exec, exec, s[8:9]
	s_and_b64 s[4:5], s[4:5], exec
                                        ; implicit-def: $vgpr3
	s_or_saveexec_b64 s[6:7], s[6:7]
	v_mov_b32_e32 v6, s10
	s_xor_b64 exec, exec, s[6:7]
	s_cbranch_execnz .LBB1_21848
; %bb.57685:
	s_getpc_b64 s[14:15]
.Lpost_getpc14506:
	s_add_u32 s14, s14, (.LBB1_7510-.Lpost_getpc14506)&4294967295
	s_addc_u32 s15, s15, (.LBB1_7510-.Lpost_getpc14506)>>32
	s_setpc_b64 s[14:15]
.LBB1_21848:
	v_cmp_ne_u16_e32 vcc, 0, v3
	s_andn2_b64 s[4:5], s[4:5], exec
	s_and_b64 s[8:9], vcc, exec
	v_mov_b32_e32 v6, 0
	s_or_b64 s[4:5], s[4:5], s[8:9]
	s_or_b64 exec, exec, s[6:7]
	s_and_saveexec_b64 s[6:7], s[4:5]
	s_cbranch_execz .LBB1_32427
; %bb.57687:
	s_getpc_b64 s[14:15]
.Lpost_getpc14507:
	s_add_u32 s14, s14, (.LBB1_7511-.Lpost_getpc14507)&4294967295
	s_addc_u32 s15, s15, (.LBB1_7511-.Lpost_getpc14507)>>32
	s_setpc_b64 s[14:15]
.LBB1_32427:
	s_getpc_b64 s[14:15]
.Lpost_getpc1877:
	s_add_u32 s14, s14, (.LBB1_7512-.Lpost_getpc1877)&4294967295
	s_addc_u32 s15, s15, (.LBB1_7512-.Lpost_getpc1877)>>32
	s_setpc_b64 s[14:15]
.LBB1_21849:
	s_movk_i32 s4, 0x80
	v_cmp_eq_u16_sdwa s[12:13], v8, s4 src0_sel:BYTE_3 src1_sel:DWORD
	s_mov_b64 s[4:5], -1
                                        ; implicit-def: $sgpr10
	s_and_saveexec_b64 s[8:9], s[12:13]
; %bb.21850:
	s_mov_b32 s10, 0x7f800001
	s_xor_b64 s[4:5], exec, -1
; %bb.21851:
	s_or_b64 exec, exec, s[8:9]
	s_and_b64 s[4:5], s[4:5], exec
	s_or_saveexec_b64 s[6:7], s[6:7]
	v_mov_b32_e32 v2, s10
	s_xor_b64 exec, exec, s[6:7]
	s_cbranch_execnz .LBB1_21852
; %bb.57689:
	s_getpc_b64 s[14:15]
.Lpost_getpc14508:
	s_add_u32 s14, s14, (.LBB1_7514-.Lpost_getpc14508)&4294967295
	s_addc_u32 s15, s15, (.LBB1_7514-.Lpost_getpc14508)>>32
	s_setpc_b64 s[14:15]
.LBB1_21852:
	v_mov_b32_e32 v2, 0
	v_cmp_ne_u16_sdwa s[8:9], v8, v2 src0_sel:BYTE_3 src1_sel:DWORD
	s_andn2_b64 s[4:5], s[4:5], exec
	s_and_b64 s[8:9], s[8:9], exec
	s_or_b64 s[4:5], s[4:5], s[8:9]
	s_or_b64 exec, exec, s[6:7]
	s_and_saveexec_b64 s[6:7], s[4:5]
	s_cbranch_execz .LBB1_32429
; %bb.57691:
	s_getpc_b64 s[14:15]
.Lpost_getpc14509:
	s_add_u32 s14, s14, (.LBB1_7515-.Lpost_getpc14509)&4294967295
	s_addc_u32 s15, s15, (.LBB1_7515-.Lpost_getpc14509)>>32
	s_setpc_b64 s[14:15]
.LBB1_32429:
	s_getpc_b64 s[14:15]
.Lpost_getpc1878:
	s_add_u32 s14, s14, (.LBB1_7516-.Lpost_getpc1878)&4294967295
	s_addc_u32 s15, s15, (.LBB1_7516-.Lpost_getpc1878)>>32
	s_setpc_b64 s[14:15]
.LBB1_21853:
	s_movk_i32 s4, 0x80
	v_cmp_eq_u16_sdwa s[12:13], v4, s4 src0_sel:BYTE_3 src1_sel:DWORD
	s_mov_b64 s[4:5], -1
                                        ; implicit-def: $sgpr10
	s_and_saveexec_b64 s[8:9], s[12:13]
; %bb.21854:
	s_mov_b32 s10, 0x7f800001
	s_xor_b64 s[4:5], exec, -1
; %bb.21855:
	s_or_b64 exec, exec, s[8:9]
	s_and_b64 s[4:5], s[4:5], exec
	s_or_saveexec_b64 s[6:7], s[6:7]
	v_mov_b32_e32 v3, s10
	s_xor_b64 exec, exec, s[6:7]
	s_cbranch_execnz .LBB1_21856
; %bb.57693:
	s_getpc_b64 s[14:15]
.Lpost_getpc14510:
	s_add_u32 s14, s14, (.LBB1_7518-.Lpost_getpc14510)&4294967295
	s_addc_u32 s15, s15, (.LBB1_7518-.Lpost_getpc14510)>>32
	s_setpc_b64 s[14:15]
.LBB1_21856:
	v_mov_b32_e32 v3, 0
	v_cmp_ne_u16_sdwa s[8:9], v4, v3 src0_sel:BYTE_3 src1_sel:DWORD
	s_andn2_b64 s[4:5], s[4:5], exec
	s_and_b64 s[8:9], s[8:9], exec
	s_or_b64 s[4:5], s[4:5], s[8:9]
	s_or_b64 exec, exec, s[6:7]
	s_and_saveexec_b64 s[6:7], s[4:5]
	s_cbranch_execz .LBB1_32431
; %bb.57695:
	s_getpc_b64 s[14:15]
.Lpost_getpc14511:
	s_add_u32 s14, s14, (.LBB1_7519-.Lpost_getpc14511)&4294967295
	s_addc_u32 s15, s15, (.LBB1_7519-.Lpost_getpc14511)>>32
	s_setpc_b64 s[14:15]
.LBB1_32431:
	s_getpc_b64 s[14:15]
.Lpost_getpc1879:
	s_add_u32 s14, s14, (.LBB1_7520-.Lpost_getpc1879)&4294967295
	s_addc_u32 s15, s15, (.LBB1_7520-.Lpost_getpc1879)>>32
	s_setpc_b64 s[14:15]
.LBB1_21857:
	s_movk_i32 s4, 0x80
	v_cmp_eq_u16_sdwa s[12:13], v9, s4 src0_sel:BYTE_0 src1_sel:DWORD
	s_mov_b64 s[4:5], -1
                                        ; implicit-def: $sgpr10
	s_and_saveexec_b64 s[8:9], s[12:13]
; %bb.21858:
	s_mov_b32 s10, 0x7f800001
	s_xor_b64 s[4:5], exec, -1
; %bb.21859:
	s_or_b64 exec, exec, s[8:9]
	s_and_b64 s[4:5], s[4:5], exec
	s_or_saveexec_b64 s[6:7], s[6:7]
	v_mov_b32_e32 v2, s10
	s_xor_b64 exec, exec, s[6:7]
	s_cbranch_execnz .LBB1_21860
; %bb.57697:
	s_getpc_b64 s[14:15]
.Lpost_getpc14512:
	s_add_u32 s14, s14, (.LBB1_7522-.Lpost_getpc14512)&4294967295
	s_addc_u32 s15, s15, (.LBB1_7522-.Lpost_getpc14512)>>32
	s_setpc_b64 s[14:15]
.LBB1_21860:
	v_mov_b32_e32 v2, 0
	v_cmp_ne_u16_sdwa s[8:9], v9, v2 src0_sel:BYTE_0 src1_sel:DWORD
	s_andn2_b64 s[4:5], s[4:5], exec
	s_and_b64 s[8:9], s[8:9], exec
	s_or_b64 s[4:5], s[4:5], s[8:9]
	s_or_b64 exec, exec, s[6:7]
	s_and_saveexec_b64 s[6:7], s[4:5]
	s_cbranch_execz .LBB1_32433
; %bb.57699:
	s_getpc_b64 s[14:15]
.Lpost_getpc14513:
	s_add_u32 s14, s14, (.LBB1_7523-.Lpost_getpc14513)&4294967295
	s_addc_u32 s15, s15, (.LBB1_7523-.Lpost_getpc14513)>>32
	s_setpc_b64 s[14:15]
.LBB1_32433:
	s_getpc_b64 s[14:15]
.Lpost_getpc1880:
	s_add_u32 s14, s14, (.LBB1_7524-.Lpost_getpc1880)&4294967295
	s_addc_u32 s15, s15, (.LBB1_7524-.Lpost_getpc1880)>>32
	s_setpc_b64 s[14:15]
.LBB1_21861:
	s_movk_i32 s4, 0x80
	v_cmp_eq_u16_sdwa s[12:13], v5, s4 src0_sel:BYTE_0 src1_sel:DWORD
	s_mov_b64 s[4:5], -1
                                        ; implicit-def: $sgpr10
	s_and_saveexec_b64 s[8:9], s[12:13]
; %bb.21862:
	s_mov_b32 s10, 0x7f800001
	s_xor_b64 s[4:5], exec, -1
; %bb.21863:
	s_or_b64 exec, exec, s[8:9]
	s_and_b64 s[4:5], s[4:5], exec
	s_or_saveexec_b64 s[6:7], s[6:7]
	v_mov_b32_e32 v3, s10
	s_xor_b64 exec, exec, s[6:7]
	s_cbranch_execnz .LBB1_21864
; %bb.57701:
	s_getpc_b64 s[14:15]
.Lpost_getpc14514:
	s_add_u32 s14, s14, (.LBB1_7526-.Lpost_getpc14514)&4294967295
	s_addc_u32 s15, s15, (.LBB1_7526-.Lpost_getpc14514)>>32
	s_setpc_b64 s[14:15]
.LBB1_21864:
	v_mov_b32_e32 v3, 0
	v_cmp_ne_u16_sdwa s[8:9], v5, v3 src0_sel:BYTE_0 src1_sel:DWORD
	s_andn2_b64 s[4:5], s[4:5], exec
	s_and_b64 s[8:9], s[8:9], exec
	s_or_b64 s[4:5], s[4:5], s[8:9]
	s_or_b64 exec, exec, s[6:7]
	s_and_saveexec_b64 s[6:7], s[4:5]
	s_cbranch_execz .LBB1_32435
; %bb.57703:
	s_getpc_b64 s[14:15]
.Lpost_getpc14515:
	s_add_u32 s14, s14, (.LBB1_7527-.Lpost_getpc14515)&4294967295
	s_addc_u32 s15, s15, (.LBB1_7527-.Lpost_getpc14515)>>32
	s_setpc_b64 s[14:15]
.LBB1_32435:
	s_getpc_b64 s[14:15]
.Lpost_getpc1881:
	s_add_u32 s14, s14, (.LBB1_7528-.Lpost_getpc1881)&4294967295
	s_addc_u32 s15, s15, (.LBB1_7528-.Lpost_getpc1881)>>32
	s_setpc_b64 s[14:15]
.LBB1_21865:
	s_movk_i32 s4, 0x80
	v_cmp_eq_u16_sdwa s[12:13], v3, s4 src0_sel:BYTE_0 src1_sel:DWORD
	s_mov_b64 s[4:5], -1
                                        ; implicit-def: $sgpr10
	s_and_saveexec_b64 s[8:9], s[12:13]
; %bb.21866:
	s_mov_b32 s10, 0x7f800001
	s_xor_b64 s[4:5], exec, -1
; %bb.21867:
	s_or_b64 exec, exec, s[8:9]
	s_and_b64 s[4:5], s[4:5], exec
	s_or_saveexec_b64 s[6:7], s[6:7]
	v_mov_b32_e32 v2, s10
	s_xor_b64 exec, exec, s[6:7]
	s_cbranch_execnz .LBB1_21868
; %bb.57705:
	s_getpc_b64 s[14:15]
.Lpost_getpc14516:
	s_add_u32 s14, s14, (.LBB1_7530-.Lpost_getpc14516)&4294967295
	s_addc_u32 s15, s15, (.LBB1_7530-.Lpost_getpc14516)>>32
	s_setpc_b64 s[14:15]
.LBB1_21868:
	v_mov_b32_e32 v2, 0
	v_cmp_ne_u16_sdwa s[8:9], v3, v2 src0_sel:BYTE_0 src1_sel:DWORD
	s_andn2_b64 s[4:5], s[4:5], exec
	s_and_b64 s[8:9], s[8:9], exec
	s_or_b64 s[4:5], s[4:5], s[8:9]
	s_or_b64 exec, exec, s[6:7]
	s_and_saveexec_b64 s[6:7], s[4:5]
	s_cbranch_execz .LBB1_32437
; %bb.57707:
	s_getpc_b64 s[14:15]
.Lpost_getpc14517:
	s_add_u32 s14, s14, (.LBB1_7531-.Lpost_getpc14517)&4294967295
	s_addc_u32 s15, s15, (.LBB1_7531-.Lpost_getpc14517)>>32
	s_setpc_b64 s[14:15]
.LBB1_32437:
	s_getpc_b64 s[14:15]
.Lpost_getpc1882:
	s_add_u32 s14, s14, (.LBB1_7532-.Lpost_getpc1882)&4294967295
	s_addc_u32 s15, s15, (.LBB1_7532-.Lpost_getpc1882)>>32
	s_setpc_b64 s[14:15]
.LBB1_21869:
	s_movk_i32 s4, 0x80
	v_cmp_eq_u16_sdwa s[12:13], v3, s4 src0_sel:BYTE_0 src1_sel:DWORD
	s_mov_b64 s[4:5], -1
                                        ; implicit-def: $sgpr10
	s_and_saveexec_b64 s[8:9], s[12:13]
; %bb.21870:
	s_mov_b32 s10, 0x7f800001
	s_xor_b64 s[4:5], exec, -1
; %bb.21871:
	s_or_b64 exec, exec, s[8:9]
	s_and_b64 s[4:5], s[4:5], exec
	s_or_saveexec_b64 s[6:7], s[6:7]
	v_mov_b32_e32 v4, s10
	s_xor_b64 exec, exec, s[6:7]
	s_cbranch_execnz .LBB1_21872
; %bb.57709:
	s_getpc_b64 s[14:15]
.Lpost_getpc14518:
	s_add_u32 s14, s14, (.LBB1_7534-.Lpost_getpc14518)&4294967295
	s_addc_u32 s15, s15, (.LBB1_7534-.Lpost_getpc14518)>>32
	s_setpc_b64 s[14:15]
.LBB1_21872:
	v_mov_b32_e32 v4, 0
	v_cmp_ne_u16_sdwa s[8:9], v3, v4 src0_sel:BYTE_0 src1_sel:DWORD
	s_andn2_b64 s[4:5], s[4:5], exec
	s_and_b64 s[8:9], s[8:9], exec
	s_or_b64 s[4:5], s[4:5], s[8:9]
	s_or_b64 exec, exec, s[6:7]
	s_and_saveexec_b64 s[6:7], s[4:5]
	s_cbranch_execz .LBB1_32439
; %bb.57711:
	s_getpc_b64 s[14:15]
.Lpost_getpc14519:
	s_add_u32 s14, s14, (.LBB1_7535-.Lpost_getpc14519)&4294967295
	s_addc_u32 s15, s15, (.LBB1_7535-.Lpost_getpc14519)>>32
	s_setpc_b64 s[14:15]
.LBB1_32439:
	s_getpc_b64 s[14:15]
.Lpost_getpc1883:
	s_add_u32 s14, s14, (.LBB1_7536-.Lpost_getpc1883)&4294967295
	s_addc_u32 s15, s15, (.LBB1_7536-.Lpost_getpc1883)>>32
	s_setpc_b64 s[14:15]
.LBB1_21873:
	s_movk_i32 s4, 0x80
	v_cmp_eq_u16_e32 vcc, s4, v3
	s_mov_b64 s[4:5], -1
                                        ; implicit-def: $sgpr10
	s_and_saveexec_b64 s[8:9], vcc
; %bb.21874:
	s_mov_b32 s10, 0x7f800001
	s_xor_b64 s[4:5], exec, -1
; %bb.21875:
	s_or_b64 exec, exec, s[8:9]
	s_and_b64 s[4:5], s[4:5], exec
                                        ; implicit-def: $vgpr3
	s_or_saveexec_b64 s[6:7], s[6:7]
	v_mov_b32_e32 v2, s10
	s_xor_b64 exec, exec, s[6:7]
	s_cbranch_execnz .LBB1_21876
; %bb.57713:
	s_getpc_b64 s[14:15]
.Lpost_getpc14520:
	s_add_u32 s14, s14, (.LBB1_7538-.Lpost_getpc14520)&4294967295
	s_addc_u32 s15, s15, (.LBB1_7538-.Lpost_getpc14520)>>32
	s_setpc_b64 s[14:15]
.LBB1_21876:
	v_cmp_ne_u16_e32 vcc, 0, v3
	s_andn2_b64 s[4:5], s[4:5], exec
	s_and_b64 s[8:9], vcc, exec
	v_mov_b32_e32 v2, 0
	s_or_b64 s[4:5], s[4:5], s[8:9]
	s_or_b64 exec, exec, s[6:7]
	s_and_saveexec_b64 s[6:7], s[4:5]
	s_cbranch_execz .LBB1_32441
; %bb.57715:
	s_getpc_b64 s[14:15]
.Lpost_getpc14521:
	s_add_u32 s14, s14, (.LBB1_7539-.Lpost_getpc14521)&4294967295
	s_addc_u32 s15, s15, (.LBB1_7539-.Lpost_getpc14521)>>32
	s_setpc_b64 s[14:15]
.LBB1_32441:
	s_getpc_b64 s[14:15]
.Lpost_getpc1884:
	s_add_u32 s14, s14, (.LBB1_7540-.Lpost_getpc1884)&4294967295
	s_addc_u32 s15, s15, (.LBB1_7540-.Lpost_getpc1884)>>32
	s_setpc_b64 s[14:15]
.LBB1_21877:
	s_movk_i32 s4, 0x80
	v_cmp_eq_u16_e32 vcc, s4, v3
	s_mov_b64 s[4:5], -1
                                        ; implicit-def: $sgpr10
	s_and_saveexec_b64 s[8:9], vcc
; %bb.21878:
	s_mov_b32 s10, 0x7f800001
	s_xor_b64 s[4:5], exec, -1
; %bb.21879:
	s_or_b64 exec, exec, s[8:9]
	s_and_b64 s[4:5], s[4:5], exec
                                        ; implicit-def: $vgpr3
	s_or_saveexec_b64 s[6:7], s[6:7]
	v_mov_b32_e32 v4, s10
	s_xor_b64 exec, exec, s[6:7]
	s_cbranch_execnz .LBB1_21880
; %bb.57717:
	s_getpc_b64 s[14:15]
.Lpost_getpc14522:
	s_add_u32 s14, s14, (.LBB1_7542-.Lpost_getpc14522)&4294967295
	s_addc_u32 s15, s15, (.LBB1_7542-.Lpost_getpc14522)>>32
	s_setpc_b64 s[14:15]
.LBB1_21880:
	v_cmp_ne_u16_e32 vcc, 0, v3
	s_andn2_b64 s[4:5], s[4:5], exec
	s_and_b64 s[8:9], vcc, exec
	v_mov_b32_e32 v4, 0
	s_or_b64 s[4:5], s[4:5], s[8:9]
	s_or_b64 exec, exec, s[6:7]
	s_and_saveexec_b64 s[6:7], s[4:5]
	s_cbranch_execz .LBB1_32443
; %bb.57719:
	s_getpc_b64 s[14:15]
.Lpost_getpc14523:
	s_add_u32 s14, s14, (.LBB1_7543-.Lpost_getpc14523)&4294967295
	s_addc_u32 s15, s15, (.LBB1_7543-.Lpost_getpc14523)>>32
	s_setpc_b64 s[14:15]
.LBB1_32443:
	s_getpc_b64 s[14:15]
.Lpost_getpc1885:
	s_add_u32 s14, s14, (.LBB1_7544-.Lpost_getpc1885)&4294967295
	s_addc_u32 s15, s15, (.LBB1_7544-.Lpost_getpc1885)>>32
	s_setpc_b64 s[14:15]
.LBB1_21881:
	s_movk_i32 s4, 0x80
	v_cmp_eq_u16_sdwa s[12:13], v9, s4 src0_sel:BYTE_3 src1_sel:DWORD
	s_mov_b64 s[4:5], -1
                                        ; implicit-def: $sgpr10
	s_and_saveexec_b64 s[8:9], s[12:13]
; %bb.21882:
	s_mov_b32 s10, 0x7f800001
	s_xor_b64 s[4:5], exec, -1
; %bb.21883:
	s_or_b64 exec, exec, s[8:9]
	s_and_b64 s[4:5], s[4:5], exec
	s_or_saveexec_b64 s[6:7], s[6:7]
	v_mov_b32_e32 v2, s10
	s_xor_b64 exec, exec, s[6:7]
	s_cbranch_execnz .LBB1_21884
; %bb.57721:
	s_getpc_b64 s[14:15]
.Lpost_getpc14524:
	s_add_u32 s14, s14, (.LBB1_7546-.Lpost_getpc14524)&4294967295
	s_addc_u32 s15, s15, (.LBB1_7546-.Lpost_getpc14524)>>32
	s_setpc_b64 s[14:15]
.LBB1_21884:
	v_mov_b32_e32 v2, 0
	v_cmp_ne_u16_sdwa s[8:9], v9, v2 src0_sel:BYTE_3 src1_sel:DWORD
	s_andn2_b64 s[4:5], s[4:5], exec
	s_and_b64 s[8:9], s[8:9], exec
	s_or_b64 s[4:5], s[4:5], s[8:9]
	s_or_b64 exec, exec, s[6:7]
	s_and_saveexec_b64 s[6:7], s[4:5]
	s_cbranch_execz .LBB1_32445
; %bb.57723:
	s_getpc_b64 s[14:15]
.Lpost_getpc14525:
	s_add_u32 s14, s14, (.LBB1_7547-.Lpost_getpc14525)&4294967295
	s_addc_u32 s15, s15, (.LBB1_7547-.Lpost_getpc14525)>>32
	s_setpc_b64 s[14:15]
.LBB1_32445:
	s_getpc_b64 s[14:15]
.Lpost_getpc1886:
	s_add_u32 s14, s14, (.LBB1_7548-.Lpost_getpc1886)&4294967295
	s_addc_u32 s15, s15, (.LBB1_7548-.Lpost_getpc1886)>>32
	s_setpc_b64 s[14:15]
.LBB1_21885:
	s_movk_i32 s4, 0x80
	v_cmp_eq_u16_sdwa s[12:13], v5, s4 src0_sel:BYTE_3 src1_sel:DWORD
	s_mov_b64 s[4:5], -1
                                        ; implicit-def: $sgpr10
	s_and_saveexec_b64 s[8:9], s[12:13]
; %bb.21886:
	s_mov_b32 s10, 0x7f800001
	s_xor_b64 s[4:5], exec, -1
; %bb.21887:
	s_or_b64 exec, exec, s[8:9]
	s_and_b64 s[4:5], s[4:5], exec
	s_or_saveexec_b64 s[6:7], s[6:7]
	v_mov_b32_e32 v3, s10
	s_xor_b64 exec, exec, s[6:7]
	s_cbranch_execnz .LBB1_21888
; %bb.57725:
	s_getpc_b64 s[14:15]
.Lpost_getpc14526:
	s_add_u32 s14, s14, (.LBB1_7550-.Lpost_getpc14526)&4294967295
	s_addc_u32 s15, s15, (.LBB1_7550-.Lpost_getpc14526)>>32
	s_setpc_b64 s[14:15]
.LBB1_21888:
	v_mov_b32_e32 v3, 0
	v_cmp_ne_u16_sdwa s[8:9], v5, v3 src0_sel:BYTE_3 src1_sel:DWORD
	s_andn2_b64 s[4:5], s[4:5], exec
	s_and_b64 s[8:9], s[8:9], exec
	s_or_b64 s[4:5], s[4:5], s[8:9]
	s_or_b64 exec, exec, s[6:7]
	s_and_saveexec_b64 s[6:7], s[4:5]
	s_cbranch_execz .LBB1_32447
; %bb.57727:
	s_getpc_b64 s[14:15]
.Lpost_getpc14527:
	s_add_u32 s14, s14, (.LBB1_7551-.Lpost_getpc14527)&4294967295
	s_addc_u32 s15, s15, (.LBB1_7551-.Lpost_getpc14527)>>32
	s_setpc_b64 s[14:15]
.LBB1_32447:
	s_getpc_b64 s[14:15]
.Lpost_getpc1887:
	s_add_u32 s14, s14, (.LBB1_7552-.Lpost_getpc1887)&4294967295
	s_addc_u32 s15, s15, (.LBB1_7552-.Lpost_getpc1887)>>32
	s_setpc_b64 s[14:15]
.LBB1_21889:
	s_movk_i32 s4, 0x80
	v_cmp_eq_u16_sdwa s[12:13], v6, s4 src0_sel:BYTE_0 src1_sel:DWORD
	s_mov_b64 s[4:5], -1
                                        ; implicit-def: $sgpr10
	s_and_saveexec_b64 s[8:9], s[12:13]
; %bb.21890:
	s_mov_b32 s10, 0x7f800001
	s_xor_b64 s[4:5], exec, -1
; %bb.21891:
	s_or_b64 exec, exec, s[8:9]
	s_and_b64 s[4:5], s[4:5], exec
	s_or_saveexec_b64 s[6:7], s[6:7]
	v_mov_b32_e32 v12, s10
	s_xor_b64 exec, exec, s[6:7]
	s_cbranch_execnz .LBB1_21892
; %bb.57729:
	s_getpc_b64 s[14:15]
.Lpost_getpc14528:
	s_add_u32 s14, s14, (.LBB1_7554-.Lpost_getpc14528)&4294967295
	s_addc_u32 s15, s15, (.LBB1_7554-.Lpost_getpc14528)>>32
	s_setpc_b64 s[14:15]
.LBB1_21892:
	v_mov_b32_e32 v12, 0
	v_cmp_ne_u16_sdwa s[8:9], v6, v12 src0_sel:BYTE_0 src1_sel:DWORD
	s_andn2_b64 s[4:5], s[4:5], exec
	s_and_b64 s[8:9], s[8:9], exec
	s_or_b64 s[4:5], s[4:5], s[8:9]
	s_or_b64 exec, exec, s[6:7]
	s_and_saveexec_b64 s[6:7], s[4:5]
	s_cbranch_execz .LBB1_32449
; %bb.57731:
	s_getpc_b64 s[14:15]
.Lpost_getpc14529:
	s_add_u32 s14, s14, (.LBB1_7555-.Lpost_getpc14529)&4294967295
	s_addc_u32 s15, s15, (.LBB1_7555-.Lpost_getpc14529)>>32
	s_setpc_b64 s[14:15]
.LBB1_32449:
	s_getpc_b64 s[14:15]
.Lpost_getpc1888:
	s_add_u32 s14, s14, (.LBB1_7556-.Lpost_getpc1888)&4294967295
	s_addc_u32 s15, s15, (.LBB1_7556-.Lpost_getpc1888)>>32
	s_setpc_b64 s[14:15]
.LBB1_21893:
	s_movk_i32 s4, 0x80
	v_cmp_eq_u16_sdwa s[12:13], v2, s4 src0_sel:BYTE_0 src1_sel:DWORD
	s_mov_b64 s[4:5], -1
                                        ; implicit-def: $sgpr10
	s_and_saveexec_b64 s[8:9], s[12:13]
; %bb.21894:
	s_mov_b32 s10, 0x7f800001
	s_xor_b64 s[4:5], exec, -1
; %bb.21895:
	s_or_b64 exec, exec, s[8:9]
	s_and_b64 s[4:5], s[4:5], exec
	s_or_saveexec_b64 s[6:7], s[6:7]
	v_mov_b32_e32 v13, s10
	s_xor_b64 exec, exec, s[6:7]
	s_cbranch_execnz .LBB1_21896
; %bb.57733:
	s_getpc_b64 s[14:15]
.Lpost_getpc14530:
	s_add_u32 s14, s14, (.LBB1_7558-.Lpost_getpc14530)&4294967295
	s_addc_u32 s15, s15, (.LBB1_7558-.Lpost_getpc14530)>>32
	s_setpc_b64 s[14:15]
.LBB1_21896:
	v_mov_b32_e32 v13, 0
	v_cmp_ne_u16_sdwa s[8:9], v2, v13 src0_sel:BYTE_0 src1_sel:DWORD
	s_andn2_b64 s[4:5], s[4:5], exec
	s_and_b64 s[8:9], s[8:9], exec
	s_or_b64 s[4:5], s[4:5], s[8:9]
	s_or_b64 exec, exec, s[6:7]
	s_and_saveexec_b64 s[6:7], s[4:5]
	s_cbranch_execz .LBB1_32451
; %bb.57735:
	s_getpc_b64 s[14:15]
.Lpost_getpc14531:
	s_add_u32 s14, s14, (.LBB1_7559-.Lpost_getpc14531)&4294967295
	s_addc_u32 s15, s15, (.LBB1_7559-.Lpost_getpc14531)>>32
	s_setpc_b64 s[14:15]
.LBB1_32451:
	s_getpc_b64 s[14:15]
.Lpost_getpc1889:
	s_add_u32 s14, s14, (.LBB1_7560-.Lpost_getpc1889)&4294967295
	s_addc_u32 s15, s15, (.LBB1_7560-.Lpost_getpc1889)>>32
	s_setpc_b64 s[14:15]
.LBB1_21897:
	s_movk_i32 s4, 0x80
	v_cmp_eq_u16_sdwa s[12:13], v13, s4 src0_sel:BYTE_0 src1_sel:DWORD
	s_mov_b64 s[4:5], -1
                                        ; implicit-def: $sgpr10
	s_and_saveexec_b64 s[8:9], s[12:13]
; %bb.21898:
	s_mov_b32 s10, 0x7f800001
	s_xor_b64 s[4:5], exec, -1
; %bb.21899:
	s_or_b64 exec, exec, s[8:9]
	s_and_b64 s[4:5], s[4:5], exec
	s_or_saveexec_b64 s[6:7], s[6:7]
	v_mov_b32_e32 v12, s10
	s_xor_b64 exec, exec, s[6:7]
	s_cbranch_execnz .LBB1_21900
; %bb.57737:
	s_getpc_b64 s[14:15]
.Lpost_getpc14532:
	s_add_u32 s14, s14, (.LBB1_7562-.Lpost_getpc14532)&4294967295
	s_addc_u32 s15, s15, (.LBB1_7562-.Lpost_getpc14532)>>32
	s_setpc_b64 s[14:15]
.LBB1_21900:
	v_mov_b32_e32 v12, 0
	v_cmp_ne_u16_sdwa s[8:9], v13, v12 src0_sel:BYTE_0 src1_sel:DWORD
	s_andn2_b64 s[4:5], s[4:5], exec
	s_and_b64 s[8:9], s[8:9], exec
	s_or_b64 s[4:5], s[4:5], s[8:9]
	s_or_b64 exec, exec, s[6:7]
	s_and_saveexec_b64 s[6:7], s[4:5]
	s_cbranch_execz .LBB1_32453
; %bb.57739:
	s_getpc_b64 s[14:15]
.Lpost_getpc14533:
	s_add_u32 s14, s14, (.LBB1_7563-.Lpost_getpc14533)&4294967295
	s_addc_u32 s15, s15, (.LBB1_7563-.Lpost_getpc14533)>>32
	s_setpc_b64 s[14:15]
.LBB1_32453:
	s_getpc_b64 s[14:15]
.Lpost_getpc1890:
	s_add_u32 s14, s14, (.LBB1_7564-.Lpost_getpc1890)&4294967295
	s_addc_u32 s15, s15, (.LBB1_7564-.Lpost_getpc1890)>>32
	s_setpc_b64 s[14:15]
.LBB1_21901:
	s_movk_i32 s4, 0x80
	v_cmp_eq_u16_sdwa s[12:13], v13, s4 src0_sel:BYTE_0 src1_sel:DWORD
	s_mov_b64 s[4:5], -1
                                        ; implicit-def: $sgpr10
	s_and_saveexec_b64 s[8:9], s[12:13]
; %bb.21902:
	s_mov_b32 s10, 0x7f800001
	s_xor_b64 s[4:5], exec, -1
; %bb.21903:
	s_or_b64 exec, exec, s[8:9]
	s_and_b64 s[4:5], s[4:5], exec
	s_or_saveexec_b64 s[6:7], s[6:7]
	v_mov_b32_e32 v14, s10
	s_xor_b64 exec, exec, s[6:7]
	s_cbranch_execnz .LBB1_21904
; %bb.57741:
	s_getpc_b64 s[14:15]
.Lpost_getpc14534:
	s_add_u32 s14, s14, (.LBB1_7566-.Lpost_getpc14534)&4294967295
	s_addc_u32 s15, s15, (.LBB1_7566-.Lpost_getpc14534)>>32
	s_setpc_b64 s[14:15]
.LBB1_21904:
	v_mov_b32_e32 v14, 0
	v_cmp_ne_u16_sdwa s[8:9], v13, v14 src0_sel:BYTE_0 src1_sel:DWORD
	s_andn2_b64 s[4:5], s[4:5], exec
	s_and_b64 s[8:9], s[8:9], exec
	s_or_b64 s[4:5], s[4:5], s[8:9]
	s_or_b64 exec, exec, s[6:7]
	s_and_saveexec_b64 s[6:7], s[4:5]
	s_cbranch_execz .LBB1_32455
; %bb.57743:
	s_getpc_b64 s[14:15]
.Lpost_getpc14535:
	s_add_u32 s14, s14, (.LBB1_7567-.Lpost_getpc14535)&4294967295
	s_addc_u32 s15, s15, (.LBB1_7567-.Lpost_getpc14535)>>32
	s_setpc_b64 s[14:15]
.LBB1_32455:
	s_getpc_b64 s[14:15]
.Lpost_getpc1891:
	s_add_u32 s14, s14, (.LBB1_7568-.Lpost_getpc1891)&4294967295
	s_addc_u32 s15, s15, (.LBB1_7568-.Lpost_getpc1891)>>32
	s_setpc_b64 s[14:15]
.LBB1_21905:
	s_movk_i32 s4, 0x80
	v_cmp_eq_u16_e32 vcc, s4, v13
	s_mov_b64 s[4:5], -1
                                        ; implicit-def: $sgpr10
	s_and_saveexec_b64 s[8:9], vcc
; %bb.21906:
	s_mov_b32 s10, 0x7f800001
	s_xor_b64 s[4:5], exec, -1
; %bb.21907:
	s_or_b64 exec, exec, s[8:9]
	s_and_b64 s[4:5], s[4:5], exec
                                        ; implicit-def: $vgpr13
	s_or_saveexec_b64 s[6:7], s[6:7]
	v_mov_b32_e32 v12, s10
	s_xor_b64 exec, exec, s[6:7]
	s_cbranch_execnz .LBB1_21908
; %bb.57745:
	s_getpc_b64 s[14:15]
.Lpost_getpc14536:
	s_add_u32 s14, s14, (.LBB1_7570-.Lpost_getpc14536)&4294967295
	s_addc_u32 s15, s15, (.LBB1_7570-.Lpost_getpc14536)>>32
	s_setpc_b64 s[14:15]
.LBB1_21908:
	v_cmp_ne_u16_e32 vcc, 0, v13
	s_andn2_b64 s[4:5], s[4:5], exec
	s_and_b64 s[8:9], vcc, exec
	v_mov_b32_e32 v12, 0
	s_or_b64 s[4:5], s[4:5], s[8:9]
	s_or_b64 exec, exec, s[6:7]
	s_and_saveexec_b64 s[6:7], s[4:5]
	s_cbranch_execz .LBB1_32457
; %bb.57747:
	s_getpc_b64 s[14:15]
.Lpost_getpc14537:
	s_add_u32 s14, s14, (.LBB1_7571-.Lpost_getpc14537)&4294967295
	s_addc_u32 s15, s15, (.LBB1_7571-.Lpost_getpc14537)>>32
	s_setpc_b64 s[14:15]
.LBB1_32457:
	s_getpc_b64 s[14:15]
.Lpost_getpc1892:
	s_add_u32 s14, s14, (.LBB1_7572-.Lpost_getpc1892)&4294967295
	s_addc_u32 s15, s15, (.LBB1_7572-.Lpost_getpc1892)>>32
	s_setpc_b64 s[14:15]
.LBB1_21909:
	s_movk_i32 s4, 0x80
	v_cmp_eq_u16_e32 vcc, s4, v13
	s_mov_b64 s[4:5], -1
                                        ; implicit-def: $sgpr10
	s_and_saveexec_b64 s[8:9], vcc
; %bb.21910:
	s_mov_b32 s10, 0x7f800001
	s_xor_b64 s[4:5], exec, -1
; %bb.21911:
	s_or_b64 exec, exec, s[8:9]
	s_and_b64 s[4:5], s[4:5], exec
                                        ; implicit-def: $vgpr13
	s_or_saveexec_b64 s[6:7], s[6:7]
	v_mov_b32_e32 v14, s10
	s_xor_b64 exec, exec, s[6:7]
	s_cbranch_execnz .LBB1_21912
; %bb.57749:
	s_getpc_b64 s[14:15]
.Lpost_getpc14538:
	s_add_u32 s14, s14, (.LBB1_7574-.Lpost_getpc14538)&4294967295
	s_addc_u32 s15, s15, (.LBB1_7574-.Lpost_getpc14538)>>32
	s_setpc_b64 s[14:15]
.LBB1_21912:
	v_cmp_ne_u16_e32 vcc, 0, v13
	s_andn2_b64 s[4:5], s[4:5], exec
	s_and_b64 s[8:9], vcc, exec
	v_mov_b32_e32 v14, 0
	s_or_b64 s[4:5], s[4:5], s[8:9]
	s_or_b64 exec, exec, s[6:7]
	s_and_saveexec_b64 s[6:7], s[4:5]
	s_cbranch_execz .LBB1_32459
; %bb.57751:
	s_getpc_b64 s[14:15]
.Lpost_getpc14539:
	s_add_u32 s14, s14, (.LBB1_7575-.Lpost_getpc14539)&4294967295
	s_addc_u32 s15, s15, (.LBB1_7575-.Lpost_getpc14539)>>32
	s_setpc_b64 s[14:15]
.LBB1_32459:
	s_getpc_b64 s[14:15]
.Lpost_getpc1893:
	s_add_u32 s14, s14, (.LBB1_7576-.Lpost_getpc1893)&4294967295
	s_addc_u32 s15, s15, (.LBB1_7576-.Lpost_getpc1893)>>32
	s_setpc_b64 s[14:15]
.LBB1_21913:
	s_movk_i32 s4, 0x80
	v_cmp_eq_u16_sdwa s[12:13], v6, s4 src0_sel:BYTE_3 src1_sel:DWORD
	s_mov_b64 s[4:5], -1
                                        ; implicit-def: $sgpr10
	s_and_saveexec_b64 s[8:9], s[12:13]
; %bb.21914:
	s_mov_b32 s10, 0x7f800001
	s_xor_b64 s[4:5], exec, -1
; %bb.21915:
	s_or_b64 exec, exec, s[8:9]
	s_and_b64 s[4:5], s[4:5], exec
	s_or_saveexec_b64 s[6:7], s[6:7]
	v_mov_b32_e32 v12, s10
	s_xor_b64 exec, exec, s[6:7]
	s_cbranch_execnz .LBB1_21916
; %bb.57753:
	s_getpc_b64 s[14:15]
.Lpost_getpc14540:
	s_add_u32 s14, s14, (.LBB1_7578-.Lpost_getpc14540)&4294967295
	s_addc_u32 s15, s15, (.LBB1_7578-.Lpost_getpc14540)>>32
	s_setpc_b64 s[14:15]
.LBB1_21916:
	v_mov_b32_e32 v12, 0
	v_cmp_ne_u16_sdwa s[8:9], v6, v12 src0_sel:BYTE_3 src1_sel:DWORD
	s_andn2_b64 s[4:5], s[4:5], exec
	s_and_b64 s[8:9], s[8:9], exec
	s_or_b64 s[4:5], s[4:5], s[8:9]
	s_or_b64 exec, exec, s[6:7]
	s_and_saveexec_b64 s[6:7], s[4:5]
	s_cbranch_execz .LBB1_32461
; %bb.57755:
	s_getpc_b64 s[14:15]
.Lpost_getpc14541:
	s_add_u32 s14, s14, (.LBB1_7579-.Lpost_getpc14541)&4294967295
	s_addc_u32 s15, s15, (.LBB1_7579-.Lpost_getpc14541)>>32
	s_setpc_b64 s[14:15]
.LBB1_32461:
	s_getpc_b64 s[14:15]
.Lpost_getpc1894:
	s_add_u32 s14, s14, (.LBB1_7580-.Lpost_getpc1894)&4294967295
	s_addc_u32 s15, s15, (.LBB1_7580-.Lpost_getpc1894)>>32
	s_setpc_b64 s[14:15]
.LBB1_21917:
	s_movk_i32 s4, 0x80
	v_cmp_eq_u16_sdwa s[12:13], v2, s4 src0_sel:BYTE_3 src1_sel:DWORD
	s_mov_b64 s[4:5], -1
                                        ; implicit-def: $sgpr10
	s_and_saveexec_b64 s[8:9], s[12:13]
; %bb.21918:
	s_mov_b32 s10, 0x7f800001
	s_xor_b64 s[4:5], exec, -1
; %bb.21919:
	s_or_b64 exec, exec, s[8:9]
	s_and_b64 s[4:5], s[4:5], exec
	s_or_saveexec_b64 s[6:7], s[6:7]
	v_mov_b32_e32 v6, s10
	s_xor_b64 exec, exec, s[6:7]
	s_cbranch_execnz .LBB1_21920
; %bb.57757:
	s_getpc_b64 s[14:15]
.Lpost_getpc14542:
	s_add_u32 s14, s14, (.LBB1_7582-.Lpost_getpc14542)&4294967295
	s_addc_u32 s15, s15, (.LBB1_7582-.Lpost_getpc14542)>>32
	s_setpc_b64 s[14:15]
.LBB1_21920:
	v_mov_b32_e32 v6, 0
	v_cmp_ne_u16_sdwa s[8:9], v2, v6 src0_sel:BYTE_3 src1_sel:DWORD
	s_andn2_b64 s[4:5], s[4:5], exec
	s_and_b64 s[8:9], s[8:9], exec
	s_or_b64 s[4:5], s[4:5], s[8:9]
	s_or_b64 exec, exec, s[6:7]
	s_and_saveexec_b64 s[6:7], s[4:5]
	s_cbranch_execz .LBB1_32463
; %bb.57759:
	s_getpc_b64 s[14:15]
.Lpost_getpc14543:
	s_add_u32 s14, s14, (.LBB1_7583-.Lpost_getpc14543)&4294967295
	s_addc_u32 s15, s15, (.LBB1_7583-.Lpost_getpc14543)>>32
	s_setpc_b64 s[14:15]
.LBB1_32463:
	s_getpc_b64 s[14:15]
.Lpost_getpc1895:
	s_add_u32 s14, s14, (.LBB1_7584-.Lpost_getpc1895)&4294967295
	s_addc_u32 s15, s15, (.LBB1_7584-.Lpost_getpc1895)>>32
	s_setpc_b64 s[14:15]
.LBB1_21921:
	s_movk_i32 s4, 0x80
	v_cmp_eq_u16_sdwa s[12:13], v7, s4 src0_sel:BYTE_0 src1_sel:DWORD
	s_mov_b64 s[4:5], -1
                                        ; implicit-def: $sgpr10
	s_and_saveexec_b64 s[8:9], s[12:13]
; %bb.21922:
	s_mov_b32 s10, 0x7f800001
	s_xor_b64 s[4:5], exec, -1
; %bb.21923:
	s_or_b64 exec, exec, s[8:9]
	s_and_b64 s[4:5], s[4:5], exec
	s_or_saveexec_b64 s[6:7], s[6:7]
	v_mov_b32_e32 v2, s10
	s_xor_b64 exec, exec, s[6:7]
	s_cbranch_execnz .LBB1_21924
; %bb.57761:
	s_getpc_b64 s[14:15]
.Lpost_getpc14544:
	s_add_u32 s14, s14, (.LBB1_7586-.Lpost_getpc14544)&4294967295
	s_addc_u32 s15, s15, (.LBB1_7586-.Lpost_getpc14544)>>32
	s_setpc_b64 s[14:15]
.LBB1_21924:
	v_mov_b32_e32 v2, 0
	v_cmp_ne_u16_sdwa s[8:9], v7, v2 src0_sel:BYTE_0 src1_sel:DWORD
	s_andn2_b64 s[4:5], s[4:5], exec
	s_and_b64 s[8:9], s[8:9], exec
	s_or_b64 s[4:5], s[4:5], s[8:9]
	s_or_b64 exec, exec, s[6:7]
	s_and_saveexec_b64 s[6:7], s[4:5]
	s_cbranch_execz .LBB1_32465
; %bb.57763:
	s_getpc_b64 s[14:15]
.Lpost_getpc14545:
	s_add_u32 s14, s14, (.LBB1_7587-.Lpost_getpc14545)&4294967295
	s_addc_u32 s15, s15, (.LBB1_7587-.Lpost_getpc14545)>>32
	s_setpc_b64 s[14:15]
.LBB1_32465:
	s_getpc_b64 s[14:15]
.Lpost_getpc1896:
	s_add_u32 s14, s14, (.LBB1_7588-.Lpost_getpc1896)&4294967295
	s_addc_u32 s15, s15, (.LBB1_7588-.Lpost_getpc1896)>>32
	s_setpc_b64 s[14:15]
.LBB1_21925:
	s_movk_i32 s4, 0x80
	v_cmp_eq_u16_sdwa s[12:13], v3, s4 src0_sel:BYTE_0 src1_sel:DWORD
	s_mov_b64 s[4:5], -1
                                        ; implicit-def: $sgpr10
	s_and_saveexec_b64 s[8:9], s[12:13]
; %bb.21926:
	s_mov_b32 s10, 0x7f800001
	s_xor_b64 s[4:5], exec, -1
; %bb.21927:
	s_or_b64 exec, exec, s[8:9]
	s_and_b64 s[4:5], s[4:5], exec
	s_or_saveexec_b64 s[6:7], s[6:7]
	v_mov_b32_e32 v6, s10
	s_xor_b64 exec, exec, s[6:7]
	s_cbranch_execnz .LBB1_21928
; %bb.57765:
	s_getpc_b64 s[14:15]
.Lpost_getpc14546:
	s_add_u32 s14, s14, (.LBB1_7590-.Lpost_getpc14546)&4294967295
	s_addc_u32 s15, s15, (.LBB1_7590-.Lpost_getpc14546)>>32
	s_setpc_b64 s[14:15]
.LBB1_21928:
	v_mov_b32_e32 v6, 0
	v_cmp_ne_u16_sdwa s[8:9], v3, v6 src0_sel:BYTE_0 src1_sel:DWORD
	s_andn2_b64 s[4:5], s[4:5], exec
	s_and_b64 s[8:9], s[8:9], exec
	s_or_b64 s[4:5], s[4:5], s[8:9]
	s_or_b64 exec, exec, s[6:7]
	s_and_saveexec_b64 s[6:7], s[4:5]
	s_cbranch_execz .LBB1_32467
; %bb.57767:
	s_getpc_b64 s[14:15]
.Lpost_getpc14547:
	s_add_u32 s14, s14, (.LBB1_7591-.Lpost_getpc14547)&4294967295
	s_addc_u32 s15, s15, (.LBB1_7591-.Lpost_getpc14547)>>32
	s_setpc_b64 s[14:15]
.LBB1_32467:
	s_getpc_b64 s[14:15]
.Lpost_getpc1897:
	s_add_u32 s14, s14, (.LBB1_7592-.Lpost_getpc1897)&4294967295
	s_addc_u32 s15, s15, (.LBB1_7592-.Lpost_getpc1897)>>32
	s_setpc_b64 s[14:15]
.LBB1_21929:
	s_movk_i32 s4, 0x80
	v_cmp_eq_u16_sdwa s[12:13], v6, s4 src0_sel:BYTE_0 src1_sel:DWORD
	s_mov_b64 s[4:5], -1
                                        ; implicit-def: $sgpr10
	s_and_saveexec_b64 s[8:9], s[12:13]
; %bb.21930:
	s_mov_b32 s10, 0x7f800001
	s_xor_b64 s[4:5], exec, -1
; %bb.21931:
	s_or_b64 exec, exec, s[8:9]
	s_and_b64 s[4:5], s[4:5], exec
	s_or_saveexec_b64 s[6:7], s[6:7]
	v_mov_b32_e32 v2, s10
	s_xor_b64 exec, exec, s[6:7]
	s_cbranch_execnz .LBB1_21932
; %bb.57769:
	s_getpc_b64 s[14:15]
.Lpost_getpc14548:
	s_add_u32 s14, s14, (.LBB1_7594-.Lpost_getpc14548)&4294967295
	s_addc_u32 s15, s15, (.LBB1_7594-.Lpost_getpc14548)>>32
	s_setpc_b64 s[14:15]
.LBB1_21932:
	v_mov_b32_e32 v2, 0
	v_cmp_ne_u16_sdwa s[8:9], v6, v2 src0_sel:BYTE_0 src1_sel:DWORD
	s_andn2_b64 s[4:5], s[4:5], exec
	s_and_b64 s[8:9], s[8:9], exec
	s_or_b64 s[4:5], s[4:5], s[8:9]
	s_or_b64 exec, exec, s[6:7]
	s_and_saveexec_b64 s[6:7], s[4:5]
	s_cbranch_execz .LBB1_32469
; %bb.57771:
	s_getpc_b64 s[14:15]
.Lpost_getpc14549:
	s_add_u32 s14, s14, (.LBB1_7595-.Lpost_getpc14549)&4294967295
	s_addc_u32 s15, s15, (.LBB1_7595-.Lpost_getpc14549)>>32
	s_setpc_b64 s[14:15]
.LBB1_32469:
	s_getpc_b64 s[14:15]
.Lpost_getpc1898:
	s_add_u32 s14, s14, (.LBB1_7596-.Lpost_getpc1898)&4294967295
	s_addc_u32 s15, s15, (.LBB1_7596-.Lpost_getpc1898)>>32
	s_setpc_b64 s[14:15]
.LBB1_21933:
	s_movk_i32 s4, 0x80
	v_cmp_eq_u16_sdwa s[12:13], v6, s4 src0_sel:BYTE_0 src1_sel:DWORD
	s_mov_b64 s[4:5], -1
                                        ; implicit-def: $sgpr10
	s_and_saveexec_b64 s[8:9], s[12:13]
; %bb.21934:
	s_mov_b32 s10, 0x7f800001
	s_xor_b64 s[4:5], exec, -1
; %bb.21935:
	s_or_b64 exec, exec, s[8:9]
	s_and_b64 s[4:5], s[4:5], exec
	s_or_saveexec_b64 s[6:7], s[6:7]
	v_mov_b32_e32 v12, s10
	s_xor_b64 exec, exec, s[6:7]
	s_cbranch_execnz .LBB1_21936
; %bb.57773:
	s_getpc_b64 s[14:15]
.Lpost_getpc14550:
	s_add_u32 s14, s14, (.LBB1_7598-.Lpost_getpc14550)&4294967295
	s_addc_u32 s15, s15, (.LBB1_7598-.Lpost_getpc14550)>>32
	s_setpc_b64 s[14:15]
.LBB1_21936:
	v_mov_b32_e32 v12, 0
	v_cmp_ne_u16_sdwa s[8:9], v6, v12 src0_sel:BYTE_0 src1_sel:DWORD
	s_andn2_b64 s[4:5], s[4:5], exec
	s_and_b64 s[8:9], s[8:9], exec
	s_or_b64 s[4:5], s[4:5], s[8:9]
	s_or_b64 exec, exec, s[6:7]
	s_and_saveexec_b64 s[6:7], s[4:5]
	s_cbranch_execz .LBB1_32471
; %bb.57775:
	s_getpc_b64 s[14:15]
.Lpost_getpc14551:
	s_add_u32 s14, s14, (.LBB1_7599-.Lpost_getpc14551)&4294967295
	s_addc_u32 s15, s15, (.LBB1_7599-.Lpost_getpc14551)>>32
	s_setpc_b64 s[14:15]
.LBB1_32471:
	s_getpc_b64 s[14:15]
.Lpost_getpc1899:
	s_add_u32 s14, s14, (.LBB1_7600-.Lpost_getpc1899)&4294967295
	s_addc_u32 s15, s15, (.LBB1_7600-.Lpost_getpc1899)>>32
	s_setpc_b64 s[14:15]
.LBB1_21937:
	s_movk_i32 s4, 0x80
	v_cmp_eq_u16_e32 vcc, s4, v6
	s_mov_b64 s[4:5], -1
                                        ; implicit-def: $sgpr10
	s_and_saveexec_b64 s[8:9], vcc
; %bb.21938:
	s_mov_b32 s10, 0x7f800001
	s_xor_b64 s[4:5], exec, -1
; %bb.21939:
	s_or_b64 exec, exec, s[8:9]
	s_and_b64 s[4:5], s[4:5], exec
                                        ; implicit-def: $vgpr6
	s_or_saveexec_b64 s[6:7], s[6:7]
	v_mov_b32_e32 v2, s10
	s_xor_b64 exec, exec, s[6:7]
	s_cbranch_execnz .LBB1_21940
; %bb.57777:
	s_getpc_b64 s[14:15]
.Lpost_getpc14552:
	s_add_u32 s14, s14, (.LBB1_7602-.Lpost_getpc14552)&4294967295
	s_addc_u32 s15, s15, (.LBB1_7602-.Lpost_getpc14552)>>32
	s_setpc_b64 s[14:15]
.LBB1_21940:
	v_cmp_ne_u16_e32 vcc, 0, v6
	s_andn2_b64 s[4:5], s[4:5], exec
	s_and_b64 s[8:9], vcc, exec
	v_mov_b32_e32 v2, 0
	s_or_b64 s[4:5], s[4:5], s[8:9]
	s_or_b64 exec, exec, s[6:7]
	s_and_saveexec_b64 s[6:7], s[4:5]
	s_cbranch_execz .LBB1_32473
; %bb.57779:
	s_getpc_b64 s[14:15]
.Lpost_getpc14553:
	s_add_u32 s14, s14, (.LBB1_7603-.Lpost_getpc14553)&4294967295
	s_addc_u32 s15, s15, (.LBB1_7603-.Lpost_getpc14553)>>32
	s_setpc_b64 s[14:15]
.LBB1_32473:
	s_getpc_b64 s[14:15]
.Lpost_getpc1900:
	s_add_u32 s14, s14, (.LBB1_7604-.Lpost_getpc1900)&4294967295
	s_addc_u32 s15, s15, (.LBB1_7604-.Lpost_getpc1900)>>32
	s_setpc_b64 s[14:15]
.LBB1_21941:
	s_movk_i32 s4, 0x80
	v_cmp_eq_u16_e32 vcc, s4, v6
	s_mov_b64 s[4:5], -1
                                        ; implicit-def: $sgpr10
	s_and_saveexec_b64 s[8:9], vcc
; %bb.21942:
	s_mov_b32 s10, 0x7f800001
	s_xor_b64 s[4:5], exec, -1
; %bb.21943:
	s_or_b64 exec, exec, s[8:9]
	s_and_b64 s[4:5], s[4:5], exec
                                        ; implicit-def: $vgpr6
	s_or_saveexec_b64 s[6:7], s[6:7]
	v_mov_b32_e32 v12, s10
	s_xor_b64 exec, exec, s[6:7]
	s_cbranch_execnz .LBB1_21944
; %bb.57781:
	s_getpc_b64 s[14:15]
.Lpost_getpc14554:
	s_add_u32 s14, s14, (.LBB1_7606-.Lpost_getpc14554)&4294967295
	s_addc_u32 s15, s15, (.LBB1_7606-.Lpost_getpc14554)>>32
	s_setpc_b64 s[14:15]
.LBB1_21944:
	v_cmp_ne_u16_e32 vcc, 0, v6
	s_andn2_b64 s[4:5], s[4:5], exec
	s_and_b64 s[8:9], vcc, exec
	v_mov_b32_e32 v12, 0
	s_or_b64 s[4:5], s[4:5], s[8:9]
	s_or_b64 exec, exec, s[6:7]
	s_and_saveexec_b64 s[6:7], s[4:5]
	s_cbranch_execz .LBB1_32475
; %bb.57783:
	s_getpc_b64 s[14:15]
.Lpost_getpc14555:
	s_add_u32 s14, s14, (.LBB1_7607-.Lpost_getpc14555)&4294967295
	s_addc_u32 s15, s15, (.LBB1_7607-.Lpost_getpc14555)>>32
	s_setpc_b64 s[14:15]
.LBB1_32475:
	s_getpc_b64 s[14:15]
.Lpost_getpc1901:
	s_add_u32 s14, s14, (.LBB1_7608-.Lpost_getpc1901)&4294967295
	s_addc_u32 s15, s15, (.LBB1_7608-.Lpost_getpc1901)>>32
	s_setpc_b64 s[14:15]
.LBB1_21945:
	s_movk_i32 s4, 0x80
	v_cmp_eq_u16_sdwa s[12:13], v7, s4 src0_sel:BYTE_3 src1_sel:DWORD
	s_mov_b64 s[4:5], -1
                                        ; implicit-def: $sgpr10
	s_and_saveexec_b64 s[8:9], s[12:13]
; %bb.21946:
	s_mov_b32 s10, 0x7f800001
	s_xor_b64 s[4:5], exec, -1
; %bb.21947:
	s_or_b64 exec, exec, s[8:9]
	s_and_b64 s[4:5], s[4:5], exec
	s_or_saveexec_b64 s[6:7], s[6:7]
	v_mov_b32_e32 v2, s10
	s_xor_b64 exec, exec, s[6:7]
	s_cbranch_execnz .LBB1_21948
; %bb.57785:
	s_getpc_b64 s[14:15]
.Lpost_getpc14556:
	s_add_u32 s14, s14, (.LBB1_7610-.Lpost_getpc14556)&4294967295
	s_addc_u32 s15, s15, (.LBB1_7610-.Lpost_getpc14556)>>32
	s_setpc_b64 s[14:15]
.LBB1_21948:
	v_mov_b32_e32 v2, 0
	v_cmp_ne_u16_sdwa s[8:9], v7, v2 src0_sel:BYTE_3 src1_sel:DWORD
	s_andn2_b64 s[4:5], s[4:5], exec
	s_and_b64 s[8:9], s[8:9], exec
	s_or_b64 s[4:5], s[4:5], s[8:9]
	s_or_b64 exec, exec, s[6:7]
	s_and_saveexec_b64 s[6:7], s[4:5]
	s_cbranch_execz .LBB1_32477
; %bb.57787:
	s_getpc_b64 s[14:15]
.Lpost_getpc14557:
	s_add_u32 s14, s14, (.LBB1_7611-.Lpost_getpc14557)&4294967295
	s_addc_u32 s15, s15, (.LBB1_7611-.Lpost_getpc14557)>>32
	s_setpc_b64 s[14:15]
.LBB1_32477:
	s_getpc_b64 s[14:15]
.Lpost_getpc1902:
	s_add_u32 s14, s14, (.LBB1_7612-.Lpost_getpc1902)&4294967295
	s_addc_u32 s15, s15, (.LBB1_7612-.Lpost_getpc1902)>>32
	s_setpc_b64 s[14:15]
.LBB1_21949:
	s_movk_i32 s4, 0x80
	v_cmp_eq_u16_sdwa s[12:13], v3, s4 src0_sel:BYTE_3 src1_sel:DWORD
	s_mov_b64 s[4:5], -1
                                        ; implicit-def: $sgpr10
	s_and_saveexec_b64 s[8:9], s[12:13]
; %bb.21950:
	s_mov_b32 s10, 0x7f800001
	s_xor_b64 s[4:5], exec, -1
; %bb.21951:
	s_or_b64 exec, exec, s[8:9]
	s_and_b64 s[4:5], s[4:5], exec
	s_or_saveexec_b64 s[6:7], s[6:7]
	v_mov_b32_e32 v6, s10
	s_xor_b64 exec, exec, s[6:7]
	s_cbranch_execnz .LBB1_21952
; %bb.57789:
	s_getpc_b64 s[14:15]
.Lpost_getpc14558:
	s_add_u32 s14, s14, (.LBB1_7614-.Lpost_getpc14558)&4294967295
	s_addc_u32 s15, s15, (.LBB1_7614-.Lpost_getpc14558)>>32
	s_setpc_b64 s[14:15]
.LBB1_21952:
	v_mov_b32_e32 v6, 0
	v_cmp_ne_u16_sdwa s[8:9], v3, v6 src0_sel:BYTE_3 src1_sel:DWORD
	s_andn2_b64 s[4:5], s[4:5], exec
	s_and_b64 s[8:9], s[8:9], exec
	s_or_b64 s[4:5], s[4:5], s[8:9]
	s_or_b64 exec, exec, s[6:7]
	s_and_saveexec_b64 s[6:7], s[4:5]
	s_cbranch_execz .LBB1_32479
; %bb.57791:
	s_getpc_b64 s[14:15]
.Lpost_getpc14559:
	s_add_u32 s14, s14, (.LBB1_7615-.Lpost_getpc14559)&4294967295
	s_addc_u32 s15, s15, (.LBB1_7615-.Lpost_getpc14559)>>32
	s_setpc_b64 s[14:15]
.LBB1_32479:
	s_getpc_b64 s[14:15]
.Lpost_getpc1903:
	s_add_u32 s14, s14, (.LBB1_7616-.Lpost_getpc1903)&4294967295
	s_addc_u32 s15, s15, (.LBB1_7616-.Lpost_getpc1903)>>32
	s_setpc_b64 s[14:15]
.LBB1_21953:
	s_movk_i32 s4, 0x80
	v_cmp_eq_u16_sdwa s[12:13], v8, s4 src0_sel:BYTE_0 src1_sel:DWORD
	s_mov_b64 s[4:5], -1
                                        ; implicit-def: $sgpr10
	s_and_saveexec_b64 s[8:9], s[12:13]
; %bb.21954:
	s_mov_b32 s10, 0x7f800001
	s_xor_b64 s[4:5], exec, -1
; %bb.21955:
	s_or_b64 exec, exec, s[8:9]
	s_and_b64 s[4:5], s[4:5], exec
	s_or_saveexec_b64 s[6:7], s[6:7]
	v_mov_b32_e32 v2, s10
	s_xor_b64 exec, exec, s[6:7]
	s_cbranch_execnz .LBB1_21956
; %bb.57793:
	s_getpc_b64 s[14:15]
.Lpost_getpc14560:
	s_add_u32 s14, s14, (.LBB1_7618-.Lpost_getpc14560)&4294967295
	s_addc_u32 s15, s15, (.LBB1_7618-.Lpost_getpc14560)>>32
	s_setpc_b64 s[14:15]
.LBB1_21956:
	v_mov_b32_e32 v2, 0
	v_cmp_ne_u16_sdwa s[8:9], v8, v2 src0_sel:BYTE_0 src1_sel:DWORD
	s_andn2_b64 s[4:5], s[4:5], exec
	s_and_b64 s[8:9], s[8:9], exec
	s_or_b64 s[4:5], s[4:5], s[8:9]
	s_or_b64 exec, exec, s[6:7]
	s_and_saveexec_b64 s[6:7], s[4:5]
	s_cbranch_execz .LBB1_32481
; %bb.57795:
	s_getpc_b64 s[14:15]
.Lpost_getpc14561:
	s_add_u32 s14, s14, (.LBB1_7619-.Lpost_getpc14561)&4294967295
	s_addc_u32 s15, s15, (.LBB1_7619-.Lpost_getpc14561)>>32
	s_setpc_b64 s[14:15]
.LBB1_32481:
	s_getpc_b64 s[14:15]
.Lpost_getpc1904:
	s_add_u32 s14, s14, (.LBB1_7620-.Lpost_getpc1904)&4294967295
	s_addc_u32 s15, s15, (.LBB1_7620-.Lpost_getpc1904)>>32
	s_setpc_b64 s[14:15]
.LBB1_21957:
	s_movk_i32 s4, 0x80
	v_cmp_eq_u16_sdwa s[12:13], v4, s4 src0_sel:BYTE_0 src1_sel:DWORD
	s_mov_b64 s[4:5], -1
                                        ; implicit-def: $sgpr10
	s_and_saveexec_b64 s[8:9], s[12:13]
; %bb.21958:
	s_mov_b32 s10, 0x7f800001
	s_xor_b64 s[4:5], exec, -1
; %bb.21959:
	s_or_b64 exec, exec, s[8:9]
	s_and_b64 s[4:5], s[4:5], exec
	s_or_saveexec_b64 s[6:7], s[6:7]
	v_mov_b32_e32 v3, s10
	s_xor_b64 exec, exec, s[6:7]
	s_cbranch_execnz .LBB1_21960
; %bb.57797:
	s_getpc_b64 s[14:15]
.Lpost_getpc14562:
	s_add_u32 s14, s14, (.LBB1_7622-.Lpost_getpc14562)&4294967295
	s_addc_u32 s15, s15, (.LBB1_7622-.Lpost_getpc14562)>>32
	s_setpc_b64 s[14:15]
.LBB1_21960:
	v_mov_b32_e32 v3, 0
	v_cmp_ne_u16_sdwa s[8:9], v4, v3 src0_sel:BYTE_0 src1_sel:DWORD
	s_andn2_b64 s[4:5], s[4:5], exec
	s_and_b64 s[8:9], s[8:9], exec
	s_or_b64 s[4:5], s[4:5], s[8:9]
	s_or_b64 exec, exec, s[6:7]
	s_and_saveexec_b64 s[6:7], s[4:5]
	s_cbranch_execz .LBB1_32483
; %bb.57799:
	s_getpc_b64 s[14:15]
.Lpost_getpc14563:
	s_add_u32 s14, s14, (.LBB1_7623-.Lpost_getpc14563)&4294967295
	s_addc_u32 s15, s15, (.LBB1_7623-.Lpost_getpc14563)>>32
	s_setpc_b64 s[14:15]
.LBB1_32483:
	s_getpc_b64 s[14:15]
.Lpost_getpc1905:
	s_add_u32 s14, s14, (.LBB1_7624-.Lpost_getpc1905)&4294967295
	s_addc_u32 s15, s15, (.LBB1_7624-.Lpost_getpc1905)>>32
	s_setpc_b64 s[14:15]
.LBB1_21961:
	s_movk_i32 s4, 0x80
	v_cmp_eq_u16_sdwa s[12:13], v3, s4 src0_sel:BYTE_0 src1_sel:DWORD
	s_mov_b64 s[4:5], -1
                                        ; implicit-def: $sgpr10
	s_and_saveexec_b64 s[8:9], s[12:13]
; %bb.21962:
	s_mov_b32 s10, 0x7f800001
	s_xor_b64 s[4:5], exec, -1
; %bb.21963:
	s_or_b64 exec, exec, s[8:9]
	s_and_b64 s[4:5], s[4:5], exec
	s_or_saveexec_b64 s[6:7], s[6:7]
	v_mov_b32_e32 v2, s10
	s_xor_b64 exec, exec, s[6:7]
	s_cbranch_execnz .LBB1_21964
; %bb.57801:
	s_getpc_b64 s[14:15]
.Lpost_getpc14564:
	s_add_u32 s14, s14, (.LBB1_7626-.Lpost_getpc14564)&4294967295
	s_addc_u32 s15, s15, (.LBB1_7626-.Lpost_getpc14564)>>32
	s_setpc_b64 s[14:15]
.LBB1_21964:
	v_mov_b32_e32 v2, 0
	v_cmp_ne_u16_sdwa s[8:9], v3, v2 src0_sel:BYTE_0 src1_sel:DWORD
	s_andn2_b64 s[4:5], s[4:5], exec
	s_and_b64 s[8:9], s[8:9], exec
	s_or_b64 s[4:5], s[4:5], s[8:9]
	s_or_b64 exec, exec, s[6:7]
	s_and_saveexec_b64 s[6:7], s[4:5]
	s_cbranch_execz .LBB1_32485
; %bb.57803:
	s_getpc_b64 s[14:15]
.Lpost_getpc14565:
	s_add_u32 s14, s14, (.LBB1_7627-.Lpost_getpc14565)&4294967295
	s_addc_u32 s15, s15, (.LBB1_7627-.Lpost_getpc14565)>>32
	s_setpc_b64 s[14:15]
.LBB1_32485:
	s_getpc_b64 s[14:15]
.Lpost_getpc1906:
	s_add_u32 s14, s14, (.LBB1_7628-.Lpost_getpc1906)&4294967295
	s_addc_u32 s15, s15, (.LBB1_7628-.Lpost_getpc1906)>>32
	s_setpc_b64 s[14:15]
.LBB1_21965:
	s_movk_i32 s4, 0x80
	v_cmp_eq_u16_sdwa s[12:13], v3, s4 src0_sel:BYTE_0 src1_sel:DWORD
	s_mov_b64 s[4:5], -1
                                        ; implicit-def: $sgpr10
	s_and_saveexec_b64 s[8:9], s[12:13]
; %bb.21966:
	s_mov_b32 s10, 0x7f800001
	s_xor_b64 s[4:5], exec, -1
; %bb.21967:
	s_or_b64 exec, exec, s[8:9]
	s_and_b64 s[4:5], s[4:5], exec
	s_or_saveexec_b64 s[6:7], s[6:7]
	v_mov_b32_e32 v6, s10
	s_xor_b64 exec, exec, s[6:7]
	s_cbranch_execnz .LBB1_21968
; %bb.57805:
	s_getpc_b64 s[14:15]
.Lpost_getpc14566:
	s_add_u32 s14, s14, (.LBB1_7630-.Lpost_getpc14566)&4294967295
	s_addc_u32 s15, s15, (.LBB1_7630-.Lpost_getpc14566)>>32
	s_setpc_b64 s[14:15]
.LBB1_21968:
	v_mov_b32_e32 v6, 0
	v_cmp_ne_u16_sdwa s[8:9], v3, v6 src0_sel:BYTE_0 src1_sel:DWORD
	s_andn2_b64 s[4:5], s[4:5], exec
	s_and_b64 s[8:9], s[8:9], exec
	s_or_b64 s[4:5], s[4:5], s[8:9]
	s_or_b64 exec, exec, s[6:7]
	s_and_saveexec_b64 s[6:7], s[4:5]
	s_cbranch_execz .LBB1_32487
; %bb.57807:
	s_getpc_b64 s[14:15]
.Lpost_getpc14567:
	s_add_u32 s14, s14, (.LBB1_7631-.Lpost_getpc14567)&4294967295
	s_addc_u32 s15, s15, (.LBB1_7631-.Lpost_getpc14567)>>32
	s_setpc_b64 s[14:15]
.LBB1_32487:
	s_getpc_b64 s[14:15]
.Lpost_getpc1907:
	s_add_u32 s14, s14, (.LBB1_7632-.Lpost_getpc1907)&4294967295
	s_addc_u32 s15, s15, (.LBB1_7632-.Lpost_getpc1907)>>32
	s_setpc_b64 s[14:15]
.LBB1_21969:
	s_movk_i32 s4, 0x80
	v_cmp_eq_u16_e32 vcc, s4, v3
	s_mov_b64 s[4:5], -1
                                        ; implicit-def: $sgpr10
	s_and_saveexec_b64 s[8:9], vcc
; %bb.21970:
	s_mov_b32 s10, 0x7f800001
	s_xor_b64 s[4:5], exec, -1
; %bb.21971:
	s_or_b64 exec, exec, s[8:9]
	s_and_b64 s[4:5], s[4:5], exec
                                        ; implicit-def: $vgpr3
	s_or_saveexec_b64 s[6:7], s[6:7]
	v_mov_b32_e32 v2, s10
	s_xor_b64 exec, exec, s[6:7]
	s_cbranch_execnz .LBB1_21972
; %bb.57809:
	s_getpc_b64 s[14:15]
.Lpost_getpc14568:
	s_add_u32 s14, s14, (.LBB1_7634-.Lpost_getpc14568)&4294967295
	s_addc_u32 s15, s15, (.LBB1_7634-.Lpost_getpc14568)>>32
	s_setpc_b64 s[14:15]
.LBB1_21972:
	v_cmp_ne_u16_e32 vcc, 0, v3
	s_andn2_b64 s[4:5], s[4:5], exec
	s_and_b64 s[8:9], vcc, exec
	v_mov_b32_e32 v2, 0
	s_or_b64 s[4:5], s[4:5], s[8:9]
	s_or_b64 exec, exec, s[6:7]
	s_and_saveexec_b64 s[6:7], s[4:5]
	s_cbranch_execz .LBB1_32489
; %bb.57811:
	s_getpc_b64 s[14:15]
.Lpost_getpc14569:
	s_add_u32 s14, s14, (.LBB1_7635-.Lpost_getpc14569)&4294967295
	s_addc_u32 s15, s15, (.LBB1_7635-.Lpost_getpc14569)>>32
	s_setpc_b64 s[14:15]
.LBB1_32489:
	s_getpc_b64 s[14:15]
.Lpost_getpc1908:
	s_add_u32 s14, s14, (.LBB1_7636-.Lpost_getpc1908)&4294967295
	s_addc_u32 s15, s15, (.LBB1_7636-.Lpost_getpc1908)>>32
	s_setpc_b64 s[14:15]
.LBB1_21973:
	s_movk_i32 s4, 0x80
	v_cmp_eq_u16_e32 vcc, s4, v3
	s_mov_b64 s[4:5], -1
                                        ; implicit-def: $sgpr10
	s_and_saveexec_b64 s[8:9], vcc
; %bb.21974:
	s_mov_b32 s10, 0x7f800001
	s_xor_b64 s[4:5], exec, -1
; %bb.21975:
	s_or_b64 exec, exec, s[8:9]
	s_and_b64 s[4:5], s[4:5], exec
                                        ; implicit-def: $vgpr3
	s_or_saveexec_b64 s[6:7], s[6:7]
	v_mov_b32_e32 v6, s10
	s_xor_b64 exec, exec, s[6:7]
	s_cbranch_execnz .LBB1_21976
; %bb.57813:
	s_getpc_b64 s[14:15]
.Lpost_getpc14570:
	s_add_u32 s14, s14, (.LBB1_7638-.Lpost_getpc14570)&4294967295
	s_addc_u32 s15, s15, (.LBB1_7638-.Lpost_getpc14570)>>32
	s_setpc_b64 s[14:15]
.LBB1_21976:
	v_cmp_ne_u16_e32 vcc, 0, v3
	s_andn2_b64 s[4:5], s[4:5], exec
	s_and_b64 s[8:9], vcc, exec
	v_mov_b32_e32 v6, 0
	s_or_b64 s[4:5], s[4:5], s[8:9]
	s_or_b64 exec, exec, s[6:7]
	s_and_saveexec_b64 s[6:7], s[4:5]
	s_cbranch_execz .LBB1_32491
; %bb.57815:
	s_getpc_b64 s[14:15]
.Lpost_getpc14571:
	s_add_u32 s14, s14, (.LBB1_7639-.Lpost_getpc14571)&4294967295
	s_addc_u32 s15, s15, (.LBB1_7639-.Lpost_getpc14571)>>32
	s_setpc_b64 s[14:15]
.LBB1_32491:
	s_getpc_b64 s[14:15]
.Lpost_getpc1909:
	s_add_u32 s14, s14, (.LBB1_7640-.Lpost_getpc1909)&4294967295
	s_addc_u32 s15, s15, (.LBB1_7640-.Lpost_getpc1909)>>32
	s_setpc_b64 s[14:15]
.LBB1_21977:
	s_movk_i32 s4, 0x80
	v_cmp_eq_u16_sdwa s[12:13], v8, s4 src0_sel:BYTE_3 src1_sel:DWORD
	s_mov_b64 s[4:5], -1
                                        ; implicit-def: $sgpr10
	s_and_saveexec_b64 s[8:9], s[12:13]
; %bb.21978:
	s_mov_b32 s10, 0x7f800001
	s_xor_b64 s[4:5], exec, -1
; %bb.21979:
	s_or_b64 exec, exec, s[8:9]
	s_and_b64 s[4:5], s[4:5], exec
	s_or_saveexec_b64 s[6:7], s[6:7]
	v_mov_b32_e32 v2, s10
	s_xor_b64 exec, exec, s[6:7]
	s_cbranch_execnz .LBB1_21980
; %bb.57817:
	s_getpc_b64 s[14:15]
.Lpost_getpc14572:
	s_add_u32 s14, s14, (.LBB1_7642-.Lpost_getpc14572)&4294967295
	s_addc_u32 s15, s15, (.LBB1_7642-.Lpost_getpc14572)>>32
	s_setpc_b64 s[14:15]
.LBB1_21980:
	v_mov_b32_e32 v2, 0
	v_cmp_ne_u16_sdwa s[8:9], v8, v2 src0_sel:BYTE_3 src1_sel:DWORD
	s_andn2_b64 s[4:5], s[4:5], exec
	s_and_b64 s[8:9], s[8:9], exec
	s_or_b64 s[4:5], s[4:5], s[8:9]
	s_or_b64 exec, exec, s[6:7]
	s_and_saveexec_b64 s[6:7], s[4:5]
	s_cbranch_execz .LBB1_32493
; %bb.57819:
	s_getpc_b64 s[14:15]
.Lpost_getpc14573:
	s_add_u32 s14, s14, (.LBB1_7643-.Lpost_getpc14573)&4294967295
	s_addc_u32 s15, s15, (.LBB1_7643-.Lpost_getpc14573)>>32
	s_setpc_b64 s[14:15]
.LBB1_32493:
	s_getpc_b64 s[14:15]
.Lpost_getpc1910:
	s_add_u32 s14, s14, (.LBB1_7644-.Lpost_getpc1910)&4294967295
	s_addc_u32 s15, s15, (.LBB1_7644-.Lpost_getpc1910)>>32
	s_setpc_b64 s[14:15]
.LBB1_21981:
	s_movk_i32 s4, 0x80
	v_cmp_eq_u16_sdwa s[12:13], v4, s4 src0_sel:BYTE_3 src1_sel:DWORD
	s_mov_b64 s[4:5], -1
                                        ; implicit-def: $sgpr10
	s_and_saveexec_b64 s[8:9], s[12:13]
; %bb.21982:
	s_mov_b32 s10, 0x7f800001
	s_xor_b64 s[4:5], exec, -1
; %bb.21983:
	s_or_b64 exec, exec, s[8:9]
	s_and_b64 s[4:5], s[4:5], exec
	s_or_saveexec_b64 s[6:7], s[6:7]
	v_mov_b32_e32 v3, s10
	s_xor_b64 exec, exec, s[6:7]
	s_cbranch_execnz .LBB1_21984
; %bb.57821:
	s_getpc_b64 s[14:15]
.Lpost_getpc14574:
	s_add_u32 s14, s14, (.LBB1_7646-.Lpost_getpc14574)&4294967295
	s_addc_u32 s15, s15, (.LBB1_7646-.Lpost_getpc14574)>>32
	s_setpc_b64 s[14:15]
.LBB1_21984:
	v_mov_b32_e32 v3, 0
	v_cmp_ne_u16_sdwa s[8:9], v4, v3 src0_sel:BYTE_3 src1_sel:DWORD
	s_andn2_b64 s[4:5], s[4:5], exec
	s_and_b64 s[8:9], s[8:9], exec
	s_or_b64 s[4:5], s[4:5], s[8:9]
	s_or_b64 exec, exec, s[6:7]
	s_and_saveexec_b64 s[6:7], s[4:5]
	s_cbranch_execz .LBB1_32495
; %bb.57823:
	s_getpc_b64 s[14:15]
.Lpost_getpc14575:
	s_add_u32 s14, s14, (.LBB1_7647-.Lpost_getpc14575)&4294967295
	s_addc_u32 s15, s15, (.LBB1_7647-.Lpost_getpc14575)>>32
	s_setpc_b64 s[14:15]
.LBB1_32495:
	s_getpc_b64 s[14:15]
.Lpost_getpc1911:
	s_add_u32 s14, s14, (.LBB1_7648-.Lpost_getpc1911)&4294967295
	s_addc_u32 s15, s15, (.LBB1_7648-.Lpost_getpc1911)>>32
	s_setpc_b64 s[14:15]
.LBB1_21985:
	s_movk_i32 s4, 0x80
	v_cmp_eq_u16_sdwa s[12:13], v9, s4 src0_sel:BYTE_0 src1_sel:DWORD
	s_mov_b64 s[4:5], -1
                                        ; implicit-def: $sgpr10
	s_and_saveexec_b64 s[8:9], s[12:13]
; %bb.21986:
	s_mov_b32 s10, 0x7f800001
	s_xor_b64 s[4:5], exec, -1
; %bb.21987:
	s_or_b64 exec, exec, s[8:9]
	s_and_b64 s[4:5], s[4:5], exec
	s_or_saveexec_b64 s[6:7], s[6:7]
	v_mov_b32_e32 v2, s10
	s_xor_b64 exec, exec, s[6:7]
	s_cbranch_execnz .LBB1_21988
; %bb.57825:
	s_getpc_b64 s[14:15]
.Lpost_getpc14576:
	s_add_u32 s14, s14, (.LBB1_7650-.Lpost_getpc14576)&4294967295
	s_addc_u32 s15, s15, (.LBB1_7650-.Lpost_getpc14576)>>32
	s_setpc_b64 s[14:15]
.LBB1_21988:
	v_mov_b32_e32 v2, 0
	v_cmp_ne_u16_sdwa s[8:9], v9, v2 src0_sel:BYTE_0 src1_sel:DWORD
	s_andn2_b64 s[4:5], s[4:5], exec
	s_and_b64 s[8:9], s[8:9], exec
	s_or_b64 s[4:5], s[4:5], s[8:9]
	s_or_b64 exec, exec, s[6:7]
	s_and_saveexec_b64 s[6:7], s[4:5]
	s_cbranch_execz .LBB1_32497
; %bb.57827:
	s_getpc_b64 s[14:15]
.Lpost_getpc14577:
	s_add_u32 s14, s14, (.LBB1_7651-.Lpost_getpc14577)&4294967295
	s_addc_u32 s15, s15, (.LBB1_7651-.Lpost_getpc14577)>>32
	s_setpc_b64 s[14:15]
.LBB1_32497:
	s_getpc_b64 s[14:15]
.Lpost_getpc1912:
	s_add_u32 s14, s14, (.LBB1_7652-.Lpost_getpc1912)&4294967295
	s_addc_u32 s15, s15, (.LBB1_7652-.Lpost_getpc1912)>>32
	s_setpc_b64 s[14:15]
.LBB1_21989:
	s_movk_i32 s4, 0x80
	v_cmp_eq_u16_sdwa s[12:13], v5, s4 src0_sel:BYTE_0 src1_sel:DWORD
	s_mov_b64 s[4:5], -1
                                        ; implicit-def: $sgpr10
	s_and_saveexec_b64 s[8:9], s[12:13]
; %bb.21990:
	s_mov_b32 s10, 0x7f800001
	s_xor_b64 s[4:5], exec, -1
; %bb.21991:
	s_or_b64 exec, exec, s[8:9]
	s_and_b64 s[4:5], s[4:5], exec
	s_or_saveexec_b64 s[6:7], s[6:7]
	v_mov_b32_e32 v3, s10
	s_xor_b64 exec, exec, s[6:7]
	s_cbranch_execnz .LBB1_21992
; %bb.57829:
	s_getpc_b64 s[14:15]
.Lpost_getpc14578:
	s_add_u32 s14, s14, (.LBB1_7654-.Lpost_getpc14578)&4294967295
	s_addc_u32 s15, s15, (.LBB1_7654-.Lpost_getpc14578)>>32
	s_setpc_b64 s[14:15]
.LBB1_21992:
	v_mov_b32_e32 v3, 0
	v_cmp_ne_u16_sdwa s[8:9], v5, v3 src0_sel:BYTE_0 src1_sel:DWORD
	s_andn2_b64 s[4:5], s[4:5], exec
	s_and_b64 s[8:9], s[8:9], exec
	s_or_b64 s[4:5], s[4:5], s[8:9]
	s_or_b64 exec, exec, s[6:7]
	s_and_saveexec_b64 s[6:7], s[4:5]
	s_cbranch_execz .LBB1_32499
; %bb.57831:
	s_getpc_b64 s[14:15]
.Lpost_getpc14579:
	s_add_u32 s14, s14, (.LBB1_7655-.Lpost_getpc14579)&4294967295
	s_addc_u32 s15, s15, (.LBB1_7655-.Lpost_getpc14579)>>32
	s_setpc_b64 s[14:15]
.LBB1_32499:
	s_getpc_b64 s[14:15]
.Lpost_getpc1913:
	s_add_u32 s14, s14, (.LBB1_7656-.Lpost_getpc1913)&4294967295
	s_addc_u32 s15, s15, (.LBB1_7656-.Lpost_getpc1913)>>32
	s_setpc_b64 s[14:15]
.LBB1_21993:
	s_movk_i32 s4, 0x80
	v_cmp_eq_u16_sdwa s[12:13], v3, s4 src0_sel:BYTE_0 src1_sel:DWORD
	s_mov_b64 s[4:5], -1
                                        ; implicit-def: $sgpr10
	s_and_saveexec_b64 s[8:9], s[12:13]
; %bb.21994:
	s_mov_b32 s10, 0x7f800001
	s_xor_b64 s[4:5], exec, -1
; %bb.21995:
	s_or_b64 exec, exec, s[8:9]
	s_and_b64 s[4:5], s[4:5], exec
	s_or_saveexec_b64 s[6:7], s[6:7]
	v_mov_b32_e32 v2, s10
	s_xor_b64 exec, exec, s[6:7]
	s_cbranch_execnz .LBB1_21996
; %bb.57833:
	s_getpc_b64 s[14:15]
.Lpost_getpc14580:
	s_add_u32 s14, s14, (.LBB1_7658-.Lpost_getpc14580)&4294967295
	s_addc_u32 s15, s15, (.LBB1_7658-.Lpost_getpc14580)>>32
	s_setpc_b64 s[14:15]
.LBB1_21996:
	v_mov_b32_e32 v2, 0
	v_cmp_ne_u16_sdwa s[8:9], v3, v2 src0_sel:BYTE_0 src1_sel:DWORD
	s_andn2_b64 s[4:5], s[4:5], exec
	s_and_b64 s[8:9], s[8:9], exec
	s_or_b64 s[4:5], s[4:5], s[8:9]
	s_or_b64 exec, exec, s[6:7]
	s_and_saveexec_b64 s[6:7], s[4:5]
	s_cbranch_execz .LBB1_32501
; %bb.57835:
	s_getpc_b64 s[14:15]
.Lpost_getpc14581:
	s_add_u32 s14, s14, (.LBB1_7659-.Lpost_getpc14581)&4294967295
	s_addc_u32 s15, s15, (.LBB1_7659-.Lpost_getpc14581)>>32
	s_setpc_b64 s[14:15]
.LBB1_32501:
	s_getpc_b64 s[14:15]
.Lpost_getpc1914:
	s_add_u32 s14, s14, (.LBB1_7660-.Lpost_getpc1914)&4294967295
	s_addc_u32 s15, s15, (.LBB1_7660-.Lpost_getpc1914)>>32
	s_setpc_b64 s[14:15]
.LBB1_21997:
	s_movk_i32 s4, 0x80
	v_cmp_eq_u16_sdwa s[12:13], v3, s4 src0_sel:BYTE_0 src1_sel:DWORD
	s_mov_b64 s[4:5], -1
                                        ; implicit-def: $sgpr10
	s_and_saveexec_b64 s[8:9], s[12:13]
; %bb.21998:
	s_mov_b32 s10, 0x7f800001
	s_xor_b64 s[4:5], exec, -1
; %bb.21999:
	s_or_b64 exec, exec, s[8:9]
	s_and_b64 s[4:5], s[4:5], exec
	s_or_saveexec_b64 s[6:7], s[6:7]
	v_mov_b32_e32 v4, s10
	s_xor_b64 exec, exec, s[6:7]
	s_cbranch_execnz .LBB1_22000
; %bb.57837:
	s_getpc_b64 s[14:15]
.Lpost_getpc14582:
	s_add_u32 s14, s14, (.LBB1_7662-.Lpost_getpc14582)&4294967295
	s_addc_u32 s15, s15, (.LBB1_7662-.Lpost_getpc14582)>>32
	s_setpc_b64 s[14:15]
.LBB1_22000:
	v_mov_b32_e32 v4, 0
	v_cmp_ne_u16_sdwa s[8:9], v3, v4 src0_sel:BYTE_0 src1_sel:DWORD
	s_andn2_b64 s[4:5], s[4:5], exec
	s_and_b64 s[8:9], s[8:9], exec
	s_or_b64 s[4:5], s[4:5], s[8:9]
	s_or_b64 exec, exec, s[6:7]
	s_and_saveexec_b64 s[6:7], s[4:5]
	s_cbranch_execz .LBB1_32503
; %bb.57839:
	s_getpc_b64 s[14:15]
.Lpost_getpc14583:
	s_add_u32 s14, s14, (.LBB1_7663-.Lpost_getpc14583)&4294967295
	s_addc_u32 s15, s15, (.LBB1_7663-.Lpost_getpc14583)>>32
	s_setpc_b64 s[14:15]
.LBB1_32503:
	s_getpc_b64 s[14:15]
.Lpost_getpc1915:
	s_add_u32 s14, s14, (.LBB1_7664-.Lpost_getpc1915)&4294967295
	s_addc_u32 s15, s15, (.LBB1_7664-.Lpost_getpc1915)>>32
	s_setpc_b64 s[14:15]
.LBB1_22001:
	s_movk_i32 s4, 0x80
	v_cmp_eq_u16_e32 vcc, s4, v3
	s_mov_b64 s[4:5], -1
                                        ; implicit-def: $sgpr10
	s_and_saveexec_b64 s[8:9], vcc
; %bb.22002:
	s_mov_b32 s10, 0x7f800001
	s_xor_b64 s[4:5], exec, -1
; %bb.22003:
	s_or_b64 exec, exec, s[8:9]
	s_and_b64 s[4:5], s[4:5], exec
                                        ; implicit-def: $vgpr3
	s_or_saveexec_b64 s[6:7], s[6:7]
	v_mov_b32_e32 v2, s10
	s_xor_b64 exec, exec, s[6:7]
	s_cbranch_execnz .LBB1_22004
; %bb.57841:
	s_getpc_b64 s[14:15]
.Lpost_getpc14584:
	s_add_u32 s14, s14, (.LBB1_7666-.Lpost_getpc14584)&4294967295
	s_addc_u32 s15, s15, (.LBB1_7666-.Lpost_getpc14584)>>32
	s_setpc_b64 s[14:15]
.LBB1_22004:
	v_cmp_ne_u16_e32 vcc, 0, v3
	s_andn2_b64 s[4:5], s[4:5], exec
	s_and_b64 s[8:9], vcc, exec
	v_mov_b32_e32 v2, 0
	s_or_b64 s[4:5], s[4:5], s[8:9]
	s_or_b64 exec, exec, s[6:7]
	s_and_saveexec_b64 s[6:7], s[4:5]
	s_cbranch_execz .LBB1_32505
; %bb.57843:
	s_getpc_b64 s[14:15]
.Lpost_getpc14585:
	s_add_u32 s14, s14, (.LBB1_7667-.Lpost_getpc14585)&4294967295
	s_addc_u32 s15, s15, (.LBB1_7667-.Lpost_getpc14585)>>32
	s_setpc_b64 s[14:15]
.LBB1_32505:
	s_getpc_b64 s[14:15]
.Lpost_getpc1916:
	s_add_u32 s14, s14, (.LBB1_7668-.Lpost_getpc1916)&4294967295
	s_addc_u32 s15, s15, (.LBB1_7668-.Lpost_getpc1916)>>32
	s_setpc_b64 s[14:15]
.LBB1_22005:
	s_movk_i32 s4, 0x80
	v_cmp_eq_u16_e32 vcc, s4, v3
	s_mov_b64 s[4:5], -1
                                        ; implicit-def: $sgpr10
	s_and_saveexec_b64 s[8:9], vcc
; %bb.22006:
	s_mov_b32 s10, 0x7f800001
	s_xor_b64 s[4:5], exec, -1
; %bb.22007:
	s_or_b64 exec, exec, s[8:9]
	s_and_b64 s[4:5], s[4:5], exec
                                        ; implicit-def: $vgpr3
	s_or_saveexec_b64 s[6:7], s[6:7]
	v_mov_b32_e32 v4, s10
	s_xor_b64 exec, exec, s[6:7]
	s_cbranch_execnz .LBB1_22008
; %bb.57845:
	s_getpc_b64 s[14:15]
.Lpost_getpc14586:
	s_add_u32 s14, s14, (.LBB1_7670-.Lpost_getpc14586)&4294967295
	s_addc_u32 s15, s15, (.LBB1_7670-.Lpost_getpc14586)>>32
	s_setpc_b64 s[14:15]
.LBB1_22008:
	v_cmp_ne_u16_e32 vcc, 0, v3
	s_andn2_b64 s[4:5], s[4:5], exec
	s_and_b64 s[8:9], vcc, exec
	v_mov_b32_e32 v4, 0
	s_or_b64 s[4:5], s[4:5], s[8:9]
	s_or_b64 exec, exec, s[6:7]
	s_and_saveexec_b64 s[6:7], s[4:5]
	s_cbranch_execz .LBB1_32507
; %bb.57847:
	s_getpc_b64 s[14:15]
.Lpost_getpc14587:
	s_add_u32 s14, s14, (.LBB1_7671-.Lpost_getpc14587)&4294967295
	s_addc_u32 s15, s15, (.LBB1_7671-.Lpost_getpc14587)>>32
	s_setpc_b64 s[14:15]
.LBB1_32507:
	s_getpc_b64 s[14:15]
.Lpost_getpc1917:
	s_add_u32 s14, s14, (.LBB1_7672-.Lpost_getpc1917)&4294967295
	s_addc_u32 s15, s15, (.LBB1_7672-.Lpost_getpc1917)>>32
	s_setpc_b64 s[14:15]
.LBB1_22009:
	s_movk_i32 s4, 0x80
	v_cmp_eq_u16_sdwa s[12:13], v9, s4 src0_sel:BYTE_3 src1_sel:DWORD
	s_mov_b64 s[4:5], -1
                                        ; implicit-def: $sgpr10
	s_and_saveexec_b64 s[8:9], s[12:13]
; %bb.22010:
	s_mov_b32 s10, 0x7f800001
	s_xor_b64 s[4:5], exec, -1
; %bb.22011:
	s_or_b64 exec, exec, s[8:9]
	s_and_b64 s[4:5], s[4:5], exec
	s_or_saveexec_b64 s[6:7], s[6:7]
	v_mov_b32_e32 v2, s10
	s_xor_b64 exec, exec, s[6:7]
	s_cbranch_execnz .LBB1_22012
; %bb.57849:
	s_getpc_b64 s[14:15]
.Lpost_getpc14588:
	s_add_u32 s14, s14, (.LBB1_7674-.Lpost_getpc14588)&4294967295
	s_addc_u32 s15, s15, (.LBB1_7674-.Lpost_getpc14588)>>32
	s_setpc_b64 s[14:15]
.LBB1_22012:
	v_mov_b32_e32 v2, 0
	v_cmp_ne_u16_sdwa s[8:9], v9, v2 src0_sel:BYTE_3 src1_sel:DWORD
	s_andn2_b64 s[4:5], s[4:5], exec
	s_and_b64 s[8:9], s[8:9], exec
	s_or_b64 s[4:5], s[4:5], s[8:9]
	s_or_b64 exec, exec, s[6:7]
	s_and_saveexec_b64 s[6:7], s[4:5]
	s_cbranch_execz .LBB1_32509
; %bb.57851:
	s_getpc_b64 s[14:15]
.Lpost_getpc14589:
	s_add_u32 s14, s14, (.LBB1_7675-.Lpost_getpc14589)&4294967295
	s_addc_u32 s15, s15, (.LBB1_7675-.Lpost_getpc14589)>>32
	s_setpc_b64 s[14:15]
.LBB1_32509:
	s_getpc_b64 s[14:15]
.Lpost_getpc1918:
	s_add_u32 s14, s14, (.LBB1_7676-.Lpost_getpc1918)&4294967295
	s_addc_u32 s15, s15, (.LBB1_7676-.Lpost_getpc1918)>>32
	s_setpc_b64 s[14:15]
.LBB1_22013:
	s_movk_i32 s4, 0x80
	v_cmp_eq_u16_sdwa s[12:13], v5, s4 src0_sel:BYTE_3 src1_sel:DWORD
	s_mov_b64 s[4:5], -1
                                        ; implicit-def: $sgpr10
	s_and_saveexec_b64 s[8:9], s[12:13]
; %bb.22014:
	s_mov_b32 s10, 0x7f800001
	s_xor_b64 s[4:5], exec, -1
; %bb.22015:
	s_or_b64 exec, exec, s[8:9]
	s_and_b64 s[4:5], s[4:5], exec
	s_or_saveexec_b64 s[6:7], s[6:7]
	v_mov_b32_e32 v3, s10
	s_xor_b64 exec, exec, s[6:7]
	s_cbranch_execnz .LBB1_22016
; %bb.57853:
	s_getpc_b64 s[14:15]
.Lpost_getpc14590:
	s_add_u32 s14, s14, (.LBB1_7678-.Lpost_getpc14590)&4294967295
	s_addc_u32 s15, s15, (.LBB1_7678-.Lpost_getpc14590)>>32
	s_setpc_b64 s[14:15]
.LBB1_22016:
	v_mov_b32_e32 v3, 0
	v_cmp_ne_u16_sdwa s[8:9], v5, v3 src0_sel:BYTE_3 src1_sel:DWORD
	s_andn2_b64 s[4:5], s[4:5], exec
	s_and_b64 s[8:9], s[8:9], exec
	s_or_b64 s[4:5], s[4:5], s[8:9]
	s_or_b64 exec, exec, s[6:7]
	s_and_saveexec_b64 s[6:7], s[4:5]
	s_cbranch_execz .LBB1_32511
; %bb.57855:
	s_getpc_b64 s[14:15]
.Lpost_getpc14591:
	s_add_u32 s14, s14, (.LBB1_7679-.Lpost_getpc14591)&4294967295
	s_addc_u32 s15, s15, (.LBB1_7679-.Lpost_getpc14591)>>32
	s_setpc_b64 s[14:15]
.LBB1_32511:
	s_getpc_b64 s[14:15]
.Lpost_getpc1919:
	s_add_u32 s14, s14, (.LBB1_7680-.Lpost_getpc1919)&4294967295
	s_addc_u32 s15, s15, (.LBB1_7680-.Lpost_getpc1919)>>32
	s_setpc_b64 s[14:15]
.LBB1_22017:
	s_movk_i32 s4, 0x80
	v_cmp_eq_u16_sdwa s[12:13], v6, s4 src0_sel:BYTE_0 src1_sel:DWORD
	s_mov_b64 s[4:5], -1
                                        ; implicit-def: $sgpr10
	s_and_saveexec_b64 s[8:9], s[12:13]
; %bb.22018:
	s_mov_b32 s10, 0x7f800001
	s_xor_b64 s[4:5], exec, -1
; %bb.22019:
	s_or_b64 exec, exec, s[8:9]
	s_and_b64 s[4:5], s[4:5], exec
	s_or_saveexec_b64 s[6:7], s[6:7]
	v_mov_b32_e32 v12, s10
	s_xor_b64 exec, exec, s[6:7]
	s_cbranch_execnz .LBB1_22020
; %bb.57857:
	s_getpc_b64 s[14:15]
.Lpost_getpc14592:
	s_add_u32 s14, s14, (.LBB1_7682-.Lpost_getpc14592)&4294967295
	s_addc_u32 s15, s15, (.LBB1_7682-.Lpost_getpc14592)>>32
	s_setpc_b64 s[14:15]
.LBB1_22020:
	v_mov_b32_e32 v12, 0
	v_cmp_ne_u16_sdwa s[8:9], v6, v12 src0_sel:BYTE_0 src1_sel:DWORD
	s_andn2_b64 s[4:5], s[4:5], exec
	s_and_b64 s[8:9], s[8:9], exec
	s_or_b64 s[4:5], s[4:5], s[8:9]
	s_or_b64 exec, exec, s[6:7]
	s_and_saveexec_b64 s[6:7], s[4:5]
	s_cbranch_execz .LBB1_32513
; %bb.57859:
	s_getpc_b64 s[14:15]
.Lpost_getpc14593:
	s_add_u32 s14, s14, (.LBB1_7683-.Lpost_getpc14593)&4294967295
	s_addc_u32 s15, s15, (.LBB1_7683-.Lpost_getpc14593)>>32
	s_setpc_b64 s[14:15]
.LBB1_32513:
	s_getpc_b64 s[14:15]
.Lpost_getpc1920:
	s_add_u32 s14, s14, (.LBB1_7684-.Lpost_getpc1920)&4294967295
	s_addc_u32 s15, s15, (.LBB1_7684-.Lpost_getpc1920)>>32
	s_setpc_b64 s[14:15]
.LBB1_22021:
	s_movk_i32 s4, 0x80
	v_cmp_eq_u16_sdwa s[12:13], v2, s4 src0_sel:BYTE_0 src1_sel:DWORD
	s_mov_b64 s[4:5], -1
                                        ; implicit-def: $sgpr10
	s_and_saveexec_b64 s[8:9], s[12:13]
; %bb.22022:
	s_mov_b32 s10, 0x7f800001
	s_xor_b64 s[4:5], exec, -1
; %bb.22023:
	s_or_b64 exec, exec, s[8:9]
	s_and_b64 s[4:5], s[4:5], exec
	s_or_saveexec_b64 s[6:7], s[6:7]
	v_mov_b32_e32 v13, s10
	s_xor_b64 exec, exec, s[6:7]
	s_cbranch_execnz .LBB1_22024
; %bb.57861:
	s_getpc_b64 s[14:15]
.Lpost_getpc14594:
	s_add_u32 s14, s14, (.LBB1_7686-.Lpost_getpc14594)&4294967295
	s_addc_u32 s15, s15, (.LBB1_7686-.Lpost_getpc14594)>>32
	s_setpc_b64 s[14:15]
.LBB1_22024:
	v_mov_b32_e32 v13, 0
	v_cmp_ne_u16_sdwa s[8:9], v2, v13 src0_sel:BYTE_0 src1_sel:DWORD
	s_andn2_b64 s[4:5], s[4:5], exec
	s_and_b64 s[8:9], s[8:9], exec
	s_or_b64 s[4:5], s[4:5], s[8:9]
	s_or_b64 exec, exec, s[6:7]
	s_and_saveexec_b64 s[6:7], s[4:5]
	s_cbranch_execz .LBB1_32515
; %bb.57863:
	s_getpc_b64 s[14:15]
.Lpost_getpc14595:
	s_add_u32 s14, s14, (.LBB1_7687-.Lpost_getpc14595)&4294967295
	s_addc_u32 s15, s15, (.LBB1_7687-.Lpost_getpc14595)>>32
	s_setpc_b64 s[14:15]
.LBB1_32515:
	s_getpc_b64 s[14:15]
.Lpost_getpc1921:
	s_add_u32 s14, s14, (.LBB1_7688-.Lpost_getpc1921)&4294967295
	s_addc_u32 s15, s15, (.LBB1_7688-.Lpost_getpc1921)>>32
	s_setpc_b64 s[14:15]
.LBB1_22025:
	s_movk_i32 s4, 0x80
	v_cmp_eq_u16_sdwa s[12:13], v13, s4 src0_sel:BYTE_0 src1_sel:DWORD
	s_mov_b64 s[4:5], -1
                                        ; implicit-def: $sgpr10
	s_and_saveexec_b64 s[8:9], s[12:13]
; %bb.22026:
	s_mov_b32 s10, 0x7f800001
	s_xor_b64 s[4:5], exec, -1
; %bb.22027:
	s_or_b64 exec, exec, s[8:9]
	s_and_b64 s[4:5], s[4:5], exec
	s_or_saveexec_b64 s[6:7], s[6:7]
	v_mov_b32_e32 v12, s10
	s_xor_b64 exec, exec, s[6:7]
	s_cbranch_execnz .LBB1_22028
; %bb.57865:
	s_getpc_b64 s[14:15]
.Lpost_getpc14596:
	s_add_u32 s14, s14, (.LBB1_7690-.Lpost_getpc14596)&4294967295
	s_addc_u32 s15, s15, (.LBB1_7690-.Lpost_getpc14596)>>32
	s_setpc_b64 s[14:15]
.LBB1_22028:
	v_mov_b32_e32 v12, 0
	v_cmp_ne_u16_sdwa s[8:9], v13, v12 src0_sel:BYTE_0 src1_sel:DWORD
	s_andn2_b64 s[4:5], s[4:5], exec
	s_and_b64 s[8:9], s[8:9], exec
	s_or_b64 s[4:5], s[4:5], s[8:9]
	s_or_b64 exec, exec, s[6:7]
	s_and_saveexec_b64 s[6:7], s[4:5]
	s_cbranch_execz .LBB1_32517
; %bb.57867:
	s_getpc_b64 s[14:15]
.Lpost_getpc14597:
	s_add_u32 s14, s14, (.LBB1_7691-.Lpost_getpc14597)&4294967295
	s_addc_u32 s15, s15, (.LBB1_7691-.Lpost_getpc14597)>>32
	s_setpc_b64 s[14:15]
.LBB1_32517:
	s_getpc_b64 s[14:15]
.Lpost_getpc1922:
	s_add_u32 s14, s14, (.LBB1_7692-.Lpost_getpc1922)&4294967295
	s_addc_u32 s15, s15, (.LBB1_7692-.Lpost_getpc1922)>>32
	s_setpc_b64 s[14:15]
.LBB1_22029:
	s_movk_i32 s4, 0x80
	v_cmp_eq_u16_sdwa s[12:13], v13, s4 src0_sel:BYTE_0 src1_sel:DWORD
	s_mov_b64 s[4:5], -1
                                        ; implicit-def: $sgpr10
	s_and_saveexec_b64 s[8:9], s[12:13]
; %bb.22030:
	s_mov_b32 s10, 0x7f800001
	s_xor_b64 s[4:5], exec, -1
; %bb.22031:
	s_or_b64 exec, exec, s[8:9]
	s_and_b64 s[4:5], s[4:5], exec
	s_or_saveexec_b64 s[6:7], s[6:7]
	v_mov_b32_e32 v14, s10
	s_xor_b64 exec, exec, s[6:7]
	s_cbranch_execnz .LBB1_22032
; %bb.57869:
	s_getpc_b64 s[14:15]
.Lpost_getpc14598:
	s_add_u32 s14, s14, (.LBB1_7694-.Lpost_getpc14598)&4294967295
	s_addc_u32 s15, s15, (.LBB1_7694-.Lpost_getpc14598)>>32
	s_setpc_b64 s[14:15]
.LBB1_22032:
	v_mov_b32_e32 v14, 0
	v_cmp_ne_u16_sdwa s[8:9], v13, v14 src0_sel:BYTE_0 src1_sel:DWORD
	s_andn2_b64 s[4:5], s[4:5], exec
	s_and_b64 s[8:9], s[8:9], exec
	s_or_b64 s[4:5], s[4:5], s[8:9]
	s_or_b64 exec, exec, s[6:7]
	s_and_saveexec_b64 s[6:7], s[4:5]
	s_cbranch_execz .LBB1_32519
; %bb.57871:
	s_getpc_b64 s[14:15]
.Lpost_getpc14599:
	s_add_u32 s14, s14, (.LBB1_7695-.Lpost_getpc14599)&4294967295
	s_addc_u32 s15, s15, (.LBB1_7695-.Lpost_getpc14599)>>32
	s_setpc_b64 s[14:15]
.LBB1_32519:
	s_getpc_b64 s[14:15]
.Lpost_getpc1923:
	s_add_u32 s14, s14, (.LBB1_7696-.Lpost_getpc1923)&4294967295
	s_addc_u32 s15, s15, (.LBB1_7696-.Lpost_getpc1923)>>32
	s_setpc_b64 s[14:15]
.LBB1_22033:
	s_movk_i32 s4, 0x80
	v_cmp_eq_u16_e32 vcc, s4, v13
	s_mov_b64 s[4:5], -1
                                        ; implicit-def: $sgpr10
	s_and_saveexec_b64 s[8:9], vcc
; %bb.22034:
	s_mov_b32 s10, 0x7f800001
	s_xor_b64 s[4:5], exec, -1
; %bb.22035:
	s_or_b64 exec, exec, s[8:9]
	s_and_b64 s[4:5], s[4:5], exec
                                        ; implicit-def: $vgpr13
	s_or_saveexec_b64 s[6:7], s[6:7]
	v_mov_b32_e32 v12, s10
	s_xor_b64 exec, exec, s[6:7]
	s_cbranch_execnz .LBB1_22036
; %bb.57873:
	s_getpc_b64 s[14:15]
.Lpost_getpc14600:
	s_add_u32 s14, s14, (.LBB1_7698-.Lpost_getpc14600)&4294967295
	s_addc_u32 s15, s15, (.LBB1_7698-.Lpost_getpc14600)>>32
	s_setpc_b64 s[14:15]
.LBB1_22036:
	v_cmp_ne_u16_e32 vcc, 0, v13
	s_andn2_b64 s[4:5], s[4:5], exec
	s_and_b64 s[8:9], vcc, exec
	v_mov_b32_e32 v12, 0
	s_or_b64 s[4:5], s[4:5], s[8:9]
	s_or_b64 exec, exec, s[6:7]
	s_and_saveexec_b64 s[6:7], s[4:5]
	s_cbranch_execz .LBB1_32521
; %bb.57875:
	s_getpc_b64 s[14:15]
.Lpost_getpc14601:
	s_add_u32 s14, s14, (.LBB1_7699-.Lpost_getpc14601)&4294967295
	s_addc_u32 s15, s15, (.LBB1_7699-.Lpost_getpc14601)>>32
	s_setpc_b64 s[14:15]
.LBB1_32521:
	s_getpc_b64 s[14:15]
.Lpost_getpc1924:
	s_add_u32 s14, s14, (.LBB1_7700-.Lpost_getpc1924)&4294967295
	s_addc_u32 s15, s15, (.LBB1_7700-.Lpost_getpc1924)>>32
	s_setpc_b64 s[14:15]
.LBB1_22037:
	s_movk_i32 s4, 0x80
	v_cmp_eq_u16_e32 vcc, s4, v13
	s_mov_b64 s[4:5], -1
                                        ; implicit-def: $sgpr10
	s_and_saveexec_b64 s[8:9], vcc
; %bb.22038:
	s_mov_b32 s10, 0x7f800001
	s_xor_b64 s[4:5], exec, -1
; %bb.22039:
	s_or_b64 exec, exec, s[8:9]
	s_and_b64 s[4:5], s[4:5], exec
                                        ; implicit-def: $vgpr13
	s_or_saveexec_b64 s[6:7], s[6:7]
	v_mov_b32_e32 v14, s10
	s_xor_b64 exec, exec, s[6:7]
	s_cbranch_execnz .LBB1_22040
; %bb.57877:
	s_getpc_b64 s[14:15]
.Lpost_getpc14602:
	s_add_u32 s14, s14, (.LBB1_7702-.Lpost_getpc14602)&4294967295
	s_addc_u32 s15, s15, (.LBB1_7702-.Lpost_getpc14602)>>32
	s_setpc_b64 s[14:15]
.LBB1_22040:
	v_cmp_ne_u16_e32 vcc, 0, v13
	s_andn2_b64 s[4:5], s[4:5], exec
	s_and_b64 s[8:9], vcc, exec
	v_mov_b32_e32 v14, 0
	s_or_b64 s[4:5], s[4:5], s[8:9]
	s_or_b64 exec, exec, s[6:7]
	s_and_saveexec_b64 s[6:7], s[4:5]
	s_cbranch_execz .LBB1_32523
; %bb.57879:
	s_getpc_b64 s[14:15]
.Lpost_getpc14603:
	s_add_u32 s14, s14, (.LBB1_7703-.Lpost_getpc14603)&4294967295
	s_addc_u32 s15, s15, (.LBB1_7703-.Lpost_getpc14603)>>32
	s_setpc_b64 s[14:15]
.LBB1_32523:
	s_getpc_b64 s[14:15]
.Lpost_getpc1925:
	s_add_u32 s14, s14, (.LBB1_7704-.Lpost_getpc1925)&4294967295
	s_addc_u32 s15, s15, (.LBB1_7704-.Lpost_getpc1925)>>32
	s_setpc_b64 s[14:15]
.LBB1_22041:
	s_movk_i32 s4, 0x80
	v_cmp_eq_u16_sdwa s[12:13], v6, s4 src0_sel:BYTE_3 src1_sel:DWORD
	s_mov_b64 s[4:5], -1
                                        ; implicit-def: $sgpr10
	s_and_saveexec_b64 s[8:9], s[12:13]
; %bb.22042:
	s_mov_b32 s10, 0x7f800001
	s_xor_b64 s[4:5], exec, -1
; %bb.22043:
	s_or_b64 exec, exec, s[8:9]
	s_and_b64 s[4:5], s[4:5], exec
	s_or_saveexec_b64 s[6:7], s[6:7]
	v_mov_b32_e32 v12, s10
	s_xor_b64 exec, exec, s[6:7]
	s_cbranch_execnz .LBB1_22044
; %bb.57881:
	s_getpc_b64 s[14:15]
.Lpost_getpc14604:
	s_add_u32 s14, s14, (.LBB1_7706-.Lpost_getpc14604)&4294967295
	s_addc_u32 s15, s15, (.LBB1_7706-.Lpost_getpc14604)>>32
	s_setpc_b64 s[14:15]
.LBB1_22044:
	v_mov_b32_e32 v12, 0
	v_cmp_ne_u16_sdwa s[8:9], v6, v12 src0_sel:BYTE_3 src1_sel:DWORD
	s_andn2_b64 s[4:5], s[4:5], exec
	s_and_b64 s[8:9], s[8:9], exec
	s_or_b64 s[4:5], s[4:5], s[8:9]
	s_or_b64 exec, exec, s[6:7]
	s_and_saveexec_b64 s[6:7], s[4:5]
	s_cbranch_execz .LBB1_32525
; %bb.57883:
	s_getpc_b64 s[14:15]
.Lpost_getpc14605:
	s_add_u32 s14, s14, (.LBB1_7707-.Lpost_getpc14605)&4294967295
	s_addc_u32 s15, s15, (.LBB1_7707-.Lpost_getpc14605)>>32
	s_setpc_b64 s[14:15]
.LBB1_32525:
	s_getpc_b64 s[14:15]
.Lpost_getpc1926:
	s_add_u32 s14, s14, (.LBB1_7708-.Lpost_getpc1926)&4294967295
	s_addc_u32 s15, s15, (.LBB1_7708-.Lpost_getpc1926)>>32
	s_setpc_b64 s[14:15]
.LBB1_22045:
	s_movk_i32 s4, 0x80
	v_cmp_eq_u16_sdwa s[12:13], v2, s4 src0_sel:BYTE_3 src1_sel:DWORD
	s_mov_b64 s[4:5], -1
                                        ; implicit-def: $sgpr10
	s_and_saveexec_b64 s[8:9], s[12:13]
; %bb.22046:
	s_mov_b32 s10, 0x7f800001
	s_xor_b64 s[4:5], exec, -1
; %bb.22047:
	s_or_b64 exec, exec, s[8:9]
	s_and_b64 s[4:5], s[4:5], exec
	s_or_saveexec_b64 s[6:7], s[6:7]
	v_mov_b32_e32 v6, s10
	s_xor_b64 exec, exec, s[6:7]
	s_cbranch_execnz .LBB1_22048
; %bb.57885:
	s_getpc_b64 s[14:15]
.Lpost_getpc14606:
	s_add_u32 s14, s14, (.LBB1_7710-.Lpost_getpc14606)&4294967295
	s_addc_u32 s15, s15, (.LBB1_7710-.Lpost_getpc14606)>>32
	s_setpc_b64 s[14:15]
.LBB1_22048:
	v_mov_b32_e32 v6, 0
	v_cmp_ne_u16_sdwa s[8:9], v2, v6 src0_sel:BYTE_3 src1_sel:DWORD
	s_andn2_b64 s[4:5], s[4:5], exec
	s_and_b64 s[8:9], s[8:9], exec
	s_or_b64 s[4:5], s[4:5], s[8:9]
	s_or_b64 exec, exec, s[6:7]
	s_and_saveexec_b64 s[6:7], s[4:5]
	s_cbranch_execz .LBB1_32527
; %bb.57887:
	s_getpc_b64 s[14:15]
.Lpost_getpc14607:
	s_add_u32 s14, s14, (.LBB1_7711-.Lpost_getpc14607)&4294967295
	s_addc_u32 s15, s15, (.LBB1_7711-.Lpost_getpc14607)>>32
	s_setpc_b64 s[14:15]
.LBB1_32527:
	s_getpc_b64 s[14:15]
.Lpost_getpc1927:
	s_add_u32 s14, s14, (.LBB1_7712-.Lpost_getpc1927)&4294967295
	s_addc_u32 s15, s15, (.LBB1_7712-.Lpost_getpc1927)>>32
	s_setpc_b64 s[14:15]
.LBB1_22049:
	s_movk_i32 s4, 0x80
	v_cmp_eq_u16_sdwa s[12:13], v7, s4 src0_sel:BYTE_0 src1_sel:DWORD
	s_mov_b64 s[4:5], -1
                                        ; implicit-def: $sgpr10
	s_and_saveexec_b64 s[8:9], s[12:13]
; %bb.22050:
	s_mov_b32 s10, 0x7f800001
	s_xor_b64 s[4:5], exec, -1
; %bb.22051:
	s_or_b64 exec, exec, s[8:9]
	s_and_b64 s[4:5], s[4:5], exec
	s_or_saveexec_b64 s[6:7], s[6:7]
	v_mov_b32_e32 v2, s10
	s_xor_b64 exec, exec, s[6:7]
	s_cbranch_execnz .LBB1_22052
; %bb.57889:
	s_getpc_b64 s[14:15]
.Lpost_getpc14608:
	s_add_u32 s14, s14, (.LBB1_7714-.Lpost_getpc14608)&4294967295
	s_addc_u32 s15, s15, (.LBB1_7714-.Lpost_getpc14608)>>32
	s_setpc_b64 s[14:15]
.LBB1_22052:
	v_mov_b32_e32 v2, 0
	v_cmp_ne_u16_sdwa s[8:9], v7, v2 src0_sel:BYTE_0 src1_sel:DWORD
	s_andn2_b64 s[4:5], s[4:5], exec
	s_and_b64 s[8:9], s[8:9], exec
	s_or_b64 s[4:5], s[4:5], s[8:9]
	s_or_b64 exec, exec, s[6:7]
	s_and_saveexec_b64 s[6:7], s[4:5]
	s_cbranch_execz .LBB1_32529
; %bb.57891:
	s_getpc_b64 s[14:15]
.Lpost_getpc14609:
	s_add_u32 s14, s14, (.LBB1_7715-.Lpost_getpc14609)&4294967295
	s_addc_u32 s15, s15, (.LBB1_7715-.Lpost_getpc14609)>>32
	s_setpc_b64 s[14:15]
.LBB1_32529:
	s_getpc_b64 s[14:15]
.Lpost_getpc1928:
	s_add_u32 s14, s14, (.LBB1_7716-.Lpost_getpc1928)&4294967295
	s_addc_u32 s15, s15, (.LBB1_7716-.Lpost_getpc1928)>>32
	s_setpc_b64 s[14:15]
.LBB1_22053:
	s_movk_i32 s4, 0x80
	v_cmp_eq_u16_sdwa s[12:13], v3, s4 src0_sel:BYTE_0 src1_sel:DWORD
	s_mov_b64 s[4:5], -1
                                        ; implicit-def: $sgpr10
	s_and_saveexec_b64 s[8:9], s[12:13]
; %bb.22054:
	s_mov_b32 s10, 0x7f800001
	s_xor_b64 s[4:5], exec, -1
; %bb.22055:
	s_or_b64 exec, exec, s[8:9]
	s_and_b64 s[4:5], s[4:5], exec
	s_or_saveexec_b64 s[6:7], s[6:7]
	v_mov_b32_e32 v6, s10
	s_xor_b64 exec, exec, s[6:7]
	s_cbranch_execnz .LBB1_22056
; %bb.57893:
	s_getpc_b64 s[14:15]
.Lpost_getpc14610:
	s_add_u32 s14, s14, (.LBB1_7718-.Lpost_getpc14610)&4294967295
	s_addc_u32 s15, s15, (.LBB1_7718-.Lpost_getpc14610)>>32
	s_setpc_b64 s[14:15]
.LBB1_22056:
	v_mov_b32_e32 v6, 0
	v_cmp_ne_u16_sdwa s[8:9], v3, v6 src0_sel:BYTE_0 src1_sel:DWORD
	s_andn2_b64 s[4:5], s[4:5], exec
	s_and_b64 s[8:9], s[8:9], exec
	s_or_b64 s[4:5], s[4:5], s[8:9]
	s_or_b64 exec, exec, s[6:7]
	s_and_saveexec_b64 s[6:7], s[4:5]
	s_cbranch_execz .LBB1_32531
; %bb.57895:
	s_getpc_b64 s[14:15]
.Lpost_getpc14611:
	s_add_u32 s14, s14, (.LBB1_7719-.Lpost_getpc14611)&4294967295
	s_addc_u32 s15, s15, (.LBB1_7719-.Lpost_getpc14611)>>32
	s_setpc_b64 s[14:15]
.LBB1_32531:
	s_getpc_b64 s[14:15]
.Lpost_getpc1929:
	s_add_u32 s14, s14, (.LBB1_7720-.Lpost_getpc1929)&4294967295
	s_addc_u32 s15, s15, (.LBB1_7720-.Lpost_getpc1929)>>32
	s_setpc_b64 s[14:15]
.LBB1_22057:
	s_movk_i32 s4, 0x80
	v_cmp_eq_u16_sdwa s[12:13], v6, s4 src0_sel:BYTE_0 src1_sel:DWORD
	s_mov_b64 s[4:5], -1
                                        ; implicit-def: $sgpr10
	s_and_saveexec_b64 s[8:9], s[12:13]
; %bb.22058:
	s_mov_b32 s10, 0x7f800001
	s_xor_b64 s[4:5], exec, -1
; %bb.22059:
	s_or_b64 exec, exec, s[8:9]
	s_and_b64 s[4:5], s[4:5], exec
	s_or_saveexec_b64 s[6:7], s[6:7]
	v_mov_b32_e32 v2, s10
	s_xor_b64 exec, exec, s[6:7]
	s_cbranch_execnz .LBB1_22060
; %bb.57897:
	s_getpc_b64 s[14:15]
.Lpost_getpc14612:
	s_add_u32 s14, s14, (.LBB1_7722-.Lpost_getpc14612)&4294967295
	s_addc_u32 s15, s15, (.LBB1_7722-.Lpost_getpc14612)>>32
	s_setpc_b64 s[14:15]
.LBB1_22060:
	v_mov_b32_e32 v2, 0
	v_cmp_ne_u16_sdwa s[8:9], v6, v2 src0_sel:BYTE_0 src1_sel:DWORD
	s_andn2_b64 s[4:5], s[4:5], exec
	s_and_b64 s[8:9], s[8:9], exec
	s_or_b64 s[4:5], s[4:5], s[8:9]
	s_or_b64 exec, exec, s[6:7]
	s_and_saveexec_b64 s[6:7], s[4:5]
	s_cbranch_execz .LBB1_32533
; %bb.57899:
	s_getpc_b64 s[14:15]
.Lpost_getpc14613:
	s_add_u32 s14, s14, (.LBB1_7723-.Lpost_getpc14613)&4294967295
	s_addc_u32 s15, s15, (.LBB1_7723-.Lpost_getpc14613)>>32
	s_setpc_b64 s[14:15]
.LBB1_32533:
	s_getpc_b64 s[14:15]
.Lpost_getpc1930:
	s_add_u32 s14, s14, (.LBB1_7724-.Lpost_getpc1930)&4294967295
	s_addc_u32 s15, s15, (.LBB1_7724-.Lpost_getpc1930)>>32
	s_setpc_b64 s[14:15]
.LBB1_22061:
	s_movk_i32 s4, 0x80
	v_cmp_eq_u16_sdwa s[12:13], v6, s4 src0_sel:BYTE_0 src1_sel:DWORD
	s_mov_b64 s[4:5], -1
                                        ; implicit-def: $sgpr10
	s_and_saveexec_b64 s[8:9], s[12:13]
; %bb.22062:
	s_mov_b32 s10, 0x7f800001
	s_xor_b64 s[4:5], exec, -1
; %bb.22063:
	s_or_b64 exec, exec, s[8:9]
	s_and_b64 s[4:5], s[4:5], exec
	s_or_saveexec_b64 s[6:7], s[6:7]
	v_mov_b32_e32 v12, s10
	s_xor_b64 exec, exec, s[6:7]
	s_cbranch_execnz .LBB1_22064
; %bb.57901:
	s_getpc_b64 s[14:15]
.Lpost_getpc14614:
	s_add_u32 s14, s14, (.LBB1_7726-.Lpost_getpc14614)&4294967295
	s_addc_u32 s15, s15, (.LBB1_7726-.Lpost_getpc14614)>>32
	s_setpc_b64 s[14:15]
.LBB1_22064:
	v_mov_b32_e32 v12, 0
	v_cmp_ne_u16_sdwa s[8:9], v6, v12 src0_sel:BYTE_0 src1_sel:DWORD
	s_andn2_b64 s[4:5], s[4:5], exec
	s_and_b64 s[8:9], s[8:9], exec
	s_or_b64 s[4:5], s[4:5], s[8:9]
	s_or_b64 exec, exec, s[6:7]
	s_and_saveexec_b64 s[6:7], s[4:5]
	s_cbranch_execz .LBB1_32535
; %bb.57903:
	s_getpc_b64 s[14:15]
.Lpost_getpc14615:
	s_add_u32 s14, s14, (.LBB1_7727-.Lpost_getpc14615)&4294967295
	s_addc_u32 s15, s15, (.LBB1_7727-.Lpost_getpc14615)>>32
	s_setpc_b64 s[14:15]
.LBB1_32535:
	s_getpc_b64 s[14:15]
.Lpost_getpc1931:
	s_add_u32 s14, s14, (.LBB1_7728-.Lpost_getpc1931)&4294967295
	s_addc_u32 s15, s15, (.LBB1_7728-.Lpost_getpc1931)>>32
	s_setpc_b64 s[14:15]
.LBB1_22065:
	s_movk_i32 s4, 0x80
	v_cmp_eq_u16_e32 vcc, s4, v6
	s_mov_b64 s[4:5], -1
                                        ; implicit-def: $sgpr10
	s_and_saveexec_b64 s[8:9], vcc
; %bb.22066:
	s_mov_b32 s10, 0x7f800001
	s_xor_b64 s[4:5], exec, -1
; %bb.22067:
	s_or_b64 exec, exec, s[8:9]
	s_and_b64 s[4:5], s[4:5], exec
                                        ; implicit-def: $vgpr6
	s_or_saveexec_b64 s[6:7], s[6:7]
	v_mov_b32_e32 v2, s10
	s_xor_b64 exec, exec, s[6:7]
	s_cbranch_execnz .LBB1_22068
; %bb.57905:
	s_getpc_b64 s[14:15]
.Lpost_getpc14616:
	s_add_u32 s14, s14, (.LBB1_7730-.Lpost_getpc14616)&4294967295
	s_addc_u32 s15, s15, (.LBB1_7730-.Lpost_getpc14616)>>32
	s_setpc_b64 s[14:15]
.LBB1_22068:
	v_cmp_ne_u16_e32 vcc, 0, v6
	s_andn2_b64 s[4:5], s[4:5], exec
	s_and_b64 s[8:9], vcc, exec
	v_mov_b32_e32 v2, 0
	s_or_b64 s[4:5], s[4:5], s[8:9]
	s_or_b64 exec, exec, s[6:7]
	s_and_saveexec_b64 s[6:7], s[4:5]
	s_cbranch_execz .LBB1_32537
; %bb.57907:
	s_getpc_b64 s[14:15]
.Lpost_getpc14617:
	s_add_u32 s14, s14, (.LBB1_7731-.Lpost_getpc14617)&4294967295
	s_addc_u32 s15, s15, (.LBB1_7731-.Lpost_getpc14617)>>32
	s_setpc_b64 s[14:15]
.LBB1_32537:
	s_getpc_b64 s[14:15]
.Lpost_getpc1932:
	s_add_u32 s14, s14, (.LBB1_7732-.Lpost_getpc1932)&4294967295
	s_addc_u32 s15, s15, (.LBB1_7732-.Lpost_getpc1932)>>32
	s_setpc_b64 s[14:15]
.LBB1_22069:
	s_movk_i32 s4, 0x80
	v_cmp_eq_u16_e32 vcc, s4, v6
	s_mov_b64 s[4:5], -1
                                        ; implicit-def: $sgpr10
	s_and_saveexec_b64 s[8:9], vcc
; %bb.22070:
	s_mov_b32 s10, 0x7f800001
	s_xor_b64 s[4:5], exec, -1
; %bb.22071:
	s_or_b64 exec, exec, s[8:9]
	s_and_b64 s[4:5], s[4:5], exec
                                        ; implicit-def: $vgpr6
	s_or_saveexec_b64 s[6:7], s[6:7]
	v_mov_b32_e32 v12, s10
	s_xor_b64 exec, exec, s[6:7]
	s_cbranch_execnz .LBB1_22072
; %bb.57909:
	s_getpc_b64 s[14:15]
.Lpost_getpc14618:
	s_add_u32 s14, s14, (.LBB1_7734-.Lpost_getpc14618)&4294967295
	s_addc_u32 s15, s15, (.LBB1_7734-.Lpost_getpc14618)>>32
	s_setpc_b64 s[14:15]
.LBB1_22072:
	v_cmp_ne_u16_e32 vcc, 0, v6
	s_andn2_b64 s[4:5], s[4:5], exec
	s_and_b64 s[8:9], vcc, exec
	v_mov_b32_e32 v12, 0
	s_or_b64 s[4:5], s[4:5], s[8:9]
	s_or_b64 exec, exec, s[6:7]
	s_and_saveexec_b64 s[6:7], s[4:5]
	s_cbranch_execz .LBB1_32539
; %bb.57911:
	s_getpc_b64 s[14:15]
.Lpost_getpc14619:
	s_add_u32 s14, s14, (.LBB1_7735-.Lpost_getpc14619)&4294967295
	s_addc_u32 s15, s15, (.LBB1_7735-.Lpost_getpc14619)>>32
	s_setpc_b64 s[14:15]
.LBB1_32539:
	s_getpc_b64 s[14:15]
.Lpost_getpc1933:
	s_add_u32 s14, s14, (.LBB1_7736-.Lpost_getpc1933)&4294967295
	s_addc_u32 s15, s15, (.LBB1_7736-.Lpost_getpc1933)>>32
	s_setpc_b64 s[14:15]
.LBB1_22073:
	s_movk_i32 s4, 0x80
	v_cmp_eq_u16_sdwa s[12:13], v7, s4 src0_sel:BYTE_3 src1_sel:DWORD
	s_mov_b64 s[4:5], -1
                                        ; implicit-def: $sgpr10
	s_and_saveexec_b64 s[8:9], s[12:13]
; %bb.22074:
	s_mov_b32 s10, 0x7f800001
	s_xor_b64 s[4:5], exec, -1
; %bb.22075:
	s_or_b64 exec, exec, s[8:9]
	s_and_b64 s[4:5], s[4:5], exec
	s_or_saveexec_b64 s[6:7], s[6:7]
	v_mov_b32_e32 v2, s10
	s_xor_b64 exec, exec, s[6:7]
	s_cbranch_execnz .LBB1_22076
; %bb.57913:
	s_getpc_b64 s[14:15]
.Lpost_getpc14620:
	s_add_u32 s14, s14, (.LBB1_7738-.Lpost_getpc14620)&4294967295
	s_addc_u32 s15, s15, (.LBB1_7738-.Lpost_getpc14620)>>32
	s_setpc_b64 s[14:15]
.LBB1_22076:
	v_mov_b32_e32 v2, 0
	v_cmp_ne_u16_sdwa s[8:9], v7, v2 src0_sel:BYTE_3 src1_sel:DWORD
	s_andn2_b64 s[4:5], s[4:5], exec
	s_and_b64 s[8:9], s[8:9], exec
	s_or_b64 s[4:5], s[4:5], s[8:9]
	s_or_b64 exec, exec, s[6:7]
	s_and_saveexec_b64 s[6:7], s[4:5]
	s_cbranch_execz .LBB1_32541
; %bb.57915:
	s_getpc_b64 s[14:15]
.Lpost_getpc14621:
	s_add_u32 s14, s14, (.LBB1_7739-.Lpost_getpc14621)&4294967295
	s_addc_u32 s15, s15, (.LBB1_7739-.Lpost_getpc14621)>>32
	s_setpc_b64 s[14:15]
.LBB1_32541:
	s_getpc_b64 s[14:15]
.Lpost_getpc1934:
	s_add_u32 s14, s14, (.LBB1_7740-.Lpost_getpc1934)&4294967295
	s_addc_u32 s15, s15, (.LBB1_7740-.Lpost_getpc1934)>>32
	s_setpc_b64 s[14:15]
.LBB1_22077:
	s_movk_i32 s4, 0x80
	v_cmp_eq_u16_sdwa s[12:13], v3, s4 src0_sel:BYTE_3 src1_sel:DWORD
	s_mov_b64 s[4:5], -1
                                        ; implicit-def: $sgpr10
	s_and_saveexec_b64 s[8:9], s[12:13]
; %bb.22078:
	s_mov_b32 s10, 0x7f800001
	s_xor_b64 s[4:5], exec, -1
; %bb.22079:
	s_or_b64 exec, exec, s[8:9]
	s_and_b64 s[4:5], s[4:5], exec
	s_or_saveexec_b64 s[6:7], s[6:7]
	v_mov_b32_e32 v6, s10
	s_xor_b64 exec, exec, s[6:7]
	s_cbranch_execnz .LBB1_22080
; %bb.57917:
	s_getpc_b64 s[14:15]
.Lpost_getpc14622:
	s_add_u32 s14, s14, (.LBB1_7742-.Lpost_getpc14622)&4294967295
	s_addc_u32 s15, s15, (.LBB1_7742-.Lpost_getpc14622)>>32
	s_setpc_b64 s[14:15]
.LBB1_22080:
	v_mov_b32_e32 v6, 0
	v_cmp_ne_u16_sdwa s[8:9], v3, v6 src0_sel:BYTE_3 src1_sel:DWORD
	s_andn2_b64 s[4:5], s[4:5], exec
	s_and_b64 s[8:9], s[8:9], exec
	s_or_b64 s[4:5], s[4:5], s[8:9]
	s_or_b64 exec, exec, s[6:7]
	s_and_saveexec_b64 s[6:7], s[4:5]
	s_cbranch_execz .LBB1_32543
; %bb.57919:
	s_getpc_b64 s[14:15]
.Lpost_getpc14623:
	s_add_u32 s14, s14, (.LBB1_7743-.Lpost_getpc14623)&4294967295
	s_addc_u32 s15, s15, (.LBB1_7743-.Lpost_getpc14623)>>32
	s_setpc_b64 s[14:15]
.LBB1_32543:
	s_getpc_b64 s[14:15]
.Lpost_getpc1935:
	s_add_u32 s14, s14, (.LBB1_7744-.Lpost_getpc1935)&4294967295
	s_addc_u32 s15, s15, (.LBB1_7744-.Lpost_getpc1935)>>32
	s_setpc_b64 s[14:15]
.LBB1_22081:
	s_movk_i32 s4, 0x80
	v_cmp_eq_u16_sdwa s[12:13], v8, s4 src0_sel:BYTE_0 src1_sel:DWORD
	s_mov_b64 s[4:5], -1
                                        ; implicit-def: $sgpr10
	s_and_saveexec_b64 s[8:9], s[12:13]
; %bb.22082:
	s_mov_b32 s10, 0x7f800001
	s_xor_b64 s[4:5], exec, -1
; %bb.22083:
	s_or_b64 exec, exec, s[8:9]
	s_and_b64 s[4:5], s[4:5], exec
	s_or_saveexec_b64 s[6:7], s[6:7]
	v_mov_b32_e32 v2, s10
	s_xor_b64 exec, exec, s[6:7]
	s_cbranch_execnz .LBB1_22084
; %bb.57921:
	s_getpc_b64 s[14:15]
.Lpost_getpc14624:
	s_add_u32 s14, s14, (.LBB1_7746-.Lpost_getpc14624)&4294967295
	s_addc_u32 s15, s15, (.LBB1_7746-.Lpost_getpc14624)>>32
	s_setpc_b64 s[14:15]
.LBB1_22084:
	v_mov_b32_e32 v2, 0
	v_cmp_ne_u16_sdwa s[8:9], v8, v2 src0_sel:BYTE_0 src1_sel:DWORD
	s_andn2_b64 s[4:5], s[4:5], exec
	s_and_b64 s[8:9], s[8:9], exec
	s_or_b64 s[4:5], s[4:5], s[8:9]
	s_or_b64 exec, exec, s[6:7]
	s_and_saveexec_b64 s[6:7], s[4:5]
	s_cbranch_execz .LBB1_32545
; %bb.57923:
	s_getpc_b64 s[14:15]
.Lpost_getpc14625:
	s_add_u32 s14, s14, (.LBB1_7747-.Lpost_getpc14625)&4294967295
	s_addc_u32 s15, s15, (.LBB1_7747-.Lpost_getpc14625)>>32
	s_setpc_b64 s[14:15]
.LBB1_32545:
	s_getpc_b64 s[14:15]
.Lpost_getpc1936:
	s_add_u32 s14, s14, (.LBB1_7748-.Lpost_getpc1936)&4294967295
	s_addc_u32 s15, s15, (.LBB1_7748-.Lpost_getpc1936)>>32
	s_setpc_b64 s[14:15]
.LBB1_22085:
	s_movk_i32 s4, 0x80
	v_cmp_eq_u16_sdwa s[12:13], v4, s4 src0_sel:BYTE_0 src1_sel:DWORD
	s_mov_b64 s[4:5], -1
                                        ; implicit-def: $sgpr10
	s_and_saveexec_b64 s[8:9], s[12:13]
; %bb.22086:
	s_mov_b32 s10, 0x7f800001
	s_xor_b64 s[4:5], exec, -1
; %bb.22087:
	s_or_b64 exec, exec, s[8:9]
	s_and_b64 s[4:5], s[4:5], exec
	s_or_saveexec_b64 s[6:7], s[6:7]
	v_mov_b32_e32 v3, s10
	s_xor_b64 exec, exec, s[6:7]
	s_cbranch_execnz .LBB1_22088
; %bb.57925:
	s_getpc_b64 s[14:15]
.Lpost_getpc14626:
	s_add_u32 s14, s14, (.LBB1_7750-.Lpost_getpc14626)&4294967295
	s_addc_u32 s15, s15, (.LBB1_7750-.Lpost_getpc14626)>>32
	s_setpc_b64 s[14:15]
.LBB1_22088:
	v_mov_b32_e32 v3, 0
	v_cmp_ne_u16_sdwa s[8:9], v4, v3 src0_sel:BYTE_0 src1_sel:DWORD
	s_andn2_b64 s[4:5], s[4:5], exec
	s_and_b64 s[8:9], s[8:9], exec
	s_or_b64 s[4:5], s[4:5], s[8:9]
	s_or_b64 exec, exec, s[6:7]
	s_and_saveexec_b64 s[6:7], s[4:5]
	s_cbranch_execz .LBB1_32547
; %bb.57927:
	s_getpc_b64 s[14:15]
.Lpost_getpc14627:
	s_add_u32 s14, s14, (.LBB1_7751-.Lpost_getpc14627)&4294967295
	s_addc_u32 s15, s15, (.LBB1_7751-.Lpost_getpc14627)>>32
	s_setpc_b64 s[14:15]
.LBB1_32547:
	s_getpc_b64 s[14:15]
.Lpost_getpc1937:
	s_add_u32 s14, s14, (.LBB1_7752-.Lpost_getpc1937)&4294967295
	s_addc_u32 s15, s15, (.LBB1_7752-.Lpost_getpc1937)>>32
	s_setpc_b64 s[14:15]
.LBB1_22089:
	s_movk_i32 s4, 0x80
	v_cmp_eq_u16_sdwa s[12:13], v3, s4 src0_sel:BYTE_0 src1_sel:DWORD
	s_mov_b64 s[4:5], -1
                                        ; implicit-def: $sgpr10
	s_and_saveexec_b64 s[8:9], s[12:13]
; %bb.22090:
	s_mov_b32 s10, 0x7f800001
	s_xor_b64 s[4:5], exec, -1
; %bb.22091:
	s_or_b64 exec, exec, s[8:9]
	s_and_b64 s[4:5], s[4:5], exec
	s_or_saveexec_b64 s[6:7], s[6:7]
	v_mov_b32_e32 v2, s10
	s_xor_b64 exec, exec, s[6:7]
	s_cbranch_execnz .LBB1_22092
; %bb.57929:
	s_getpc_b64 s[14:15]
.Lpost_getpc14628:
	s_add_u32 s14, s14, (.LBB1_7754-.Lpost_getpc14628)&4294967295
	s_addc_u32 s15, s15, (.LBB1_7754-.Lpost_getpc14628)>>32
	s_setpc_b64 s[14:15]
.LBB1_22092:
	v_mov_b32_e32 v2, 0
	v_cmp_ne_u16_sdwa s[8:9], v3, v2 src0_sel:BYTE_0 src1_sel:DWORD
	s_andn2_b64 s[4:5], s[4:5], exec
	s_and_b64 s[8:9], s[8:9], exec
	s_or_b64 s[4:5], s[4:5], s[8:9]
	s_or_b64 exec, exec, s[6:7]
	s_and_saveexec_b64 s[6:7], s[4:5]
	s_cbranch_execz .LBB1_32549
; %bb.57931:
	s_getpc_b64 s[14:15]
.Lpost_getpc14629:
	s_add_u32 s14, s14, (.LBB1_7755-.Lpost_getpc14629)&4294967295
	s_addc_u32 s15, s15, (.LBB1_7755-.Lpost_getpc14629)>>32
	s_setpc_b64 s[14:15]
.LBB1_32549:
	s_getpc_b64 s[14:15]
.Lpost_getpc1938:
	s_add_u32 s14, s14, (.LBB1_7756-.Lpost_getpc1938)&4294967295
	s_addc_u32 s15, s15, (.LBB1_7756-.Lpost_getpc1938)>>32
	s_setpc_b64 s[14:15]
.LBB1_22093:
	s_movk_i32 s4, 0x80
	v_cmp_eq_u16_sdwa s[12:13], v3, s4 src0_sel:BYTE_0 src1_sel:DWORD
	s_mov_b64 s[4:5], -1
                                        ; implicit-def: $sgpr10
	s_and_saveexec_b64 s[8:9], s[12:13]
; %bb.22094:
	s_mov_b32 s10, 0x7f800001
	s_xor_b64 s[4:5], exec, -1
; %bb.22095:
	s_or_b64 exec, exec, s[8:9]
	s_and_b64 s[4:5], s[4:5], exec
	s_or_saveexec_b64 s[6:7], s[6:7]
	v_mov_b32_e32 v6, s10
	s_xor_b64 exec, exec, s[6:7]
	s_cbranch_execnz .LBB1_22096
; %bb.57933:
	s_getpc_b64 s[14:15]
.Lpost_getpc14630:
	s_add_u32 s14, s14, (.LBB1_7758-.Lpost_getpc14630)&4294967295
	s_addc_u32 s15, s15, (.LBB1_7758-.Lpost_getpc14630)>>32
	s_setpc_b64 s[14:15]
.LBB1_22096:
	v_mov_b32_e32 v6, 0
	v_cmp_ne_u16_sdwa s[8:9], v3, v6 src0_sel:BYTE_0 src1_sel:DWORD
	s_andn2_b64 s[4:5], s[4:5], exec
	s_and_b64 s[8:9], s[8:9], exec
	s_or_b64 s[4:5], s[4:5], s[8:9]
	s_or_b64 exec, exec, s[6:7]
	s_and_saveexec_b64 s[6:7], s[4:5]
	s_cbranch_execz .LBB1_32551
; %bb.57935:
	s_getpc_b64 s[14:15]
.Lpost_getpc14631:
	s_add_u32 s14, s14, (.LBB1_7759-.Lpost_getpc14631)&4294967295
	s_addc_u32 s15, s15, (.LBB1_7759-.Lpost_getpc14631)>>32
	s_setpc_b64 s[14:15]
.LBB1_32551:
	s_getpc_b64 s[14:15]
.Lpost_getpc1939:
	s_add_u32 s14, s14, (.LBB1_7760-.Lpost_getpc1939)&4294967295
	s_addc_u32 s15, s15, (.LBB1_7760-.Lpost_getpc1939)>>32
	s_setpc_b64 s[14:15]
.LBB1_22097:
	s_movk_i32 s4, 0x80
	v_cmp_eq_u16_e32 vcc, s4, v3
	s_mov_b64 s[4:5], -1
                                        ; implicit-def: $sgpr10
	s_and_saveexec_b64 s[8:9], vcc
; %bb.22098:
	s_mov_b32 s10, 0x7f800001
	s_xor_b64 s[4:5], exec, -1
; %bb.22099:
	s_or_b64 exec, exec, s[8:9]
	s_and_b64 s[4:5], s[4:5], exec
                                        ; implicit-def: $vgpr3
	s_or_saveexec_b64 s[6:7], s[6:7]
	v_mov_b32_e32 v2, s10
	s_xor_b64 exec, exec, s[6:7]
	s_cbranch_execnz .LBB1_22100
; %bb.57937:
	s_getpc_b64 s[14:15]
.Lpost_getpc14632:
	s_add_u32 s14, s14, (.LBB1_7762-.Lpost_getpc14632)&4294967295
	s_addc_u32 s15, s15, (.LBB1_7762-.Lpost_getpc14632)>>32
	s_setpc_b64 s[14:15]
.LBB1_22100:
	v_cmp_ne_u16_e32 vcc, 0, v3
	s_andn2_b64 s[4:5], s[4:5], exec
	s_and_b64 s[8:9], vcc, exec
	v_mov_b32_e32 v2, 0
	s_or_b64 s[4:5], s[4:5], s[8:9]
	s_or_b64 exec, exec, s[6:7]
	s_and_saveexec_b64 s[6:7], s[4:5]
	s_cbranch_execz .LBB1_32553
; %bb.57939:
	s_getpc_b64 s[14:15]
.Lpost_getpc14633:
	s_add_u32 s14, s14, (.LBB1_7763-.Lpost_getpc14633)&4294967295
	s_addc_u32 s15, s15, (.LBB1_7763-.Lpost_getpc14633)>>32
	s_setpc_b64 s[14:15]
.LBB1_32553:
	s_getpc_b64 s[14:15]
.Lpost_getpc1940:
	s_add_u32 s14, s14, (.LBB1_7764-.Lpost_getpc1940)&4294967295
	s_addc_u32 s15, s15, (.LBB1_7764-.Lpost_getpc1940)>>32
	s_setpc_b64 s[14:15]
.LBB1_22101:
	s_movk_i32 s4, 0x80
	v_cmp_eq_u16_e32 vcc, s4, v3
	s_mov_b64 s[4:5], -1
                                        ; implicit-def: $sgpr10
	s_and_saveexec_b64 s[8:9], vcc
; %bb.22102:
	s_mov_b32 s10, 0x7f800001
	s_xor_b64 s[4:5], exec, -1
; %bb.22103:
	s_or_b64 exec, exec, s[8:9]
	s_and_b64 s[4:5], s[4:5], exec
                                        ; implicit-def: $vgpr3
	s_or_saveexec_b64 s[6:7], s[6:7]
	v_mov_b32_e32 v6, s10
	s_xor_b64 exec, exec, s[6:7]
	s_cbranch_execnz .LBB1_22104
; %bb.57941:
	s_getpc_b64 s[14:15]
.Lpost_getpc14634:
	s_add_u32 s14, s14, (.LBB1_7766-.Lpost_getpc14634)&4294967295
	s_addc_u32 s15, s15, (.LBB1_7766-.Lpost_getpc14634)>>32
	s_setpc_b64 s[14:15]
.LBB1_22104:
	v_cmp_ne_u16_e32 vcc, 0, v3
	s_andn2_b64 s[4:5], s[4:5], exec
	s_and_b64 s[8:9], vcc, exec
	v_mov_b32_e32 v6, 0
	s_or_b64 s[4:5], s[4:5], s[8:9]
	s_or_b64 exec, exec, s[6:7]
	s_and_saveexec_b64 s[6:7], s[4:5]
	s_cbranch_execz .LBB1_32555
; %bb.57943:
	s_getpc_b64 s[14:15]
.Lpost_getpc14635:
	s_add_u32 s14, s14, (.LBB1_7767-.Lpost_getpc14635)&4294967295
	s_addc_u32 s15, s15, (.LBB1_7767-.Lpost_getpc14635)>>32
	s_setpc_b64 s[14:15]
.LBB1_32555:
	s_getpc_b64 s[14:15]
.Lpost_getpc1941:
	s_add_u32 s14, s14, (.LBB1_7768-.Lpost_getpc1941)&4294967295
	s_addc_u32 s15, s15, (.LBB1_7768-.Lpost_getpc1941)>>32
	s_setpc_b64 s[14:15]
.LBB1_22105:
	s_movk_i32 s4, 0x80
	v_cmp_eq_u16_sdwa s[12:13], v8, s4 src0_sel:BYTE_3 src1_sel:DWORD
	s_mov_b64 s[4:5], -1
                                        ; implicit-def: $sgpr10
	s_and_saveexec_b64 s[8:9], s[12:13]
; %bb.22106:
	s_mov_b32 s10, 0x7f800001
	s_xor_b64 s[4:5], exec, -1
; %bb.22107:
	s_or_b64 exec, exec, s[8:9]
	s_and_b64 s[4:5], s[4:5], exec
	s_or_saveexec_b64 s[6:7], s[6:7]
	v_mov_b32_e32 v2, s10
	s_xor_b64 exec, exec, s[6:7]
	s_cbranch_execnz .LBB1_22108
; %bb.57945:
	s_getpc_b64 s[14:15]
.Lpost_getpc14636:
	s_add_u32 s14, s14, (.LBB1_7770-.Lpost_getpc14636)&4294967295
	s_addc_u32 s15, s15, (.LBB1_7770-.Lpost_getpc14636)>>32
	s_setpc_b64 s[14:15]
.LBB1_22108:
	v_mov_b32_e32 v2, 0
	v_cmp_ne_u16_sdwa s[8:9], v8, v2 src0_sel:BYTE_3 src1_sel:DWORD
	s_andn2_b64 s[4:5], s[4:5], exec
	s_and_b64 s[8:9], s[8:9], exec
	s_or_b64 s[4:5], s[4:5], s[8:9]
	s_or_b64 exec, exec, s[6:7]
	s_and_saveexec_b64 s[6:7], s[4:5]
	s_cbranch_execz .LBB1_32557
; %bb.57947:
	s_getpc_b64 s[14:15]
.Lpost_getpc14637:
	s_add_u32 s14, s14, (.LBB1_7771-.Lpost_getpc14637)&4294967295
	s_addc_u32 s15, s15, (.LBB1_7771-.Lpost_getpc14637)>>32
	s_setpc_b64 s[14:15]
.LBB1_32557:
	s_getpc_b64 s[14:15]
.Lpost_getpc1942:
	s_add_u32 s14, s14, (.LBB1_7772-.Lpost_getpc1942)&4294967295
	s_addc_u32 s15, s15, (.LBB1_7772-.Lpost_getpc1942)>>32
	s_setpc_b64 s[14:15]
.LBB1_22109:
	s_movk_i32 s4, 0x80
	v_cmp_eq_u16_sdwa s[12:13], v4, s4 src0_sel:BYTE_3 src1_sel:DWORD
	s_mov_b64 s[4:5], -1
                                        ; implicit-def: $sgpr10
	s_and_saveexec_b64 s[8:9], s[12:13]
; %bb.22110:
	s_mov_b32 s10, 0x7f800001
	s_xor_b64 s[4:5], exec, -1
; %bb.22111:
	s_or_b64 exec, exec, s[8:9]
	s_and_b64 s[4:5], s[4:5], exec
	s_or_saveexec_b64 s[6:7], s[6:7]
	v_mov_b32_e32 v3, s10
	s_xor_b64 exec, exec, s[6:7]
	s_cbranch_execnz .LBB1_22112
; %bb.57949:
	s_getpc_b64 s[14:15]
.Lpost_getpc14638:
	s_add_u32 s14, s14, (.LBB1_7774-.Lpost_getpc14638)&4294967295
	s_addc_u32 s15, s15, (.LBB1_7774-.Lpost_getpc14638)>>32
	s_setpc_b64 s[14:15]
.LBB1_22112:
	v_mov_b32_e32 v3, 0
	v_cmp_ne_u16_sdwa s[8:9], v4, v3 src0_sel:BYTE_3 src1_sel:DWORD
	s_andn2_b64 s[4:5], s[4:5], exec
	s_and_b64 s[8:9], s[8:9], exec
	s_or_b64 s[4:5], s[4:5], s[8:9]
	s_or_b64 exec, exec, s[6:7]
	s_and_saveexec_b64 s[6:7], s[4:5]
	s_cbranch_execz .LBB1_32559
; %bb.57951:
	s_getpc_b64 s[14:15]
.Lpost_getpc14639:
	s_add_u32 s14, s14, (.LBB1_7775-.Lpost_getpc14639)&4294967295
	s_addc_u32 s15, s15, (.LBB1_7775-.Lpost_getpc14639)>>32
	s_setpc_b64 s[14:15]
.LBB1_32559:
	s_getpc_b64 s[14:15]
.Lpost_getpc1943:
	s_add_u32 s14, s14, (.LBB1_7776-.Lpost_getpc1943)&4294967295
	s_addc_u32 s15, s15, (.LBB1_7776-.Lpost_getpc1943)>>32
	s_setpc_b64 s[14:15]
.LBB1_22113:
	s_movk_i32 s4, 0x80
	v_cmp_eq_u16_sdwa s[12:13], v9, s4 src0_sel:BYTE_0 src1_sel:DWORD
	s_mov_b64 s[4:5], -1
                                        ; implicit-def: $sgpr10
	s_and_saveexec_b64 s[8:9], s[12:13]
; %bb.22114:
	s_mov_b32 s10, 0x7f800001
	s_xor_b64 s[4:5], exec, -1
; %bb.22115:
	s_or_b64 exec, exec, s[8:9]
	s_and_b64 s[4:5], s[4:5], exec
	s_or_saveexec_b64 s[6:7], s[6:7]
	v_mov_b32_e32 v2, s10
	s_xor_b64 exec, exec, s[6:7]
	s_cbranch_execnz .LBB1_22116
; %bb.57953:
	s_getpc_b64 s[14:15]
.Lpost_getpc14640:
	s_add_u32 s14, s14, (.LBB1_7778-.Lpost_getpc14640)&4294967295
	s_addc_u32 s15, s15, (.LBB1_7778-.Lpost_getpc14640)>>32
	s_setpc_b64 s[14:15]
.LBB1_22116:
	v_mov_b32_e32 v2, 0
	v_cmp_ne_u16_sdwa s[8:9], v9, v2 src0_sel:BYTE_0 src1_sel:DWORD
	s_andn2_b64 s[4:5], s[4:5], exec
	s_and_b64 s[8:9], s[8:9], exec
	s_or_b64 s[4:5], s[4:5], s[8:9]
	s_or_b64 exec, exec, s[6:7]
	s_and_saveexec_b64 s[6:7], s[4:5]
	s_cbranch_execz .LBB1_32561
; %bb.57955:
	s_getpc_b64 s[14:15]
.Lpost_getpc14641:
	s_add_u32 s14, s14, (.LBB1_7779-.Lpost_getpc14641)&4294967295
	s_addc_u32 s15, s15, (.LBB1_7779-.Lpost_getpc14641)>>32
	s_setpc_b64 s[14:15]
.LBB1_32561:
	s_getpc_b64 s[14:15]
.Lpost_getpc1944:
	s_add_u32 s14, s14, (.LBB1_7780-.Lpost_getpc1944)&4294967295
	s_addc_u32 s15, s15, (.LBB1_7780-.Lpost_getpc1944)>>32
	s_setpc_b64 s[14:15]
.LBB1_22117:
	s_movk_i32 s4, 0x80
	v_cmp_eq_u16_sdwa s[12:13], v5, s4 src0_sel:BYTE_0 src1_sel:DWORD
	s_mov_b64 s[4:5], -1
                                        ; implicit-def: $sgpr10
	s_and_saveexec_b64 s[8:9], s[12:13]
; %bb.22118:
	s_mov_b32 s10, 0x7f800001
	s_xor_b64 s[4:5], exec, -1
; %bb.22119:
	s_or_b64 exec, exec, s[8:9]
	s_and_b64 s[4:5], s[4:5], exec
	s_or_saveexec_b64 s[6:7], s[6:7]
	v_mov_b32_e32 v3, s10
	s_xor_b64 exec, exec, s[6:7]
	s_cbranch_execnz .LBB1_22120
; %bb.57957:
	s_getpc_b64 s[14:15]
.Lpost_getpc14642:
	s_add_u32 s14, s14, (.LBB1_7782-.Lpost_getpc14642)&4294967295
	s_addc_u32 s15, s15, (.LBB1_7782-.Lpost_getpc14642)>>32
	s_setpc_b64 s[14:15]
.LBB1_22120:
	v_mov_b32_e32 v3, 0
	v_cmp_ne_u16_sdwa s[8:9], v5, v3 src0_sel:BYTE_0 src1_sel:DWORD
	s_andn2_b64 s[4:5], s[4:5], exec
	s_and_b64 s[8:9], s[8:9], exec
	s_or_b64 s[4:5], s[4:5], s[8:9]
	s_or_b64 exec, exec, s[6:7]
	s_and_saveexec_b64 s[6:7], s[4:5]
	s_cbranch_execz .LBB1_32563
; %bb.57959:
	s_getpc_b64 s[14:15]
.Lpost_getpc14643:
	s_add_u32 s14, s14, (.LBB1_7783-.Lpost_getpc14643)&4294967295
	s_addc_u32 s15, s15, (.LBB1_7783-.Lpost_getpc14643)>>32
	s_setpc_b64 s[14:15]
.LBB1_32563:
	s_getpc_b64 s[14:15]
.Lpost_getpc1945:
	s_add_u32 s14, s14, (.LBB1_7784-.Lpost_getpc1945)&4294967295
	s_addc_u32 s15, s15, (.LBB1_7784-.Lpost_getpc1945)>>32
	s_setpc_b64 s[14:15]
.LBB1_22121:
	s_movk_i32 s4, 0x80
	v_cmp_eq_u16_sdwa s[12:13], v3, s4 src0_sel:BYTE_0 src1_sel:DWORD
	s_mov_b64 s[4:5], -1
                                        ; implicit-def: $sgpr10
	s_and_saveexec_b64 s[8:9], s[12:13]
; %bb.22122:
	s_mov_b32 s10, 0x7f800001
	s_xor_b64 s[4:5], exec, -1
; %bb.22123:
	s_or_b64 exec, exec, s[8:9]
	s_and_b64 s[4:5], s[4:5], exec
	s_or_saveexec_b64 s[6:7], s[6:7]
	v_mov_b32_e32 v2, s10
	s_xor_b64 exec, exec, s[6:7]
	s_cbranch_execnz .LBB1_22124
; %bb.57961:
	s_getpc_b64 s[14:15]
.Lpost_getpc14644:
	s_add_u32 s14, s14, (.LBB1_7786-.Lpost_getpc14644)&4294967295
	s_addc_u32 s15, s15, (.LBB1_7786-.Lpost_getpc14644)>>32
	s_setpc_b64 s[14:15]
.LBB1_22124:
	v_mov_b32_e32 v2, 0
	v_cmp_ne_u16_sdwa s[8:9], v3, v2 src0_sel:BYTE_0 src1_sel:DWORD
	s_andn2_b64 s[4:5], s[4:5], exec
	s_and_b64 s[8:9], s[8:9], exec
	s_or_b64 s[4:5], s[4:5], s[8:9]
	s_or_b64 exec, exec, s[6:7]
	s_and_saveexec_b64 s[6:7], s[4:5]
	s_cbranch_execz .LBB1_32565
; %bb.57963:
	s_getpc_b64 s[14:15]
.Lpost_getpc14645:
	s_add_u32 s14, s14, (.LBB1_7787-.Lpost_getpc14645)&4294967295
	s_addc_u32 s15, s15, (.LBB1_7787-.Lpost_getpc14645)>>32
	s_setpc_b64 s[14:15]
.LBB1_32565:
	s_getpc_b64 s[14:15]
.Lpost_getpc1946:
	s_add_u32 s14, s14, (.LBB1_7788-.Lpost_getpc1946)&4294967295
	s_addc_u32 s15, s15, (.LBB1_7788-.Lpost_getpc1946)>>32
	s_setpc_b64 s[14:15]
.LBB1_22125:
	s_movk_i32 s4, 0x80
	v_cmp_eq_u16_sdwa s[12:13], v3, s4 src0_sel:BYTE_0 src1_sel:DWORD
	s_mov_b64 s[4:5], -1
                                        ; implicit-def: $sgpr10
	s_and_saveexec_b64 s[8:9], s[12:13]
; %bb.22126:
	s_mov_b32 s10, 0x7f800001
	s_xor_b64 s[4:5], exec, -1
; %bb.22127:
	s_or_b64 exec, exec, s[8:9]
	s_and_b64 s[4:5], s[4:5], exec
	s_or_saveexec_b64 s[6:7], s[6:7]
	v_mov_b32_e32 v4, s10
	s_xor_b64 exec, exec, s[6:7]
	s_cbranch_execnz .LBB1_22128
; %bb.57965:
	s_getpc_b64 s[14:15]
.Lpost_getpc14646:
	s_add_u32 s14, s14, (.LBB1_7790-.Lpost_getpc14646)&4294967295
	s_addc_u32 s15, s15, (.LBB1_7790-.Lpost_getpc14646)>>32
	s_setpc_b64 s[14:15]
.LBB1_22128:
	v_mov_b32_e32 v4, 0
	v_cmp_ne_u16_sdwa s[8:9], v3, v4 src0_sel:BYTE_0 src1_sel:DWORD
	s_andn2_b64 s[4:5], s[4:5], exec
	s_and_b64 s[8:9], s[8:9], exec
	s_or_b64 s[4:5], s[4:5], s[8:9]
	s_or_b64 exec, exec, s[6:7]
	s_and_saveexec_b64 s[6:7], s[4:5]
	s_cbranch_execz .LBB1_32567
; %bb.57967:
	s_getpc_b64 s[14:15]
.Lpost_getpc14647:
	s_add_u32 s14, s14, (.LBB1_7791-.Lpost_getpc14647)&4294967295
	s_addc_u32 s15, s15, (.LBB1_7791-.Lpost_getpc14647)>>32
	s_setpc_b64 s[14:15]
.LBB1_32567:
	s_getpc_b64 s[14:15]
.Lpost_getpc1947:
	s_add_u32 s14, s14, (.LBB1_7792-.Lpost_getpc1947)&4294967295
	s_addc_u32 s15, s15, (.LBB1_7792-.Lpost_getpc1947)>>32
	s_setpc_b64 s[14:15]
.LBB1_22129:
	s_movk_i32 s4, 0x80
	v_cmp_eq_u16_e32 vcc, s4, v3
	s_mov_b64 s[4:5], -1
                                        ; implicit-def: $sgpr10
	s_and_saveexec_b64 s[8:9], vcc
; %bb.22130:
	s_mov_b32 s10, 0x7f800001
	s_xor_b64 s[4:5], exec, -1
; %bb.22131:
	s_or_b64 exec, exec, s[8:9]
	s_and_b64 s[4:5], s[4:5], exec
                                        ; implicit-def: $vgpr3
	s_or_saveexec_b64 s[6:7], s[6:7]
	v_mov_b32_e32 v2, s10
	s_xor_b64 exec, exec, s[6:7]
	s_cbranch_execnz .LBB1_22132
; %bb.57969:
	s_getpc_b64 s[14:15]
.Lpost_getpc14648:
	s_add_u32 s14, s14, (.LBB1_7794-.Lpost_getpc14648)&4294967295
	s_addc_u32 s15, s15, (.LBB1_7794-.Lpost_getpc14648)>>32
	s_setpc_b64 s[14:15]
.LBB1_22132:
	v_cmp_ne_u16_e32 vcc, 0, v3
	s_andn2_b64 s[4:5], s[4:5], exec
	s_and_b64 s[8:9], vcc, exec
	v_mov_b32_e32 v2, 0
	s_or_b64 s[4:5], s[4:5], s[8:9]
	s_or_b64 exec, exec, s[6:7]
	s_and_saveexec_b64 s[6:7], s[4:5]
	s_cbranch_execz .LBB1_32569
; %bb.57971:
	s_getpc_b64 s[14:15]
.Lpost_getpc14649:
	s_add_u32 s14, s14, (.LBB1_7795-.Lpost_getpc14649)&4294967295
	s_addc_u32 s15, s15, (.LBB1_7795-.Lpost_getpc14649)>>32
	s_setpc_b64 s[14:15]
.LBB1_32569:
	s_getpc_b64 s[14:15]
.Lpost_getpc1948:
	s_add_u32 s14, s14, (.LBB1_7796-.Lpost_getpc1948)&4294967295
	s_addc_u32 s15, s15, (.LBB1_7796-.Lpost_getpc1948)>>32
	s_setpc_b64 s[14:15]
.LBB1_22133:
	s_movk_i32 s4, 0x80
	v_cmp_eq_u16_e32 vcc, s4, v3
	s_mov_b64 s[4:5], -1
                                        ; implicit-def: $sgpr10
	s_and_saveexec_b64 s[8:9], vcc
; %bb.22134:
	s_mov_b32 s10, 0x7f800001
	s_xor_b64 s[4:5], exec, -1
; %bb.22135:
	s_or_b64 exec, exec, s[8:9]
	s_and_b64 s[4:5], s[4:5], exec
                                        ; implicit-def: $vgpr3
	s_or_saveexec_b64 s[6:7], s[6:7]
	v_mov_b32_e32 v4, s10
	s_xor_b64 exec, exec, s[6:7]
	s_cbranch_execnz .LBB1_22136
; %bb.57973:
	s_getpc_b64 s[14:15]
.Lpost_getpc14650:
	s_add_u32 s14, s14, (.LBB1_7798-.Lpost_getpc14650)&4294967295
	s_addc_u32 s15, s15, (.LBB1_7798-.Lpost_getpc14650)>>32
	s_setpc_b64 s[14:15]
.LBB1_22136:
	v_cmp_ne_u16_e32 vcc, 0, v3
	s_andn2_b64 s[4:5], s[4:5], exec
	s_and_b64 s[8:9], vcc, exec
	v_mov_b32_e32 v4, 0
	s_or_b64 s[4:5], s[4:5], s[8:9]
	s_or_b64 exec, exec, s[6:7]
	s_and_saveexec_b64 s[6:7], s[4:5]
	s_cbranch_execz .LBB1_32571
; %bb.57975:
	s_getpc_b64 s[14:15]
.Lpost_getpc14651:
	s_add_u32 s14, s14, (.LBB1_7799-.Lpost_getpc14651)&4294967295
	s_addc_u32 s15, s15, (.LBB1_7799-.Lpost_getpc14651)>>32
	s_setpc_b64 s[14:15]
.LBB1_32571:
	s_getpc_b64 s[14:15]
.Lpost_getpc1949:
	s_add_u32 s14, s14, (.LBB1_7800-.Lpost_getpc1949)&4294967295
	s_addc_u32 s15, s15, (.LBB1_7800-.Lpost_getpc1949)>>32
	s_setpc_b64 s[14:15]
.LBB1_22137:
	s_movk_i32 s4, 0x80
	v_cmp_eq_u16_sdwa s[12:13], v9, s4 src0_sel:BYTE_3 src1_sel:DWORD
	s_mov_b64 s[4:5], -1
                                        ; implicit-def: $sgpr10
	s_and_saveexec_b64 s[8:9], s[12:13]
; %bb.22138:
	s_mov_b32 s10, 0x7f800001
	s_xor_b64 s[4:5], exec, -1
; %bb.22139:
	s_or_b64 exec, exec, s[8:9]
	s_and_b64 s[4:5], s[4:5], exec
	s_or_saveexec_b64 s[6:7], s[6:7]
	v_mov_b32_e32 v2, s10
	s_xor_b64 exec, exec, s[6:7]
	s_cbranch_execnz .LBB1_22140
; %bb.57977:
	s_getpc_b64 s[14:15]
.Lpost_getpc14652:
	s_add_u32 s14, s14, (.LBB1_7802-.Lpost_getpc14652)&4294967295
	s_addc_u32 s15, s15, (.LBB1_7802-.Lpost_getpc14652)>>32
	s_setpc_b64 s[14:15]
.LBB1_22140:
	v_mov_b32_e32 v2, 0
	v_cmp_ne_u16_sdwa s[8:9], v9, v2 src0_sel:BYTE_3 src1_sel:DWORD
	s_andn2_b64 s[4:5], s[4:5], exec
	s_and_b64 s[8:9], s[8:9], exec
	s_or_b64 s[4:5], s[4:5], s[8:9]
	s_or_b64 exec, exec, s[6:7]
	s_and_saveexec_b64 s[6:7], s[4:5]
	s_cbranch_execz .LBB1_32573
; %bb.57979:
	s_getpc_b64 s[14:15]
.Lpost_getpc14653:
	s_add_u32 s14, s14, (.LBB1_7803-.Lpost_getpc14653)&4294967295
	s_addc_u32 s15, s15, (.LBB1_7803-.Lpost_getpc14653)>>32
	s_setpc_b64 s[14:15]
.LBB1_32573:
	s_getpc_b64 s[14:15]
.Lpost_getpc1950:
	s_add_u32 s14, s14, (.LBB1_7804-.Lpost_getpc1950)&4294967295
	s_addc_u32 s15, s15, (.LBB1_7804-.Lpost_getpc1950)>>32
	s_setpc_b64 s[14:15]
.LBB1_22141:
	s_movk_i32 s4, 0x80
	v_cmp_eq_u16_sdwa s[12:13], v5, s4 src0_sel:BYTE_3 src1_sel:DWORD
	s_mov_b64 s[4:5], -1
                                        ; implicit-def: $sgpr10
	s_and_saveexec_b64 s[8:9], s[12:13]
; %bb.22142:
	s_mov_b32 s10, 0x7f800001
	s_xor_b64 s[4:5], exec, -1
; %bb.22143:
	s_or_b64 exec, exec, s[8:9]
	s_and_b64 s[4:5], s[4:5], exec
	s_or_saveexec_b64 s[6:7], s[6:7]
	v_mov_b32_e32 v3, s10
	s_xor_b64 exec, exec, s[6:7]
	s_cbranch_execnz .LBB1_22144
; %bb.57981:
	s_getpc_b64 s[14:15]
.Lpost_getpc14654:
	s_add_u32 s14, s14, (.LBB1_7806-.Lpost_getpc14654)&4294967295
	s_addc_u32 s15, s15, (.LBB1_7806-.Lpost_getpc14654)>>32
	s_setpc_b64 s[14:15]
.LBB1_22144:
	v_mov_b32_e32 v3, 0
	v_cmp_ne_u16_sdwa s[8:9], v5, v3 src0_sel:BYTE_3 src1_sel:DWORD
	s_andn2_b64 s[4:5], s[4:5], exec
	s_and_b64 s[8:9], s[8:9], exec
	s_or_b64 s[4:5], s[4:5], s[8:9]
	s_or_b64 exec, exec, s[6:7]
	s_and_saveexec_b64 s[6:7], s[4:5]
	s_cbranch_execz .LBB1_32575
; %bb.57983:
	s_getpc_b64 s[14:15]
.Lpost_getpc14655:
	s_add_u32 s14, s14, (.LBB1_7807-.Lpost_getpc14655)&4294967295
	s_addc_u32 s15, s15, (.LBB1_7807-.Lpost_getpc14655)>>32
	s_setpc_b64 s[14:15]
.LBB1_32575:
	s_getpc_b64 s[14:15]
.Lpost_getpc1951:
	s_add_u32 s14, s14, (.LBB1_7808-.Lpost_getpc1951)&4294967295
	s_addc_u32 s15, s15, (.LBB1_7808-.Lpost_getpc1951)>>32
	s_setpc_b64 s[14:15]
.LBB1_22145:
	s_movk_i32 s4, 0x80
	v_cmp_eq_u16_sdwa s[12:13], v6, s4 src0_sel:BYTE_0 src1_sel:DWORD
	s_mov_b64 s[4:5], -1
                                        ; implicit-def: $sgpr10
	s_and_saveexec_b64 s[8:9], s[12:13]
; %bb.22146:
	s_mov_b32 s10, 0x7f800001
	s_xor_b64 s[4:5], exec, -1
; %bb.22147:
	s_or_b64 exec, exec, s[8:9]
	s_and_b64 s[4:5], s[4:5], exec
	s_or_saveexec_b64 s[6:7], s[6:7]
	v_mov_b32_e32 v12, s10
	s_xor_b64 exec, exec, s[6:7]
	s_cbranch_execnz .LBB1_22148
; %bb.57985:
	s_getpc_b64 s[14:15]
.Lpost_getpc14656:
	s_add_u32 s14, s14, (.LBB1_7810-.Lpost_getpc14656)&4294967295
	s_addc_u32 s15, s15, (.LBB1_7810-.Lpost_getpc14656)>>32
	s_setpc_b64 s[14:15]
.LBB1_22148:
	v_mov_b32_e32 v12, 0
	v_cmp_ne_u16_sdwa s[8:9], v6, v12 src0_sel:BYTE_0 src1_sel:DWORD
	s_andn2_b64 s[4:5], s[4:5], exec
	s_and_b64 s[8:9], s[8:9], exec
	s_or_b64 s[4:5], s[4:5], s[8:9]
	s_or_b64 exec, exec, s[6:7]
	s_and_saveexec_b64 s[6:7], s[4:5]
	s_cbranch_execz .LBB1_32577
; %bb.57987:
	s_getpc_b64 s[14:15]
.Lpost_getpc14657:
	s_add_u32 s14, s14, (.LBB1_7811-.Lpost_getpc14657)&4294967295
	s_addc_u32 s15, s15, (.LBB1_7811-.Lpost_getpc14657)>>32
	s_setpc_b64 s[14:15]
.LBB1_32577:
	s_getpc_b64 s[14:15]
.Lpost_getpc1952:
	s_add_u32 s14, s14, (.LBB1_7812-.Lpost_getpc1952)&4294967295
	s_addc_u32 s15, s15, (.LBB1_7812-.Lpost_getpc1952)>>32
	s_setpc_b64 s[14:15]
.LBB1_22149:
	s_movk_i32 s4, 0x80
	v_cmp_eq_u16_sdwa s[12:13], v2, s4 src0_sel:BYTE_0 src1_sel:DWORD
	s_mov_b64 s[4:5], -1
                                        ; implicit-def: $sgpr10
	s_and_saveexec_b64 s[8:9], s[12:13]
; %bb.22150:
	s_mov_b32 s10, 0x7f800001
	s_xor_b64 s[4:5], exec, -1
; %bb.22151:
	s_or_b64 exec, exec, s[8:9]
	s_and_b64 s[4:5], s[4:5], exec
	s_or_saveexec_b64 s[6:7], s[6:7]
	v_mov_b32_e32 v13, s10
	s_xor_b64 exec, exec, s[6:7]
	s_cbranch_execnz .LBB1_22152
; %bb.57989:
	s_getpc_b64 s[14:15]
.Lpost_getpc14658:
	s_add_u32 s14, s14, (.LBB1_7814-.Lpost_getpc14658)&4294967295
	s_addc_u32 s15, s15, (.LBB1_7814-.Lpost_getpc14658)>>32
	s_setpc_b64 s[14:15]
.LBB1_22152:
	v_mov_b32_e32 v13, 0
	v_cmp_ne_u16_sdwa s[8:9], v2, v13 src0_sel:BYTE_0 src1_sel:DWORD
	s_andn2_b64 s[4:5], s[4:5], exec
	s_and_b64 s[8:9], s[8:9], exec
	s_or_b64 s[4:5], s[4:5], s[8:9]
	s_or_b64 exec, exec, s[6:7]
	s_and_saveexec_b64 s[6:7], s[4:5]
	s_cbranch_execz .LBB1_32579
; %bb.57991:
	s_getpc_b64 s[14:15]
.Lpost_getpc14659:
	s_add_u32 s14, s14, (.LBB1_7815-.Lpost_getpc14659)&4294967295
	s_addc_u32 s15, s15, (.LBB1_7815-.Lpost_getpc14659)>>32
	s_setpc_b64 s[14:15]
.LBB1_32579:
	s_getpc_b64 s[14:15]
.Lpost_getpc1953:
	s_add_u32 s14, s14, (.LBB1_7816-.Lpost_getpc1953)&4294967295
	s_addc_u32 s15, s15, (.LBB1_7816-.Lpost_getpc1953)>>32
	s_setpc_b64 s[14:15]
.LBB1_22153:
	s_movk_i32 s4, 0x80
	v_cmp_eq_u16_sdwa s[12:13], v13, s4 src0_sel:BYTE_0 src1_sel:DWORD
	s_mov_b64 s[4:5], -1
                                        ; implicit-def: $sgpr10
	s_and_saveexec_b64 s[8:9], s[12:13]
; %bb.22154:
	s_mov_b32 s10, 0x7f800001
	s_xor_b64 s[4:5], exec, -1
; %bb.22155:
	s_or_b64 exec, exec, s[8:9]
	s_and_b64 s[4:5], s[4:5], exec
	s_or_saveexec_b64 s[6:7], s[6:7]
	v_mov_b32_e32 v12, s10
	s_xor_b64 exec, exec, s[6:7]
	s_cbranch_execnz .LBB1_22156
; %bb.57993:
	s_getpc_b64 s[14:15]
.Lpost_getpc14660:
	s_add_u32 s14, s14, (.LBB1_7818-.Lpost_getpc14660)&4294967295
	s_addc_u32 s15, s15, (.LBB1_7818-.Lpost_getpc14660)>>32
	s_setpc_b64 s[14:15]
.LBB1_22156:
	v_mov_b32_e32 v12, 0
	v_cmp_ne_u16_sdwa s[8:9], v13, v12 src0_sel:BYTE_0 src1_sel:DWORD
	s_andn2_b64 s[4:5], s[4:5], exec
	s_and_b64 s[8:9], s[8:9], exec
	s_or_b64 s[4:5], s[4:5], s[8:9]
	s_or_b64 exec, exec, s[6:7]
	s_and_saveexec_b64 s[6:7], s[4:5]
	s_cbranch_execz .LBB1_32581
; %bb.57995:
	s_getpc_b64 s[14:15]
.Lpost_getpc14661:
	s_add_u32 s14, s14, (.LBB1_7819-.Lpost_getpc14661)&4294967295
	s_addc_u32 s15, s15, (.LBB1_7819-.Lpost_getpc14661)>>32
	s_setpc_b64 s[14:15]
.LBB1_32581:
	s_getpc_b64 s[14:15]
.Lpost_getpc1954:
	s_add_u32 s14, s14, (.LBB1_7820-.Lpost_getpc1954)&4294967295
	s_addc_u32 s15, s15, (.LBB1_7820-.Lpost_getpc1954)>>32
	s_setpc_b64 s[14:15]
.LBB1_22157:
	s_movk_i32 s4, 0x80
	v_cmp_eq_u16_sdwa s[12:13], v13, s4 src0_sel:BYTE_0 src1_sel:DWORD
	s_mov_b64 s[4:5], -1
                                        ; implicit-def: $sgpr10
	s_and_saveexec_b64 s[8:9], s[12:13]
; %bb.22158:
	s_mov_b32 s10, 0x7f800001
	s_xor_b64 s[4:5], exec, -1
; %bb.22159:
	s_or_b64 exec, exec, s[8:9]
	s_and_b64 s[4:5], s[4:5], exec
	s_or_saveexec_b64 s[6:7], s[6:7]
	v_mov_b32_e32 v14, s10
	s_xor_b64 exec, exec, s[6:7]
	s_cbranch_execnz .LBB1_22160
; %bb.57997:
	s_getpc_b64 s[14:15]
.Lpost_getpc14662:
	s_add_u32 s14, s14, (.LBB1_7822-.Lpost_getpc14662)&4294967295
	s_addc_u32 s15, s15, (.LBB1_7822-.Lpost_getpc14662)>>32
	s_setpc_b64 s[14:15]
.LBB1_22160:
	v_mov_b32_e32 v14, 0
	v_cmp_ne_u16_sdwa s[8:9], v13, v14 src0_sel:BYTE_0 src1_sel:DWORD
	s_andn2_b64 s[4:5], s[4:5], exec
	s_and_b64 s[8:9], s[8:9], exec
	s_or_b64 s[4:5], s[4:5], s[8:9]
	s_or_b64 exec, exec, s[6:7]
	s_and_saveexec_b64 s[6:7], s[4:5]
	s_cbranch_execz .LBB1_32583
; %bb.57999:
	s_getpc_b64 s[14:15]
.Lpost_getpc14663:
	s_add_u32 s14, s14, (.LBB1_7823-.Lpost_getpc14663)&4294967295
	s_addc_u32 s15, s15, (.LBB1_7823-.Lpost_getpc14663)>>32
	s_setpc_b64 s[14:15]
.LBB1_32583:
	s_getpc_b64 s[14:15]
.Lpost_getpc1955:
	s_add_u32 s14, s14, (.LBB1_7824-.Lpost_getpc1955)&4294967295
	s_addc_u32 s15, s15, (.LBB1_7824-.Lpost_getpc1955)>>32
	s_setpc_b64 s[14:15]
.LBB1_22161:
	s_movk_i32 s4, 0x80
	v_cmp_eq_u16_e32 vcc, s4, v13
	s_mov_b64 s[4:5], -1
                                        ; implicit-def: $sgpr10
	s_and_saveexec_b64 s[8:9], vcc
; %bb.22162:
	s_mov_b32 s10, 0x7f800001
	s_xor_b64 s[4:5], exec, -1
; %bb.22163:
	s_or_b64 exec, exec, s[8:9]
	s_and_b64 s[4:5], s[4:5], exec
                                        ; implicit-def: $vgpr13
	s_or_saveexec_b64 s[6:7], s[6:7]
	v_mov_b32_e32 v12, s10
	s_xor_b64 exec, exec, s[6:7]
	s_cbranch_execnz .LBB1_22164
; %bb.58001:
	s_getpc_b64 s[14:15]
.Lpost_getpc14664:
	s_add_u32 s14, s14, (.LBB1_7826-.Lpost_getpc14664)&4294967295
	s_addc_u32 s15, s15, (.LBB1_7826-.Lpost_getpc14664)>>32
	s_setpc_b64 s[14:15]
.LBB1_22164:
	v_cmp_ne_u16_e32 vcc, 0, v13
	s_andn2_b64 s[4:5], s[4:5], exec
	s_and_b64 s[8:9], vcc, exec
	v_mov_b32_e32 v12, 0
	s_or_b64 s[4:5], s[4:5], s[8:9]
	s_or_b64 exec, exec, s[6:7]
	s_and_saveexec_b64 s[6:7], s[4:5]
	s_cbranch_execz .LBB1_32585
; %bb.58003:
	s_getpc_b64 s[14:15]
.Lpost_getpc14665:
	s_add_u32 s14, s14, (.LBB1_7827-.Lpost_getpc14665)&4294967295
	s_addc_u32 s15, s15, (.LBB1_7827-.Lpost_getpc14665)>>32
	s_setpc_b64 s[14:15]
.LBB1_32585:
	s_getpc_b64 s[14:15]
.Lpost_getpc1956:
	s_add_u32 s14, s14, (.LBB1_7828-.Lpost_getpc1956)&4294967295
	s_addc_u32 s15, s15, (.LBB1_7828-.Lpost_getpc1956)>>32
	s_setpc_b64 s[14:15]
.LBB1_22165:
	s_movk_i32 s4, 0x80
	v_cmp_eq_u16_e32 vcc, s4, v13
	s_mov_b64 s[4:5], -1
                                        ; implicit-def: $sgpr10
	s_and_saveexec_b64 s[8:9], vcc
; %bb.22166:
	s_mov_b32 s10, 0x7f800001
	s_xor_b64 s[4:5], exec, -1
; %bb.22167:
	s_or_b64 exec, exec, s[8:9]
	s_and_b64 s[4:5], s[4:5], exec
                                        ; implicit-def: $vgpr13
	s_or_saveexec_b64 s[6:7], s[6:7]
	v_mov_b32_e32 v14, s10
	s_xor_b64 exec, exec, s[6:7]
	s_cbranch_execnz .LBB1_22168
; %bb.58005:
	s_getpc_b64 s[14:15]
.Lpost_getpc14666:
	s_add_u32 s14, s14, (.LBB1_7830-.Lpost_getpc14666)&4294967295
	s_addc_u32 s15, s15, (.LBB1_7830-.Lpost_getpc14666)>>32
	s_setpc_b64 s[14:15]
.LBB1_22168:
	v_cmp_ne_u16_e32 vcc, 0, v13
	s_andn2_b64 s[4:5], s[4:5], exec
	s_and_b64 s[8:9], vcc, exec
	v_mov_b32_e32 v14, 0
	s_or_b64 s[4:5], s[4:5], s[8:9]
	s_or_b64 exec, exec, s[6:7]
	s_and_saveexec_b64 s[6:7], s[4:5]
	s_cbranch_execz .LBB1_32587
; %bb.58007:
	s_getpc_b64 s[14:15]
.Lpost_getpc14667:
	s_add_u32 s14, s14, (.LBB1_7831-.Lpost_getpc14667)&4294967295
	s_addc_u32 s15, s15, (.LBB1_7831-.Lpost_getpc14667)>>32
	s_setpc_b64 s[14:15]
.LBB1_32587:
	s_getpc_b64 s[14:15]
.Lpost_getpc1957:
	s_add_u32 s14, s14, (.LBB1_7832-.Lpost_getpc1957)&4294967295
	s_addc_u32 s15, s15, (.LBB1_7832-.Lpost_getpc1957)>>32
	s_setpc_b64 s[14:15]
.LBB1_22169:
	s_movk_i32 s4, 0x80
	v_cmp_eq_u16_sdwa s[12:13], v6, s4 src0_sel:BYTE_3 src1_sel:DWORD
	s_mov_b64 s[4:5], -1
                                        ; implicit-def: $sgpr10
	s_and_saveexec_b64 s[8:9], s[12:13]
; %bb.22170:
	s_mov_b32 s10, 0x7f800001
	s_xor_b64 s[4:5], exec, -1
; %bb.22171:
	s_or_b64 exec, exec, s[8:9]
	s_and_b64 s[4:5], s[4:5], exec
	s_or_saveexec_b64 s[6:7], s[6:7]
	v_mov_b32_e32 v12, s10
	s_xor_b64 exec, exec, s[6:7]
	s_cbranch_execnz .LBB1_22172
; %bb.58009:
	s_getpc_b64 s[14:15]
.Lpost_getpc14668:
	s_add_u32 s14, s14, (.LBB1_7834-.Lpost_getpc14668)&4294967295
	s_addc_u32 s15, s15, (.LBB1_7834-.Lpost_getpc14668)>>32
	s_setpc_b64 s[14:15]
.LBB1_22172:
	v_mov_b32_e32 v12, 0
	v_cmp_ne_u16_sdwa s[8:9], v6, v12 src0_sel:BYTE_3 src1_sel:DWORD
	s_andn2_b64 s[4:5], s[4:5], exec
	s_and_b64 s[8:9], s[8:9], exec
	s_or_b64 s[4:5], s[4:5], s[8:9]
	s_or_b64 exec, exec, s[6:7]
	s_and_saveexec_b64 s[6:7], s[4:5]
	s_cbranch_execz .LBB1_32589
; %bb.58011:
	s_getpc_b64 s[14:15]
.Lpost_getpc14669:
	s_add_u32 s14, s14, (.LBB1_7835-.Lpost_getpc14669)&4294967295
	s_addc_u32 s15, s15, (.LBB1_7835-.Lpost_getpc14669)>>32
	s_setpc_b64 s[14:15]
.LBB1_32589:
	s_getpc_b64 s[14:15]
.Lpost_getpc1958:
	s_add_u32 s14, s14, (.LBB1_7836-.Lpost_getpc1958)&4294967295
	s_addc_u32 s15, s15, (.LBB1_7836-.Lpost_getpc1958)>>32
	s_setpc_b64 s[14:15]
.LBB1_22173:
	s_movk_i32 s4, 0x80
	v_cmp_eq_u16_sdwa s[12:13], v2, s4 src0_sel:BYTE_3 src1_sel:DWORD
	s_mov_b64 s[4:5], -1
                                        ; implicit-def: $sgpr10
	s_and_saveexec_b64 s[8:9], s[12:13]
; %bb.22174:
	s_mov_b32 s10, 0x7f800001
	s_xor_b64 s[4:5], exec, -1
; %bb.22175:
	s_or_b64 exec, exec, s[8:9]
	s_and_b64 s[4:5], s[4:5], exec
	s_or_saveexec_b64 s[6:7], s[6:7]
	v_mov_b32_e32 v6, s10
	s_xor_b64 exec, exec, s[6:7]
	s_cbranch_execnz .LBB1_22176
; %bb.58013:
	s_getpc_b64 s[14:15]
.Lpost_getpc14670:
	s_add_u32 s14, s14, (.LBB1_7838-.Lpost_getpc14670)&4294967295
	s_addc_u32 s15, s15, (.LBB1_7838-.Lpost_getpc14670)>>32
	s_setpc_b64 s[14:15]
.LBB1_22176:
	v_mov_b32_e32 v6, 0
	v_cmp_ne_u16_sdwa s[8:9], v2, v6 src0_sel:BYTE_3 src1_sel:DWORD
	s_andn2_b64 s[4:5], s[4:5], exec
	s_and_b64 s[8:9], s[8:9], exec
	s_or_b64 s[4:5], s[4:5], s[8:9]
	s_or_b64 exec, exec, s[6:7]
	s_and_saveexec_b64 s[6:7], s[4:5]
	s_cbranch_execz .LBB1_32591
; %bb.58015:
	s_getpc_b64 s[14:15]
.Lpost_getpc14671:
	s_add_u32 s14, s14, (.LBB1_7839-.Lpost_getpc14671)&4294967295
	s_addc_u32 s15, s15, (.LBB1_7839-.Lpost_getpc14671)>>32
	s_setpc_b64 s[14:15]
.LBB1_32591:
	s_getpc_b64 s[14:15]
.Lpost_getpc1959:
	s_add_u32 s14, s14, (.LBB1_7840-.Lpost_getpc1959)&4294967295
	s_addc_u32 s15, s15, (.LBB1_7840-.Lpost_getpc1959)>>32
	s_setpc_b64 s[14:15]
.LBB1_22177:
	s_movk_i32 s4, 0x80
	v_cmp_eq_u16_sdwa s[12:13], v7, s4 src0_sel:BYTE_0 src1_sel:DWORD
	s_mov_b64 s[4:5], -1
                                        ; implicit-def: $sgpr10
	s_and_saveexec_b64 s[8:9], s[12:13]
; %bb.22178:
	s_mov_b32 s10, 0x7f800001
	s_xor_b64 s[4:5], exec, -1
; %bb.22179:
	s_or_b64 exec, exec, s[8:9]
	s_and_b64 s[4:5], s[4:5], exec
	s_or_saveexec_b64 s[6:7], s[6:7]
	v_mov_b32_e32 v2, s10
	s_xor_b64 exec, exec, s[6:7]
	s_cbranch_execnz .LBB1_22180
; %bb.58017:
	s_getpc_b64 s[14:15]
.Lpost_getpc14672:
	s_add_u32 s14, s14, (.LBB1_7842-.Lpost_getpc14672)&4294967295
	s_addc_u32 s15, s15, (.LBB1_7842-.Lpost_getpc14672)>>32
	s_setpc_b64 s[14:15]
.LBB1_22180:
	v_mov_b32_e32 v2, 0
	v_cmp_ne_u16_sdwa s[8:9], v7, v2 src0_sel:BYTE_0 src1_sel:DWORD
	s_andn2_b64 s[4:5], s[4:5], exec
	s_and_b64 s[8:9], s[8:9], exec
	s_or_b64 s[4:5], s[4:5], s[8:9]
	s_or_b64 exec, exec, s[6:7]
	s_and_saveexec_b64 s[6:7], s[4:5]
	s_cbranch_execz .LBB1_32593
; %bb.58019:
	s_getpc_b64 s[14:15]
.Lpost_getpc14673:
	s_add_u32 s14, s14, (.LBB1_7843-.Lpost_getpc14673)&4294967295
	s_addc_u32 s15, s15, (.LBB1_7843-.Lpost_getpc14673)>>32
	s_setpc_b64 s[14:15]
.LBB1_32593:
	s_getpc_b64 s[14:15]
.Lpost_getpc1960:
	s_add_u32 s14, s14, (.LBB1_7844-.Lpost_getpc1960)&4294967295
	s_addc_u32 s15, s15, (.LBB1_7844-.Lpost_getpc1960)>>32
	s_setpc_b64 s[14:15]
.LBB1_22181:
	s_movk_i32 s4, 0x80
	v_cmp_eq_u16_sdwa s[12:13], v3, s4 src0_sel:BYTE_0 src1_sel:DWORD
	s_mov_b64 s[4:5], -1
                                        ; implicit-def: $sgpr10
	s_and_saveexec_b64 s[8:9], s[12:13]
; %bb.22182:
	s_mov_b32 s10, 0x7f800001
	s_xor_b64 s[4:5], exec, -1
; %bb.22183:
	s_or_b64 exec, exec, s[8:9]
	s_and_b64 s[4:5], s[4:5], exec
	s_or_saveexec_b64 s[6:7], s[6:7]
	v_mov_b32_e32 v6, s10
	s_xor_b64 exec, exec, s[6:7]
	s_cbranch_execnz .LBB1_22184
; %bb.58021:
	s_getpc_b64 s[14:15]
.Lpost_getpc14674:
	s_add_u32 s14, s14, (.LBB1_7846-.Lpost_getpc14674)&4294967295
	s_addc_u32 s15, s15, (.LBB1_7846-.Lpost_getpc14674)>>32
	s_setpc_b64 s[14:15]
.LBB1_22184:
	v_mov_b32_e32 v6, 0
	v_cmp_ne_u16_sdwa s[8:9], v3, v6 src0_sel:BYTE_0 src1_sel:DWORD
	s_andn2_b64 s[4:5], s[4:5], exec
	s_and_b64 s[8:9], s[8:9], exec
	s_or_b64 s[4:5], s[4:5], s[8:9]
	s_or_b64 exec, exec, s[6:7]
	s_and_saveexec_b64 s[6:7], s[4:5]
	s_cbranch_execz .LBB1_32595
; %bb.58023:
	s_getpc_b64 s[14:15]
.Lpost_getpc14675:
	s_add_u32 s14, s14, (.LBB1_7847-.Lpost_getpc14675)&4294967295
	s_addc_u32 s15, s15, (.LBB1_7847-.Lpost_getpc14675)>>32
	s_setpc_b64 s[14:15]
.LBB1_32595:
	s_getpc_b64 s[14:15]
.Lpost_getpc1961:
	s_add_u32 s14, s14, (.LBB1_7848-.Lpost_getpc1961)&4294967295
	s_addc_u32 s15, s15, (.LBB1_7848-.Lpost_getpc1961)>>32
	s_setpc_b64 s[14:15]
.LBB1_22185:
	s_movk_i32 s4, 0x80
	v_cmp_eq_u16_sdwa s[12:13], v6, s4 src0_sel:BYTE_0 src1_sel:DWORD
	s_mov_b64 s[4:5], -1
                                        ; implicit-def: $sgpr10
	s_and_saveexec_b64 s[8:9], s[12:13]
; %bb.22186:
	s_mov_b32 s10, 0x7f800001
	s_xor_b64 s[4:5], exec, -1
; %bb.22187:
	s_or_b64 exec, exec, s[8:9]
	s_and_b64 s[4:5], s[4:5], exec
	s_or_saveexec_b64 s[6:7], s[6:7]
	v_mov_b32_e32 v2, s10
	s_xor_b64 exec, exec, s[6:7]
	s_cbranch_execnz .LBB1_22188
; %bb.58025:
	s_getpc_b64 s[14:15]
.Lpost_getpc14676:
	s_add_u32 s14, s14, (.LBB1_7850-.Lpost_getpc14676)&4294967295
	s_addc_u32 s15, s15, (.LBB1_7850-.Lpost_getpc14676)>>32
	s_setpc_b64 s[14:15]
.LBB1_22188:
	v_mov_b32_e32 v2, 0
	v_cmp_ne_u16_sdwa s[8:9], v6, v2 src0_sel:BYTE_0 src1_sel:DWORD
	s_andn2_b64 s[4:5], s[4:5], exec
	s_and_b64 s[8:9], s[8:9], exec
	s_or_b64 s[4:5], s[4:5], s[8:9]
	s_or_b64 exec, exec, s[6:7]
	s_and_saveexec_b64 s[6:7], s[4:5]
	s_cbranch_execz .LBB1_32597
; %bb.58027:
	s_getpc_b64 s[14:15]
.Lpost_getpc14677:
	s_add_u32 s14, s14, (.LBB1_7851-.Lpost_getpc14677)&4294967295
	s_addc_u32 s15, s15, (.LBB1_7851-.Lpost_getpc14677)>>32
	s_setpc_b64 s[14:15]
.LBB1_32597:
	s_getpc_b64 s[14:15]
.Lpost_getpc1962:
	s_add_u32 s14, s14, (.LBB1_7852-.Lpost_getpc1962)&4294967295
	s_addc_u32 s15, s15, (.LBB1_7852-.Lpost_getpc1962)>>32
	s_setpc_b64 s[14:15]
.LBB1_22189:
	s_movk_i32 s4, 0x80
	v_cmp_eq_u16_sdwa s[12:13], v6, s4 src0_sel:BYTE_0 src1_sel:DWORD
	s_mov_b64 s[4:5], -1
                                        ; implicit-def: $sgpr10
	s_and_saveexec_b64 s[8:9], s[12:13]
; %bb.22190:
	s_mov_b32 s10, 0x7f800001
	s_xor_b64 s[4:5], exec, -1
; %bb.22191:
	s_or_b64 exec, exec, s[8:9]
	s_and_b64 s[4:5], s[4:5], exec
	s_or_saveexec_b64 s[6:7], s[6:7]
	v_mov_b32_e32 v12, s10
	s_xor_b64 exec, exec, s[6:7]
	s_cbranch_execnz .LBB1_22192
; %bb.58029:
	s_getpc_b64 s[14:15]
.Lpost_getpc14678:
	s_add_u32 s14, s14, (.LBB1_7854-.Lpost_getpc14678)&4294967295
	s_addc_u32 s15, s15, (.LBB1_7854-.Lpost_getpc14678)>>32
	s_setpc_b64 s[14:15]
.LBB1_22192:
	v_mov_b32_e32 v12, 0
	v_cmp_ne_u16_sdwa s[8:9], v6, v12 src0_sel:BYTE_0 src1_sel:DWORD
	s_andn2_b64 s[4:5], s[4:5], exec
	s_and_b64 s[8:9], s[8:9], exec
	s_or_b64 s[4:5], s[4:5], s[8:9]
	s_or_b64 exec, exec, s[6:7]
	s_and_saveexec_b64 s[6:7], s[4:5]
	s_cbranch_execz .LBB1_32599
; %bb.58031:
	s_getpc_b64 s[14:15]
.Lpost_getpc14679:
	s_add_u32 s14, s14, (.LBB1_7855-.Lpost_getpc14679)&4294967295
	s_addc_u32 s15, s15, (.LBB1_7855-.Lpost_getpc14679)>>32
	s_setpc_b64 s[14:15]
.LBB1_32599:
	s_getpc_b64 s[14:15]
.Lpost_getpc1963:
	s_add_u32 s14, s14, (.LBB1_7856-.Lpost_getpc1963)&4294967295
	s_addc_u32 s15, s15, (.LBB1_7856-.Lpost_getpc1963)>>32
	s_setpc_b64 s[14:15]
.LBB1_22193:
	s_movk_i32 s4, 0x80
	v_cmp_eq_u16_e32 vcc, s4, v6
	s_mov_b64 s[4:5], -1
                                        ; implicit-def: $sgpr10
	s_and_saveexec_b64 s[8:9], vcc
; %bb.22194:
	s_mov_b32 s10, 0x7f800001
	s_xor_b64 s[4:5], exec, -1
; %bb.22195:
	s_or_b64 exec, exec, s[8:9]
	s_and_b64 s[4:5], s[4:5], exec
                                        ; implicit-def: $vgpr6
	s_or_saveexec_b64 s[6:7], s[6:7]
	v_mov_b32_e32 v2, s10
	s_xor_b64 exec, exec, s[6:7]
	s_cbranch_execnz .LBB1_22196
; %bb.58033:
	s_getpc_b64 s[14:15]
.Lpost_getpc14680:
	s_add_u32 s14, s14, (.LBB1_7858-.Lpost_getpc14680)&4294967295
	s_addc_u32 s15, s15, (.LBB1_7858-.Lpost_getpc14680)>>32
	s_setpc_b64 s[14:15]
.LBB1_22196:
	v_cmp_ne_u16_e32 vcc, 0, v6
	s_andn2_b64 s[4:5], s[4:5], exec
	s_and_b64 s[8:9], vcc, exec
	v_mov_b32_e32 v2, 0
	s_or_b64 s[4:5], s[4:5], s[8:9]
	s_or_b64 exec, exec, s[6:7]
	s_and_saveexec_b64 s[6:7], s[4:5]
	s_cbranch_execz .LBB1_32601
; %bb.58035:
	s_getpc_b64 s[14:15]
.Lpost_getpc14681:
	s_add_u32 s14, s14, (.LBB1_7859-.Lpost_getpc14681)&4294967295
	s_addc_u32 s15, s15, (.LBB1_7859-.Lpost_getpc14681)>>32
	s_setpc_b64 s[14:15]
.LBB1_32601:
	s_getpc_b64 s[14:15]
.Lpost_getpc1964:
	s_add_u32 s14, s14, (.LBB1_7860-.Lpost_getpc1964)&4294967295
	s_addc_u32 s15, s15, (.LBB1_7860-.Lpost_getpc1964)>>32
	s_setpc_b64 s[14:15]
.LBB1_22197:
	s_movk_i32 s4, 0x80
	v_cmp_eq_u16_e32 vcc, s4, v6
	s_mov_b64 s[4:5], -1
                                        ; implicit-def: $sgpr10
	s_and_saveexec_b64 s[8:9], vcc
; %bb.22198:
	s_mov_b32 s10, 0x7f800001
	s_xor_b64 s[4:5], exec, -1
; %bb.22199:
	s_or_b64 exec, exec, s[8:9]
	s_and_b64 s[4:5], s[4:5], exec
                                        ; implicit-def: $vgpr6
	s_or_saveexec_b64 s[6:7], s[6:7]
	v_mov_b32_e32 v12, s10
	s_xor_b64 exec, exec, s[6:7]
	s_cbranch_execnz .LBB1_22200
; %bb.58037:
	s_getpc_b64 s[14:15]
.Lpost_getpc14682:
	s_add_u32 s14, s14, (.LBB1_7862-.Lpost_getpc14682)&4294967295
	s_addc_u32 s15, s15, (.LBB1_7862-.Lpost_getpc14682)>>32
	s_setpc_b64 s[14:15]
.LBB1_22200:
	v_cmp_ne_u16_e32 vcc, 0, v6
	s_andn2_b64 s[4:5], s[4:5], exec
	s_and_b64 s[8:9], vcc, exec
	v_mov_b32_e32 v12, 0
	s_or_b64 s[4:5], s[4:5], s[8:9]
	s_or_b64 exec, exec, s[6:7]
	s_and_saveexec_b64 s[6:7], s[4:5]
	s_cbranch_execz .LBB1_32603
; %bb.58039:
	s_getpc_b64 s[14:15]
.Lpost_getpc14683:
	s_add_u32 s14, s14, (.LBB1_7863-.Lpost_getpc14683)&4294967295
	s_addc_u32 s15, s15, (.LBB1_7863-.Lpost_getpc14683)>>32
	s_setpc_b64 s[14:15]
.LBB1_32603:
	s_getpc_b64 s[14:15]
.Lpost_getpc1965:
	s_add_u32 s14, s14, (.LBB1_7864-.Lpost_getpc1965)&4294967295
	s_addc_u32 s15, s15, (.LBB1_7864-.Lpost_getpc1965)>>32
	s_setpc_b64 s[14:15]
.LBB1_22201:
	s_movk_i32 s4, 0x80
	v_cmp_eq_u16_sdwa s[12:13], v7, s4 src0_sel:BYTE_3 src1_sel:DWORD
	s_mov_b64 s[4:5], -1
                                        ; implicit-def: $sgpr10
	s_and_saveexec_b64 s[8:9], s[12:13]
; %bb.22202:
	s_mov_b32 s10, 0x7f800001
	s_xor_b64 s[4:5], exec, -1
; %bb.22203:
	s_or_b64 exec, exec, s[8:9]
	s_and_b64 s[4:5], s[4:5], exec
	s_or_saveexec_b64 s[6:7], s[6:7]
	v_mov_b32_e32 v2, s10
	s_xor_b64 exec, exec, s[6:7]
	s_cbranch_execnz .LBB1_22204
; %bb.58041:
	s_getpc_b64 s[14:15]
.Lpost_getpc14684:
	s_add_u32 s14, s14, (.LBB1_7866-.Lpost_getpc14684)&4294967295
	s_addc_u32 s15, s15, (.LBB1_7866-.Lpost_getpc14684)>>32
	s_setpc_b64 s[14:15]
.LBB1_22204:
	v_mov_b32_e32 v2, 0
	v_cmp_ne_u16_sdwa s[8:9], v7, v2 src0_sel:BYTE_3 src1_sel:DWORD
	s_andn2_b64 s[4:5], s[4:5], exec
	s_and_b64 s[8:9], s[8:9], exec
	s_or_b64 s[4:5], s[4:5], s[8:9]
	s_or_b64 exec, exec, s[6:7]
	s_and_saveexec_b64 s[6:7], s[4:5]
	s_cbranch_execz .LBB1_32605
; %bb.58043:
	s_getpc_b64 s[14:15]
.Lpost_getpc14685:
	s_add_u32 s14, s14, (.LBB1_7867-.Lpost_getpc14685)&4294967295
	s_addc_u32 s15, s15, (.LBB1_7867-.Lpost_getpc14685)>>32
	s_setpc_b64 s[14:15]
.LBB1_32605:
	s_getpc_b64 s[14:15]
.Lpost_getpc1966:
	s_add_u32 s14, s14, (.LBB1_7868-.Lpost_getpc1966)&4294967295
	s_addc_u32 s15, s15, (.LBB1_7868-.Lpost_getpc1966)>>32
	s_setpc_b64 s[14:15]
.LBB1_22205:
	s_movk_i32 s4, 0x80
	v_cmp_eq_u16_sdwa s[12:13], v3, s4 src0_sel:BYTE_3 src1_sel:DWORD
	s_mov_b64 s[4:5], -1
                                        ; implicit-def: $sgpr10
	s_and_saveexec_b64 s[8:9], s[12:13]
; %bb.22206:
	s_mov_b32 s10, 0x7f800001
	s_xor_b64 s[4:5], exec, -1
; %bb.22207:
	s_or_b64 exec, exec, s[8:9]
	s_and_b64 s[4:5], s[4:5], exec
	s_or_saveexec_b64 s[6:7], s[6:7]
	v_mov_b32_e32 v6, s10
	s_xor_b64 exec, exec, s[6:7]
	s_cbranch_execnz .LBB1_22208
; %bb.58045:
	s_getpc_b64 s[14:15]
.Lpost_getpc14686:
	s_add_u32 s14, s14, (.LBB1_7870-.Lpost_getpc14686)&4294967295
	s_addc_u32 s15, s15, (.LBB1_7870-.Lpost_getpc14686)>>32
	s_setpc_b64 s[14:15]
.LBB1_22208:
	v_mov_b32_e32 v6, 0
	v_cmp_ne_u16_sdwa s[8:9], v3, v6 src0_sel:BYTE_3 src1_sel:DWORD
	s_andn2_b64 s[4:5], s[4:5], exec
	s_and_b64 s[8:9], s[8:9], exec
	s_or_b64 s[4:5], s[4:5], s[8:9]
	s_or_b64 exec, exec, s[6:7]
	s_and_saveexec_b64 s[6:7], s[4:5]
	s_cbranch_execz .LBB1_32607
; %bb.58047:
	s_getpc_b64 s[14:15]
.Lpost_getpc14687:
	s_add_u32 s14, s14, (.LBB1_7871-.Lpost_getpc14687)&4294967295
	s_addc_u32 s15, s15, (.LBB1_7871-.Lpost_getpc14687)>>32
	s_setpc_b64 s[14:15]
.LBB1_32607:
	s_getpc_b64 s[14:15]
.Lpost_getpc1967:
	s_add_u32 s14, s14, (.LBB1_7872-.Lpost_getpc1967)&4294967295
	s_addc_u32 s15, s15, (.LBB1_7872-.Lpost_getpc1967)>>32
	s_setpc_b64 s[14:15]
.LBB1_22209:
	s_movk_i32 s4, 0x80
	v_cmp_eq_u16_sdwa s[12:13], v8, s4 src0_sel:BYTE_0 src1_sel:DWORD
	s_mov_b64 s[4:5], -1
                                        ; implicit-def: $sgpr10
	s_and_saveexec_b64 s[8:9], s[12:13]
; %bb.22210:
	s_mov_b32 s10, 0x7f800001
	s_xor_b64 s[4:5], exec, -1
; %bb.22211:
	s_or_b64 exec, exec, s[8:9]
	s_and_b64 s[4:5], s[4:5], exec
	s_or_saveexec_b64 s[6:7], s[6:7]
	v_mov_b32_e32 v2, s10
	s_xor_b64 exec, exec, s[6:7]
	s_cbranch_execnz .LBB1_22212
; %bb.58049:
	s_getpc_b64 s[14:15]
.Lpost_getpc14688:
	s_add_u32 s14, s14, (.LBB1_7874-.Lpost_getpc14688)&4294967295
	s_addc_u32 s15, s15, (.LBB1_7874-.Lpost_getpc14688)>>32
	s_setpc_b64 s[14:15]
.LBB1_22212:
	v_mov_b32_e32 v2, 0
	v_cmp_ne_u16_sdwa s[8:9], v8, v2 src0_sel:BYTE_0 src1_sel:DWORD
	s_andn2_b64 s[4:5], s[4:5], exec
	s_and_b64 s[8:9], s[8:9], exec
	s_or_b64 s[4:5], s[4:5], s[8:9]
	s_or_b64 exec, exec, s[6:7]
	s_and_saveexec_b64 s[6:7], s[4:5]
	s_cbranch_execz .LBB1_32609
; %bb.58051:
	s_getpc_b64 s[14:15]
.Lpost_getpc14689:
	s_add_u32 s14, s14, (.LBB1_7875-.Lpost_getpc14689)&4294967295
	s_addc_u32 s15, s15, (.LBB1_7875-.Lpost_getpc14689)>>32
	s_setpc_b64 s[14:15]
.LBB1_32609:
	s_getpc_b64 s[14:15]
.Lpost_getpc1968:
	s_add_u32 s14, s14, (.LBB1_7876-.Lpost_getpc1968)&4294967295
	s_addc_u32 s15, s15, (.LBB1_7876-.Lpost_getpc1968)>>32
	s_setpc_b64 s[14:15]
.LBB1_22213:
	s_movk_i32 s4, 0x80
	v_cmp_eq_u16_sdwa s[12:13], v4, s4 src0_sel:BYTE_0 src1_sel:DWORD
	s_mov_b64 s[4:5], -1
                                        ; implicit-def: $sgpr10
	s_and_saveexec_b64 s[8:9], s[12:13]
; %bb.22214:
	s_mov_b32 s10, 0x7f800001
	s_xor_b64 s[4:5], exec, -1
; %bb.22215:
	s_or_b64 exec, exec, s[8:9]
	s_and_b64 s[4:5], s[4:5], exec
	s_or_saveexec_b64 s[6:7], s[6:7]
	v_mov_b32_e32 v3, s10
	s_xor_b64 exec, exec, s[6:7]
	s_cbranch_execnz .LBB1_22216
; %bb.58053:
	s_getpc_b64 s[14:15]
.Lpost_getpc14690:
	s_add_u32 s14, s14, (.LBB1_7878-.Lpost_getpc14690)&4294967295
	s_addc_u32 s15, s15, (.LBB1_7878-.Lpost_getpc14690)>>32
	s_setpc_b64 s[14:15]
.LBB1_22216:
	v_mov_b32_e32 v3, 0
	v_cmp_ne_u16_sdwa s[8:9], v4, v3 src0_sel:BYTE_0 src1_sel:DWORD
	s_andn2_b64 s[4:5], s[4:5], exec
	s_and_b64 s[8:9], s[8:9], exec
	s_or_b64 s[4:5], s[4:5], s[8:9]
	s_or_b64 exec, exec, s[6:7]
	s_and_saveexec_b64 s[6:7], s[4:5]
	s_cbranch_execz .LBB1_32611
; %bb.58055:
	s_getpc_b64 s[14:15]
.Lpost_getpc14691:
	s_add_u32 s14, s14, (.LBB1_7879-.Lpost_getpc14691)&4294967295
	s_addc_u32 s15, s15, (.LBB1_7879-.Lpost_getpc14691)>>32
	s_setpc_b64 s[14:15]
.LBB1_32611:
	s_getpc_b64 s[14:15]
.Lpost_getpc1969:
	s_add_u32 s14, s14, (.LBB1_7880-.Lpost_getpc1969)&4294967295
	s_addc_u32 s15, s15, (.LBB1_7880-.Lpost_getpc1969)>>32
	s_setpc_b64 s[14:15]
.LBB1_22217:
	s_movk_i32 s4, 0x80
	v_cmp_eq_u16_sdwa s[12:13], v3, s4 src0_sel:BYTE_0 src1_sel:DWORD
	s_mov_b64 s[4:5], -1
                                        ; implicit-def: $sgpr10
	s_and_saveexec_b64 s[8:9], s[12:13]
; %bb.22218:
	s_mov_b32 s10, 0x7f800001
	s_xor_b64 s[4:5], exec, -1
; %bb.22219:
	s_or_b64 exec, exec, s[8:9]
	s_and_b64 s[4:5], s[4:5], exec
	s_or_saveexec_b64 s[6:7], s[6:7]
	v_mov_b32_e32 v2, s10
	s_xor_b64 exec, exec, s[6:7]
	s_cbranch_execnz .LBB1_22220
; %bb.58057:
	s_getpc_b64 s[14:15]
.Lpost_getpc14692:
	s_add_u32 s14, s14, (.LBB1_7882-.Lpost_getpc14692)&4294967295
	s_addc_u32 s15, s15, (.LBB1_7882-.Lpost_getpc14692)>>32
	s_setpc_b64 s[14:15]
.LBB1_22220:
	v_mov_b32_e32 v2, 0
	v_cmp_ne_u16_sdwa s[8:9], v3, v2 src0_sel:BYTE_0 src1_sel:DWORD
	s_andn2_b64 s[4:5], s[4:5], exec
	s_and_b64 s[8:9], s[8:9], exec
	s_or_b64 s[4:5], s[4:5], s[8:9]
	s_or_b64 exec, exec, s[6:7]
	s_and_saveexec_b64 s[6:7], s[4:5]
	s_cbranch_execz .LBB1_32613
; %bb.58059:
	s_getpc_b64 s[14:15]
.Lpost_getpc14693:
	s_add_u32 s14, s14, (.LBB1_7883-.Lpost_getpc14693)&4294967295
	s_addc_u32 s15, s15, (.LBB1_7883-.Lpost_getpc14693)>>32
	s_setpc_b64 s[14:15]
.LBB1_32613:
	s_getpc_b64 s[14:15]
.Lpost_getpc1970:
	s_add_u32 s14, s14, (.LBB1_7884-.Lpost_getpc1970)&4294967295
	s_addc_u32 s15, s15, (.LBB1_7884-.Lpost_getpc1970)>>32
	s_setpc_b64 s[14:15]
.LBB1_22221:
	s_movk_i32 s4, 0x80
	v_cmp_eq_u16_sdwa s[12:13], v3, s4 src0_sel:BYTE_0 src1_sel:DWORD
	s_mov_b64 s[4:5], -1
                                        ; implicit-def: $sgpr10
	s_and_saveexec_b64 s[8:9], s[12:13]
; %bb.22222:
	s_mov_b32 s10, 0x7f800001
	s_xor_b64 s[4:5], exec, -1
; %bb.22223:
	s_or_b64 exec, exec, s[8:9]
	s_and_b64 s[4:5], s[4:5], exec
	s_or_saveexec_b64 s[6:7], s[6:7]
	v_mov_b32_e32 v6, s10
	s_xor_b64 exec, exec, s[6:7]
	s_cbranch_execnz .LBB1_22224
; %bb.58061:
	s_getpc_b64 s[14:15]
.Lpost_getpc14694:
	s_add_u32 s14, s14, (.LBB1_7886-.Lpost_getpc14694)&4294967295
	s_addc_u32 s15, s15, (.LBB1_7886-.Lpost_getpc14694)>>32
	s_setpc_b64 s[14:15]
.LBB1_22224:
	v_mov_b32_e32 v6, 0
	v_cmp_ne_u16_sdwa s[8:9], v3, v6 src0_sel:BYTE_0 src1_sel:DWORD
	s_andn2_b64 s[4:5], s[4:5], exec
	s_and_b64 s[8:9], s[8:9], exec
	s_or_b64 s[4:5], s[4:5], s[8:9]
	s_or_b64 exec, exec, s[6:7]
	s_and_saveexec_b64 s[6:7], s[4:5]
	s_cbranch_execz .LBB1_32615
; %bb.58063:
	s_getpc_b64 s[14:15]
.Lpost_getpc14695:
	s_add_u32 s14, s14, (.LBB1_7887-.Lpost_getpc14695)&4294967295
	s_addc_u32 s15, s15, (.LBB1_7887-.Lpost_getpc14695)>>32
	s_setpc_b64 s[14:15]
.LBB1_32615:
	s_getpc_b64 s[14:15]
.Lpost_getpc1971:
	s_add_u32 s14, s14, (.LBB1_7888-.Lpost_getpc1971)&4294967295
	s_addc_u32 s15, s15, (.LBB1_7888-.Lpost_getpc1971)>>32
	s_setpc_b64 s[14:15]
.LBB1_22225:
	s_movk_i32 s4, 0x80
	v_cmp_eq_u16_e32 vcc, s4, v3
	s_mov_b64 s[4:5], -1
                                        ; implicit-def: $sgpr10
	s_and_saveexec_b64 s[8:9], vcc
; %bb.22226:
	s_mov_b32 s10, 0x7f800001
	s_xor_b64 s[4:5], exec, -1
; %bb.22227:
	s_or_b64 exec, exec, s[8:9]
	s_and_b64 s[4:5], s[4:5], exec
                                        ; implicit-def: $vgpr3
	s_or_saveexec_b64 s[6:7], s[6:7]
	v_mov_b32_e32 v2, s10
	s_xor_b64 exec, exec, s[6:7]
	s_cbranch_execnz .LBB1_22228
; %bb.58065:
	s_getpc_b64 s[14:15]
.Lpost_getpc14696:
	s_add_u32 s14, s14, (.LBB1_7890-.Lpost_getpc14696)&4294967295
	s_addc_u32 s15, s15, (.LBB1_7890-.Lpost_getpc14696)>>32
	s_setpc_b64 s[14:15]
.LBB1_22228:
	v_cmp_ne_u16_e32 vcc, 0, v3
	s_andn2_b64 s[4:5], s[4:5], exec
	s_and_b64 s[8:9], vcc, exec
	v_mov_b32_e32 v2, 0
	s_or_b64 s[4:5], s[4:5], s[8:9]
	s_or_b64 exec, exec, s[6:7]
	s_and_saveexec_b64 s[6:7], s[4:5]
	s_cbranch_execz .LBB1_32617
; %bb.58067:
	s_getpc_b64 s[14:15]
.Lpost_getpc14697:
	s_add_u32 s14, s14, (.LBB1_7891-.Lpost_getpc14697)&4294967295
	s_addc_u32 s15, s15, (.LBB1_7891-.Lpost_getpc14697)>>32
	s_setpc_b64 s[14:15]
.LBB1_32617:
	s_getpc_b64 s[14:15]
.Lpost_getpc1972:
	s_add_u32 s14, s14, (.LBB1_7892-.Lpost_getpc1972)&4294967295
	s_addc_u32 s15, s15, (.LBB1_7892-.Lpost_getpc1972)>>32
	s_setpc_b64 s[14:15]
.LBB1_22229:
	s_movk_i32 s4, 0x80
	v_cmp_eq_u16_e32 vcc, s4, v3
	s_mov_b64 s[4:5], -1
                                        ; implicit-def: $sgpr10
	s_and_saveexec_b64 s[8:9], vcc
; %bb.22230:
	s_mov_b32 s10, 0x7f800001
	s_xor_b64 s[4:5], exec, -1
; %bb.22231:
	s_or_b64 exec, exec, s[8:9]
	s_and_b64 s[4:5], s[4:5], exec
                                        ; implicit-def: $vgpr3
	s_or_saveexec_b64 s[6:7], s[6:7]
	v_mov_b32_e32 v6, s10
	s_xor_b64 exec, exec, s[6:7]
	s_cbranch_execnz .LBB1_22232
; %bb.58069:
	s_getpc_b64 s[14:15]
.Lpost_getpc14698:
	s_add_u32 s14, s14, (.LBB1_7894-.Lpost_getpc14698)&4294967295
	s_addc_u32 s15, s15, (.LBB1_7894-.Lpost_getpc14698)>>32
	s_setpc_b64 s[14:15]
.LBB1_22232:
	v_cmp_ne_u16_e32 vcc, 0, v3
	s_andn2_b64 s[4:5], s[4:5], exec
	s_and_b64 s[8:9], vcc, exec
	v_mov_b32_e32 v6, 0
	s_or_b64 s[4:5], s[4:5], s[8:9]
	s_or_b64 exec, exec, s[6:7]
	s_and_saveexec_b64 s[6:7], s[4:5]
	s_cbranch_execz .LBB1_32619
; %bb.58071:
	s_getpc_b64 s[14:15]
.Lpost_getpc14699:
	s_add_u32 s14, s14, (.LBB1_7895-.Lpost_getpc14699)&4294967295
	s_addc_u32 s15, s15, (.LBB1_7895-.Lpost_getpc14699)>>32
	s_setpc_b64 s[14:15]
.LBB1_32619:
	s_getpc_b64 s[14:15]
.Lpost_getpc1973:
	s_add_u32 s14, s14, (.LBB1_7896-.Lpost_getpc1973)&4294967295
	s_addc_u32 s15, s15, (.LBB1_7896-.Lpost_getpc1973)>>32
	s_setpc_b64 s[14:15]
.LBB1_22233:
	s_movk_i32 s4, 0x80
	v_cmp_eq_u16_sdwa s[12:13], v8, s4 src0_sel:BYTE_3 src1_sel:DWORD
	s_mov_b64 s[4:5], -1
                                        ; implicit-def: $sgpr10
	s_and_saveexec_b64 s[8:9], s[12:13]
; %bb.22234:
	s_mov_b32 s10, 0x7f800001
	s_xor_b64 s[4:5], exec, -1
; %bb.22235:
	s_or_b64 exec, exec, s[8:9]
	s_and_b64 s[4:5], s[4:5], exec
	s_or_saveexec_b64 s[6:7], s[6:7]
	v_mov_b32_e32 v2, s10
	s_xor_b64 exec, exec, s[6:7]
	s_cbranch_execnz .LBB1_22236
; %bb.58073:
	s_getpc_b64 s[14:15]
.Lpost_getpc14700:
	s_add_u32 s14, s14, (.LBB1_7898-.Lpost_getpc14700)&4294967295
	s_addc_u32 s15, s15, (.LBB1_7898-.Lpost_getpc14700)>>32
	s_setpc_b64 s[14:15]
.LBB1_22236:
	v_mov_b32_e32 v2, 0
	v_cmp_ne_u16_sdwa s[8:9], v8, v2 src0_sel:BYTE_3 src1_sel:DWORD
	s_andn2_b64 s[4:5], s[4:5], exec
	s_and_b64 s[8:9], s[8:9], exec
	s_or_b64 s[4:5], s[4:5], s[8:9]
	s_or_b64 exec, exec, s[6:7]
	s_and_saveexec_b64 s[6:7], s[4:5]
	s_cbranch_execz .LBB1_32621
; %bb.58075:
	s_getpc_b64 s[14:15]
.Lpost_getpc14701:
	s_add_u32 s14, s14, (.LBB1_7899-.Lpost_getpc14701)&4294967295
	s_addc_u32 s15, s15, (.LBB1_7899-.Lpost_getpc14701)>>32
	s_setpc_b64 s[14:15]
.LBB1_32621:
	s_getpc_b64 s[14:15]
.Lpost_getpc1974:
	s_add_u32 s14, s14, (.LBB1_7900-.Lpost_getpc1974)&4294967295
	s_addc_u32 s15, s15, (.LBB1_7900-.Lpost_getpc1974)>>32
	s_setpc_b64 s[14:15]
.LBB1_22237:
	s_movk_i32 s4, 0x80
	v_cmp_eq_u16_sdwa s[12:13], v4, s4 src0_sel:BYTE_3 src1_sel:DWORD
	s_mov_b64 s[4:5], -1
                                        ; implicit-def: $sgpr10
	s_and_saveexec_b64 s[8:9], s[12:13]
; %bb.22238:
	s_mov_b32 s10, 0x7f800001
	s_xor_b64 s[4:5], exec, -1
; %bb.22239:
	s_or_b64 exec, exec, s[8:9]
	s_and_b64 s[4:5], s[4:5], exec
	s_or_saveexec_b64 s[6:7], s[6:7]
	v_mov_b32_e32 v3, s10
	s_xor_b64 exec, exec, s[6:7]
	s_cbranch_execnz .LBB1_22240
; %bb.58077:
	s_getpc_b64 s[14:15]
.Lpost_getpc14702:
	s_add_u32 s14, s14, (.LBB1_7902-.Lpost_getpc14702)&4294967295
	s_addc_u32 s15, s15, (.LBB1_7902-.Lpost_getpc14702)>>32
	s_setpc_b64 s[14:15]
.LBB1_22240:
	v_mov_b32_e32 v3, 0
	v_cmp_ne_u16_sdwa s[8:9], v4, v3 src0_sel:BYTE_3 src1_sel:DWORD
	s_andn2_b64 s[4:5], s[4:5], exec
	s_and_b64 s[8:9], s[8:9], exec
	s_or_b64 s[4:5], s[4:5], s[8:9]
	s_or_b64 exec, exec, s[6:7]
	s_and_saveexec_b64 s[6:7], s[4:5]
	s_cbranch_execz .LBB1_32623
; %bb.58079:
	s_getpc_b64 s[14:15]
.Lpost_getpc14703:
	s_add_u32 s14, s14, (.LBB1_7903-.Lpost_getpc14703)&4294967295
	s_addc_u32 s15, s15, (.LBB1_7903-.Lpost_getpc14703)>>32
	s_setpc_b64 s[14:15]
.LBB1_32623:
	s_getpc_b64 s[14:15]
.Lpost_getpc1975:
	s_add_u32 s14, s14, (.LBB1_7904-.Lpost_getpc1975)&4294967295
	s_addc_u32 s15, s15, (.LBB1_7904-.Lpost_getpc1975)>>32
	s_setpc_b64 s[14:15]
.LBB1_22241:
	s_movk_i32 s4, 0x80
	v_cmp_eq_u16_sdwa s[12:13], v9, s4 src0_sel:BYTE_0 src1_sel:DWORD
	s_mov_b64 s[4:5], -1
                                        ; implicit-def: $sgpr10
	s_and_saveexec_b64 s[8:9], s[12:13]
; %bb.22242:
	s_mov_b32 s10, 0x7f800001
	s_xor_b64 s[4:5], exec, -1
; %bb.22243:
	s_or_b64 exec, exec, s[8:9]
	s_and_b64 s[4:5], s[4:5], exec
	s_or_saveexec_b64 s[6:7], s[6:7]
	v_mov_b32_e32 v2, s10
	s_xor_b64 exec, exec, s[6:7]
	s_cbranch_execnz .LBB1_22244
; %bb.58081:
	s_getpc_b64 s[14:15]
.Lpost_getpc14704:
	s_add_u32 s14, s14, (.LBB1_7906-.Lpost_getpc14704)&4294967295
	s_addc_u32 s15, s15, (.LBB1_7906-.Lpost_getpc14704)>>32
	s_setpc_b64 s[14:15]
.LBB1_22244:
	v_mov_b32_e32 v2, 0
	v_cmp_ne_u16_sdwa s[8:9], v9, v2 src0_sel:BYTE_0 src1_sel:DWORD
	s_andn2_b64 s[4:5], s[4:5], exec
	s_and_b64 s[8:9], s[8:9], exec
	s_or_b64 s[4:5], s[4:5], s[8:9]
	s_or_b64 exec, exec, s[6:7]
	s_and_saveexec_b64 s[6:7], s[4:5]
	s_cbranch_execz .LBB1_32625
; %bb.58083:
	s_getpc_b64 s[14:15]
.Lpost_getpc14705:
	s_add_u32 s14, s14, (.LBB1_7907-.Lpost_getpc14705)&4294967295
	s_addc_u32 s15, s15, (.LBB1_7907-.Lpost_getpc14705)>>32
	s_setpc_b64 s[14:15]
.LBB1_32625:
	s_getpc_b64 s[14:15]
.Lpost_getpc1976:
	s_add_u32 s14, s14, (.LBB1_7908-.Lpost_getpc1976)&4294967295
	s_addc_u32 s15, s15, (.LBB1_7908-.Lpost_getpc1976)>>32
	s_setpc_b64 s[14:15]
.LBB1_22245:
	s_movk_i32 s4, 0x80
	v_cmp_eq_u16_sdwa s[12:13], v5, s4 src0_sel:BYTE_0 src1_sel:DWORD
	s_mov_b64 s[4:5], -1
                                        ; implicit-def: $sgpr10
	s_and_saveexec_b64 s[8:9], s[12:13]
; %bb.22246:
	s_mov_b32 s10, 0x7f800001
	s_xor_b64 s[4:5], exec, -1
; %bb.22247:
	s_or_b64 exec, exec, s[8:9]
	s_and_b64 s[4:5], s[4:5], exec
	s_or_saveexec_b64 s[6:7], s[6:7]
	v_mov_b32_e32 v3, s10
	s_xor_b64 exec, exec, s[6:7]
	s_cbranch_execnz .LBB1_22248
; %bb.58085:
	s_getpc_b64 s[14:15]
.Lpost_getpc14706:
	s_add_u32 s14, s14, (.LBB1_7910-.Lpost_getpc14706)&4294967295
	s_addc_u32 s15, s15, (.LBB1_7910-.Lpost_getpc14706)>>32
	s_setpc_b64 s[14:15]
.LBB1_22248:
	v_mov_b32_e32 v3, 0
	v_cmp_ne_u16_sdwa s[8:9], v5, v3 src0_sel:BYTE_0 src1_sel:DWORD
	s_andn2_b64 s[4:5], s[4:5], exec
	s_and_b64 s[8:9], s[8:9], exec
	s_or_b64 s[4:5], s[4:5], s[8:9]
	s_or_b64 exec, exec, s[6:7]
	s_and_saveexec_b64 s[6:7], s[4:5]
	s_cbranch_execz .LBB1_32627
; %bb.58087:
	s_getpc_b64 s[14:15]
.Lpost_getpc14707:
	s_add_u32 s14, s14, (.LBB1_7911-.Lpost_getpc14707)&4294967295
	s_addc_u32 s15, s15, (.LBB1_7911-.Lpost_getpc14707)>>32
	s_setpc_b64 s[14:15]
.LBB1_32627:
	s_getpc_b64 s[14:15]
.Lpost_getpc1977:
	s_add_u32 s14, s14, (.LBB1_7912-.Lpost_getpc1977)&4294967295
	s_addc_u32 s15, s15, (.LBB1_7912-.Lpost_getpc1977)>>32
	s_setpc_b64 s[14:15]
.LBB1_22249:
	s_movk_i32 s4, 0x80
	v_cmp_eq_u16_sdwa s[12:13], v3, s4 src0_sel:BYTE_0 src1_sel:DWORD
	s_mov_b64 s[4:5], -1
                                        ; implicit-def: $sgpr10
	s_and_saveexec_b64 s[8:9], s[12:13]
; %bb.22250:
	s_mov_b32 s10, 0x7f800001
	s_xor_b64 s[4:5], exec, -1
; %bb.22251:
	s_or_b64 exec, exec, s[8:9]
	s_and_b64 s[4:5], s[4:5], exec
	s_or_saveexec_b64 s[6:7], s[6:7]
	v_mov_b32_e32 v2, s10
	s_xor_b64 exec, exec, s[6:7]
	s_cbranch_execnz .LBB1_22252
; %bb.58089:
	s_getpc_b64 s[14:15]
.Lpost_getpc14708:
	s_add_u32 s14, s14, (.LBB1_7914-.Lpost_getpc14708)&4294967295
	s_addc_u32 s15, s15, (.LBB1_7914-.Lpost_getpc14708)>>32
	s_setpc_b64 s[14:15]
.LBB1_22252:
	v_mov_b32_e32 v2, 0
	v_cmp_ne_u16_sdwa s[8:9], v3, v2 src0_sel:BYTE_0 src1_sel:DWORD
	s_andn2_b64 s[4:5], s[4:5], exec
	s_and_b64 s[8:9], s[8:9], exec
	s_or_b64 s[4:5], s[4:5], s[8:9]
	s_or_b64 exec, exec, s[6:7]
	s_and_saveexec_b64 s[6:7], s[4:5]
	s_cbranch_execz .LBB1_32629
; %bb.58091:
	s_getpc_b64 s[14:15]
.Lpost_getpc14709:
	s_add_u32 s14, s14, (.LBB1_7915-.Lpost_getpc14709)&4294967295
	s_addc_u32 s15, s15, (.LBB1_7915-.Lpost_getpc14709)>>32
	s_setpc_b64 s[14:15]
.LBB1_32629:
	s_getpc_b64 s[14:15]
.Lpost_getpc1978:
	s_add_u32 s14, s14, (.LBB1_7916-.Lpost_getpc1978)&4294967295
	s_addc_u32 s15, s15, (.LBB1_7916-.Lpost_getpc1978)>>32
	s_setpc_b64 s[14:15]
.LBB1_22253:
	s_movk_i32 s4, 0x80
	v_cmp_eq_u16_sdwa s[12:13], v3, s4 src0_sel:BYTE_0 src1_sel:DWORD
	s_mov_b64 s[4:5], -1
                                        ; implicit-def: $sgpr10
	s_and_saveexec_b64 s[8:9], s[12:13]
; %bb.22254:
	s_mov_b32 s10, 0x7f800001
	s_xor_b64 s[4:5], exec, -1
; %bb.22255:
	s_or_b64 exec, exec, s[8:9]
	s_and_b64 s[4:5], s[4:5], exec
	s_or_saveexec_b64 s[6:7], s[6:7]
	v_mov_b32_e32 v4, s10
	s_xor_b64 exec, exec, s[6:7]
	s_cbranch_execnz .LBB1_22256
; %bb.58093:
	s_getpc_b64 s[14:15]
.Lpost_getpc14710:
	s_add_u32 s14, s14, (.LBB1_7918-.Lpost_getpc14710)&4294967295
	s_addc_u32 s15, s15, (.LBB1_7918-.Lpost_getpc14710)>>32
	s_setpc_b64 s[14:15]
.LBB1_22256:
	v_mov_b32_e32 v4, 0
	v_cmp_ne_u16_sdwa s[8:9], v3, v4 src0_sel:BYTE_0 src1_sel:DWORD
	s_andn2_b64 s[4:5], s[4:5], exec
	s_and_b64 s[8:9], s[8:9], exec
	s_or_b64 s[4:5], s[4:5], s[8:9]
	s_or_b64 exec, exec, s[6:7]
	s_and_saveexec_b64 s[6:7], s[4:5]
	s_cbranch_execz .LBB1_32631
; %bb.58095:
	s_getpc_b64 s[14:15]
.Lpost_getpc14711:
	s_add_u32 s14, s14, (.LBB1_7919-.Lpost_getpc14711)&4294967295
	s_addc_u32 s15, s15, (.LBB1_7919-.Lpost_getpc14711)>>32
	s_setpc_b64 s[14:15]
.LBB1_32631:
	s_getpc_b64 s[14:15]
.Lpost_getpc1979:
	s_add_u32 s14, s14, (.LBB1_7920-.Lpost_getpc1979)&4294967295
	s_addc_u32 s15, s15, (.LBB1_7920-.Lpost_getpc1979)>>32
	s_setpc_b64 s[14:15]
.LBB1_22257:
	s_movk_i32 s4, 0x80
	v_cmp_eq_u16_e32 vcc, s4, v3
	s_mov_b64 s[4:5], -1
                                        ; implicit-def: $sgpr10
	s_and_saveexec_b64 s[8:9], vcc
; %bb.22258:
	s_mov_b32 s10, 0x7f800001
	s_xor_b64 s[4:5], exec, -1
; %bb.22259:
	s_or_b64 exec, exec, s[8:9]
	s_and_b64 s[4:5], s[4:5], exec
                                        ; implicit-def: $vgpr3
	s_or_saveexec_b64 s[6:7], s[6:7]
	v_mov_b32_e32 v2, s10
	s_xor_b64 exec, exec, s[6:7]
	s_cbranch_execnz .LBB1_22260
; %bb.58097:
	s_getpc_b64 s[14:15]
.Lpost_getpc14712:
	s_add_u32 s14, s14, (.LBB1_7922-.Lpost_getpc14712)&4294967295
	s_addc_u32 s15, s15, (.LBB1_7922-.Lpost_getpc14712)>>32
	s_setpc_b64 s[14:15]
.LBB1_22260:
	v_cmp_ne_u16_e32 vcc, 0, v3
	s_andn2_b64 s[4:5], s[4:5], exec
	s_and_b64 s[8:9], vcc, exec
	v_mov_b32_e32 v2, 0
	s_or_b64 s[4:5], s[4:5], s[8:9]
	s_or_b64 exec, exec, s[6:7]
	s_and_saveexec_b64 s[6:7], s[4:5]
	s_cbranch_execz .LBB1_32633
; %bb.58099:
	s_getpc_b64 s[14:15]
.Lpost_getpc14713:
	s_add_u32 s14, s14, (.LBB1_7923-.Lpost_getpc14713)&4294967295
	s_addc_u32 s15, s15, (.LBB1_7923-.Lpost_getpc14713)>>32
	s_setpc_b64 s[14:15]
.LBB1_32633:
	s_getpc_b64 s[14:15]
.Lpost_getpc1980:
	s_add_u32 s14, s14, (.LBB1_7924-.Lpost_getpc1980)&4294967295
	s_addc_u32 s15, s15, (.LBB1_7924-.Lpost_getpc1980)>>32
	s_setpc_b64 s[14:15]
.LBB1_22261:
	s_movk_i32 s4, 0x80
	v_cmp_eq_u16_e32 vcc, s4, v3
	s_mov_b64 s[4:5], -1
                                        ; implicit-def: $sgpr10
	s_and_saveexec_b64 s[8:9], vcc
; %bb.22262:
	s_mov_b32 s10, 0x7f800001
	s_xor_b64 s[4:5], exec, -1
; %bb.22263:
	s_or_b64 exec, exec, s[8:9]
	s_and_b64 s[4:5], s[4:5], exec
                                        ; implicit-def: $vgpr3
	s_or_saveexec_b64 s[6:7], s[6:7]
	v_mov_b32_e32 v4, s10
	s_xor_b64 exec, exec, s[6:7]
	s_cbranch_execnz .LBB1_22264
; %bb.58101:
	s_getpc_b64 s[14:15]
.Lpost_getpc14714:
	s_add_u32 s14, s14, (.LBB1_7926-.Lpost_getpc14714)&4294967295
	s_addc_u32 s15, s15, (.LBB1_7926-.Lpost_getpc14714)>>32
	s_setpc_b64 s[14:15]
.LBB1_22264:
	v_cmp_ne_u16_e32 vcc, 0, v3
	s_andn2_b64 s[4:5], s[4:5], exec
	s_and_b64 s[8:9], vcc, exec
	v_mov_b32_e32 v4, 0
	s_or_b64 s[4:5], s[4:5], s[8:9]
	s_or_b64 exec, exec, s[6:7]
	s_and_saveexec_b64 s[6:7], s[4:5]
	s_cbranch_execz .LBB1_32635
; %bb.58103:
	s_getpc_b64 s[14:15]
.Lpost_getpc14715:
	s_add_u32 s14, s14, (.LBB1_7927-.Lpost_getpc14715)&4294967295
	s_addc_u32 s15, s15, (.LBB1_7927-.Lpost_getpc14715)>>32
	s_setpc_b64 s[14:15]
.LBB1_32635:
	s_getpc_b64 s[14:15]
.Lpost_getpc1981:
	s_add_u32 s14, s14, (.LBB1_7928-.Lpost_getpc1981)&4294967295
	s_addc_u32 s15, s15, (.LBB1_7928-.Lpost_getpc1981)>>32
	s_setpc_b64 s[14:15]
.LBB1_22265:
	s_movk_i32 s4, 0x80
	v_cmp_eq_u16_sdwa s[12:13], v9, s4 src0_sel:BYTE_3 src1_sel:DWORD
	s_mov_b64 s[4:5], -1
                                        ; implicit-def: $sgpr10
	s_and_saveexec_b64 s[8:9], s[12:13]
; %bb.22266:
	s_mov_b32 s10, 0x7f800001
	s_xor_b64 s[4:5], exec, -1
; %bb.22267:
	s_or_b64 exec, exec, s[8:9]
	s_and_b64 s[4:5], s[4:5], exec
	s_or_saveexec_b64 s[6:7], s[6:7]
	v_mov_b32_e32 v2, s10
	s_xor_b64 exec, exec, s[6:7]
	s_cbranch_execnz .LBB1_22268
; %bb.58105:
	s_getpc_b64 s[14:15]
.Lpost_getpc14716:
	s_add_u32 s14, s14, (.LBB1_7930-.Lpost_getpc14716)&4294967295
	s_addc_u32 s15, s15, (.LBB1_7930-.Lpost_getpc14716)>>32
	s_setpc_b64 s[14:15]
.LBB1_22268:
	v_mov_b32_e32 v2, 0
	v_cmp_ne_u16_sdwa s[8:9], v9, v2 src0_sel:BYTE_3 src1_sel:DWORD
	s_andn2_b64 s[4:5], s[4:5], exec
	s_and_b64 s[8:9], s[8:9], exec
	s_or_b64 s[4:5], s[4:5], s[8:9]
	s_or_b64 exec, exec, s[6:7]
	s_and_saveexec_b64 s[6:7], s[4:5]
	s_cbranch_execz .LBB1_32637
; %bb.58107:
	s_getpc_b64 s[14:15]
.Lpost_getpc14717:
	s_add_u32 s14, s14, (.LBB1_7931-.Lpost_getpc14717)&4294967295
	s_addc_u32 s15, s15, (.LBB1_7931-.Lpost_getpc14717)>>32
	s_setpc_b64 s[14:15]
.LBB1_32637:
	s_getpc_b64 s[14:15]
.Lpost_getpc1982:
	s_add_u32 s14, s14, (.LBB1_7932-.Lpost_getpc1982)&4294967295
	s_addc_u32 s15, s15, (.LBB1_7932-.Lpost_getpc1982)>>32
	s_setpc_b64 s[14:15]
.LBB1_22269:
	s_movk_i32 s4, 0x80
	v_cmp_eq_u16_sdwa s[12:13], v5, s4 src0_sel:BYTE_3 src1_sel:DWORD
	s_mov_b64 s[4:5], -1
                                        ; implicit-def: $sgpr10
	s_and_saveexec_b64 s[8:9], s[12:13]
; %bb.22270:
	s_mov_b32 s10, 0x7f800001
	s_xor_b64 s[4:5], exec, -1
; %bb.22271:
	s_or_b64 exec, exec, s[8:9]
	s_and_b64 s[4:5], s[4:5], exec
	s_or_saveexec_b64 s[6:7], s[6:7]
	v_mov_b32_e32 v3, s10
	s_xor_b64 exec, exec, s[6:7]
	s_cbranch_execnz .LBB1_22272
; %bb.58109:
	s_getpc_b64 s[14:15]
.Lpost_getpc14718:
	s_add_u32 s14, s14, (.LBB1_7934-.Lpost_getpc14718)&4294967295
	s_addc_u32 s15, s15, (.LBB1_7934-.Lpost_getpc14718)>>32
	s_setpc_b64 s[14:15]
.LBB1_22272:
	v_mov_b32_e32 v3, 0
	v_cmp_ne_u16_sdwa s[8:9], v5, v3 src0_sel:BYTE_3 src1_sel:DWORD
	s_andn2_b64 s[4:5], s[4:5], exec
	s_and_b64 s[8:9], s[8:9], exec
	s_or_b64 s[4:5], s[4:5], s[8:9]
	s_or_b64 exec, exec, s[6:7]
	s_and_saveexec_b64 s[6:7], s[4:5]
	s_cbranch_execz .LBB1_32639
; %bb.58111:
	s_getpc_b64 s[14:15]
.Lpost_getpc14719:
	s_add_u32 s14, s14, (.LBB1_7935-.Lpost_getpc14719)&4294967295
	s_addc_u32 s15, s15, (.LBB1_7935-.Lpost_getpc14719)>>32
	s_setpc_b64 s[14:15]
.LBB1_32639:
	s_getpc_b64 s[14:15]
.Lpost_getpc1983:
	s_add_u32 s14, s14, (.LBB1_7936-.Lpost_getpc1983)&4294967295
	s_addc_u32 s15, s15, (.LBB1_7936-.Lpost_getpc1983)>>32
	s_setpc_b64 s[14:15]
.LBB1_22273:
	s_movk_i32 s4, 0x80
	v_cmp_eq_u16_sdwa s[12:13], v6, s4 src0_sel:BYTE_0 src1_sel:DWORD
	s_mov_b64 s[4:5], -1
                                        ; implicit-def: $sgpr10
	s_and_saveexec_b64 s[8:9], s[12:13]
; %bb.22274:
	s_mov_b32 s10, 0x7f800001
	s_xor_b64 s[4:5], exec, -1
; %bb.22275:
	s_or_b64 exec, exec, s[8:9]
	s_and_b64 s[4:5], s[4:5], exec
	s_or_saveexec_b64 s[6:7], s[6:7]
	v_mov_b32_e32 v12, s10
	s_xor_b64 exec, exec, s[6:7]
	s_cbranch_execnz .LBB1_22276
; %bb.58113:
	s_getpc_b64 s[14:15]
.Lpost_getpc14720:
	s_add_u32 s14, s14, (.LBB1_7938-.Lpost_getpc14720)&4294967295
	s_addc_u32 s15, s15, (.LBB1_7938-.Lpost_getpc14720)>>32
	s_setpc_b64 s[14:15]
.LBB1_22276:
	v_mov_b32_e32 v12, 0
	v_cmp_ne_u16_sdwa s[8:9], v6, v12 src0_sel:BYTE_0 src1_sel:DWORD
	s_andn2_b64 s[4:5], s[4:5], exec
	s_and_b64 s[8:9], s[8:9], exec
	s_or_b64 s[4:5], s[4:5], s[8:9]
	s_or_b64 exec, exec, s[6:7]
	s_and_saveexec_b64 s[6:7], s[4:5]
	s_cbranch_execz .LBB1_32641
; %bb.58115:
	s_getpc_b64 s[14:15]
.Lpost_getpc14721:
	s_add_u32 s14, s14, (.LBB1_7939-.Lpost_getpc14721)&4294967295
	s_addc_u32 s15, s15, (.LBB1_7939-.Lpost_getpc14721)>>32
	s_setpc_b64 s[14:15]
.LBB1_32641:
	s_getpc_b64 s[14:15]
.Lpost_getpc1984:
	s_add_u32 s14, s14, (.LBB1_7940-.Lpost_getpc1984)&4294967295
	s_addc_u32 s15, s15, (.LBB1_7940-.Lpost_getpc1984)>>32
	s_setpc_b64 s[14:15]
.LBB1_22277:
	s_movk_i32 s4, 0x80
	v_cmp_eq_u16_sdwa s[12:13], v2, s4 src0_sel:BYTE_0 src1_sel:DWORD
	s_mov_b64 s[4:5], -1
                                        ; implicit-def: $sgpr10
	s_and_saveexec_b64 s[8:9], s[12:13]
; %bb.22278:
	s_mov_b32 s10, 0x7f800001
	s_xor_b64 s[4:5], exec, -1
; %bb.22279:
	s_or_b64 exec, exec, s[8:9]
	s_and_b64 s[4:5], s[4:5], exec
	s_or_saveexec_b64 s[6:7], s[6:7]
	v_mov_b32_e32 v13, s10
	s_xor_b64 exec, exec, s[6:7]
	s_cbranch_execnz .LBB1_22280
; %bb.58117:
	s_getpc_b64 s[14:15]
.Lpost_getpc14722:
	s_add_u32 s14, s14, (.LBB1_7942-.Lpost_getpc14722)&4294967295
	s_addc_u32 s15, s15, (.LBB1_7942-.Lpost_getpc14722)>>32
	s_setpc_b64 s[14:15]
.LBB1_22280:
	v_mov_b32_e32 v13, 0
	v_cmp_ne_u16_sdwa s[8:9], v2, v13 src0_sel:BYTE_0 src1_sel:DWORD
	s_andn2_b64 s[4:5], s[4:5], exec
	s_and_b64 s[8:9], s[8:9], exec
	s_or_b64 s[4:5], s[4:5], s[8:9]
	s_or_b64 exec, exec, s[6:7]
	s_and_saveexec_b64 s[6:7], s[4:5]
	s_cbranch_execz .LBB1_32643
; %bb.58119:
	s_getpc_b64 s[14:15]
.Lpost_getpc14723:
	s_add_u32 s14, s14, (.LBB1_7943-.Lpost_getpc14723)&4294967295
	s_addc_u32 s15, s15, (.LBB1_7943-.Lpost_getpc14723)>>32
	s_setpc_b64 s[14:15]
.LBB1_32643:
	s_getpc_b64 s[14:15]
.Lpost_getpc1985:
	s_add_u32 s14, s14, (.LBB1_7944-.Lpost_getpc1985)&4294967295
	s_addc_u32 s15, s15, (.LBB1_7944-.Lpost_getpc1985)>>32
	s_setpc_b64 s[14:15]
.LBB1_22281:
	s_movk_i32 s4, 0x80
	v_cmp_eq_u16_sdwa s[12:13], v13, s4 src0_sel:BYTE_0 src1_sel:DWORD
	s_mov_b64 s[4:5], -1
                                        ; implicit-def: $sgpr10
	s_and_saveexec_b64 s[8:9], s[12:13]
; %bb.22282:
	s_mov_b32 s10, 0x7f800001
	s_xor_b64 s[4:5], exec, -1
; %bb.22283:
	s_or_b64 exec, exec, s[8:9]
	s_and_b64 s[4:5], s[4:5], exec
	s_or_saveexec_b64 s[6:7], s[6:7]
	v_mov_b32_e32 v12, s10
	s_xor_b64 exec, exec, s[6:7]
	s_cbranch_execnz .LBB1_22284
; %bb.58121:
	s_getpc_b64 s[14:15]
.Lpost_getpc14724:
	s_add_u32 s14, s14, (.LBB1_7946-.Lpost_getpc14724)&4294967295
	s_addc_u32 s15, s15, (.LBB1_7946-.Lpost_getpc14724)>>32
	s_setpc_b64 s[14:15]
.LBB1_22284:
	v_mov_b32_e32 v12, 0
	v_cmp_ne_u16_sdwa s[8:9], v13, v12 src0_sel:BYTE_0 src1_sel:DWORD
	s_andn2_b64 s[4:5], s[4:5], exec
	s_and_b64 s[8:9], s[8:9], exec
	s_or_b64 s[4:5], s[4:5], s[8:9]
	s_or_b64 exec, exec, s[6:7]
	s_and_saveexec_b64 s[6:7], s[4:5]
	s_cbranch_execz .LBB1_32645
; %bb.58123:
	s_getpc_b64 s[14:15]
.Lpost_getpc14725:
	s_add_u32 s14, s14, (.LBB1_7947-.Lpost_getpc14725)&4294967295
	s_addc_u32 s15, s15, (.LBB1_7947-.Lpost_getpc14725)>>32
	s_setpc_b64 s[14:15]
.LBB1_32645:
	s_getpc_b64 s[14:15]
.Lpost_getpc1986:
	s_add_u32 s14, s14, (.LBB1_7948-.Lpost_getpc1986)&4294967295
	s_addc_u32 s15, s15, (.LBB1_7948-.Lpost_getpc1986)>>32
	s_setpc_b64 s[14:15]
.LBB1_22285:
	s_movk_i32 s4, 0x80
	v_cmp_eq_u16_sdwa s[12:13], v13, s4 src0_sel:BYTE_0 src1_sel:DWORD
	s_mov_b64 s[4:5], -1
                                        ; implicit-def: $sgpr10
	s_and_saveexec_b64 s[8:9], s[12:13]
; %bb.22286:
	s_mov_b32 s10, 0x7f800001
	s_xor_b64 s[4:5], exec, -1
; %bb.22287:
	s_or_b64 exec, exec, s[8:9]
	s_and_b64 s[4:5], s[4:5], exec
	s_or_saveexec_b64 s[6:7], s[6:7]
	v_mov_b32_e32 v14, s10
	s_xor_b64 exec, exec, s[6:7]
	s_cbranch_execnz .LBB1_22288
; %bb.58125:
	s_getpc_b64 s[14:15]
.Lpost_getpc14726:
	s_add_u32 s14, s14, (.LBB1_7950-.Lpost_getpc14726)&4294967295
	s_addc_u32 s15, s15, (.LBB1_7950-.Lpost_getpc14726)>>32
	s_setpc_b64 s[14:15]
.LBB1_22288:
	v_mov_b32_e32 v14, 0
	v_cmp_ne_u16_sdwa s[8:9], v13, v14 src0_sel:BYTE_0 src1_sel:DWORD
	s_andn2_b64 s[4:5], s[4:5], exec
	s_and_b64 s[8:9], s[8:9], exec
	s_or_b64 s[4:5], s[4:5], s[8:9]
	s_or_b64 exec, exec, s[6:7]
	s_and_saveexec_b64 s[6:7], s[4:5]
	s_cbranch_execz .LBB1_32647
; %bb.58127:
	s_getpc_b64 s[14:15]
.Lpost_getpc14727:
	s_add_u32 s14, s14, (.LBB1_7951-.Lpost_getpc14727)&4294967295
	s_addc_u32 s15, s15, (.LBB1_7951-.Lpost_getpc14727)>>32
	s_setpc_b64 s[14:15]
.LBB1_32647:
	s_getpc_b64 s[14:15]
.Lpost_getpc1987:
	s_add_u32 s14, s14, (.LBB1_7952-.Lpost_getpc1987)&4294967295
	s_addc_u32 s15, s15, (.LBB1_7952-.Lpost_getpc1987)>>32
	s_setpc_b64 s[14:15]
.LBB1_22289:
	s_movk_i32 s4, 0x80
	v_cmp_eq_u16_e32 vcc, s4, v13
	s_mov_b64 s[4:5], -1
                                        ; implicit-def: $sgpr10
	s_and_saveexec_b64 s[8:9], vcc
; %bb.22290:
	s_mov_b32 s10, 0x7f800001
	s_xor_b64 s[4:5], exec, -1
; %bb.22291:
	s_or_b64 exec, exec, s[8:9]
	s_and_b64 s[4:5], s[4:5], exec
                                        ; implicit-def: $vgpr13
	s_or_saveexec_b64 s[6:7], s[6:7]
	v_mov_b32_e32 v12, s10
	s_xor_b64 exec, exec, s[6:7]
	s_cbranch_execnz .LBB1_22292
; %bb.58129:
	s_getpc_b64 s[14:15]
.Lpost_getpc14728:
	s_add_u32 s14, s14, (.LBB1_7954-.Lpost_getpc14728)&4294967295
	s_addc_u32 s15, s15, (.LBB1_7954-.Lpost_getpc14728)>>32
	s_setpc_b64 s[14:15]
.LBB1_22292:
	v_cmp_ne_u16_e32 vcc, 0, v13
	s_andn2_b64 s[4:5], s[4:5], exec
	s_and_b64 s[8:9], vcc, exec
	v_mov_b32_e32 v12, 0
	s_or_b64 s[4:5], s[4:5], s[8:9]
	s_or_b64 exec, exec, s[6:7]
	s_and_saveexec_b64 s[6:7], s[4:5]
	s_cbranch_execz .LBB1_32649
; %bb.58131:
	s_getpc_b64 s[14:15]
.Lpost_getpc14729:
	s_add_u32 s14, s14, (.LBB1_7955-.Lpost_getpc14729)&4294967295
	s_addc_u32 s15, s15, (.LBB1_7955-.Lpost_getpc14729)>>32
	s_setpc_b64 s[14:15]
.LBB1_32649:
	s_getpc_b64 s[14:15]
.Lpost_getpc1988:
	s_add_u32 s14, s14, (.LBB1_7956-.Lpost_getpc1988)&4294967295
	s_addc_u32 s15, s15, (.LBB1_7956-.Lpost_getpc1988)>>32
	s_setpc_b64 s[14:15]
.LBB1_22293:
	s_movk_i32 s4, 0x80
	v_cmp_eq_u16_e32 vcc, s4, v13
	s_mov_b64 s[4:5], -1
                                        ; implicit-def: $sgpr10
	s_and_saveexec_b64 s[8:9], vcc
; %bb.22294:
	s_mov_b32 s10, 0x7f800001
	s_xor_b64 s[4:5], exec, -1
; %bb.22295:
	s_or_b64 exec, exec, s[8:9]
	s_and_b64 s[4:5], s[4:5], exec
                                        ; implicit-def: $vgpr13
	s_or_saveexec_b64 s[6:7], s[6:7]
	v_mov_b32_e32 v14, s10
	s_xor_b64 exec, exec, s[6:7]
	s_cbranch_execnz .LBB1_22296
; %bb.58133:
	s_getpc_b64 s[14:15]
.Lpost_getpc14730:
	s_add_u32 s14, s14, (.LBB1_7958-.Lpost_getpc14730)&4294967295
	s_addc_u32 s15, s15, (.LBB1_7958-.Lpost_getpc14730)>>32
	s_setpc_b64 s[14:15]
.LBB1_22296:
	v_cmp_ne_u16_e32 vcc, 0, v13
	s_andn2_b64 s[4:5], s[4:5], exec
	s_and_b64 s[8:9], vcc, exec
	v_mov_b32_e32 v14, 0
	s_or_b64 s[4:5], s[4:5], s[8:9]
	s_or_b64 exec, exec, s[6:7]
	s_and_saveexec_b64 s[6:7], s[4:5]
	s_cbranch_execz .LBB1_32651
; %bb.58135:
	s_getpc_b64 s[14:15]
.Lpost_getpc14731:
	s_add_u32 s14, s14, (.LBB1_7959-.Lpost_getpc14731)&4294967295
	s_addc_u32 s15, s15, (.LBB1_7959-.Lpost_getpc14731)>>32
	s_setpc_b64 s[14:15]
.LBB1_32651:
	s_getpc_b64 s[14:15]
.Lpost_getpc1989:
	s_add_u32 s14, s14, (.LBB1_7960-.Lpost_getpc1989)&4294967295
	s_addc_u32 s15, s15, (.LBB1_7960-.Lpost_getpc1989)>>32
	s_setpc_b64 s[14:15]
.LBB1_22297:
	s_movk_i32 s4, 0x80
	v_cmp_eq_u16_sdwa s[12:13], v6, s4 src0_sel:BYTE_3 src1_sel:DWORD
	s_mov_b64 s[4:5], -1
                                        ; implicit-def: $sgpr10
	s_and_saveexec_b64 s[8:9], s[12:13]
; %bb.22298:
	s_mov_b32 s10, 0x7f800001
	s_xor_b64 s[4:5], exec, -1
; %bb.22299:
	s_or_b64 exec, exec, s[8:9]
	s_and_b64 s[4:5], s[4:5], exec
	s_or_saveexec_b64 s[6:7], s[6:7]
	v_mov_b32_e32 v12, s10
	s_xor_b64 exec, exec, s[6:7]
	s_cbranch_execnz .LBB1_22300
; %bb.58137:
	s_getpc_b64 s[14:15]
.Lpost_getpc14732:
	s_add_u32 s14, s14, (.LBB1_7962-.Lpost_getpc14732)&4294967295
	s_addc_u32 s15, s15, (.LBB1_7962-.Lpost_getpc14732)>>32
	s_setpc_b64 s[14:15]
.LBB1_22300:
	v_mov_b32_e32 v12, 0
	v_cmp_ne_u16_sdwa s[8:9], v6, v12 src0_sel:BYTE_3 src1_sel:DWORD
	s_andn2_b64 s[4:5], s[4:5], exec
	s_and_b64 s[8:9], s[8:9], exec
	s_or_b64 s[4:5], s[4:5], s[8:9]
	s_or_b64 exec, exec, s[6:7]
	s_and_saveexec_b64 s[6:7], s[4:5]
	s_cbranch_execz .LBB1_32653
; %bb.58139:
	s_getpc_b64 s[14:15]
.Lpost_getpc14733:
	s_add_u32 s14, s14, (.LBB1_7963-.Lpost_getpc14733)&4294967295
	s_addc_u32 s15, s15, (.LBB1_7963-.Lpost_getpc14733)>>32
	s_setpc_b64 s[14:15]
.LBB1_32653:
	s_getpc_b64 s[14:15]
.Lpost_getpc1990:
	s_add_u32 s14, s14, (.LBB1_7964-.Lpost_getpc1990)&4294967295
	s_addc_u32 s15, s15, (.LBB1_7964-.Lpost_getpc1990)>>32
	s_setpc_b64 s[14:15]
.LBB1_22301:
	s_movk_i32 s4, 0x80
	v_cmp_eq_u16_sdwa s[12:13], v2, s4 src0_sel:BYTE_3 src1_sel:DWORD
	s_mov_b64 s[4:5], -1
                                        ; implicit-def: $sgpr10
	s_and_saveexec_b64 s[8:9], s[12:13]
; %bb.22302:
	s_mov_b32 s10, 0x7f800001
	s_xor_b64 s[4:5], exec, -1
; %bb.22303:
	s_or_b64 exec, exec, s[8:9]
	s_and_b64 s[4:5], s[4:5], exec
	s_or_saveexec_b64 s[6:7], s[6:7]
	v_mov_b32_e32 v6, s10
	s_xor_b64 exec, exec, s[6:7]
	s_cbranch_execnz .LBB1_22304
; %bb.58141:
	s_getpc_b64 s[14:15]
.Lpost_getpc14734:
	s_add_u32 s14, s14, (.LBB1_7966-.Lpost_getpc14734)&4294967295
	s_addc_u32 s15, s15, (.LBB1_7966-.Lpost_getpc14734)>>32
	s_setpc_b64 s[14:15]
.LBB1_22304:
	v_mov_b32_e32 v6, 0
	v_cmp_ne_u16_sdwa s[8:9], v2, v6 src0_sel:BYTE_3 src1_sel:DWORD
	s_andn2_b64 s[4:5], s[4:5], exec
	s_and_b64 s[8:9], s[8:9], exec
	s_or_b64 s[4:5], s[4:5], s[8:9]
	s_or_b64 exec, exec, s[6:7]
	s_and_saveexec_b64 s[6:7], s[4:5]
	s_cbranch_execz .LBB1_32655
; %bb.58143:
	s_getpc_b64 s[14:15]
.Lpost_getpc14735:
	s_add_u32 s14, s14, (.LBB1_7967-.Lpost_getpc14735)&4294967295
	s_addc_u32 s15, s15, (.LBB1_7967-.Lpost_getpc14735)>>32
	s_setpc_b64 s[14:15]
.LBB1_32655:
	s_getpc_b64 s[14:15]
.Lpost_getpc1991:
	s_add_u32 s14, s14, (.LBB1_7968-.Lpost_getpc1991)&4294967295
	s_addc_u32 s15, s15, (.LBB1_7968-.Lpost_getpc1991)>>32
	s_setpc_b64 s[14:15]
.LBB1_22305:
	s_movk_i32 s4, 0x80
	v_cmp_eq_u16_sdwa s[12:13], v7, s4 src0_sel:BYTE_0 src1_sel:DWORD
	s_mov_b64 s[4:5], -1
                                        ; implicit-def: $sgpr10
	s_and_saveexec_b64 s[8:9], s[12:13]
; %bb.22306:
	s_mov_b32 s10, 0x7f800001
	s_xor_b64 s[4:5], exec, -1
; %bb.22307:
	s_or_b64 exec, exec, s[8:9]
	s_and_b64 s[4:5], s[4:5], exec
	s_or_saveexec_b64 s[6:7], s[6:7]
	v_mov_b32_e32 v2, s10
	s_xor_b64 exec, exec, s[6:7]
	s_cbranch_execnz .LBB1_22308
; %bb.58145:
	s_getpc_b64 s[14:15]
.Lpost_getpc14736:
	s_add_u32 s14, s14, (.LBB1_7970-.Lpost_getpc14736)&4294967295
	s_addc_u32 s15, s15, (.LBB1_7970-.Lpost_getpc14736)>>32
	s_setpc_b64 s[14:15]
.LBB1_22308:
	v_mov_b32_e32 v2, 0
	v_cmp_ne_u16_sdwa s[8:9], v7, v2 src0_sel:BYTE_0 src1_sel:DWORD
	s_andn2_b64 s[4:5], s[4:5], exec
	s_and_b64 s[8:9], s[8:9], exec
	s_or_b64 s[4:5], s[4:5], s[8:9]
	s_or_b64 exec, exec, s[6:7]
	s_and_saveexec_b64 s[6:7], s[4:5]
	s_cbranch_execz .LBB1_32657
; %bb.58147:
	s_getpc_b64 s[14:15]
.Lpost_getpc14737:
	s_add_u32 s14, s14, (.LBB1_7971-.Lpost_getpc14737)&4294967295
	s_addc_u32 s15, s15, (.LBB1_7971-.Lpost_getpc14737)>>32
	s_setpc_b64 s[14:15]
.LBB1_32657:
	s_getpc_b64 s[14:15]
.Lpost_getpc1992:
	s_add_u32 s14, s14, (.LBB1_7972-.Lpost_getpc1992)&4294967295
	s_addc_u32 s15, s15, (.LBB1_7972-.Lpost_getpc1992)>>32
	s_setpc_b64 s[14:15]
.LBB1_22309:
	s_movk_i32 s4, 0x80
	v_cmp_eq_u16_sdwa s[12:13], v3, s4 src0_sel:BYTE_0 src1_sel:DWORD
	s_mov_b64 s[4:5], -1
                                        ; implicit-def: $sgpr10
	s_and_saveexec_b64 s[8:9], s[12:13]
; %bb.22310:
	s_mov_b32 s10, 0x7f800001
	s_xor_b64 s[4:5], exec, -1
; %bb.22311:
	s_or_b64 exec, exec, s[8:9]
	s_and_b64 s[4:5], s[4:5], exec
	s_or_saveexec_b64 s[6:7], s[6:7]
	v_mov_b32_e32 v6, s10
	s_xor_b64 exec, exec, s[6:7]
	s_cbranch_execnz .LBB1_22312
; %bb.58149:
	s_getpc_b64 s[14:15]
.Lpost_getpc14738:
	s_add_u32 s14, s14, (.LBB1_7974-.Lpost_getpc14738)&4294967295
	s_addc_u32 s15, s15, (.LBB1_7974-.Lpost_getpc14738)>>32
	s_setpc_b64 s[14:15]
.LBB1_22312:
	v_mov_b32_e32 v6, 0
	v_cmp_ne_u16_sdwa s[8:9], v3, v6 src0_sel:BYTE_0 src1_sel:DWORD
	s_andn2_b64 s[4:5], s[4:5], exec
	s_and_b64 s[8:9], s[8:9], exec
	s_or_b64 s[4:5], s[4:5], s[8:9]
	s_or_b64 exec, exec, s[6:7]
	s_and_saveexec_b64 s[6:7], s[4:5]
	s_cbranch_execz .LBB1_32659
; %bb.58151:
	s_getpc_b64 s[14:15]
.Lpost_getpc14739:
	s_add_u32 s14, s14, (.LBB1_7975-.Lpost_getpc14739)&4294967295
	s_addc_u32 s15, s15, (.LBB1_7975-.Lpost_getpc14739)>>32
	s_setpc_b64 s[14:15]
.LBB1_32659:
	s_getpc_b64 s[14:15]
.Lpost_getpc1993:
	s_add_u32 s14, s14, (.LBB1_7976-.Lpost_getpc1993)&4294967295
	s_addc_u32 s15, s15, (.LBB1_7976-.Lpost_getpc1993)>>32
	s_setpc_b64 s[14:15]
.LBB1_22313:
	s_movk_i32 s4, 0x80
	v_cmp_eq_u16_sdwa s[12:13], v6, s4 src0_sel:BYTE_0 src1_sel:DWORD
	s_mov_b64 s[4:5], -1
                                        ; implicit-def: $sgpr10
	s_and_saveexec_b64 s[8:9], s[12:13]
; %bb.22314:
	s_mov_b32 s10, 0x7f800001
	s_xor_b64 s[4:5], exec, -1
; %bb.22315:
	s_or_b64 exec, exec, s[8:9]
	s_and_b64 s[4:5], s[4:5], exec
	s_or_saveexec_b64 s[6:7], s[6:7]
	v_mov_b32_e32 v2, s10
	s_xor_b64 exec, exec, s[6:7]
	s_cbranch_execnz .LBB1_22316
; %bb.58153:
	s_getpc_b64 s[14:15]
.Lpost_getpc14740:
	s_add_u32 s14, s14, (.LBB1_7978-.Lpost_getpc14740)&4294967295
	s_addc_u32 s15, s15, (.LBB1_7978-.Lpost_getpc14740)>>32
	s_setpc_b64 s[14:15]
.LBB1_22316:
	v_mov_b32_e32 v2, 0
	v_cmp_ne_u16_sdwa s[8:9], v6, v2 src0_sel:BYTE_0 src1_sel:DWORD
	s_andn2_b64 s[4:5], s[4:5], exec
	s_and_b64 s[8:9], s[8:9], exec
	s_or_b64 s[4:5], s[4:5], s[8:9]
	s_or_b64 exec, exec, s[6:7]
	s_and_saveexec_b64 s[6:7], s[4:5]
	s_cbranch_execz .LBB1_32661
; %bb.58155:
	s_getpc_b64 s[14:15]
.Lpost_getpc14741:
	s_add_u32 s14, s14, (.LBB1_7979-.Lpost_getpc14741)&4294967295
	s_addc_u32 s15, s15, (.LBB1_7979-.Lpost_getpc14741)>>32
	s_setpc_b64 s[14:15]
.LBB1_32661:
	s_getpc_b64 s[14:15]
.Lpost_getpc1994:
	s_add_u32 s14, s14, (.LBB1_7980-.Lpost_getpc1994)&4294967295
	s_addc_u32 s15, s15, (.LBB1_7980-.Lpost_getpc1994)>>32
	s_setpc_b64 s[14:15]
.LBB1_22317:
	s_movk_i32 s4, 0x80
	v_cmp_eq_u16_sdwa s[12:13], v6, s4 src0_sel:BYTE_0 src1_sel:DWORD
	s_mov_b64 s[4:5], -1
                                        ; implicit-def: $sgpr10
	s_and_saveexec_b64 s[8:9], s[12:13]
; %bb.22318:
	s_mov_b32 s10, 0x7f800001
	s_xor_b64 s[4:5], exec, -1
; %bb.22319:
	s_or_b64 exec, exec, s[8:9]
	s_and_b64 s[4:5], s[4:5], exec
	s_or_saveexec_b64 s[6:7], s[6:7]
	v_mov_b32_e32 v12, s10
	s_xor_b64 exec, exec, s[6:7]
	s_cbranch_execnz .LBB1_22320
; %bb.58157:
	s_getpc_b64 s[14:15]
.Lpost_getpc14742:
	s_add_u32 s14, s14, (.LBB1_7982-.Lpost_getpc14742)&4294967295
	s_addc_u32 s15, s15, (.LBB1_7982-.Lpost_getpc14742)>>32
	s_setpc_b64 s[14:15]
.LBB1_22320:
	v_mov_b32_e32 v12, 0
	v_cmp_ne_u16_sdwa s[8:9], v6, v12 src0_sel:BYTE_0 src1_sel:DWORD
	s_andn2_b64 s[4:5], s[4:5], exec
	s_and_b64 s[8:9], s[8:9], exec
	s_or_b64 s[4:5], s[4:5], s[8:9]
	s_or_b64 exec, exec, s[6:7]
	s_and_saveexec_b64 s[6:7], s[4:5]
	s_cbranch_execz .LBB1_32663
; %bb.58159:
	s_getpc_b64 s[14:15]
.Lpost_getpc14743:
	s_add_u32 s14, s14, (.LBB1_7983-.Lpost_getpc14743)&4294967295
	s_addc_u32 s15, s15, (.LBB1_7983-.Lpost_getpc14743)>>32
	s_setpc_b64 s[14:15]
.LBB1_32663:
	s_getpc_b64 s[14:15]
.Lpost_getpc1995:
	s_add_u32 s14, s14, (.LBB1_7984-.Lpost_getpc1995)&4294967295
	s_addc_u32 s15, s15, (.LBB1_7984-.Lpost_getpc1995)>>32
	s_setpc_b64 s[14:15]
.LBB1_22321:
	s_movk_i32 s4, 0x80
	v_cmp_eq_u16_e32 vcc, s4, v6
	s_mov_b64 s[4:5], -1
                                        ; implicit-def: $sgpr10
	s_and_saveexec_b64 s[8:9], vcc
; %bb.22322:
	s_mov_b32 s10, 0x7f800001
	s_xor_b64 s[4:5], exec, -1
; %bb.22323:
	s_or_b64 exec, exec, s[8:9]
	s_and_b64 s[4:5], s[4:5], exec
                                        ; implicit-def: $vgpr6
	s_or_saveexec_b64 s[6:7], s[6:7]
	v_mov_b32_e32 v2, s10
	s_xor_b64 exec, exec, s[6:7]
	s_cbranch_execnz .LBB1_22324
; %bb.58161:
	s_getpc_b64 s[14:15]
.Lpost_getpc14744:
	s_add_u32 s14, s14, (.LBB1_7986-.Lpost_getpc14744)&4294967295
	s_addc_u32 s15, s15, (.LBB1_7986-.Lpost_getpc14744)>>32
	s_setpc_b64 s[14:15]
.LBB1_22324:
	v_cmp_ne_u16_e32 vcc, 0, v6
	s_andn2_b64 s[4:5], s[4:5], exec
	s_and_b64 s[8:9], vcc, exec
	v_mov_b32_e32 v2, 0
	s_or_b64 s[4:5], s[4:5], s[8:9]
	s_or_b64 exec, exec, s[6:7]
	s_and_saveexec_b64 s[6:7], s[4:5]
	s_cbranch_execz .LBB1_32665
; %bb.58163:
	s_getpc_b64 s[14:15]
.Lpost_getpc14745:
	s_add_u32 s14, s14, (.LBB1_7987-.Lpost_getpc14745)&4294967295
	s_addc_u32 s15, s15, (.LBB1_7987-.Lpost_getpc14745)>>32
	s_setpc_b64 s[14:15]
.LBB1_32665:
	s_getpc_b64 s[14:15]
.Lpost_getpc1996:
	s_add_u32 s14, s14, (.LBB1_7988-.Lpost_getpc1996)&4294967295
	s_addc_u32 s15, s15, (.LBB1_7988-.Lpost_getpc1996)>>32
	s_setpc_b64 s[14:15]
.LBB1_22325:
	s_movk_i32 s4, 0x80
	v_cmp_eq_u16_e32 vcc, s4, v6
	s_mov_b64 s[4:5], -1
                                        ; implicit-def: $sgpr10
	s_and_saveexec_b64 s[8:9], vcc
; %bb.22326:
	s_mov_b32 s10, 0x7f800001
	s_xor_b64 s[4:5], exec, -1
; %bb.22327:
	s_or_b64 exec, exec, s[8:9]
	s_and_b64 s[4:5], s[4:5], exec
                                        ; implicit-def: $vgpr6
	s_or_saveexec_b64 s[6:7], s[6:7]
	v_mov_b32_e32 v12, s10
	s_xor_b64 exec, exec, s[6:7]
	s_cbranch_execnz .LBB1_22328
; %bb.58165:
	s_getpc_b64 s[14:15]
.Lpost_getpc14746:
	s_add_u32 s14, s14, (.LBB1_7990-.Lpost_getpc14746)&4294967295
	s_addc_u32 s15, s15, (.LBB1_7990-.Lpost_getpc14746)>>32
	s_setpc_b64 s[14:15]
.LBB1_22328:
	v_cmp_ne_u16_e32 vcc, 0, v6
	s_andn2_b64 s[4:5], s[4:5], exec
	s_and_b64 s[8:9], vcc, exec
	v_mov_b32_e32 v12, 0
	s_or_b64 s[4:5], s[4:5], s[8:9]
	s_or_b64 exec, exec, s[6:7]
	s_and_saveexec_b64 s[6:7], s[4:5]
	s_cbranch_execz .LBB1_32667
; %bb.58167:
	s_getpc_b64 s[14:15]
.Lpost_getpc14747:
	s_add_u32 s14, s14, (.LBB1_7991-.Lpost_getpc14747)&4294967295
	s_addc_u32 s15, s15, (.LBB1_7991-.Lpost_getpc14747)>>32
	s_setpc_b64 s[14:15]
.LBB1_32667:
	s_getpc_b64 s[14:15]
.Lpost_getpc1997:
	s_add_u32 s14, s14, (.LBB1_7992-.Lpost_getpc1997)&4294967295
	s_addc_u32 s15, s15, (.LBB1_7992-.Lpost_getpc1997)>>32
	s_setpc_b64 s[14:15]
.LBB1_22329:
	s_movk_i32 s4, 0x80
	v_cmp_eq_u16_sdwa s[12:13], v7, s4 src0_sel:BYTE_3 src1_sel:DWORD
	s_mov_b64 s[4:5], -1
                                        ; implicit-def: $sgpr10
	s_and_saveexec_b64 s[8:9], s[12:13]
; %bb.22330:
	s_mov_b32 s10, 0x7f800001
	s_xor_b64 s[4:5], exec, -1
; %bb.22331:
	s_or_b64 exec, exec, s[8:9]
	s_and_b64 s[4:5], s[4:5], exec
	s_or_saveexec_b64 s[6:7], s[6:7]
	v_mov_b32_e32 v2, s10
	s_xor_b64 exec, exec, s[6:7]
	s_cbranch_execnz .LBB1_22332
; %bb.58169:
	s_getpc_b64 s[14:15]
.Lpost_getpc14748:
	s_add_u32 s14, s14, (.LBB1_7994-.Lpost_getpc14748)&4294967295
	s_addc_u32 s15, s15, (.LBB1_7994-.Lpost_getpc14748)>>32
	s_setpc_b64 s[14:15]
.LBB1_22332:
	v_mov_b32_e32 v2, 0
	v_cmp_ne_u16_sdwa s[8:9], v7, v2 src0_sel:BYTE_3 src1_sel:DWORD
	s_andn2_b64 s[4:5], s[4:5], exec
	s_and_b64 s[8:9], s[8:9], exec
	s_or_b64 s[4:5], s[4:5], s[8:9]
	s_or_b64 exec, exec, s[6:7]
	s_and_saveexec_b64 s[6:7], s[4:5]
	s_cbranch_execz .LBB1_32669
; %bb.58171:
	s_getpc_b64 s[14:15]
.Lpost_getpc14749:
	s_add_u32 s14, s14, (.LBB1_7995-.Lpost_getpc14749)&4294967295
	s_addc_u32 s15, s15, (.LBB1_7995-.Lpost_getpc14749)>>32
	s_setpc_b64 s[14:15]
.LBB1_32669:
	s_getpc_b64 s[14:15]
.Lpost_getpc1998:
	s_add_u32 s14, s14, (.LBB1_7996-.Lpost_getpc1998)&4294967295
	s_addc_u32 s15, s15, (.LBB1_7996-.Lpost_getpc1998)>>32
	s_setpc_b64 s[14:15]
.LBB1_22333:
	s_movk_i32 s4, 0x80
	v_cmp_eq_u16_sdwa s[12:13], v3, s4 src0_sel:BYTE_3 src1_sel:DWORD
	s_mov_b64 s[4:5], -1
                                        ; implicit-def: $sgpr10
	s_and_saveexec_b64 s[8:9], s[12:13]
; %bb.22334:
	s_mov_b32 s10, 0x7f800001
	s_xor_b64 s[4:5], exec, -1
; %bb.22335:
	s_or_b64 exec, exec, s[8:9]
	s_and_b64 s[4:5], s[4:5], exec
	s_or_saveexec_b64 s[6:7], s[6:7]
	v_mov_b32_e32 v6, s10
	s_xor_b64 exec, exec, s[6:7]
	s_cbranch_execnz .LBB1_22336
; %bb.58173:
	s_getpc_b64 s[14:15]
.Lpost_getpc14750:
	s_add_u32 s14, s14, (.LBB1_7998-.Lpost_getpc14750)&4294967295
	s_addc_u32 s15, s15, (.LBB1_7998-.Lpost_getpc14750)>>32
	s_setpc_b64 s[14:15]
.LBB1_22336:
	v_mov_b32_e32 v6, 0
	v_cmp_ne_u16_sdwa s[8:9], v3, v6 src0_sel:BYTE_3 src1_sel:DWORD
	s_andn2_b64 s[4:5], s[4:5], exec
	s_and_b64 s[8:9], s[8:9], exec
	s_or_b64 s[4:5], s[4:5], s[8:9]
	s_or_b64 exec, exec, s[6:7]
	s_and_saveexec_b64 s[6:7], s[4:5]
	s_cbranch_execz .LBB1_32671
; %bb.58175:
	s_getpc_b64 s[14:15]
.Lpost_getpc14751:
	s_add_u32 s14, s14, (.LBB1_7999-.Lpost_getpc14751)&4294967295
	s_addc_u32 s15, s15, (.LBB1_7999-.Lpost_getpc14751)>>32
	s_setpc_b64 s[14:15]
.LBB1_32671:
	s_getpc_b64 s[14:15]
.Lpost_getpc1999:
	s_add_u32 s14, s14, (.LBB1_8000-.Lpost_getpc1999)&4294967295
	s_addc_u32 s15, s15, (.LBB1_8000-.Lpost_getpc1999)>>32
	s_setpc_b64 s[14:15]
.LBB1_22337:
	s_movk_i32 s4, 0x80
	v_cmp_eq_u16_sdwa s[12:13], v8, s4 src0_sel:BYTE_0 src1_sel:DWORD
	s_mov_b64 s[4:5], -1
                                        ; implicit-def: $sgpr10
	s_and_saveexec_b64 s[8:9], s[12:13]
; %bb.22338:
	s_mov_b32 s10, 0x7f800001
	s_xor_b64 s[4:5], exec, -1
; %bb.22339:
	s_or_b64 exec, exec, s[8:9]
	s_and_b64 s[4:5], s[4:5], exec
	s_or_saveexec_b64 s[6:7], s[6:7]
	v_mov_b32_e32 v2, s10
	s_xor_b64 exec, exec, s[6:7]
	s_cbranch_execnz .LBB1_22340
; %bb.58177:
	s_getpc_b64 s[14:15]
.Lpost_getpc14752:
	s_add_u32 s14, s14, (.LBB1_8002-.Lpost_getpc14752)&4294967295
	s_addc_u32 s15, s15, (.LBB1_8002-.Lpost_getpc14752)>>32
	s_setpc_b64 s[14:15]
.LBB1_22340:
	v_mov_b32_e32 v2, 0
	v_cmp_ne_u16_sdwa s[8:9], v8, v2 src0_sel:BYTE_0 src1_sel:DWORD
	s_andn2_b64 s[4:5], s[4:5], exec
	s_and_b64 s[8:9], s[8:9], exec
	s_or_b64 s[4:5], s[4:5], s[8:9]
	s_or_b64 exec, exec, s[6:7]
	s_and_saveexec_b64 s[6:7], s[4:5]
	s_cbranch_execz .LBB1_32673
; %bb.58179:
	s_getpc_b64 s[14:15]
.Lpost_getpc14753:
	s_add_u32 s14, s14, (.LBB1_8003-.Lpost_getpc14753)&4294967295
	s_addc_u32 s15, s15, (.LBB1_8003-.Lpost_getpc14753)>>32
	s_setpc_b64 s[14:15]
.LBB1_32673:
	s_getpc_b64 s[14:15]
.Lpost_getpc2000:
	s_add_u32 s14, s14, (.LBB1_8004-.Lpost_getpc2000)&4294967295
	s_addc_u32 s15, s15, (.LBB1_8004-.Lpost_getpc2000)>>32
	s_setpc_b64 s[14:15]
.LBB1_22341:
	s_movk_i32 s4, 0x80
	v_cmp_eq_u16_sdwa s[12:13], v4, s4 src0_sel:BYTE_0 src1_sel:DWORD
	s_mov_b64 s[4:5], -1
                                        ; implicit-def: $sgpr10
	s_and_saveexec_b64 s[8:9], s[12:13]
; %bb.22342:
	s_mov_b32 s10, 0x7f800001
	s_xor_b64 s[4:5], exec, -1
; %bb.22343:
	s_or_b64 exec, exec, s[8:9]
	s_and_b64 s[4:5], s[4:5], exec
	s_or_saveexec_b64 s[6:7], s[6:7]
	v_mov_b32_e32 v3, s10
	s_xor_b64 exec, exec, s[6:7]
	s_cbranch_execnz .LBB1_22344
; %bb.58181:
	s_getpc_b64 s[14:15]
.Lpost_getpc14754:
	s_add_u32 s14, s14, (.LBB1_8006-.Lpost_getpc14754)&4294967295
	s_addc_u32 s15, s15, (.LBB1_8006-.Lpost_getpc14754)>>32
	s_setpc_b64 s[14:15]
.LBB1_22344:
	v_mov_b32_e32 v3, 0
	v_cmp_ne_u16_sdwa s[8:9], v4, v3 src0_sel:BYTE_0 src1_sel:DWORD
	s_andn2_b64 s[4:5], s[4:5], exec
	s_and_b64 s[8:9], s[8:9], exec
	s_or_b64 s[4:5], s[4:5], s[8:9]
	s_or_b64 exec, exec, s[6:7]
	s_and_saveexec_b64 s[6:7], s[4:5]
	s_cbranch_execz .LBB1_32675
; %bb.58183:
	s_getpc_b64 s[14:15]
.Lpost_getpc14755:
	s_add_u32 s14, s14, (.LBB1_8007-.Lpost_getpc14755)&4294967295
	s_addc_u32 s15, s15, (.LBB1_8007-.Lpost_getpc14755)>>32
	s_setpc_b64 s[14:15]
.LBB1_32675:
	s_getpc_b64 s[14:15]
.Lpost_getpc2001:
	s_add_u32 s14, s14, (.LBB1_8008-.Lpost_getpc2001)&4294967295
	s_addc_u32 s15, s15, (.LBB1_8008-.Lpost_getpc2001)>>32
	s_setpc_b64 s[14:15]
.LBB1_22345:
	s_movk_i32 s4, 0x80
	v_cmp_eq_u16_sdwa s[12:13], v3, s4 src0_sel:BYTE_0 src1_sel:DWORD
	s_mov_b64 s[4:5], -1
                                        ; implicit-def: $sgpr10
	s_and_saveexec_b64 s[8:9], s[12:13]
; %bb.22346:
	s_mov_b32 s10, 0x7f800001
	s_xor_b64 s[4:5], exec, -1
; %bb.22347:
	s_or_b64 exec, exec, s[8:9]
	s_and_b64 s[4:5], s[4:5], exec
	s_or_saveexec_b64 s[6:7], s[6:7]
	v_mov_b32_e32 v2, s10
	s_xor_b64 exec, exec, s[6:7]
	s_cbranch_execnz .LBB1_22348
; %bb.58185:
	s_getpc_b64 s[14:15]
.Lpost_getpc14756:
	s_add_u32 s14, s14, (.LBB1_8010-.Lpost_getpc14756)&4294967295
	s_addc_u32 s15, s15, (.LBB1_8010-.Lpost_getpc14756)>>32
	s_setpc_b64 s[14:15]
.LBB1_22348:
	v_mov_b32_e32 v2, 0
	v_cmp_ne_u16_sdwa s[8:9], v3, v2 src0_sel:BYTE_0 src1_sel:DWORD
	s_andn2_b64 s[4:5], s[4:5], exec
	s_and_b64 s[8:9], s[8:9], exec
	s_or_b64 s[4:5], s[4:5], s[8:9]
	s_or_b64 exec, exec, s[6:7]
	s_and_saveexec_b64 s[6:7], s[4:5]
	s_cbranch_execz .LBB1_32677
; %bb.58187:
	s_getpc_b64 s[14:15]
.Lpost_getpc14757:
	s_add_u32 s14, s14, (.LBB1_8011-.Lpost_getpc14757)&4294967295
	s_addc_u32 s15, s15, (.LBB1_8011-.Lpost_getpc14757)>>32
	s_setpc_b64 s[14:15]
.LBB1_32677:
	s_getpc_b64 s[14:15]
.Lpost_getpc2002:
	s_add_u32 s14, s14, (.LBB1_8012-.Lpost_getpc2002)&4294967295
	s_addc_u32 s15, s15, (.LBB1_8012-.Lpost_getpc2002)>>32
	s_setpc_b64 s[14:15]
.LBB1_22349:
	s_movk_i32 s4, 0x80
	v_cmp_eq_u16_sdwa s[12:13], v3, s4 src0_sel:BYTE_0 src1_sel:DWORD
	s_mov_b64 s[4:5], -1
                                        ; implicit-def: $sgpr10
	s_and_saveexec_b64 s[8:9], s[12:13]
; %bb.22350:
	s_mov_b32 s10, 0x7f800001
	s_xor_b64 s[4:5], exec, -1
; %bb.22351:
	s_or_b64 exec, exec, s[8:9]
	s_and_b64 s[4:5], s[4:5], exec
	s_or_saveexec_b64 s[6:7], s[6:7]
	v_mov_b32_e32 v6, s10
	s_xor_b64 exec, exec, s[6:7]
	s_cbranch_execnz .LBB1_22352
; %bb.58189:
	s_getpc_b64 s[14:15]
.Lpost_getpc14758:
	s_add_u32 s14, s14, (.LBB1_8014-.Lpost_getpc14758)&4294967295
	s_addc_u32 s15, s15, (.LBB1_8014-.Lpost_getpc14758)>>32
	s_setpc_b64 s[14:15]
.LBB1_22352:
	v_mov_b32_e32 v6, 0
	v_cmp_ne_u16_sdwa s[8:9], v3, v6 src0_sel:BYTE_0 src1_sel:DWORD
	s_andn2_b64 s[4:5], s[4:5], exec
	s_and_b64 s[8:9], s[8:9], exec
	s_or_b64 s[4:5], s[4:5], s[8:9]
	s_or_b64 exec, exec, s[6:7]
	s_and_saveexec_b64 s[6:7], s[4:5]
	s_cbranch_execz .LBB1_32679
; %bb.58191:
	s_getpc_b64 s[14:15]
.Lpost_getpc14759:
	s_add_u32 s14, s14, (.LBB1_8015-.Lpost_getpc14759)&4294967295
	s_addc_u32 s15, s15, (.LBB1_8015-.Lpost_getpc14759)>>32
	s_setpc_b64 s[14:15]
.LBB1_32679:
	s_getpc_b64 s[14:15]
.Lpost_getpc2003:
	s_add_u32 s14, s14, (.LBB1_8016-.Lpost_getpc2003)&4294967295
	s_addc_u32 s15, s15, (.LBB1_8016-.Lpost_getpc2003)>>32
	s_setpc_b64 s[14:15]
.LBB1_22353:
	s_movk_i32 s4, 0x80
	v_cmp_eq_u16_e32 vcc, s4, v3
	s_mov_b64 s[4:5], -1
                                        ; implicit-def: $sgpr10
	s_and_saveexec_b64 s[8:9], vcc
; %bb.22354:
	s_mov_b32 s10, 0x7f800001
	s_xor_b64 s[4:5], exec, -1
; %bb.22355:
	s_or_b64 exec, exec, s[8:9]
	s_and_b64 s[4:5], s[4:5], exec
                                        ; implicit-def: $vgpr3
	s_or_saveexec_b64 s[6:7], s[6:7]
	v_mov_b32_e32 v2, s10
	s_xor_b64 exec, exec, s[6:7]
	s_cbranch_execnz .LBB1_22356
; %bb.58193:
	s_getpc_b64 s[14:15]
.Lpost_getpc14760:
	s_add_u32 s14, s14, (.LBB1_8018-.Lpost_getpc14760)&4294967295
	s_addc_u32 s15, s15, (.LBB1_8018-.Lpost_getpc14760)>>32
	s_setpc_b64 s[14:15]
.LBB1_22356:
	v_cmp_ne_u16_e32 vcc, 0, v3
	s_andn2_b64 s[4:5], s[4:5], exec
	s_and_b64 s[8:9], vcc, exec
	v_mov_b32_e32 v2, 0
	s_or_b64 s[4:5], s[4:5], s[8:9]
	s_or_b64 exec, exec, s[6:7]
	s_and_saveexec_b64 s[6:7], s[4:5]
	s_cbranch_execz .LBB1_32681
; %bb.58195:
	s_getpc_b64 s[14:15]
.Lpost_getpc14761:
	s_add_u32 s14, s14, (.LBB1_8019-.Lpost_getpc14761)&4294967295
	s_addc_u32 s15, s15, (.LBB1_8019-.Lpost_getpc14761)>>32
	s_setpc_b64 s[14:15]
.LBB1_32681:
	s_getpc_b64 s[14:15]
.Lpost_getpc2004:
	s_add_u32 s14, s14, (.LBB1_8020-.Lpost_getpc2004)&4294967295
	s_addc_u32 s15, s15, (.LBB1_8020-.Lpost_getpc2004)>>32
	s_setpc_b64 s[14:15]
.LBB1_22357:
	s_movk_i32 s4, 0x80
	v_cmp_eq_u16_e32 vcc, s4, v3
	s_mov_b64 s[4:5], -1
                                        ; implicit-def: $sgpr10
	s_and_saveexec_b64 s[8:9], vcc
; %bb.22358:
	s_mov_b32 s10, 0x7f800001
	s_xor_b64 s[4:5], exec, -1
; %bb.22359:
	s_or_b64 exec, exec, s[8:9]
	s_and_b64 s[4:5], s[4:5], exec
                                        ; implicit-def: $vgpr3
	s_or_saveexec_b64 s[6:7], s[6:7]
	v_mov_b32_e32 v6, s10
	s_xor_b64 exec, exec, s[6:7]
	s_cbranch_execnz .LBB1_22360
; %bb.58197:
	s_getpc_b64 s[14:15]
.Lpost_getpc14762:
	s_add_u32 s14, s14, (.LBB1_8022-.Lpost_getpc14762)&4294967295
	s_addc_u32 s15, s15, (.LBB1_8022-.Lpost_getpc14762)>>32
	s_setpc_b64 s[14:15]
.LBB1_22360:
	v_cmp_ne_u16_e32 vcc, 0, v3
	s_andn2_b64 s[4:5], s[4:5], exec
	s_and_b64 s[8:9], vcc, exec
	v_mov_b32_e32 v6, 0
	s_or_b64 s[4:5], s[4:5], s[8:9]
	s_or_b64 exec, exec, s[6:7]
	s_and_saveexec_b64 s[6:7], s[4:5]
	s_cbranch_execz .LBB1_32683
; %bb.58199:
	s_getpc_b64 s[14:15]
.Lpost_getpc14763:
	s_add_u32 s14, s14, (.LBB1_8023-.Lpost_getpc14763)&4294967295
	s_addc_u32 s15, s15, (.LBB1_8023-.Lpost_getpc14763)>>32
	s_setpc_b64 s[14:15]
.LBB1_32683:
	s_getpc_b64 s[14:15]
.Lpost_getpc2005:
	s_add_u32 s14, s14, (.LBB1_8024-.Lpost_getpc2005)&4294967295
	s_addc_u32 s15, s15, (.LBB1_8024-.Lpost_getpc2005)>>32
	s_setpc_b64 s[14:15]
.LBB1_22361:
	s_movk_i32 s4, 0x80
	v_cmp_eq_u16_sdwa s[12:13], v8, s4 src0_sel:BYTE_3 src1_sel:DWORD
	s_mov_b64 s[4:5], -1
                                        ; implicit-def: $sgpr10
	s_and_saveexec_b64 s[8:9], s[12:13]
; %bb.22362:
	s_mov_b32 s10, 0x7f800001
	s_xor_b64 s[4:5], exec, -1
; %bb.22363:
	s_or_b64 exec, exec, s[8:9]
	s_and_b64 s[4:5], s[4:5], exec
	s_or_saveexec_b64 s[6:7], s[6:7]
	v_mov_b32_e32 v2, s10
	s_xor_b64 exec, exec, s[6:7]
	s_cbranch_execnz .LBB1_22364
; %bb.58201:
	s_getpc_b64 s[14:15]
.Lpost_getpc14764:
	s_add_u32 s14, s14, (.LBB1_8026-.Lpost_getpc14764)&4294967295
	s_addc_u32 s15, s15, (.LBB1_8026-.Lpost_getpc14764)>>32
	s_setpc_b64 s[14:15]
.LBB1_22364:
	v_mov_b32_e32 v2, 0
	v_cmp_ne_u16_sdwa s[8:9], v8, v2 src0_sel:BYTE_3 src1_sel:DWORD
	s_andn2_b64 s[4:5], s[4:5], exec
	s_and_b64 s[8:9], s[8:9], exec
	s_or_b64 s[4:5], s[4:5], s[8:9]
	s_or_b64 exec, exec, s[6:7]
	s_and_saveexec_b64 s[6:7], s[4:5]
	s_cbranch_execz .LBB1_32685
; %bb.58203:
	s_getpc_b64 s[14:15]
.Lpost_getpc14765:
	s_add_u32 s14, s14, (.LBB1_8027-.Lpost_getpc14765)&4294967295
	s_addc_u32 s15, s15, (.LBB1_8027-.Lpost_getpc14765)>>32
	s_setpc_b64 s[14:15]
.LBB1_32685:
	s_getpc_b64 s[14:15]
.Lpost_getpc2006:
	s_add_u32 s14, s14, (.LBB1_8028-.Lpost_getpc2006)&4294967295
	s_addc_u32 s15, s15, (.LBB1_8028-.Lpost_getpc2006)>>32
	s_setpc_b64 s[14:15]
.LBB1_22365:
	s_movk_i32 s4, 0x80
	v_cmp_eq_u16_sdwa s[12:13], v4, s4 src0_sel:BYTE_3 src1_sel:DWORD
	s_mov_b64 s[4:5], -1
                                        ; implicit-def: $sgpr10
	s_and_saveexec_b64 s[8:9], s[12:13]
; %bb.22366:
	s_mov_b32 s10, 0x7f800001
	s_xor_b64 s[4:5], exec, -1
; %bb.22367:
	s_or_b64 exec, exec, s[8:9]
	s_and_b64 s[4:5], s[4:5], exec
	s_or_saveexec_b64 s[6:7], s[6:7]
	v_mov_b32_e32 v3, s10
	s_xor_b64 exec, exec, s[6:7]
	s_cbranch_execnz .LBB1_22368
; %bb.58205:
	s_getpc_b64 s[14:15]
.Lpost_getpc14766:
	s_add_u32 s14, s14, (.LBB1_8030-.Lpost_getpc14766)&4294967295
	s_addc_u32 s15, s15, (.LBB1_8030-.Lpost_getpc14766)>>32
	s_setpc_b64 s[14:15]
.LBB1_22368:
	v_mov_b32_e32 v3, 0
	v_cmp_ne_u16_sdwa s[8:9], v4, v3 src0_sel:BYTE_3 src1_sel:DWORD
	s_andn2_b64 s[4:5], s[4:5], exec
	s_and_b64 s[8:9], s[8:9], exec
	s_or_b64 s[4:5], s[4:5], s[8:9]
	s_or_b64 exec, exec, s[6:7]
	s_and_saveexec_b64 s[6:7], s[4:5]
	s_cbranch_execz .LBB1_32687
; %bb.58207:
	s_getpc_b64 s[14:15]
.Lpost_getpc14767:
	s_add_u32 s14, s14, (.LBB1_8031-.Lpost_getpc14767)&4294967295
	s_addc_u32 s15, s15, (.LBB1_8031-.Lpost_getpc14767)>>32
	s_setpc_b64 s[14:15]
.LBB1_32687:
	s_getpc_b64 s[14:15]
.Lpost_getpc2007:
	s_add_u32 s14, s14, (.LBB1_8032-.Lpost_getpc2007)&4294967295
	s_addc_u32 s15, s15, (.LBB1_8032-.Lpost_getpc2007)>>32
	s_setpc_b64 s[14:15]
.LBB1_22369:
	s_movk_i32 s4, 0x80
	v_cmp_eq_u16_sdwa s[12:13], v9, s4 src0_sel:BYTE_0 src1_sel:DWORD
	s_mov_b64 s[4:5], -1
                                        ; implicit-def: $sgpr10
	s_and_saveexec_b64 s[8:9], s[12:13]
; %bb.22370:
	s_mov_b32 s10, 0x7f800001
	s_xor_b64 s[4:5], exec, -1
; %bb.22371:
	s_or_b64 exec, exec, s[8:9]
	s_and_b64 s[4:5], s[4:5], exec
	s_or_saveexec_b64 s[6:7], s[6:7]
	v_mov_b32_e32 v2, s10
	s_xor_b64 exec, exec, s[6:7]
	s_cbranch_execnz .LBB1_22372
; %bb.58209:
	s_getpc_b64 s[14:15]
.Lpost_getpc14768:
	s_add_u32 s14, s14, (.LBB1_8034-.Lpost_getpc14768)&4294967295
	s_addc_u32 s15, s15, (.LBB1_8034-.Lpost_getpc14768)>>32
	s_setpc_b64 s[14:15]
.LBB1_22372:
	v_mov_b32_e32 v2, 0
	v_cmp_ne_u16_sdwa s[8:9], v9, v2 src0_sel:BYTE_0 src1_sel:DWORD
	s_andn2_b64 s[4:5], s[4:5], exec
	s_and_b64 s[8:9], s[8:9], exec
	s_or_b64 s[4:5], s[4:5], s[8:9]
	s_or_b64 exec, exec, s[6:7]
	s_and_saveexec_b64 s[6:7], s[4:5]
	s_cbranch_execz .LBB1_32689
; %bb.58211:
	s_getpc_b64 s[14:15]
.Lpost_getpc14769:
	s_add_u32 s14, s14, (.LBB1_8035-.Lpost_getpc14769)&4294967295
	s_addc_u32 s15, s15, (.LBB1_8035-.Lpost_getpc14769)>>32
	s_setpc_b64 s[14:15]
.LBB1_32689:
	s_getpc_b64 s[14:15]
.Lpost_getpc2008:
	s_add_u32 s14, s14, (.LBB1_8036-.Lpost_getpc2008)&4294967295
	s_addc_u32 s15, s15, (.LBB1_8036-.Lpost_getpc2008)>>32
	s_setpc_b64 s[14:15]
.LBB1_22373:
	s_movk_i32 s4, 0x80
	v_cmp_eq_u16_sdwa s[12:13], v5, s4 src0_sel:BYTE_0 src1_sel:DWORD
	s_mov_b64 s[4:5], -1
                                        ; implicit-def: $sgpr10
	s_and_saveexec_b64 s[8:9], s[12:13]
; %bb.22374:
	s_mov_b32 s10, 0x7f800001
	s_xor_b64 s[4:5], exec, -1
; %bb.22375:
	s_or_b64 exec, exec, s[8:9]
	s_and_b64 s[4:5], s[4:5], exec
	s_or_saveexec_b64 s[6:7], s[6:7]
	v_mov_b32_e32 v3, s10
	s_xor_b64 exec, exec, s[6:7]
	s_cbranch_execnz .LBB1_22376
; %bb.58213:
	s_getpc_b64 s[14:15]
.Lpost_getpc14770:
	s_add_u32 s14, s14, (.LBB1_8038-.Lpost_getpc14770)&4294967295
	s_addc_u32 s15, s15, (.LBB1_8038-.Lpost_getpc14770)>>32
	s_setpc_b64 s[14:15]
.LBB1_22376:
	v_mov_b32_e32 v3, 0
	v_cmp_ne_u16_sdwa s[8:9], v5, v3 src0_sel:BYTE_0 src1_sel:DWORD
	s_andn2_b64 s[4:5], s[4:5], exec
	s_and_b64 s[8:9], s[8:9], exec
	s_or_b64 s[4:5], s[4:5], s[8:9]
	s_or_b64 exec, exec, s[6:7]
	s_and_saveexec_b64 s[6:7], s[4:5]
	s_cbranch_execz .LBB1_32691
; %bb.58215:
	s_getpc_b64 s[14:15]
.Lpost_getpc14771:
	s_add_u32 s14, s14, (.LBB1_8039-.Lpost_getpc14771)&4294967295
	s_addc_u32 s15, s15, (.LBB1_8039-.Lpost_getpc14771)>>32
	s_setpc_b64 s[14:15]
.LBB1_32691:
	s_getpc_b64 s[14:15]
.Lpost_getpc2009:
	s_add_u32 s14, s14, (.LBB1_8040-.Lpost_getpc2009)&4294967295
	s_addc_u32 s15, s15, (.LBB1_8040-.Lpost_getpc2009)>>32
	s_setpc_b64 s[14:15]
.LBB1_22377:
	s_movk_i32 s4, 0x80
	v_cmp_eq_u16_sdwa s[12:13], v3, s4 src0_sel:BYTE_0 src1_sel:DWORD
	s_mov_b64 s[4:5], -1
                                        ; implicit-def: $sgpr10
	s_and_saveexec_b64 s[8:9], s[12:13]
; %bb.22378:
	s_mov_b32 s10, 0x7f800001
	s_xor_b64 s[4:5], exec, -1
; %bb.22379:
	s_or_b64 exec, exec, s[8:9]
	s_and_b64 s[4:5], s[4:5], exec
	s_or_saveexec_b64 s[6:7], s[6:7]
	v_mov_b32_e32 v2, s10
	s_xor_b64 exec, exec, s[6:7]
	s_cbranch_execnz .LBB1_22380
; %bb.58217:
	s_getpc_b64 s[14:15]
.Lpost_getpc14772:
	s_add_u32 s14, s14, (.LBB1_8042-.Lpost_getpc14772)&4294967295
	s_addc_u32 s15, s15, (.LBB1_8042-.Lpost_getpc14772)>>32
	s_setpc_b64 s[14:15]
.LBB1_22380:
	v_mov_b32_e32 v2, 0
	v_cmp_ne_u16_sdwa s[8:9], v3, v2 src0_sel:BYTE_0 src1_sel:DWORD
	s_andn2_b64 s[4:5], s[4:5], exec
	s_and_b64 s[8:9], s[8:9], exec
	s_or_b64 s[4:5], s[4:5], s[8:9]
	s_or_b64 exec, exec, s[6:7]
	s_and_saveexec_b64 s[6:7], s[4:5]
	s_cbranch_execz .LBB1_32693
; %bb.58219:
	s_getpc_b64 s[14:15]
.Lpost_getpc14773:
	s_add_u32 s14, s14, (.LBB1_8043-.Lpost_getpc14773)&4294967295
	s_addc_u32 s15, s15, (.LBB1_8043-.Lpost_getpc14773)>>32
	s_setpc_b64 s[14:15]
.LBB1_32693:
	s_getpc_b64 s[14:15]
.Lpost_getpc2010:
	s_add_u32 s14, s14, (.LBB1_8044-.Lpost_getpc2010)&4294967295
	s_addc_u32 s15, s15, (.LBB1_8044-.Lpost_getpc2010)>>32
	s_setpc_b64 s[14:15]
.LBB1_22381:
	s_movk_i32 s4, 0x80
	v_cmp_eq_u16_sdwa s[12:13], v3, s4 src0_sel:BYTE_0 src1_sel:DWORD
	s_mov_b64 s[4:5], -1
                                        ; implicit-def: $sgpr10
	s_and_saveexec_b64 s[8:9], s[12:13]
; %bb.22382:
	s_mov_b32 s10, 0x7f800001
	s_xor_b64 s[4:5], exec, -1
; %bb.22383:
	s_or_b64 exec, exec, s[8:9]
	s_and_b64 s[4:5], s[4:5], exec
	s_or_saveexec_b64 s[6:7], s[6:7]
	v_mov_b32_e32 v4, s10
	s_xor_b64 exec, exec, s[6:7]
	s_cbranch_execnz .LBB1_22384
; %bb.58221:
	s_getpc_b64 s[14:15]
.Lpost_getpc14774:
	s_add_u32 s14, s14, (.LBB1_8046-.Lpost_getpc14774)&4294967295
	s_addc_u32 s15, s15, (.LBB1_8046-.Lpost_getpc14774)>>32
	s_setpc_b64 s[14:15]
.LBB1_22384:
	v_mov_b32_e32 v4, 0
	v_cmp_ne_u16_sdwa s[8:9], v3, v4 src0_sel:BYTE_0 src1_sel:DWORD
	s_andn2_b64 s[4:5], s[4:5], exec
	s_and_b64 s[8:9], s[8:9], exec
	s_or_b64 s[4:5], s[4:5], s[8:9]
	s_or_b64 exec, exec, s[6:7]
	s_and_saveexec_b64 s[6:7], s[4:5]
	s_cbranch_execz .LBB1_32695
; %bb.58223:
	s_getpc_b64 s[14:15]
.Lpost_getpc14775:
	s_add_u32 s14, s14, (.LBB1_8047-.Lpost_getpc14775)&4294967295
	s_addc_u32 s15, s15, (.LBB1_8047-.Lpost_getpc14775)>>32
	s_setpc_b64 s[14:15]
.LBB1_32695:
	s_getpc_b64 s[14:15]
.Lpost_getpc2011:
	s_add_u32 s14, s14, (.LBB1_8048-.Lpost_getpc2011)&4294967295
	s_addc_u32 s15, s15, (.LBB1_8048-.Lpost_getpc2011)>>32
	s_setpc_b64 s[14:15]
.LBB1_22385:
	s_movk_i32 s4, 0x80
	v_cmp_eq_u16_e32 vcc, s4, v3
	s_mov_b64 s[4:5], -1
                                        ; implicit-def: $sgpr10
	s_and_saveexec_b64 s[8:9], vcc
; %bb.22386:
	s_mov_b32 s10, 0x7f800001
	s_xor_b64 s[4:5], exec, -1
; %bb.22387:
	s_or_b64 exec, exec, s[8:9]
	s_and_b64 s[4:5], s[4:5], exec
                                        ; implicit-def: $vgpr3
	s_or_saveexec_b64 s[6:7], s[6:7]
	v_mov_b32_e32 v2, s10
	s_xor_b64 exec, exec, s[6:7]
	s_cbranch_execnz .LBB1_22388
; %bb.58225:
	s_getpc_b64 s[14:15]
.Lpost_getpc14776:
	s_add_u32 s14, s14, (.LBB1_8050-.Lpost_getpc14776)&4294967295
	s_addc_u32 s15, s15, (.LBB1_8050-.Lpost_getpc14776)>>32
	s_setpc_b64 s[14:15]
.LBB1_22388:
	v_cmp_ne_u16_e32 vcc, 0, v3
	s_andn2_b64 s[4:5], s[4:5], exec
	s_and_b64 s[8:9], vcc, exec
	v_mov_b32_e32 v2, 0
	s_or_b64 s[4:5], s[4:5], s[8:9]
	s_or_b64 exec, exec, s[6:7]
	s_and_saveexec_b64 s[6:7], s[4:5]
	s_cbranch_execz .LBB1_32697
; %bb.58227:
	s_getpc_b64 s[14:15]
.Lpost_getpc14777:
	s_add_u32 s14, s14, (.LBB1_8051-.Lpost_getpc14777)&4294967295
	s_addc_u32 s15, s15, (.LBB1_8051-.Lpost_getpc14777)>>32
	s_setpc_b64 s[14:15]
.LBB1_32697:
	s_getpc_b64 s[14:15]
.Lpost_getpc2012:
	s_add_u32 s14, s14, (.LBB1_8052-.Lpost_getpc2012)&4294967295
	s_addc_u32 s15, s15, (.LBB1_8052-.Lpost_getpc2012)>>32
	s_setpc_b64 s[14:15]
.LBB1_22389:
	s_movk_i32 s4, 0x80
	v_cmp_eq_u16_e32 vcc, s4, v3
	s_mov_b64 s[4:5], -1
                                        ; implicit-def: $sgpr10
	s_and_saveexec_b64 s[8:9], vcc
; %bb.22390:
	s_mov_b32 s10, 0x7f800001
	s_xor_b64 s[4:5], exec, -1
; %bb.22391:
	s_or_b64 exec, exec, s[8:9]
	s_and_b64 s[4:5], s[4:5], exec
                                        ; implicit-def: $vgpr3
	s_or_saveexec_b64 s[6:7], s[6:7]
	v_mov_b32_e32 v4, s10
	s_xor_b64 exec, exec, s[6:7]
	s_cbranch_execnz .LBB1_22392
; %bb.58229:
	s_getpc_b64 s[14:15]
.Lpost_getpc14778:
	s_add_u32 s14, s14, (.LBB1_8054-.Lpost_getpc14778)&4294967295
	s_addc_u32 s15, s15, (.LBB1_8054-.Lpost_getpc14778)>>32
	s_setpc_b64 s[14:15]
.LBB1_22392:
	v_cmp_ne_u16_e32 vcc, 0, v3
	s_andn2_b64 s[4:5], s[4:5], exec
	s_and_b64 s[8:9], vcc, exec
	v_mov_b32_e32 v4, 0
	s_or_b64 s[4:5], s[4:5], s[8:9]
	s_or_b64 exec, exec, s[6:7]
	s_and_saveexec_b64 s[6:7], s[4:5]
	s_cbranch_execz .LBB1_32699
; %bb.58231:
	s_getpc_b64 s[14:15]
.Lpost_getpc14779:
	s_add_u32 s14, s14, (.LBB1_8055-.Lpost_getpc14779)&4294967295
	s_addc_u32 s15, s15, (.LBB1_8055-.Lpost_getpc14779)>>32
	s_setpc_b64 s[14:15]
.LBB1_32699:
	s_getpc_b64 s[14:15]
.Lpost_getpc2013:
	s_add_u32 s14, s14, (.LBB1_8056-.Lpost_getpc2013)&4294967295
	s_addc_u32 s15, s15, (.LBB1_8056-.Lpost_getpc2013)>>32
	s_setpc_b64 s[14:15]
.LBB1_22393:
	s_movk_i32 s4, 0x80
	v_cmp_eq_u16_sdwa s[12:13], v9, s4 src0_sel:BYTE_3 src1_sel:DWORD
	s_mov_b64 s[4:5], -1
                                        ; implicit-def: $sgpr10
	s_and_saveexec_b64 s[8:9], s[12:13]
; %bb.22394:
	s_mov_b32 s10, 0x7f800001
	s_xor_b64 s[4:5], exec, -1
; %bb.22395:
	s_or_b64 exec, exec, s[8:9]
	s_and_b64 s[4:5], s[4:5], exec
	s_or_saveexec_b64 s[6:7], s[6:7]
	v_mov_b32_e32 v2, s10
	s_xor_b64 exec, exec, s[6:7]
	s_cbranch_execnz .LBB1_22396
; %bb.58233:
	s_getpc_b64 s[14:15]
.Lpost_getpc14780:
	s_add_u32 s14, s14, (.LBB1_8058-.Lpost_getpc14780)&4294967295
	s_addc_u32 s15, s15, (.LBB1_8058-.Lpost_getpc14780)>>32
	s_setpc_b64 s[14:15]
.LBB1_22396:
	v_mov_b32_e32 v2, 0
	v_cmp_ne_u16_sdwa s[8:9], v9, v2 src0_sel:BYTE_3 src1_sel:DWORD
	s_andn2_b64 s[4:5], s[4:5], exec
	s_and_b64 s[8:9], s[8:9], exec
	s_or_b64 s[4:5], s[4:5], s[8:9]
	s_or_b64 exec, exec, s[6:7]
	s_and_saveexec_b64 s[6:7], s[4:5]
	s_cbranch_execz .LBB1_32701
; %bb.58235:
	s_getpc_b64 s[14:15]
.Lpost_getpc14781:
	s_add_u32 s14, s14, (.LBB1_8059-.Lpost_getpc14781)&4294967295
	s_addc_u32 s15, s15, (.LBB1_8059-.Lpost_getpc14781)>>32
	s_setpc_b64 s[14:15]
.LBB1_32701:
	s_getpc_b64 s[14:15]
.Lpost_getpc2014:
	s_add_u32 s14, s14, (.LBB1_8060-.Lpost_getpc2014)&4294967295
	s_addc_u32 s15, s15, (.LBB1_8060-.Lpost_getpc2014)>>32
	s_setpc_b64 s[14:15]
.LBB1_22397:
	s_movk_i32 s4, 0x80
	v_cmp_eq_u16_sdwa s[12:13], v5, s4 src0_sel:BYTE_3 src1_sel:DWORD
	s_mov_b64 s[4:5], -1
                                        ; implicit-def: $sgpr10
	s_and_saveexec_b64 s[8:9], s[12:13]
; %bb.22398:
	s_mov_b32 s10, 0x7f800001
	s_xor_b64 s[4:5], exec, -1
; %bb.22399:
	s_or_b64 exec, exec, s[8:9]
	s_and_b64 s[4:5], s[4:5], exec
	s_or_saveexec_b64 s[6:7], s[6:7]
	v_mov_b32_e32 v3, s10
	s_xor_b64 exec, exec, s[6:7]
	s_cbranch_execnz .LBB1_22400
; %bb.58237:
	s_getpc_b64 s[14:15]
.Lpost_getpc14782:
	s_add_u32 s14, s14, (.LBB1_8062-.Lpost_getpc14782)&4294967295
	s_addc_u32 s15, s15, (.LBB1_8062-.Lpost_getpc14782)>>32
	s_setpc_b64 s[14:15]
.LBB1_22400:
	v_mov_b32_e32 v3, 0
	v_cmp_ne_u16_sdwa s[8:9], v5, v3 src0_sel:BYTE_3 src1_sel:DWORD
	s_andn2_b64 s[4:5], s[4:5], exec
	s_and_b64 s[8:9], s[8:9], exec
	s_or_b64 s[4:5], s[4:5], s[8:9]
	s_or_b64 exec, exec, s[6:7]
	s_and_saveexec_b64 s[6:7], s[4:5]
	s_cbranch_execz .LBB1_32703
; %bb.58239:
	s_getpc_b64 s[14:15]
.Lpost_getpc14783:
	s_add_u32 s14, s14, (.LBB1_8063-.Lpost_getpc14783)&4294967295
	s_addc_u32 s15, s15, (.LBB1_8063-.Lpost_getpc14783)>>32
	s_setpc_b64 s[14:15]
.LBB1_32703:
	s_getpc_b64 s[14:15]
.Lpost_getpc2015:
	s_add_u32 s14, s14, (.LBB1_8064-.Lpost_getpc2015)&4294967295
	s_addc_u32 s15, s15, (.LBB1_8064-.Lpost_getpc2015)>>32
	s_setpc_b64 s[14:15]
.LBB1_22401:
	s_movk_i32 s4, 0x80
	v_cmp_eq_u16_sdwa s[12:13], v6, s4 src0_sel:BYTE_0 src1_sel:DWORD
	s_mov_b64 s[4:5], -1
                                        ; implicit-def: $sgpr10
	s_and_saveexec_b64 s[8:9], s[12:13]
; %bb.22402:
	s_mov_b32 s10, 0x7f800001
	s_xor_b64 s[4:5], exec, -1
; %bb.22403:
	s_or_b64 exec, exec, s[8:9]
	s_and_b64 s[4:5], s[4:5], exec
	s_or_saveexec_b64 s[6:7], s[6:7]
	v_mov_b32_e32 v12, s10
	s_xor_b64 exec, exec, s[6:7]
	s_cbranch_execnz .LBB1_22404
; %bb.58241:
	s_getpc_b64 s[14:15]
.Lpost_getpc14784:
	s_add_u32 s14, s14, (.LBB1_8066-.Lpost_getpc14784)&4294967295
	s_addc_u32 s15, s15, (.LBB1_8066-.Lpost_getpc14784)>>32
	s_setpc_b64 s[14:15]
.LBB1_22404:
	v_mov_b32_e32 v12, 0
	v_cmp_ne_u16_sdwa s[8:9], v6, v12 src0_sel:BYTE_0 src1_sel:DWORD
	s_andn2_b64 s[4:5], s[4:5], exec
	s_and_b64 s[8:9], s[8:9], exec
	s_or_b64 s[4:5], s[4:5], s[8:9]
	s_or_b64 exec, exec, s[6:7]
	s_and_saveexec_b64 s[6:7], s[4:5]
	s_cbranch_execz .LBB1_32705
; %bb.58243:
	s_getpc_b64 s[14:15]
.Lpost_getpc14785:
	s_add_u32 s14, s14, (.LBB1_8067-.Lpost_getpc14785)&4294967295
	s_addc_u32 s15, s15, (.LBB1_8067-.Lpost_getpc14785)>>32
	s_setpc_b64 s[14:15]
.LBB1_32705:
	s_getpc_b64 s[14:15]
.Lpost_getpc2016:
	s_add_u32 s14, s14, (.LBB1_8068-.Lpost_getpc2016)&4294967295
	s_addc_u32 s15, s15, (.LBB1_8068-.Lpost_getpc2016)>>32
	s_setpc_b64 s[14:15]
.LBB1_22405:
	s_movk_i32 s4, 0x80
	v_cmp_eq_u16_sdwa s[12:13], v2, s4 src0_sel:BYTE_0 src1_sel:DWORD
	s_mov_b64 s[4:5], -1
                                        ; implicit-def: $sgpr10
	s_and_saveexec_b64 s[8:9], s[12:13]
; %bb.22406:
	s_mov_b32 s10, 0x7f800001
	s_xor_b64 s[4:5], exec, -1
; %bb.22407:
	s_or_b64 exec, exec, s[8:9]
	s_and_b64 s[4:5], s[4:5], exec
	s_or_saveexec_b64 s[6:7], s[6:7]
	v_mov_b32_e32 v13, s10
	s_xor_b64 exec, exec, s[6:7]
	s_cbranch_execnz .LBB1_22408
; %bb.58245:
	s_getpc_b64 s[14:15]
.Lpost_getpc14786:
	s_add_u32 s14, s14, (.LBB1_8070-.Lpost_getpc14786)&4294967295
	s_addc_u32 s15, s15, (.LBB1_8070-.Lpost_getpc14786)>>32
	s_setpc_b64 s[14:15]
.LBB1_22408:
	v_mov_b32_e32 v13, 0
	v_cmp_ne_u16_sdwa s[8:9], v2, v13 src0_sel:BYTE_0 src1_sel:DWORD
	s_andn2_b64 s[4:5], s[4:5], exec
	s_and_b64 s[8:9], s[8:9], exec
	s_or_b64 s[4:5], s[4:5], s[8:9]
	s_or_b64 exec, exec, s[6:7]
	s_and_saveexec_b64 s[6:7], s[4:5]
	s_cbranch_execz .LBB1_32707
; %bb.58247:
	s_getpc_b64 s[14:15]
.Lpost_getpc14787:
	s_add_u32 s14, s14, (.LBB1_8071-.Lpost_getpc14787)&4294967295
	s_addc_u32 s15, s15, (.LBB1_8071-.Lpost_getpc14787)>>32
	s_setpc_b64 s[14:15]
.LBB1_32707:
	s_getpc_b64 s[14:15]
.Lpost_getpc2017:
	s_add_u32 s14, s14, (.LBB1_8072-.Lpost_getpc2017)&4294967295
	s_addc_u32 s15, s15, (.LBB1_8072-.Lpost_getpc2017)>>32
	s_setpc_b64 s[14:15]
.LBB1_22409:
	s_movk_i32 s4, 0x80
	v_cmp_eq_u16_sdwa s[12:13], v13, s4 src0_sel:BYTE_0 src1_sel:DWORD
	s_mov_b64 s[4:5], -1
                                        ; implicit-def: $sgpr10
	s_and_saveexec_b64 s[8:9], s[12:13]
; %bb.22410:
	s_mov_b32 s10, 0x7f800001
	s_xor_b64 s[4:5], exec, -1
; %bb.22411:
	s_or_b64 exec, exec, s[8:9]
	s_and_b64 s[4:5], s[4:5], exec
	s_or_saveexec_b64 s[6:7], s[6:7]
	v_mov_b32_e32 v12, s10
	s_xor_b64 exec, exec, s[6:7]
	s_cbranch_execnz .LBB1_22412
; %bb.58249:
	s_getpc_b64 s[14:15]
.Lpost_getpc14788:
	s_add_u32 s14, s14, (.LBB1_8074-.Lpost_getpc14788)&4294967295
	s_addc_u32 s15, s15, (.LBB1_8074-.Lpost_getpc14788)>>32
	s_setpc_b64 s[14:15]
.LBB1_22412:
	v_mov_b32_e32 v12, 0
	v_cmp_ne_u16_sdwa s[8:9], v13, v12 src0_sel:BYTE_0 src1_sel:DWORD
	s_andn2_b64 s[4:5], s[4:5], exec
	s_and_b64 s[8:9], s[8:9], exec
	s_or_b64 s[4:5], s[4:5], s[8:9]
	s_or_b64 exec, exec, s[6:7]
	s_and_saveexec_b64 s[6:7], s[4:5]
	s_cbranch_execz .LBB1_32709
; %bb.58251:
	s_getpc_b64 s[14:15]
.Lpost_getpc14789:
	s_add_u32 s14, s14, (.LBB1_8075-.Lpost_getpc14789)&4294967295
	s_addc_u32 s15, s15, (.LBB1_8075-.Lpost_getpc14789)>>32
	s_setpc_b64 s[14:15]
.LBB1_32709:
	s_getpc_b64 s[14:15]
.Lpost_getpc2018:
	s_add_u32 s14, s14, (.LBB1_8076-.Lpost_getpc2018)&4294967295
	s_addc_u32 s15, s15, (.LBB1_8076-.Lpost_getpc2018)>>32
	s_setpc_b64 s[14:15]
.LBB1_22413:
	s_movk_i32 s4, 0x80
	v_cmp_eq_u16_sdwa s[12:13], v13, s4 src0_sel:BYTE_0 src1_sel:DWORD
	s_mov_b64 s[4:5], -1
                                        ; implicit-def: $sgpr10
	s_and_saveexec_b64 s[8:9], s[12:13]
; %bb.22414:
	s_mov_b32 s10, 0x7f800001
	s_xor_b64 s[4:5], exec, -1
; %bb.22415:
	s_or_b64 exec, exec, s[8:9]
	s_and_b64 s[4:5], s[4:5], exec
	s_or_saveexec_b64 s[6:7], s[6:7]
	v_mov_b32_e32 v14, s10
	s_xor_b64 exec, exec, s[6:7]
	s_cbranch_execnz .LBB1_22416
; %bb.58253:
	s_getpc_b64 s[14:15]
.Lpost_getpc14790:
	s_add_u32 s14, s14, (.LBB1_8078-.Lpost_getpc14790)&4294967295
	s_addc_u32 s15, s15, (.LBB1_8078-.Lpost_getpc14790)>>32
	s_setpc_b64 s[14:15]
.LBB1_22416:
	v_mov_b32_e32 v14, 0
	v_cmp_ne_u16_sdwa s[8:9], v13, v14 src0_sel:BYTE_0 src1_sel:DWORD
	s_andn2_b64 s[4:5], s[4:5], exec
	s_and_b64 s[8:9], s[8:9], exec
	s_or_b64 s[4:5], s[4:5], s[8:9]
	s_or_b64 exec, exec, s[6:7]
	s_and_saveexec_b64 s[6:7], s[4:5]
	s_cbranch_execz .LBB1_32711
; %bb.58255:
	s_getpc_b64 s[14:15]
.Lpost_getpc14791:
	s_add_u32 s14, s14, (.LBB1_8079-.Lpost_getpc14791)&4294967295
	s_addc_u32 s15, s15, (.LBB1_8079-.Lpost_getpc14791)>>32
	s_setpc_b64 s[14:15]
.LBB1_32711:
	s_getpc_b64 s[14:15]
.Lpost_getpc2019:
	s_add_u32 s14, s14, (.LBB1_8080-.Lpost_getpc2019)&4294967295
	s_addc_u32 s15, s15, (.LBB1_8080-.Lpost_getpc2019)>>32
	s_setpc_b64 s[14:15]
.LBB1_22417:
	s_movk_i32 s4, 0x80
	v_cmp_eq_u16_e32 vcc, s4, v13
	s_mov_b64 s[4:5], -1
                                        ; implicit-def: $sgpr10
	s_and_saveexec_b64 s[8:9], vcc
; %bb.22418:
	s_mov_b32 s10, 0x7f800001
	s_xor_b64 s[4:5], exec, -1
; %bb.22419:
	s_or_b64 exec, exec, s[8:9]
	s_and_b64 s[4:5], s[4:5], exec
                                        ; implicit-def: $vgpr13
	s_or_saveexec_b64 s[6:7], s[6:7]
	v_mov_b32_e32 v12, s10
	s_xor_b64 exec, exec, s[6:7]
	s_cbranch_execnz .LBB1_22420
; %bb.58257:
	s_getpc_b64 s[14:15]
.Lpost_getpc14792:
	s_add_u32 s14, s14, (.LBB1_8082-.Lpost_getpc14792)&4294967295
	s_addc_u32 s15, s15, (.LBB1_8082-.Lpost_getpc14792)>>32
	s_setpc_b64 s[14:15]
.LBB1_22420:
	v_cmp_ne_u16_e32 vcc, 0, v13
	s_andn2_b64 s[4:5], s[4:5], exec
	s_and_b64 s[8:9], vcc, exec
	v_mov_b32_e32 v12, 0
	s_or_b64 s[4:5], s[4:5], s[8:9]
	s_or_b64 exec, exec, s[6:7]
	s_and_saveexec_b64 s[6:7], s[4:5]
	s_cbranch_execz .LBB1_32713
; %bb.58259:
	s_getpc_b64 s[14:15]
.Lpost_getpc14793:
	s_add_u32 s14, s14, (.LBB1_8083-.Lpost_getpc14793)&4294967295
	s_addc_u32 s15, s15, (.LBB1_8083-.Lpost_getpc14793)>>32
	s_setpc_b64 s[14:15]
.LBB1_32713:
	s_getpc_b64 s[14:15]
.Lpost_getpc2020:
	s_add_u32 s14, s14, (.LBB1_8084-.Lpost_getpc2020)&4294967295
	s_addc_u32 s15, s15, (.LBB1_8084-.Lpost_getpc2020)>>32
	s_setpc_b64 s[14:15]
.LBB1_22421:
	s_movk_i32 s4, 0x80
	v_cmp_eq_u16_e32 vcc, s4, v13
	s_mov_b64 s[4:5], -1
                                        ; implicit-def: $sgpr10
	s_and_saveexec_b64 s[8:9], vcc
; %bb.22422:
	s_mov_b32 s10, 0x7f800001
	s_xor_b64 s[4:5], exec, -1
; %bb.22423:
	s_or_b64 exec, exec, s[8:9]
	s_and_b64 s[4:5], s[4:5], exec
                                        ; implicit-def: $vgpr13
	s_or_saveexec_b64 s[6:7], s[6:7]
	v_mov_b32_e32 v14, s10
	s_xor_b64 exec, exec, s[6:7]
	s_cbranch_execnz .LBB1_22424
; %bb.58261:
	s_getpc_b64 s[14:15]
.Lpost_getpc14794:
	s_add_u32 s14, s14, (.LBB1_8086-.Lpost_getpc14794)&4294967295
	s_addc_u32 s15, s15, (.LBB1_8086-.Lpost_getpc14794)>>32
	s_setpc_b64 s[14:15]
.LBB1_22424:
	v_cmp_ne_u16_e32 vcc, 0, v13
	s_andn2_b64 s[4:5], s[4:5], exec
	s_and_b64 s[8:9], vcc, exec
	v_mov_b32_e32 v14, 0
	s_or_b64 s[4:5], s[4:5], s[8:9]
	s_or_b64 exec, exec, s[6:7]
	s_and_saveexec_b64 s[6:7], s[4:5]
	s_cbranch_execz .LBB1_32715
; %bb.58263:
	s_getpc_b64 s[14:15]
.Lpost_getpc14795:
	s_add_u32 s14, s14, (.LBB1_8087-.Lpost_getpc14795)&4294967295
	s_addc_u32 s15, s15, (.LBB1_8087-.Lpost_getpc14795)>>32
	s_setpc_b64 s[14:15]
.LBB1_32715:
	s_getpc_b64 s[14:15]
.Lpost_getpc2021:
	s_add_u32 s14, s14, (.LBB1_8088-.Lpost_getpc2021)&4294967295
	s_addc_u32 s15, s15, (.LBB1_8088-.Lpost_getpc2021)>>32
	s_setpc_b64 s[14:15]
.LBB1_22425:
	s_movk_i32 s4, 0x80
	v_cmp_eq_u16_sdwa s[12:13], v6, s4 src0_sel:BYTE_3 src1_sel:DWORD
	s_mov_b64 s[4:5], -1
                                        ; implicit-def: $sgpr10
	s_and_saveexec_b64 s[8:9], s[12:13]
; %bb.22426:
	s_mov_b32 s10, 0x7f800001
	s_xor_b64 s[4:5], exec, -1
; %bb.22427:
	s_or_b64 exec, exec, s[8:9]
	s_and_b64 s[4:5], s[4:5], exec
	s_or_saveexec_b64 s[6:7], s[6:7]
	v_mov_b32_e32 v12, s10
	s_xor_b64 exec, exec, s[6:7]
	s_cbranch_execnz .LBB1_22428
; %bb.58265:
	s_getpc_b64 s[14:15]
.Lpost_getpc14796:
	s_add_u32 s14, s14, (.LBB1_8090-.Lpost_getpc14796)&4294967295
	s_addc_u32 s15, s15, (.LBB1_8090-.Lpost_getpc14796)>>32
	s_setpc_b64 s[14:15]
.LBB1_22428:
	v_mov_b32_e32 v12, 0
	v_cmp_ne_u16_sdwa s[8:9], v6, v12 src0_sel:BYTE_3 src1_sel:DWORD
	s_andn2_b64 s[4:5], s[4:5], exec
	s_and_b64 s[8:9], s[8:9], exec
	s_or_b64 s[4:5], s[4:5], s[8:9]
	s_or_b64 exec, exec, s[6:7]
	s_and_saveexec_b64 s[6:7], s[4:5]
	s_cbranch_execz .LBB1_32717
; %bb.58267:
	s_getpc_b64 s[14:15]
.Lpost_getpc14797:
	s_add_u32 s14, s14, (.LBB1_8091-.Lpost_getpc14797)&4294967295
	s_addc_u32 s15, s15, (.LBB1_8091-.Lpost_getpc14797)>>32
	s_setpc_b64 s[14:15]
.LBB1_32717:
	s_getpc_b64 s[14:15]
.Lpost_getpc2022:
	s_add_u32 s14, s14, (.LBB1_8092-.Lpost_getpc2022)&4294967295
	s_addc_u32 s15, s15, (.LBB1_8092-.Lpost_getpc2022)>>32
	s_setpc_b64 s[14:15]
.LBB1_22429:
	s_movk_i32 s4, 0x80
	v_cmp_eq_u16_sdwa s[12:13], v2, s4 src0_sel:BYTE_3 src1_sel:DWORD
	s_mov_b64 s[4:5], -1
                                        ; implicit-def: $sgpr10
	s_and_saveexec_b64 s[8:9], s[12:13]
; %bb.22430:
	s_mov_b32 s10, 0x7f800001
	s_xor_b64 s[4:5], exec, -1
; %bb.22431:
	s_or_b64 exec, exec, s[8:9]
	s_and_b64 s[4:5], s[4:5], exec
	s_or_saveexec_b64 s[6:7], s[6:7]
	v_mov_b32_e32 v6, s10
	s_xor_b64 exec, exec, s[6:7]
	s_cbranch_execnz .LBB1_22432
; %bb.58269:
	s_getpc_b64 s[14:15]
.Lpost_getpc14798:
	s_add_u32 s14, s14, (.LBB1_8094-.Lpost_getpc14798)&4294967295
	s_addc_u32 s15, s15, (.LBB1_8094-.Lpost_getpc14798)>>32
	s_setpc_b64 s[14:15]
.LBB1_22432:
	v_mov_b32_e32 v6, 0
	v_cmp_ne_u16_sdwa s[8:9], v2, v6 src0_sel:BYTE_3 src1_sel:DWORD
	s_andn2_b64 s[4:5], s[4:5], exec
	s_and_b64 s[8:9], s[8:9], exec
	s_or_b64 s[4:5], s[4:5], s[8:9]
	s_or_b64 exec, exec, s[6:7]
	s_and_saveexec_b64 s[6:7], s[4:5]
	s_cbranch_execz .LBB1_32719
; %bb.58271:
	s_getpc_b64 s[14:15]
.Lpost_getpc14799:
	s_add_u32 s14, s14, (.LBB1_8095-.Lpost_getpc14799)&4294967295
	s_addc_u32 s15, s15, (.LBB1_8095-.Lpost_getpc14799)>>32
	s_setpc_b64 s[14:15]
.LBB1_32719:
	s_getpc_b64 s[14:15]
.Lpost_getpc2023:
	s_add_u32 s14, s14, (.LBB1_8096-.Lpost_getpc2023)&4294967295
	s_addc_u32 s15, s15, (.LBB1_8096-.Lpost_getpc2023)>>32
	s_setpc_b64 s[14:15]
.LBB1_22433:
	s_movk_i32 s4, 0x80
	v_cmp_eq_u16_sdwa s[12:13], v7, s4 src0_sel:BYTE_0 src1_sel:DWORD
	s_mov_b64 s[4:5], -1
                                        ; implicit-def: $sgpr10
	s_and_saveexec_b64 s[8:9], s[12:13]
; %bb.22434:
	s_mov_b32 s10, 0x7f800001
	s_xor_b64 s[4:5], exec, -1
; %bb.22435:
	s_or_b64 exec, exec, s[8:9]
	s_and_b64 s[4:5], s[4:5], exec
	s_or_saveexec_b64 s[6:7], s[6:7]
	v_mov_b32_e32 v2, s10
	s_xor_b64 exec, exec, s[6:7]
	s_cbranch_execnz .LBB1_22436
; %bb.58273:
	s_getpc_b64 s[14:15]
.Lpost_getpc14800:
	s_add_u32 s14, s14, (.LBB1_8098-.Lpost_getpc14800)&4294967295
	s_addc_u32 s15, s15, (.LBB1_8098-.Lpost_getpc14800)>>32
	s_setpc_b64 s[14:15]
.LBB1_22436:
	v_mov_b32_e32 v2, 0
	v_cmp_ne_u16_sdwa s[8:9], v7, v2 src0_sel:BYTE_0 src1_sel:DWORD
	s_andn2_b64 s[4:5], s[4:5], exec
	s_and_b64 s[8:9], s[8:9], exec
	s_or_b64 s[4:5], s[4:5], s[8:9]
	s_or_b64 exec, exec, s[6:7]
	s_and_saveexec_b64 s[6:7], s[4:5]
	s_cbranch_execz .LBB1_32721
; %bb.58275:
	s_getpc_b64 s[14:15]
.Lpost_getpc14801:
	s_add_u32 s14, s14, (.LBB1_8099-.Lpost_getpc14801)&4294967295
	s_addc_u32 s15, s15, (.LBB1_8099-.Lpost_getpc14801)>>32
	s_setpc_b64 s[14:15]
.LBB1_32721:
	s_getpc_b64 s[14:15]
.Lpost_getpc2024:
	s_add_u32 s14, s14, (.LBB1_8100-.Lpost_getpc2024)&4294967295
	s_addc_u32 s15, s15, (.LBB1_8100-.Lpost_getpc2024)>>32
	s_setpc_b64 s[14:15]
.LBB1_22437:
	s_movk_i32 s4, 0x80
	v_cmp_eq_u16_sdwa s[12:13], v3, s4 src0_sel:BYTE_0 src1_sel:DWORD
	s_mov_b64 s[4:5], -1
                                        ; implicit-def: $sgpr10
	s_and_saveexec_b64 s[8:9], s[12:13]
; %bb.22438:
	s_mov_b32 s10, 0x7f800001
	s_xor_b64 s[4:5], exec, -1
; %bb.22439:
	s_or_b64 exec, exec, s[8:9]
	s_and_b64 s[4:5], s[4:5], exec
	s_or_saveexec_b64 s[6:7], s[6:7]
	v_mov_b32_e32 v6, s10
	s_xor_b64 exec, exec, s[6:7]
	s_cbranch_execnz .LBB1_22440
; %bb.58277:
	s_getpc_b64 s[14:15]
.Lpost_getpc14802:
	s_add_u32 s14, s14, (.LBB1_8102-.Lpost_getpc14802)&4294967295
	s_addc_u32 s15, s15, (.LBB1_8102-.Lpost_getpc14802)>>32
	s_setpc_b64 s[14:15]
.LBB1_22440:
	v_mov_b32_e32 v6, 0
	v_cmp_ne_u16_sdwa s[8:9], v3, v6 src0_sel:BYTE_0 src1_sel:DWORD
	s_andn2_b64 s[4:5], s[4:5], exec
	s_and_b64 s[8:9], s[8:9], exec
	s_or_b64 s[4:5], s[4:5], s[8:9]
	s_or_b64 exec, exec, s[6:7]
	s_and_saveexec_b64 s[6:7], s[4:5]
	s_cbranch_execz .LBB1_32723
; %bb.58279:
	s_getpc_b64 s[14:15]
.Lpost_getpc14803:
	s_add_u32 s14, s14, (.LBB1_8103-.Lpost_getpc14803)&4294967295
	s_addc_u32 s15, s15, (.LBB1_8103-.Lpost_getpc14803)>>32
	s_setpc_b64 s[14:15]
.LBB1_32723:
	s_getpc_b64 s[14:15]
.Lpost_getpc2025:
	s_add_u32 s14, s14, (.LBB1_8104-.Lpost_getpc2025)&4294967295
	s_addc_u32 s15, s15, (.LBB1_8104-.Lpost_getpc2025)>>32
	s_setpc_b64 s[14:15]
.LBB1_22441:
	s_movk_i32 s4, 0x80
	v_cmp_eq_u16_sdwa s[12:13], v6, s4 src0_sel:BYTE_0 src1_sel:DWORD
	s_mov_b64 s[4:5], -1
                                        ; implicit-def: $sgpr10
	s_and_saveexec_b64 s[8:9], s[12:13]
; %bb.22442:
	s_mov_b32 s10, 0x7f800001
	s_xor_b64 s[4:5], exec, -1
; %bb.22443:
	s_or_b64 exec, exec, s[8:9]
	s_and_b64 s[4:5], s[4:5], exec
	s_or_saveexec_b64 s[6:7], s[6:7]
	v_mov_b32_e32 v2, s10
	s_xor_b64 exec, exec, s[6:7]
	s_cbranch_execnz .LBB1_22444
; %bb.58281:
	s_getpc_b64 s[14:15]
.Lpost_getpc14804:
	s_add_u32 s14, s14, (.LBB1_8106-.Lpost_getpc14804)&4294967295
	s_addc_u32 s15, s15, (.LBB1_8106-.Lpost_getpc14804)>>32
	s_setpc_b64 s[14:15]
.LBB1_22444:
	v_mov_b32_e32 v2, 0
	v_cmp_ne_u16_sdwa s[8:9], v6, v2 src0_sel:BYTE_0 src1_sel:DWORD
	s_andn2_b64 s[4:5], s[4:5], exec
	s_and_b64 s[8:9], s[8:9], exec
	s_or_b64 s[4:5], s[4:5], s[8:9]
	s_or_b64 exec, exec, s[6:7]
	s_and_saveexec_b64 s[6:7], s[4:5]
	s_cbranch_execz .LBB1_32725
; %bb.58283:
	s_getpc_b64 s[14:15]
.Lpost_getpc14805:
	s_add_u32 s14, s14, (.LBB1_8107-.Lpost_getpc14805)&4294967295
	s_addc_u32 s15, s15, (.LBB1_8107-.Lpost_getpc14805)>>32
	s_setpc_b64 s[14:15]
.LBB1_32725:
	s_getpc_b64 s[14:15]
.Lpost_getpc2026:
	s_add_u32 s14, s14, (.LBB1_8108-.Lpost_getpc2026)&4294967295
	s_addc_u32 s15, s15, (.LBB1_8108-.Lpost_getpc2026)>>32
	s_setpc_b64 s[14:15]
.LBB1_22445:
	s_movk_i32 s4, 0x80
	v_cmp_eq_u16_sdwa s[12:13], v6, s4 src0_sel:BYTE_0 src1_sel:DWORD
	s_mov_b64 s[4:5], -1
                                        ; implicit-def: $sgpr10
	s_and_saveexec_b64 s[8:9], s[12:13]
; %bb.22446:
	s_mov_b32 s10, 0x7f800001
	s_xor_b64 s[4:5], exec, -1
; %bb.22447:
	s_or_b64 exec, exec, s[8:9]
	s_and_b64 s[4:5], s[4:5], exec
	s_or_saveexec_b64 s[6:7], s[6:7]
	v_mov_b32_e32 v12, s10
	s_xor_b64 exec, exec, s[6:7]
	s_cbranch_execnz .LBB1_22448
; %bb.58285:
	s_getpc_b64 s[14:15]
.Lpost_getpc14806:
	s_add_u32 s14, s14, (.LBB1_8110-.Lpost_getpc14806)&4294967295
	s_addc_u32 s15, s15, (.LBB1_8110-.Lpost_getpc14806)>>32
	s_setpc_b64 s[14:15]
.LBB1_22448:
	v_mov_b32_e32 v12, 0
	v_cmp_ne_u16_sdwa s[8:9], v6, v12 src0_sel:BYTE_0 src1_sel:DWORD
	s_andn2_b64 s[4:5], s[4:5], exec
	s_and_b64 s[8:9], s[8:9], exec
	s_or_b64 s[4:5], s[4:5], s[8:9]
	s_or_b64 exec, exec, s[6:7]
	s_and_saveexec_b64 s[6:7], s[4:5]
	s_cbranch_execz .LBB1_32727
; %bb.58287:
	s_getpc_b64 s[14:15]
.Lpost_getpc14807:
	s_add_u32 s14, s14, (.LBB1_8111-.Lpost_getpc14807)&4294967295
	s_addc_u32 s15, s15, (.LBB1_8111-.Lpost_getpc14807)>>32
	s_setpc_b64 s[14:15]
.LBB1_32727:
	s_getpc_b64 s[14:15]
.Lpost_getpc2027:
	s_add_u32 s14, s14, (.LBB1_8112-.Lpost_getpc2027)&4294967295
	s_addc_u32 s15, s15, (.LBB1_8112-.Lpost_getpc2027)>>32
	s_setpc_b64 s[14:15]
.LBB1_22449:
	s_movk_i32 s4, 0x80
	v_cmp_eq_u16_e32 vcc, s4, v6
	s_mov_b64 s[4:5], -1
                                        ; implicit-def: $sgpr10
	s_and_saveexec_b64 s[8:9], vcc
; %bb.22450:
	s_mov_b32 s10, 0x7f800001
	s_xor_b64 s[4:5], exec, -1
; %bb.22451:
	s_or_b64 exec, exec, s[8:9]
	s_and_b64 s[4:5], s[4:5], exec
                                        ; implicit-def: $vgpr6
	s_or_saveexec_b64 s[6:7], s[6:7]
	v_mov_b32_e32 v2, s10
	s_xor_b64 exec, exec, s[6:7]
	s_cbranch_execnz .LBB1_22452
; %bb.58289:
	s_getpc_b64 s[14:15]
.Lpost_getpc14808:
	s_add_u32 s14, s14, (.LBB1_8114-.Lpost_getpc14808)&4294967295
	s_addc_u32 s15, s15, (.LBB1_8114-.Lpost_getpc14808)>>32
	s_setpc_b64 s[14:15]
.LBB1_22452:
	v_cmp_ne_u16_e32 vcc, 0, v6
	s_andn2_b64 s[4:5], s[4:5], exec
	s_and_b64 s[8:9], vcc, exec
	v_mov_b32_e32 v2, 0
	s_or_b64 s[4:5], s[4:5], s[8:9]
	s_or_b64 exec, exec, s[6:7]
	s_and_saveexec_b64 s[6:7], s[4:5]
	s_cbranch_execz .LBB1_32729
; %bb.58291:
	s_getpc_b64 s[14:15]
.Lpost_getpc14809:
	s_add_u32 s14, s14, (.LBB1_8115-.Lpost_getpc14809)&4294967295
	s_addc_u32 s15, s15, (.LBB1_8115-.Lpost_getpc14809)>>32
	s_setpc_b64 s[14:15]
.LBB1_32729:
	s_getpc_b64 s[14:15]
.Lpost_getpc2028:
	s_add_u32 s14, s14, (.LBB1_8116-.Lpost_getpc2028)&4294967295
	s_addc_u32 s15, s15, (.LBB1_8116-.Lpost_getpc2028)>>32
	s_setpc_b64 s[14:15]
.LBB1_22453:
	s_movk_i32 s4, 0x80
	v_cmp_eq_u16_e32 vcc, s4, v6
	s_mov_b64 s[4:5], -1
                                        ; implicit-def: $sgpr10
	s_and_saveexec_b64 s[8:9], vcc
; %bb.22454:
	s_mov_b32 s10, 0x7f800001
	s_xor_b64 s[4:5], exec, -1
; %bb.22455:
	s_or_b64 exec, exec, s[8:9]
	s_and_b64 s[4:5], s[4:5], exec
                                        ; implicit-def: $vgpr6
	s_or_saveexec_b64 s[6:7], s[6:7]
	v_mov_b32_e32 v12, s10
	s_xor_b64 exec, exec, s[6:7]
	s_cbranch_execnz .LBB1_22456
; %bb.58293:
	s_getpc_b64 s[14:15]
.Lpost_getpc14810:
	s_add_u32 s14, s14, (.LBB1_8118-.Lpost_getpc14810)&4294967295
	s_addc_u32 s15, s15, (.LBB1_8118-.Lpost_getpc14810)>>32
	s_setpc_b64 s[14:15]
.LBB1_22456:
	v_cmp_ne_u16_e32 vcc, 0, v6
	s_andn2_b64 s[4:5], s[4:5], exec
	s_and_b64 s[8:9], vcc, exec
	v_mov_b32_e32 v12, 0
	s_or_b64 s[4:5], s[4:5], s[8:9]
	s_or_b64 exec, exec, s[6:7]
	s_and_saveexec_b64 s[6:7], s[4:5]
	s_cbranch_execz .LBB1_32731
; %bb.58295:
	s_getpc_b64 s[14:15]
.Lpost_getpc14811:
	s_add_u32 s14, s14, (.LBB1_8119-.Lpost_getpc14811)&4294967295
	s_addc_u32 s15, s15, (.LBB1_8119-.Lpost_getpc14811)>>32
	s_setpc_b64 s[14:15]
.LBB1_32731:
	s_getpc_b64 s[14:15]
.Lpost_getpc2029:
	s_add_u32 s14, s14, (.LBB1_8120-.Lpost_getpc2029)&4294967295
	s_addc_u32 s15, s15, (.LBB1_8120-.Lpost_getpc2029)>>32
	s_setpc_b64 s[14:15]
.LBB1_22457:
	s_movk_i32 s4, 0x80
	v_cmp_eq_u16_sdwa s[12:13], v7, s4 src0_sel:BYTE_3 src1_sel:DWORD
	s_mov_b64 s[4:5], -1
                                        ; implicit-def: $sgpr10
	s_and_saveexec_b64 s[8:9], s[12:13]
; %bb.22458:
	s_mov_b32 s10, 0x7f800001
	s_xor_b64 s[4:5], exec, -1
; %bb.22459:
	s_or_b64 exec, exec, s[8:9]
	s_and_b64 s[4:5], s[4:5], exec
	s_or_saveexec_b64 s[6:7], s[6:7]
	v_mov_b32_e32 v2, s10
	s_xor_b64 exec, exec, s[6:7]
	s_cbranch_execnz .LBB1_22460
; %bb.58297:
	s_getpc_b64 s[14:15]
.Lpost_getpc14812:
	s_add_u32 s14, s14, (.LBB1_8122-.Lpost_getpc14812)&4294967295
	s_addc_u32 s15, s15, (.LBB1_8122-.Lpost_getpc14812)>>32
	s_setpc_b64 s[14:15]
.LBB1_22460:
	v_mov_b32_e32 v2, 0
	v_cmp_ne_u16_sdwa s[8:9], v7, v2 src0_sel:BYTE_3 src1_sel:DWORD
	s_andn2_b64 s[4:5], s[4:5], exec
	s_and_b64 s[8:9], s[8:9], exec
	s_or_b64 s[4:5], s[4:5], s[8:9]
	s_or_b64 exec, exec, s[6:7]
	s_and_saveexec_b64 s[6:7], s[4:5]
	s_cbranch_execz .LBB1_32733
; %bb.58299:
	s_getpc_b64 s[14:15]
.Lpost_getpc14813:
	s_add_u32 s14, s14, (.LBB1_8123-.Lpost_getpc14813)&4294967295
	s_addc_u32 s15, s15, (.LBB1_8123-.Lpost_getpc14813)>>32
	s_setpc_b64 s[14:15]
.LBB1_32733:
	s_getpc_b64 s[14:15]
.Lpost_getpc2030:
	s_add_u32 s14, s14, (.LBB1_8124-.Lpost_getpc2030)&4294967295
	s_addc_u32 s15, s15, (.LBB1_8124-.Lpost_getpc2030)>>32
	s_setpc_b64 s[14:15]
.LBB1_22461:
	s_movk_i32 s4, 0x80
	v_cmp_eq_u16_sdwa s[12:13], v3, s4 src0_sel:BYTE_3 src1_sel:DWORD
	s_mov_b64 s[4:5], -1
                                        ; implicit-def: $sgpr10
	s_and_saveexec_b64 s[8:9], s[12:13]
; %bb.22462:
	s_mov_b32 s10, 0x7f800001
	s_xor_b64 s[4:5], exec, -1
; %bb.22463:
	s_or_b64 exec, exec, s[8:9]
	s_and_b64 s[4:5], s[4:5], exec
	s_or_saveexec_b64 s[6:7], s[6:7]
	v_mov_b32_e32 v6, s10
	s_xor_b64 exec, exec, s[6:7]
	s_cbranch_execnz .LBB1_22464
; %bb.58301:
	s_getpc_b64 s[14:15]
.Lpost_getpc14814:
	s_add_u32 s14, s14, (.LBB1_8126-.Lpost_getpc14814)&4294967295
	s_addc_u32 s15, s15, (.LBB1_8126-.Lpost_getpc14814)>>32
	s_setpc_b64 s[14:15]
.LBB1_22464:
	v_mov_b32_e32 v6, 0
	v_cmp_ne_u16_sdwa s[8:9], v3, v6 src0_sel:BYTE_3 src1_sel:DWORD
	s_andn2_b64 s[4:5], s[4:5], exec
	s_and_b64 s[8:9], s[8:9], exec
	s_or_b64 s[4:5], s[4:5], s[8:9]
	s_or_b64 exec, exec, s[6:7]
	s_and_saveexec_b64 s[6:7], s[4:5]
	s_cbranch_execz .LBB1_32735
; %bb.58303:
	s_getpc_b64 s[14:15]
.Lpost_getpc14815:
	s_add_u32 s14, s14, (.LBB1_8127-.Lpost_getpc14815)&4294967295
	s_addc_u32 s15, s15, (.LBB1_8127-.Lpost_getpc14815)>>32
	s_setpc_b64 s[14:15]
.LBB1_32735:
	s_getpc_b64 s[14:15]
.Lpost_getpc2031:
	s_add_u32 s14, s14, (.LBB1_8128-.Lpost_getpc2031)&4294967295
	s_addc_u32 s15, s15, (.LBB1_8128-.Lpost_getpc2031)>>32
	s_setpc_b64 s[14:15]
.LBB1_22465:
	s_movk_i32 s4, 0x80
	v_cmp_eq_u16_sdwa s[12:13], v8, s4 src0_sel:BYTE_0 src1_sel:DWORD
	s_mov_b64 s[4:5], -1
                                        ; implicit-def: $sgpr10
	s_and_saveexec_b64 s[8:9], s[12:13]
; %bb.22466:
	s_mov_b32 s10, 0x7f800001
	s_xor_b64 s[4:5], exec, -1
; %bb.22467:
	s_or_b64 exec, exec, s[8:9]
	s_and_b64 s[4:5], s[4:5], exec
	s_or_saveexec_b64 s[6:7], s[6:7]
	v_mov_b32_e32 v2, s10
	s_xor_b64 exec, exec, s[6:7]
	s_cbranch_execnz .LBB1_22468
; %bb.58305:
	s_getpc_b64 s[14:15]
.Lpost_getpc14816:
	s_add_u32 s14, s14, (.LBB1_8130-.Lpost_getpc14816)&4294967295
	s_addc_u32 s15, s15, (.LBB1_8130-.Lpost_getpc14816)>>32
	s_setpc_b64 s[14:15]
.LBB1_22468:
	v_mov_b32_e32 v2, 0
	v_cmp_ne_u16_sdwa s[8:9], v8, v2 src0_sel:BYTE_0 src1_sel:DWORD
	s_andn2_b64 s[4:5], s[4:5], exec
	s_and_b64 s[8:9], s[8:9], exec
	s_or_b64 s[4:5], s[4:5], s[8:9]
	s_or_b64 exec, exec, s[6:7]
	s_and_saveexec_b64 s[6:7], s[4:5]
	s_cbranch_execz .LBB1_32737
; %bb.58307:
	s_getpc_b64 s[14:15]
.Lpost_getpc14817:
	s_add_u32 s14, s14, (.LBB1_8131-.Lpost_getpc14817)&4294967295
	s_addc_u32 s15, s15, (.LBB1_8131-.Lpost_getpc14817)>>32
	s_setpc_b64 s[14:15]
.LBB1_32737:
	s_getpc_b64 s[14:15]
.Lpost_getpc2032:
	s_add_u32 s14, s14, (.LBB1_8132-.Lpost_getpc2032)&4294967295
	s_addc_u32 s15, s15, (.LBB1_8132-.Lpost_getpc2032)>>32
	s_setpc_b64 s[14:15]
.LBB1_22469:
	s_movk_i32 s4, 0x80
	v_cmp_eq_u16_sdwa s[12:13], v4, s4 src0_sel:BYTE_0 src1_sel:DWORD
	s_mov_b64 s[4:5], -1
                                        ; implicit-def: $sgpr10
	s_and_saveexec_b64 s[8:9], s[12:13]
; %bb.22470:
	s_mov_b32 s10, 0x7f800001
	s_xor_b64 s[4:5], exec, -1
; %bb.22471:
	s_or_b64 exec, exec, s[8:9]
	s_and_b64 s[4:5], s[4:5], exec
	s_or_saveexec_b64 s[6:7], s[6:7]
	v_mov_b32_e32 v3, s10
	s_xor_b64 exec, exec, s[6:7]
	s_cbranch_execnz .LBB1_22472
; %bb.58309:
	s_getpc_b64 s[14:15]
.Lpost_getpc14818:
	s_add_u32 s14, s14, (.LBB1_8134-.Lpost_getpc14818)&4294967295
	s_addc_u32 s15, s15, (.LBB1_8134-.Lpost_getpc14818)>>32
	s_setpc_b64 s[14:15]
.LBB1_22472:
	v_mov_b32_e32 v3, 0
	v_cmp_ne_u16_sdwa s[8:9], v4, v3 src0_sel:BYTE_0 src1_sel:DWORD
	s_andn2_b64 s[4:5], s[4:5], exec
	s_and_b64 s[8:9], s[8:9], exec
	s_or_b64 s[4:5], s[4:5], s[8:9]
	s_or_b64 exec, exec, s[6:7]
	s_and_saveexec_b64 s[6:7], s[4:5]
	s_cbranch_execz .LBB1_32739
; %bb.58311:
	s_getpc_b64 s[14:15]
.Lpost_getpc14819:
	s_add_u32 s14, s14, (.LBB1_8135-.Lpost_getpc14819)&4294967295
	s_addc_u32 s15, s15, (.LBB1_8135-.Lpost_getpc14819)>>32
	s_setpc_b64 s[14:15]
.LBB1_32739:
	s_getpc_b64 s[14:15]
.Lpost_getpc2033:
	s_add_u32 s14, s14, (.LBB1_8136-.Lpost_getpc2033)&4294967295
	s_addc_u32 s15, s15, (.LBB1_8136-.Lpost_getpc2033)>>32
	s_setpc_b64 s[14:15]
.LBB1_22473:
	s_movk_i32 s4, 0x80
	v_cmp_eq_u16_sdwa s[12:13], v3, s4 src0_sel:BYTE_0 src1_sel:DWORD
	s_mov_b64 s[4:5], -1
                                        ; implicit-def: $sgpr10
	s_and_saveexec_b64 s[8:9], s[12:13]
; %bb.22474:
	s_mov_b32 s10, 0x7f800001
	s_xor_b64 s[4:5], exec, -1
; %bb.22475:
	s_or_b64 exec, exec, s[8:9]
	s_and_b64 s[4:5], s[4:5], exec
	s_or_saveexec_b64 s[6:7], s[6:7]
	v_mov_b32_e32 v2, s10
	s_xor_b64 exec, exec, s[6:7]
	s_cbranch_execnz .LBB1_22476
; %bb.58313:
	s_getpc_b64 s[14:15]
.Lpost_getpc14820:
	s_add_u32 s14, s14, (.LBB1_8138-.Lpost_getpc14820)&4294967295
	s_addc_u32 s15, s15, (.LBB1_8138-.Lpost_getpc14820)>>32
	s_setpc_b64 s[14:15]
.LBB1_22476:
	v_mov_b32_e32 v2, 0
	v_cmp_ne_u16_sdwa s[8:9], v3, v2 src0_sel:BYTE_0 src1_sel:DWORD
	s_andn2_b64 s[4:5], s[4:5], exec
	s_and_b64 s[8:9], s[8:9], exec
	s_or_b64 s[4:5], s[4:5], s[8:9]
	s_or_b64 exec, exec, s[6:7]
	s_and_saveexec_b64 s[6:7], s[4:5]
	s_cbranch_execz .LBB1_32741
; %bb.58315:
	s_getpc_b64 s[14:15]
.Lpost_getpc14821:
	s_add_u32 s14, s14, (.LBB1_8139-.Lpost_getpc14821)&4294967295
	s_addc_u32 s15, s15, (.LBB1_8139-.Lpost_getpc14821)>>32
	s_setpc_b64 s[14:15]
.LBB1_32741:
	s_getpc_b64 s[14:15]
.Lpost_getpc2034:
	s_add_u32 s14, s14, (.LBB1_8140-.Lpost_getpc2034)&4294967295
	s_addc_u32 s15, s15, (.LBB1_8140-.Lpost_getpc2034)>>32
	s_setpc_b64 s[14:15]
.LBB1_22477:
	s_movk_i32 s4, 0x80
	v_cmp_eq_u16_sdwa s[12:13], v3, s4 src0_sel:BYTE_0 src1_sel:DWORD
	s_mov_b64 s[4:5], -1
                                        ; implicit-def: $sgpr10
	s_and_saveexec_b64 s[8:9], s[12:13]
; %bb.22478:
	s_mov_b32 s10, 0x7f800001
	s_xor_b64 s[4:5], exec, -1
; %bb.22479:
	s_or_b64 exec, exec, s[8:9]
	s_and_b64 s[4:5], s[4:5], exec
	s_or_saveexec_b64 s[6:7], s[6:7]
	v_mov_b32_e32 v6, s10
	s_xor_b64 exec, exec, s[6:7]
	s_cbranch_execnz .LBB1_22480
; %bb.58317:
	s_getpc_b64 s[14:15]
.Lpost_getpc14822:
	s_add_u32 s14, s14, (.LBB1_8142-.Lpost_getpc14822)&4294967295
	s_addc_u32 s15, s15, (.LBB1_8142-.Lpost_getpc14822)>>32
	s_setpc_b64 s[14:15]
.LBB1_22480:
	v_mov_b32_e32 v6, 0
	v_cmp_ne_u16_sdwa s[8:9], v3, v6 src0_sel:BYTE_0 src1_sel:DWORD
	s_andn2_b64 s[4:5], s[4:5], exec
	s_and_b64 s[8:9], s[8:9], exec
	s_or_b64 s[4:5], s[4:5], s[8:9]
	s_or_b64 exec, exec, s[6:7]
	s_and_saveexec_b64 s[6:7], s[4:5]
	s_cbranch_execz .LBB1_32743
; %bb.58319:
	s_getpc_b64 s[14:15]
.Lpost_getpc14823:
	s_add_u32 s14, s14, (.LBB1_8143-.Lpost_getpc14823)&4294967295
	s_addc_u32 s15, s15, (.LBB1_8143-.Lpost_getpc14823)>>32
	s_setpc_b64 s[14:15]
.LBB1_32743:
	s_getpc_b64 s[14:15]
.Lpost_getpc2035:
	s_add_u32 s14, s14, (.LBB1_8144-.Lpost_getpc2035)&4294967295
	s_addc_u32 s15, s15, (.LBB1_8144-.Lpost_getpc2035)>>32
	s_setpc_b64 s[14:15]
.LBB1_22481:
	s_movk_i32 s4, 0x80
	v_cmp_eq_u16_e32 vcc, s4, v3
	s_mov_b64 s[4:5], -1
                                        ; implicit-def: $sgpr10
	s_and_saveexec_b64 s[8:9], vcc
; %bb.22482:
	s_mov_b32 s10, 0x7f800001
	s_xor_b64 s[4:5], exec, -1
; %bb.22483:
	s_or_b64 exec, exec, s[8:9]
	s_and_b64 s[4:5], s[4:5], exec
                                        ; implicit-def: $vgpr3
	s_or_saveexec_b64 s[6:7], s[6:7]
	v_mov_b32_e32 v2, s10
	s_xor_b64 exec, exec, s[6:7]
	s_cbranch_execnz .LBB1_22484
; %bb.58321:
	s_getpc_b64 s[14:15]
.Lpost_getpc14824:
	s_add_u32 s14, s14, (.LBB1_8146-.Lpost_getpc14824)&4294967295
	s_addc_u32 s15, s15, (.LBB1_8146-.Lpost_getpc14824)>>32
	s_setpc_b64 s[14:15]
.LBB1_22484:
	v_cmp_ne_u16_e32 vcc, 0, v3
	s_andn2_b64 s[4:5], s[4:5], exec
	s_and_b64 s[8:9], vcc, exec
	v_mov_b32_e32 v2, 0
	s_or_b64 s[4:5], s[4:5], s[8:9]
	s_or_b64 exec, exec, s[6:7]
	s_and_saveexec_b64 s[6:7], s[4:5]
	s_cbranch_execz .LBB1_32745
; %bb.58323:
	s_getpc_b64 s[14:15]
.Lpost_getpc14825:
	s_add_u32 s14, s14, (.LBB1_8147-.Lpost_getpc14825)&4294967295
	s_addc_u32 s15, s15, (.LBB1_8147-.Lpost_getpc14825)>>32
	s_setpc_b64 s[14:15]
.LBB1_32745:
	s_getpc_b64 s[14:15]
.Lpost_getpc2036:
	s_add_u32 s14, s14, (.LBB1_8148-.Lpost_getpc2036)&4294967295
	s_addc_u32 s15, s15, (.LBB1_8148-.Lpost_getpc2036)>>32
	s_setpc_b64 s[14:15]
.LBB1_22485:
	s_movk_i32 s4, 0x80
	v_cmp_eq_u16_e32 vcc, s4, v3
	s_mov_b64 s[4:5], -1
                                        ; implicit-def: $sgpr10
	s_and_saveexec_b64 s[8:9], vcc
; %bb.22486:
	s_mov_b32 s10, 0x7f800001
	s_xor_b64 s[4:5], exec, -1
; %bb.22487:
	s_or_b64 exec, exec, s[8:9]
	s_and_b64 s[4:5], s[4:5], exec
                                        ; implicit-def: $vgpr3
	s_or_saveexec_b64 s[6:7], s[6:7]
	v_mov_b32_e32 v6, s10
	s_xor_b64 exec, exec, s[6:7]
	s_cbranch_execnz .LBB1_22488
; %bb.58325:
	s_getpc_b64 s[14:15]
.Lpost_getpc14826:
	s_add_u32 s14, s14, (.LBB1_8150-.Lpost_getpc14826)&4294967295
	s_addc_u32 s15, s15, (.LBB1_8150-.Lpost_getpc14826)>>32
	s_setpc_b64 s[14:15]
.LBB1_22488:
	v_cmp_ne_u16_e32 vcc, 0, v3
	s_andn2_b64 s[4:5], s[4:5], exec
	s_and_b64 s[8:9], vcc, exec
	v_mov_b32_e32 v6, 0
	s_or_b64 s[4:5], s[4:5], s[8:9]
	s_or_b64 exec, exec, s[6:7]
	s_and_saveexec_b64 s[6:7], s[4:5]
	s_cbranch_execz .LBB1_32747
; %bb.58327:
	s_getpc_b64 s[14:15]
.Lpost_getpc14827:
	s_add_u32 s14, s14, (.LBB1_8151-.Lpost_getpc14827)&4294967295
	s_addc_u32 s15, s15, (.LBB1_8151-.Lpost_getpc14827)>>32
	s_setpc_b64 s[14:15]
.LBB1_32747:
	s_getpc_b64 s[14:15]
.Lpost_getpc2037:
	s_add_u32 s14, s14, (.LBB1_8152-.Lpost_getpc2037)&4294967295
	s_addc_u32 s15, s15, (.LBB1_8152-.Lpost_getpc2037)>>32
	s_setpc_b64 s[14:15]
.LBB1_22489:
	s_movk_i32 s4, 0x80
	v_cmp_eq_u16_sdwa s[12:13], v8, s4 src0_sel:BYTE_3 src1_sel:DWORD
	s_mov_b64 s[4:5], -1
                                        ; implicit-def: $sgpr10
	s_and_saveexec_b64 s[8:9], s[12:13]
; %bb.22490:
	s_mov_b32 s10, 0x7f800001
	s_xor_b64 s[4:5], exec, -1
; %bb.22491:
	s_or_b64 exec, exec, s[8:9]
	s_and_b64 s[4:5], s[4:5], exec
	s_or_saveexec_b64 s[6:7], s[6:7]
	v_mov_b32_e32 v2, s10
	s_xor_b64 exec, exec, s[6:7]
	s_cbranch_execnz .LBB1_22492
; %bb.58329:
	s_getpc_b64 s[14:15]
.Lpost_getpc14828:
	s_add_u32 s14, s14, (.LBB1_8154-.Lpost_getpc14828)&4294967295
	s_addc_u32 s15, s15, (.LBB1_8154-.Lpost_getpc14828)>>32
	s_setpc_b64 s[14:15]
.LBB1_22492:
	v_mov_b32_e32 v2, 0
	v_cmp_ne_u16_sdwa s[8:9], v8, v2 src0_sel:BYTE_3 src1_sel:DWORD
	s_andn2_b64 s[4:5], s[4:5], exec
	s_and_b64 s[8:9], s[8:9], exec
	s_or_b64 s[4:5], s[4:5], s[8:9]
	s_or_b64 exec, exec, s[6:7]
	s_and_saveexec_b64 s[6:7], s[4:5]
	s_cbranch_execz .LBB1_32749
; %bb.58331:
	s_getpc_b64 s[14:15]
.Lpost_getpc14829:
	s_add_u32 s14, s14, (.LBB1_8155-.Lpost_getpc14829)&4294967295
	s_addc_u32 s15, s15, (.LBB1_8155-.Lpost_getpc14829)>>32
	s_setpc_b64 s[14:15]
.LBB1_32749:
	s_getpc_b64 s[14:15]
.Lpost_getpc2038:
	s_add_u32 s14, s14, (.LBB1_8156-.Lpost_getpc2038)&4294967295
	s_addc_u32 s15, s15, (.LBB1_8156-.Lpost_getpc2038)>>32
	s_setpc_b64 s[14:15]
.LBB1_22493:
	s_movk_i32 s4, 0x80
	v_cmp_eq_u16_sdwa s[12:13], v4, s4 src0_sel:BYTE_3 src1_sel:DWORD
	s_mov_b64 s[4:5], -1
                                        ; implicit-def: $sgpr10
	s_and_saveexec_b64 s[8:9], s[12:13]
; %bb.22494:
	s_mov_b32 s10, 0x7f800001
	s_xor_b64 s[4:5], exec, -1
; %bb.22495:
	s_or_b64 exec, exec, s[8:9]
	s_and_b64 s[4:5], s[4:5], exec
	s_or_saveexec_b64 s[6:7], s[6:7]
	v_mov_b32_e32 v3, s10
	s_xor_b64 exec, exec, s[6:7]
	s_cbranch_execnz .LBB1_22496
; %bb.58333:
	s_getpc_b64 s[14:15]
.Lpost_getpc14830:
	s_add_u32 s14, s14, (.LBB1_8158-.Lpost_getpc14830)&4294967295
	s_addc_u32 s15, s15, (.LBB1_8158-.Lpost_getpc14830)>>32
	s_setpc_b64 s[14:15]
.LBB1_22496:
	v_mov_b32_e32 v3, 0
	v_cmp_ne_u16_sdwa s[8:9], v4, v3 src0_sel:BYTE_3 src1_sel:DWORD
	s_andn2_b64 s[4:5], s[4:5], exec
	s_and_b64 s[8:9], s[8:9], exec
	s_or_b64 s[4:5], s[4:5], s[8:9]
	s_or_b64 exec, exec, s[6:7]
	s_and_saveexec_b64 s[6:7], s[4:5]
	s_cbranch_execz .LBB1_32751
; %bb.58335:
	s_getpc_b64 s[14:15]
.Lpost_getpc14831:
	s_add_u32 s14, s14, (.LBB1_8159-.Lpost_getpc14831)&4294967295
	s_addc_u32 s15, s15, (.LBB1_8159-.Lpost_getpc14831)>>32
	s_setpc_b64 s[14:15]
.LBB1_32751:
	s_getpc_b64 s[14:15]
.Lpost_getpc2039:
	s_add_u32 s14, s14, (.LBB1_8160-.Lpost_getpc2039)&4294967295
	s_addc_u32 s15, s15, (.LBB1_8160-.Lpost_getpc2039)>>32
	s_setpc_b64 s[14:15]
.LBB1_22497:
	s_movk_i32 s4, 0x80
	v_cmp_eq_u16_sdwa s[12:13], v9, s4 src0_sel:BYTE_0 src1_sel:DWORD
	s_mov_b64 s[4:5], -1
                                        ; implicit-def: $sgpr10
	s_and_saveexec_b64 s[8:9], s[12:13]
; %bb.22498:
	s_mov_b32 s10, 0x7f800001
	s_xor_b64 s[4:5], exec, -1
; %bb.22499:
	s_or_b64 exec, exec, s[8:9]
	s_and_b64 s[4:5], s[4:5], exec
	s_or_saveexec_b64 s[6:7], s[6:7]
	v_mov_b32_e32 v2, s10
	s_xor_b64 exec, exec, s[6:7]
	s_cbranch_execnz .LBB1_22500
; %bb.58337:
	s_getpc_b64 s[14:15]
.Lpost_getpc14832:
	s_add_u32 s14, s14, (.LBB1_8162-.Lpost_getpc14832)&4294967295
	s_addc_u32 s15, s15, (.LBB1_8162-.Lpost_getpc14832)>>32
	s_setpc_b64 s[14:15]
.LBB1_22500:
	v_mov_b32_e32 v2, 0
	v_cmp_ne_u16_sdwa s[8:9], v9, v2 src0_sel:BYTE_0 src1_sel:DWORD
	s_andn2_b64 s[4:5], s[4:5], exec
	s_and_b64 s[8:9], s[8:9], exec
	s_or_b64 s[4:5], s[4:5], s[8:9]
	s_or_b64 exec, exec, s[6:7]
	s_and_saveexec_b64 s[6:7], s[4:5]
	s_cbranch_execz .LBB1_32753
; %bb.58339:
	s_getpc_b64 s[14:15]
.Lpost_getpc14833:
	s_add_u32 s14, s14, (.LBB1_8163-.Lpost_getpc14833)&4294967295
	s_addc_u32 s15, s15, (.LBB1_8163-.Lpost_getpc14833)>>32
	s_setpc_b64 s[14:15]
.LBB1_32753:
	s_getpc_b64 s[14:15]
.Lpost_getpc2040:
	s_add_u32 s14, s14, (.LBB1_8164-.Lpost_getpc2040)&4294967295
	s_addc_u32 s15, s15, (.LBB1_8164-.Lpost_getpc2040)>>32
	s_setpc_b64 s[14:15]
.LBB1_22501:
	s_movk_i32 s4, 0x80
	v_cmp_eq_u16_sdwa s[12:13], v5, s4 src0_sel:BYTE_0 src1_sel:DWORD
	s_mov_b64 s[4:5], -1
                                        ; implicit-def: $sgpr10
	s_and_saveexec_b64 s[8:9], s[12:13]
; %bb.22502:
	s_mov_b32 s10, 0x7f800001
	s_xor_b64 s[4:5], exec, -1
; %bb.22503:
	s_or_b64 exec, exec, s[8:9]
	s_and_b64 s[4:5], s[4:5], exec
	s_or_saveexec_b64 s[6:7], s[6:7]
	v_mov_b32_e32 v3, s10
	s_xor_b64 exec, exec, s[6:7]
	s_cbranch_execnz .LBB1_22504
; %bb.58341:
	s_getpc_b64 s[14:15]
.Lpost_getpc14834:
	s_add_u32 s14, s14, (.LBB1_8166-.Lpost_getpc14834)&4294967295
	s_addc_u32 s15, s15, (.LBB1_8166-.Lpost_getpc14834)>>32
	s_setpc_b64 s[14:15]
.LBB1_22504:
	v_mov_b32_e32 v3, 0
	v_cmp_ne_u16_sdwa s[8:9], v5, v3 src0_sel:BYTE_0 src1_sel:DWORD
	s_andn2_b64 s[4:5], s[4:5], exec
	s_and_b64 s[8:9], s[8:9], exec
	s_or_b64 s[4:5], s[4:5], s[8:9]
	s_or_b64 exec, exec, s[6:7]
	s_and_saveexec_b64 s[6:7], s[4:5]
	s_cbranch_execz .LBB1_32755
; %bb.58343:
	s_getpc_b64 s[14:15]
.Lpost_getpc14835:
	s_add_u32 s14, s14, (.LBB1_8167-.Lpost_getpc14835)&4294967295
	s_addc_u32 s15, s15, (.LBB1_8167-.Lpost_getpc14835)>>32
	s_setpc_b64 s[14:15]
.LBB1_32755:
	s_getpc_b64 s[14:15]
.Lpost_getpc2041:
	s_add_u32 s14, s14, (.LBB1_8168-.Lpost_getpc2041)&4294967295
	s_addc_u32 s15, s15, (.LBB1_8168-.Lpost_getpc2041)>>32
	s_setpc_b64 s[14:15]
.LBB1_22505:
	s_movk_i32 s4, 0x80
	v_cmp_eq_u16_sdwa s[12:13], v3, s4 src0_sel:BYTE_0 src1_sel:DWORD
	s_mov_b64 s[4:5], -1
                                        ; implicit-def: $sgpr10
	s_and_saveexec_b64 s[8:9], s[12:13]
; %bb.22506:
	s_mov_b32 s10, 0x7f800001
	s_xor_b64 s[4:5], exec, -1
; %bb.22507:
	s_or_b64 exec, exec, s[8:9]
	s_and_b64 s[4:5], s[4:5], exec
	s_or_saveexec_b64 s[6:7], s[6:7]
	v_mov_b32_e32 v2, s10
	s_xor_b64 exec, exec, s[6:7]
	s_cbranch_execnz .LBB1_22508
; %bb.58345:
	s_getpc_b64 s[14:15]
.Lpost_getpc14836:
	s_add_u32 s14, s14, (.LBB1_8170-.Lpost_getpc14836)&4294967295
	s_addc_u32 s15, s15, (.LBB1_8170-.Lpost_getpc14836)>>32
	s_setpc_b64 s[14:15]
.LBB1_22508:
	v_mov_b32_e32 v2, 0
	v_cmp_ne_u16_sdwa s[8:9], v3, v2 src0_sel:BYTE_0 src1_sel:DWORD
	s_andn2_b64 s[4:5], s[4:5], exec
	s_and_b64 s[8:9], s[8:9], exec
	s_or_b64 s[4:5], s[4:5], s[8:9]
	s_or_b64 exec, exec, s[6:7]
	s_and_saveexec_b64 s[6:7], s[4:5]
	s_cbranch_execz .LBB1_32757
; %bb.58347:
	s_getpc_b64 s[14:15]
.Lpost_getpc14837:
	s_add_u32 s14, s14, (.LBB1_8171-.Lpost_getpc14837)&4294967295
	s_addc_u32 s15, s15, (.LBB1_8171-.Lpost_getpc14837)>>32
	s_setpc_b64 s[14:15]
.LBB1_32757:
	s_getpc_b64 s[14:15]
.Lpost_getpc2042:
	s_add_u32 s14, s14, (.LBB1_8172-.Lpost_getpc2042)&4294967295
	s_addc_u32 s15, s15, (.LBB1_8172-.Lpost_getpc2042)>>32
	s_setpc_b64 s[14:15]
.LBB1_22509:
	s_movk_i32 s4, 0x80
	v_cmp_eq_u16_sdwa s[12:13], v3, s4 src0_sel:BYTE_0 src1_sel:DWORD
	s_mov_b64 s[4:5], -1
                                        ; implicit-def: $sgpr10
	s_and_saveexec_b64 s[8:9], s[12:13]
; %bb.22510:
	s_mov_b32 s10, 0x7f800001
	s_xor_b64 s[4:5], exec, -1
; %bb.22511:
	s_or_b64 exec, exec, s[8:9]
	s_and_b64 s[4:5], s[4:5], exec
	s_or_saveexec_b64 s[6:7], s[6:7]
	v_mov_b32_e32 v4, s10
	s_xor_b64 exec, exec, s[6:7]
	s_cbranch_execnz .LBB1_22512
; %bb.58349:
	s_getpc_b64 s[14:15]
.Lpost_getpc14838:
	s_add_u32 s14, s14, (.LBB1_8174-.Lpost_getpc14838)&4294967295
	s_addc_u32 s15, s15, (.LBB1_8174-.Lpost_getpc14838)>>32
	s_setpc_b64 s[14:15]
.LBB1_22512:
	v_mov_b32_e32 v4, 0
	v_cmp_ne_u16_sdwa s[8:9], v3, v4 src0_sel:BYTE_0 src1_sel:DWORD
	s_andn2_b64 s[4:5], s[4:5], exec
	s_and_b64 s[8:9], s[8:9], exec
	s_or_b64 s[4:5], s[4:5], s[8:9]
	s_or_b64 exec, exec, s[6:7]
	s_and_saveexec_b64 s[6:7], s[4:5]
	s_cbranch_execz .LBB1_32759
; %bb.58351:
	s_getpc_b64 s[14:15]
.Lpost_getpc14839:
	s_add_u32 s14, s14, (.LBB1_8175-.Lpost_getpc14839)&4294967295
	s_addc_u32 s15, s15, (.LBB1_8175-.Lpost_getpc14839)>>32
	s_setpc_b64 s[14:15]
.LBB1_32759:
	s_getpc_b64 s[14:15]
.Lpost_getpc2043:
	s_add_u32 s14, s14, (.LBB1_8176-.Lpost_getpc2043)&4294967295
	s_addc_u32 s15, s15, (.LBB1_8176-.Lpost_getpc2043)>>32
	s_setpc_b64 s[14:15]
.LBB1_22513:
	s_movk_i32 s4, 0x80
	v_cmp_eq_u16_e32 vcc, s4, v3
	s_mov_b64 s[4:5], -1
                                        ; implicit-def: $sgpr10
	s_and_saveexec_b64 s[8:9], vcc
; %bb.22514:
	s_mov_b32 s10, 0x7f800001
	s_xor_b64 s[4:5], exec, -1
; %bb.22515:
	s_or_b64 exec, exec, s[8:9]
	s_and_b64 s[4:5], s[4:5], exec
                                        ; implicit-def: $vgpr3
	s_or_saveexec_b64 s[6:7], s[6:7]
	v_mov_b32_e32 v2, s10
	s_xor_b64 exec, exec, s[6:7]
	s_cbranch_execnz .LBB1_22516
; %bb.58353:
	s_getpc_b64 s[14:15]
.Lpost_getpc14840:
	s_add_u32 s14, s14, (.LBB1_8178-.Lpost_getpc14840)&4294967295
	s_addc_u32 s15, s15, (.LBB1_8178-.Lpost_getpc14840)>>32
	s_setpc_b64 s[14:15]
.LBB1_22516:
	v_cmp_ne_u16_e32 vcc, 0, v3
	s_andn2_b64 s[4:5], s[4:5], exec
	s_and_b64 s[8:9], vcc, exec
	v_mov_b32_e32 v2, 0
	s_or_b64 s[4:5], s[4:5], s[8:9]
	s_or_b64 exec, exec, s[6:7]
	s_and_saveexec_b64 s[6:7], s[4:5]
	s_cbranch_execz .LBB1_32761
; %bb.58355:
	s_getpc_b64 s[14:15]
.Lpost_getpc14841:
	s_add_u32 s14, s14, (.LBB1_8179-.Lpost_getpc14841)&4294967295
	s_addc_u32 s15, s15, (.LBB1_8179-.Lpost_getpc14841)>>32
	s_setpc_b64 s[14:15]
.LBB1_32761:
	s_getpc_b64 s[14:15]
.Lpost_getpc2044:
	s_add_u32 s14, s14, (.LBB1_8180-.Lpost_getpc2044)&4294967295
	s_addc_u32 s15, s15, (.LBB1_8180-.Lpost_getpc2044)>>32
	s_setpc_b64 s[14:15]
.LBB1_22517:
	s_movk_i32 s4, 0x80
	v_cmp_eq_u16_e32 vcc, s4, v3
	s_mov_b64 s[4:5], -1
                                        ; implicit-def: $sgpr10
	s_and_saveexec_b64 s[8:9], vcc
; %bb.22518:
	s_mov_b32 s10, 0x7f800001
	s_xor_b64 s[4:5], exec, -1
; %bb.22519:
	s_or_b64 exec, exec, s[8:9]
	s_and_b64 s[4:5], s[4:5], exec
                                        ; implicit-def: $vgpr3
	s_or_saveexec_b64 s[6:7], s[6:7]
	v_mov_b32_e32 v4, s10
	s_xor_b64 exec, exec, s[6:7]
	s_cbranch_execnz .LBB1_22520
; %bb.58357:
	s_getpc_b64 s[14:15]
.Lpost_getpc14842:
	s_add_u32 s14, s14, (.LBB1_8182-.Lpost_getpc14842)&4294967295
	s_addc_u32 s15, s15, (.LBB1_8182-.Lpost_getpc14842)>>32
	s_setpc_b64 s[14:15]
.LBB1_22520:
	v_cmp_ne_u16_e32 vcc, 0, v3
	s_andn2_b64 s[4:5], s[4:5], exec
	s_and_b64 s[8:9], vcc, exec
	v_mov_b32_e32 v4, 0
	s_or_b64 s[4:5], s[4:5], s[8:9]
	s_or_b64 exec, exec, s[6:7]
	s_and_saveexec_b64 s[6:7], s[4:5]
	s_cbranch_execz .LBB1_32763
; %bb.58359:
	s_getpc_b64 s[14:15]
.Lpost_getpc14843:
	s_add_u32 s14, s14, (.LBB1_8183-.Lpost_getpc14843)&4294967295
	s_addc_u32 s15, s15, (.LBB1_8183-.Lpost_getpc14843)>>32
	s_setpc_b64 s[14:15]
.LBB1_32763:
	s_getpc_b64 s[14:15]
.Lpost_getpc2045:
	s_add_u32 s14, s14, (.LBB1_8184-.Lpost_getpc2045)&4294967295
	s_addc_u32 s15, s15, (.LBB1_8184-.Lpost_getpc2045)>>32
	s_setpc_b64 s[14:15]
.LBB1_22521:
	s_movk_i32 s4, 0x80
	v_cmp_eq_u16_sdwa s[12:13], v9, s4 src0_sel:BYTE_3 src1_sel:DWORD
	s_mov_b64 s[4:5], -1
                                        ; implicit-def: $sgpr10
	s_and_saveexec_b64 s[8:9], s[12:13]
; %bb.22522:
	s_mov_b32 s10, 0x7f800001
	s_xor_b64 s[4:5], exec, -1
; %bb.22523:
	s_or_b64 exec, exec, s[8:9]
	s_and_b64 s[4:5], s[4:5], exec
	s_or_saveexec_b64 s[6:7], s[6:7]
	v_mov_b32_e32 v2, s10
	s_xor_b64 exec, exec, s[6:7]
	s_cbranch_execnz .LBB1_22524
; %bb.58361:
	s_getpc_b64 s[14:15]
.Lpost_getpc14844:
	s_add_u32 s14, s14, (.LBB1_8186-.Lpost_getpc14844)&4294967295
	s_addc_u32 s15, s15, (.LBB1_8186-.Lpost_getpc14844)>>32
	s_setpc_b64 s[14:15]
.LBB1_22524:
	v_mov_b32_e32 v2, 0
	v_cmp_ne_u16_sdwa s[8:9], v9, v2 src0_sel:BYTE_3 src1_sel:DWORD
	s_andn2_b64 s[4:5], s[4:5], exec
	s_and_b64 s[8:9], s[8:9], exec
	s_or_b64 s[4:5], s[4:5], s[8:9]
	s_or_b64 exec, exec, s[6:7]
	s_and_saveexec_b64 s[6:7], s[4:5]
	s_cbranch_execz .LBB1_32765
; %bb.58363:
	s_getpc_b64 s[14:15]
.Lpost_getpc14845:
	s_add_u32 s14, s14, (.LBB1_8187-.Lpost_getpc14845)&4294967295
	s_addc_u32 s15, s15, (.LBB1_8187-.Lpost_getpc14845)>>32
	s_setpc_b64 s[14:15]
.LBB1_32765:
	s_getpc_b64 s[14:15]
.Lpost_getpc2046:
	s_add_u32 s14, s14, (.LBB1_8188-.Lpost_getpc2046)&4294967295
	s_addc_u32 s15, s15, (.LBB1_8188-.Lpost_getpc2046)>>32
	s_setpc_b64 s[14:15]
.LBB1_22525:
	s_movk_i32 s4, 0x80
	v_cmp_eq_u16_sdwa s[12:13], v5, s4 src0_sel:BYTE_3 src1_sel:DWORD
	s_mov_b64 s[4:5], -1
                                        ; implicit-def: $sgpr10
	s_and_saveexec_b64 s[8:9], s[12:13]
; %bb.22526:
	s_mov_b32 s10, 0x7f800001
	s_xor_b64 s[4:5], exec, -1
; %bb.22527:
	s_or_b64 exec, exec, s[8:9]
	s_and_b64 s[4:5], s[4:5], exec
	s_or_saveexec_b64 s[6:7], s[6:7]
	v_mov_b32_e32 v3, s10
	s_xor_b64 exec, exec, s[6:7]
	s_cbranch_execnz .LBB1_22528
; %bb.58365:
	s_getpc_b64 s[14:15]
.Lpost_getpc14846:
	s_add_u32 s14, s14, (.LBB1_8190-.Lpost_getpc14846)&4294967295
	s_addc_u32 s15, s15, (.LBB1_8190-.Lpost_getpc14846)>>32
	s_setpc_b64 s[14:15]
.LBB1_22528:
	v_mov_b32_e32 v3, 0
	v_cmp_ne_u16_sdwa s[8:9], v5, v3 src0_sel:BYTE_3 src1_sel:DWORD
	s_andn2_b64 s[4:5], s[4:5], exec
	s_and_b64 s[8:9], s[8:9], exec
	s_or_b64 s[4:5], s[4:5], s[8:9]
	s_or_b64 exec, exec, s[6:7]
	s_and_saveexec_b64 s[6:7], s[4:5]
	s_cbranch_execz .LBB1_32767
; %bb.58367:
	s_getpc_b64 s[14:15]
.Lpost_getpc14847:
	s_add_u32 s14, s14, (.LBB1_8191-.Lpost_getpc14847)&4294967295
	s_addc_u32 s15, s15, (.LBB1_8191-.Lpost_getpc14847)>>32
	s_setpc_b64 s[14:15]
.LBB1_32767:
	s_getpc_b64 s[14:15]
.Lpost_getpc2047:
	s_add_u32 s14, s14, (.LBB1_8192-.Lpost_getpc2047)&4294967295
	s_addc_u32 s15, s15, (.LBB1_8192-.Lpost_getpc2047)>>32
	s_setpc_b64 s[14:15]
.LBB1_22529:
	s_movk_i32 s4, 0x80
	v_cmp_eq_u16_sdwa s[12:13], v6, s4 src0_sel:BYTE_0 src1_sel:DWORD
	s_mov_b64 s[4:5], -1
                                        ; implicit-def: $sgpr10
	s_and_saveexec_b64 s[8:9], s[12:13]
; %bb.22530:
	s_mov_b32 s10, 0x7f800001
	s_xor_b64 s[4:5], exec, -1
; %bb.22531:
	s_or_b64 exec, exec, s[8:9]
	s_and_b64 s[4:5], s[4:5], exec
	s_or_saveexec_b64 s[6:7], s[6:7]
	v_mov_b32_e32 v12, s10
	s_xor_b64 exec, exec, s[6:7]
	s_cbranch_execnz .LBB1_22532
; %bb.58369:
	s_getpc_b64 s[14:15]
.Lpost_getpc14848:
	s_add_u32 s14, s14, (.LBB1_8194-.Lpost_getpc14848)&4294967295
	s_addc_u32 s15, s15, (.LBB1_8194-.Lpost_getpc14848)>>32
	s_setpc_b64 s[14:15]
.LBB1_22532:
	v_mov_b32_e32 v12, 0
	v_cmp_ne_u16_sdwa s[8:9], v6, v12 src0_sel:BYTE_0 src1_sel:DWORD
	s_andn2_b64 s[4:5], s[4:5], exec
	s_and_b64 s[8:9], s[8:9], exec
	s_or_b64 s[4:5], s[4:5], s[8:9]
	s_or_b64 exec, exec, s[6:7]
	s_and_saveexec_b64 s[6:7], s[4:5]
	s_cbranch_execz .LBB1_32769
; %bb.58371:
	s_getpc_b64 s[14:15]
.Lpost_getpc14849:
	s_add_u32 s14, s14, (.LBB1_8195-.Lpost_getpc14849)&4294967295
	s_addc_u32 s15, s15, (.LBB1_8195-.Lpost_getpc14849)>>32
	s_setpc_b64 s[14:15]
.LBB1_32769:
	s_getpc_b64 s[14:15]
.Lpost_getpc2048:
	s_add_u32 s14, s14, (.LBB1_8196-.Lpost_getpc2048)&4294967295
	s_addc_u32 s15, s15, (.LBB1_8196-.Lpost_getpc2048)>>32
	s_setpc_b64 s[14:15]
.LBB1_22533:
	s_movk_i32 s4, 0x80
	v_cmp_eq_u16_sdwa s[12:13], v2, s4 src0_sel:BYTE_0 src1_sel:DWORD
	s_mov_b64 s[4:5], -1
                                        ; implicit-def: $sgpr10
	s_and_saveexec_b64 s[8:9], s[12:13]
; %bb.22534:
	s_mov_b32 s10, 0x7f800001
	s_xor_b64 s[4:5], exec, -1
; %bb.22535:
	s_or_b64 exec, exec, s[8:9]
	s_and_b64 s[4:5], s[4:5], exec
	s_or_saveexec_b64 s[6:7], s[6:7]
	v_mov_b32_e32 v13, s10
	s_xor_b64 exec, exec, s[6:7]
	s_cbranch_execnz .LBB1_22536
; %bb.58373:
	s_getpc_b64 s[14:15]
.Lpost_getpc14850:
	s_add_u32 s14, s14, (.LBB1_8198-.Lpost_getpc14850)&4294967295
	s_addc_u32 s15, s15, (.LBB1_8198-.Lpost_getpc14850)>>32
	s_setpc_b64 s[14:15]
.LBB1_22536:
	v_mov_b32_e32 v13, 0
	v_cmp_ne_u16_sdwa s[8:9], v2, v13 src0_sel:BYTE_0 src1_sel:DWORD
	s_andn2_b64 s[4:5], s[4:5], exec
	s_and_b64 s[8:9], s[8:9], exec
	s_or_b64 s[4:5], s[4:5], s[8:9]
	s_or_b64 exec, exec, s[6:7]
	s_and_saveexec_b64 s[6:7], s[4:5]
	s_cbranch_execz .LBB1_32771
; %bb.58375:
	s_getpc_b64 s[14:15]
.Lpost_getpc14851:
	s_add_u32 s14, s14, (.LBB1_8199-.Lpost_getpc14851)&4294967295
	s_addc_u32 s15, s15, (.LBB1_8199-.Lpost_getpc14851)>>32
	s_setpc_b64 s[14:15]
.LBB1_32771:
	s_getpc_b64 s[14:15]
.Lpost_getpc2049:
	s_add_u32 s14, s14, (.LBB1_8200-.Lpost_getpc2049)&4294967295
	s_addc_u32 s15, s15, (.LBB1_8200-.Lpost_getpc2049)>>32
	s_setpc_b64 s[14:15]
.LBB1_22537:
	s_movk_i32 s4, 0x80
	v_cmp_eq_u16_sdwa s[12:13], v13, s4 src0_sel:BYTE_0 src1_sel:DWORD
	s_mov_b64 s[4:5], -1
                                        ; implicit-def: $sgpr10
	s_and_saveexec_b64 s[8:9], s[12:13]
; %bb.22538:
	s_mov_b32 s10, 0x7f800001
	s_xor_b64 s[4:5], exec, -1
; %bb.22539:
	s_or_b64 exec, exec, s[8:9]
	s_and_b64 s[4:5], s[4:5], exec
	s_or_saveexec_b64 s[6:7], s[6:7]
	v_mov_b32_e32 v12, s10
	s_xor_b64 exec, exec, s[6:7]
	s_cbranch_execnz .LBB1_22540
; %bb.58377:
	s_getpc_b64 s[14:15]
.Lpost_getpc14852:
	s_add_u32 s14, s14, (.LBB1_8202-.Lpost_getpc14852)&4294967295
	s_addc_u32 s15, s15, (.LBB1_8202-.Lpost_getpc14852)>>32
	s_setpc_b64 s[14:15]
.LBB1_22540:
	v_mov_b32_e32 v12, 0
	v_cmp_ne_u16_sdwa s[8:9], v13, v12 src0_sel:BYTE_0 src1_sel:DWORD
	s_andn2_b64 s[4:5], s[4:5], exec
	s_and_b64 s[8:9], s[8:9], exec
	s_or_b64 s[4:5], s[4:5], s[8:9]
	s_or_b64 exec, exec, s[6:7]
	s_and_saveexec_b64 s[6:7], s[4:5]
	s_cbranch_execz .LBB1_32773
; %bb.58379:
	s_getpc_b64 s[14:15]
.Lpost_getpc14853:
	s_add_u32 s14, s14, (.LBB1_8203-.Lpost_getpc14853)&4294967295
	s_addc_u32 s15, s15, (.LBB1_8203-.Lpost_getpc14853)>>32
	s_setpc_b64 s[14:15]
.LBB1_32773:
	s_getpc_b64 s[14:15]
.Lpost_getpc2050:
	s_add_u32 s14, s14, (.LBB1_8204-.Lpost_getpc2050)&4294967295
	s_addc_u32 s15, s15, (.LBB1_8204-.Lpost_getpc2050)>>32
	s_setpc_b64 s[14:15]
.LBB1_22541:
	s_movk_i32 s4, 0x80
	v_cmp_eq_u16_sdwa s[12:13], v13, s4 src0_sel:BYTE_0 src1_sel:DWORD
	s_mov_b64 s[4:5], -1
                                        ; implicit-def: $sgpr10
	s_and_saveexec_b64 s[8:9], s[12:13]
; %bb.22542:
	s_mov_b32 s10, 0x7f800001
	s_xor_b64 s[4:5], exec, -1
; %bb.22543:
	s_or_b64 exec, exec, s[8:9]
	s_and_b64 s[4:5], s[4:5], exec
	s_or_saveexec_b64 s[6:7], s[6:7]
	v_mov_b32_e32 v14, s10
	s_xor_b64 exec, exec, s[6:7]
	s_cbranch_execnz .LBB1_22544
; %bb.58381:
	s_getpc_b64 s[14:15]
.Lpost_getpc14854:
	s_add_u32 s14, s14, (.LBB1_8206-.Lpost_getpc14854)&4294967295
	s_addc_u32 s15, s15, (.LBB1_8206-.Lpost_getpc14854)>>32
	s_setpc_b64 s[14:15]
.LBB1_22544:
	v_mov_b32_e32 v14, 0
	v_cmp_ne_u16_sdwa s[8:9], v13, v14 src0_sel:BYTE_0 src1_sel:DWORD
	s_andn2_b64 s[4:5], s[4:5], exec
	s_and_b64 s[8:9], s[8:9], exec
	s_or_b64 s[4:5], s[4:5], s[8:9]
	s_or_b64 exec, exec, s[6:7]
	s_and_saveexec_b64 s[6:7], s[4:5]
	s_cbranch_execz .LBB1_32775
; %bb.58383:
	s_getpc_b64 s[14:15]
.Lpost_getpc14855:
	s_add_u32 s14, s14, (.LBB1_8207-.Lpost_getpc14855)&4294967295
	s_addc_u32 s15, s15, (.LBB1_8207-.Lpost_getpc14855)>>32
	s_setpc_b64 s[14:15]
.LBB1_32775:
	s_getpc_b64 s[14:15]
.Lpost_getpc2051:
	s_add_u32 s14, s14, (.LBB1_8208-.Lpost_getpc2051)&4294967295
	s_addc_u32 s15, s15, (.LBB1_8208-.Lpost_getpc2051)>>32
	s_setpc_b64 s[14:15]
.LBB1_22545:
	s_movk_i32 s4, 0x80
	v_cmp_eq_u16_e32 vcc, s4, v13
	s_mov_b64 s[4:5], -1
                                        ; implicit-def: $sgpr10
	s_and_saveexec_b64 s[8:9], vcc
; %bb.22546:
	s_mov_b32 s10, 0x7f800001
	s_xor_b64 s[4:5], exec, -1
; %bb.22547:
	s_or_b64 exec, exec, s[8:9]
	s_and_b64 s[4:5], s[4:5], exec
                                        ; implicit-def: $vgpr13
	s_or_saveexec_b64 s[6:7], s[6:7]
	v_mov_b32_e32 v12, s10
	s_xor_b64 exec, exec, s[6:7]
	s_cbranch_execnz .LBB1_22548
; %bb.58385:
	s_getpc_b64 s[14:15]
.Lpost_getpc14856:
	s_add_u32 s14, s14, (.LBB1_8210-.Lpost_getpc14856)&4294967295
	s_addc_u32 s15, s15, (.LBB1_8210-.Lpost_getpc14856)>>32
	s_setpc_b64 s[14:15]
.LBB1_22548:
	v_cmp_ne_u16_e32 vcc, 0, v13
	s_andn2_b64 s[4:5], s[4:5], exec
	s_and_b64 s[8:9], vcc, exec
	v_mov_b32_e32 v12, 0
	s_or_b64 s[4:5], s[4:5], s[8:9]
	s_or_b64 exec, exec, s[6:7]
	s_and_saveexec_b64 s[6:7], s[4:5]
	s_cbranch_execz .LBB1_32777
; %bb.58387:
	s_getpc_b64 s[14:15]
.Lpost_getpc14857:
	s_add_u32 s14, s14, (.LBB1_8211-.Lpost_getpc14857)&4294967295
	s_addc_u32 s15, s15, (.LBB1_8211-.Lpost_getpc14857)>>32
	s_setpc_b64 s[14:15]
.LBB1_32777:
	s_getpc_b64 s[14:15]
.Lpost_getpc2052:
	s_add_u32 s14, s14, (.LBB1_8212-.Lpost_getpc2052)&4294967295
	s_addc_u32 s15, s15, (.LBB1_8212-.Lpost_getpc2052)>>32
	s_setpc_b64 s[14:15]
.LBB1_22549:
	s_movk_i32 s4, 0x80
	v_cmp_eq_u16_e32 vcc, s4, v13
	s_mov_b64 s[4:5], -1
                                        ; implicit-def: $sgpr10
	s_and_saveexec_b64 s[8:9], vcc
; %bb.22550:
	s_mov_b32 s10, 0x7f800001
	s_xor_b64 s[4:5], exec, -1
; %bb.22551:
	s_or_b64 exec, exec, s[8:9]
	s_and_b64 s[4:5], s[4:5], exec
                                        ; implicit-def: $vgpr13
	s_or_saveexec_b64 s[6:7], s[6:7]
	v_mov_b32_e32 v14, s10
	s_xor_b64 exec, exec, s[6:7]
	s_cbranch_execnz .LBB1_22552
; %bb.58389:
	s_getpc_b64 s[14:15]
.Lpost_getpc14858:
	s_add_u32 s14, s14, (.LBB1_8214-.Lpost_getpc14858)&4294967295
	s_addc_u32 s15, s15, (.LBB1_8214-.Lpost_getpc14858)>>32
	s_setpc_b64 s[14:15]
.LBB1_22552:
	v_cmp_ne_u16_e32 vcc, 0, v13
	s_andn2_b64 s[4:5], s[4:5], exec
	s_and_b64 s[8:9], vcc, exec
	v_mov_b32_e32 v14, 0
	s_or_b64 s[4:5], s[4:5], s[8:9]
	s_or_b64 exec, exec, s[6:7]
	s_and_saveexec_b64 s[6:7], s[4:5]
	s_cbranch_execz .LBB1_32779
; %bb.58391:
	s_getpc_b64 s[14:15]
.Lpost_getpc14859:
	s_add_u32 s14, s14, (.LBB1_8215-.Lpost_getpc14859)&4294967295
	s_addc_u32 s15, s15, (.LBB1_8215-.Lpost_getpc14859)>>32
	s_setpc_b64 s[14:15]
.LBB1_32779:
	s_getpc_b64 s[14:15]
.Lpost_getpc2053:
	s_add_u32 s14, s14, (.LBB1_8216-.Lpost_getpc2053)&4294967295
	s_addc_u32 s15, s15, (.LBB1_8216-.Lpost_getpc2053)>>32
	s_setpc_b64 s[14:15]
.LBB1_22553:
	s_movk_i32 s4, 0x80
	v_cmp_eq_u16_sdwa s[12:13], v6, s4 src0_sel:BYTE_3 src1_sel:DWORD
	s_mov_b64 s[4:5], -1
                                        ; implicit-def: $sgpr10
	s_and_saveexec_b64 s[8:9], s[12:13]
; %bb.22554:
	s_mov_b32 s10, 0x7f800001
	s_xor_b64 s[4:5], exec, -1
; %bb.22555:
	s_or_b64 exec, exec, s[8:9]
	s_and_b64 s[4:5], s[4:5], exec
	s_or_saveexec_b64 s[6:7], s[6:7]
	v_mov_b32_e32 v12, s10
	s_xor_b64 exec, exec, s[6:7]
	s_cbranch_execnz .LBB1_22556
; %bb.58393:
	s_getpc_b64 s[14:15]
.Lpost_getpc14860:
	s_add_u32 s14, s14, (.LBB1_8218-.Lpost_getpc14860)&4294967295
	s_addc_u32 s15, s15, (.LBB1_8218-.Lpost_getpc14860)>>32
	s_setpc_b64 s[14:15]
.LBB1_22556:
	v_mov_b32_e32 v12, 0
	v_cmp_ne_u16_sdwa s[8:9], v6, v12 src0_sel:BYTE_3 src1_sel:DWORD
	s_andn2_b64 s[4:5], s[4:5], exec
	s_and_b64 s[8:9], s[8:9], exec
	s_or_b64 s[4:5], s[4:5], s[8:9]
	s_or_b64 exec, exec, s[6:7]
	s_and_saveexec_b64 s[6:7], s[4:5]
	s_cbranch_execz .LBB1_32781
; %bb.58395:
	s_getpc_b64 s[14:15]
.Lpost_getpc14861:
	s_add_u32 s14, s14, (.LBB1_8219-.Lpost_getpc14861)&4294967295
	s_addc_u32 s15, s15, (.LBB1_8219-.Lpost_getpc14861)>>32
	s_setpc_b64 s[14:15]
.LBB1_32781:
	s_getpc_b64 s[14:15]
.Lpost_getpc2054:
	s_add_u32 s14, s14, (.LBB1_8220-.Lpost_getpc2054)&4294967295
	s_addc_u32 s15, s15, (.LBB1_8220-.Lpost_getpc2054)>>32
	s_setpc_b64 s[14:15]
.LBB1_22557:
	s_movk_i32 s4, 0x80
	v_cmp_eq_u16_sdwa s[12:13], v2, s4 src0_sel:BYTE_3 src1_sel:DWORD
	s_mov_b64 s[4:5], -1
                                        ; implicit-def: $sgpr10
	s_and_saveexec_b64 s[8:9], s[12:13]
; %bb.22558:
	s_mov_b32 s10, 0x7f800001
	s_xor_b64 s[4:5], exec, -1
; %bb.22559:
	s_or_b64 exec, exec, s[8:9]
	s_and_b64 s[4:5], s[4:5], exec
	s_or_saveexec_b64 s[6:7], s[6:7]
	v_mov_b32_e32 v6, s10
	s_xor_b64 exec, exec, s[6:7]
	s_cbranch_execnz .LBB1_22560
; %bb.58397:
	s_getpc_b64 s[14:15]
.Lpost_getpc14862:
	s_add_u32 s14, s14, (.LBB1_8222-.Lpost_getpc14862)&4294967295
	s_addc_u32 s15, s15, (.LBB1_8222-.Lpost_getpc14862)>>32
	s_setpc_b64 s[14:15]
.LBB1_22560:
	v_mov_b32_e32 v6, 0
	v_cmp_ne_u16_sdwa s[8:9], v2, v6 src0_sel:BYTE_3 src1_sel:DWORD
	s_andn2_b64 s[4:5], s[4:5], exec
	s_and_b64 s[8:9], s[8:9], exec
	s_or_b64 s[4:5], s[4:5], s[8:9]
	s_or_b64 exec, exec, s[6:7]
	s_and_saveexec_b64 s[6:7], s[4:5]
	s_cbranch_execz .LBB1_32783
; %bb.58399:
	s_getpc_b64 s[14:15]
.Lpost_getpc14863:
	s_add_u32 s14, s14, (.LBB1_8223-.Lpost_getpc14863)&4294967295
	s_addc_u32 s15, s15, (.LBB1_8223-.Lpost_getpc14863)>>32
	s_setpc_b64 s[14:15]
.LBB1_32783:
	s_getpc_b64 s[14:15]
.Lpost_getpc2055:
	s_add_u32 s14, s14, (.LBB1_8224-.Lpost_getpc2055)&4294967295
	s_addc_u32 s15, s15, (.LBB1_8224-.Lpost_getpc2055)>>32
	s_setpc_b64 s[14:15]
.LBB1_22561:
	s_movk_i32 s4, 0x80
	v_cmp_eq_u16_sdwa s[12:13], v7, s4 src0_sel:BYTE_0 src1_sel:DWORD
	s_mov_b64 s[4:5], -1
                                        ; implicit-def: $sgpr10
	s_and_saveexec_b64 s[8:9], s[12:13]
; %bb.22562:
	s_mov_b32 s10, 0x7f800001
	s_xor_b64 s[4:5], exec, -1
; %bb.22563:
	s_or_b64 exec, exec, s[8:9]
	s_and_b64 s[4:5], s[4:5], exec
	s_or_saveexec_b64 s[6:7], s[6:7]
	v_mov_b32_e32 v2, s10
	s_xor_b64 exec, exec, s[6:7]
	s_cbranch_execnz .LBB1_22564
; %bb.58401:
	s_getpc_b64 s[14:15]
.Lpost_getpc14864:
	s_add_u32 s14, s14, (.LBB1_8226-.Lpost_getpc14864)&4294967295
	s_addc_u32 s15, s15, (.LBB1_8226-.Lpost_getpc14864)>>32
	s_setpc_b64 s[14:15]
.LBB1_22564:
	v_mov_b32_e32 v2, 0
	v_cmp_ne_u16_sdwa s[8:9], v7, v2 src0_sel:BYTE_0 src1_sel:DWORD
	s_andn2_b64 s[4:5], s[4:5], exec
	s_and_b64 s[8:9], s[8:9], exec
	s_or_b64 s[4:5], s[4:5], s[8:9]
	s_or_b64 exec, exec, s[6:7]
	s_and_saveexec_b64 s[6:7], s[4:5]
	s_cbranch_execz .LBB1_32785
; %bb.58403:
	s_getpc_b64 s[14:15]
.Lpost_getpc14865:
	s_add_u32 s14, s14, (.LBB1_8227-.Lpost_getpc14865)&4294967295
	s_addc_u32 s15, s15, (.LBB1_8227-.Lpost_getpc14865)>>32
	s_setpc_b64 s[14:15]
.LBB1_32785:
	s_getpc_b64 s[14:15]
.Lpost_getpc2056:
	s_add_u32 s14, s14, (.LBB1_8228-.Lpost_getpc2056)&4294967295
	s_addc_u32 s15, s15, (.LBB1_8228-.Lpost_getpc2056)>>32
	s_setpc_b64 s[14:15]
.LBB1_22565:
	s_movk_i32 s4, 0x80
	v_cmp_eq_u16_sdwa s[12:13], v3, s4 src0_sel:BYTE_0 src1_sel:DWORD
	s_mov_b64 s[4:5], -1
                                        ; implicit-def: $sgpr10
	s_and_saveexec_b64 s[8:9], s[12:13]
; %bb.22566:
	s_mov_b32 s10, 0x7f800001
	s_xor_b64 s[4:5], exec, -1
; %bb.22567:
	s_or_b64 exec, exec, s[8:9]
	s_and_b64 s[4:5], s[4:5], exec
	s_or_saveexec_b64 s[6:7], s[6:7]
	v_mov_b32_e32 v6, s10
	s_xor_b64 exec, exec, s[6:7]
	s_cbranch_execnz .LBB1_22568
; %bb.58405:
	s_getpc_b64 s[14:15]
.Lpost_getpc14866:
	s_add_u32 s14, s14, (.LBB1_8230-.Lpost_getpc14866)&4294967295
	s_addc_u32 s15, s15, (.LBB1_8230-.Lpost_getpc14866)>>32
	s_setpc_b64 s[14:15]
.LBB1_22568:
	v_mov_b32_e32 v6, 0
	v_cmp_ne_u16_sdwa s[8:9], v3, v6 src0_sel:BYTE_0 src1_sel:DWORD
	s_andn2_b64 s[4:5], s[4:5], exec
	s_and_b64 s[8:9], s[8:9], exec
	s_or_b64 s[4:5], s[4:5], s[8:9]
	s_or_b64 exec, exec, s[6:7]
	s_and_saveexec_b64 s[6:7], s[4:5]
	s_cbranch_execz .LBB1_32787
; %bb.58407:
	s_getpc_b64 s[14:15]
.Lpost_getpc14867:
	s_add_u32 s14, s14, (.LBB1_8231-.Lpost_getpc14867)&4294967295
	s_addc_u32 s15, s15, (.LBB1_8231-.Lpost_getpc14867)>>32
	s_setpc_b64 s[14:15]
.LBB1_32787:
	s_getpc_b64 s[14:15]
.Lpost_getpc2057:
	s_add_u32 s14, s14, (.LBB1_8232-.Lpost_getpc2057)&4294967295
	s_addc_u32 s15, s15, (.LBB1_8232-.Lpost_getpc2057)>>32
	s_setpc_b64 s[14:15]
.LBB1_22569:
	s_movk_i32 s4, 0x80
	v_cmp_eq_u16_sdwa s[12:13], v6, s4 src0_sel:BYTE_0 src1_sel:DWORD
	s_mov_b64 s[4:5], -1
                                        ; implicit-def: $sgpr10
	s_and_saveexec_b64 s[8:9], s[12:13]
; %bb.22570:
	s_mov_b32 s10, 0x7f800001
	s_xor_b64 s[4:5], exec, -1
; %bb.22571:
	s_or_b64 exec, exec, s[8:9]
	s_and_b64 s[4:5], s[4:5], exec
	s_or_saveexec_b64 s[6:7], s[6:7]
	v_mov_b32_e32 v2, s10
	s_xor_b64 exec, exec, s[6:7]
	s_cbranch_execnz .LBB1_22572
; %bb.58409:
	s_getpc_b64 s[14:15]
.Lpost_getpc14868:
	s_add_u32 s14, s14, (.LBB1_8234-.Lpost_getpc14868)&4294967295
	s_addc_u32 s15, s15, (.LBB1_8234-.Lpost_getpc14868)>>32
	s_setpc_b64 s[14:15]
.LBB1_22572:
	v_mov_b32_e32 v2, 0
	v_cmp_ne_u16_sdwa s[8:9], v6, v2 src0_sel:BYTE_0 src1_sel:DWORD
	s_andn2_b64 s[4:5], s[4:5], exec
	s_and_b64 s[8:9], s[8:9], exec
	s_or_b64 s[4:5], s[4:5], s[8:9]
	s_or_b64 exec, exec, s[6:7]
	s_and_saveexec_b64 s[6:7], s[4:5]
	s_cbranch_execz .LBB1_32789
; %bb.58411:
	s_getpc_b64 s[14:15]
.Lpost_getpc14869:
	s_add_u32 s14, s14, (.LBB1_8235-.Lpost_getpc14869)&4294967295
	s_addc_u32 s15, s15, (.LBB1_8235-.Lpost_getpc14869)>>32
	s_setpc_b64 s[14:15]
.LBB1_32789:
	s_getpc_b64 s[14:15]
.Lpost_getpc2058:
	s_add_u32 s14, s14, (.LBB1_8236-.Lpost_getpc2058)&4294967295
	s_addc_u32 s15, s15, (.LBB1_8236-.Lpost_getpc2058)>>32
	s_setpc_b64 s[14:15]
.LBB1_22573:
	s_movk_i32 s4, 0x80
	v_cmp_eq_u16_sdwa s[12:13], v6, s4 src0_sel:BYTE_0 src1_sel:DWORD
	s_mov_b64 s[4:5], -1
                                        ; implicit-def: $sgpr10
	s_and_saveexec_b64 s[8:9], s[12:13]
; %bb.22574:
	s_mov_b32 s10, 0x7f800001
	s_xor_b64 s[4:5], exec, -1
; %bb.22575:
	s_or_b64 exec, exec, s[8:9]
	s_and_b64 s[4:5], s[4:5], exec
	s_or_saveexec_b64 s[6:7], s[6:7]
	v_mov_b32_e32 v12, s10
	s_xor_b64 exec, exec, s[6:7]
	s_cbranch_execnz .LBB1_22576
; %bb.58413:
	s_getpc_b64 s[14:15]
.Lpost_getpc14870:
	s_add_u32 s14, s14, (.LBB1_8238-.Lpost_getpc14870)&4294967295
	s_addc_u32 s15, s15, (.LBB1_8238-.Lpost_getpc14870)>>32
	s_setpc_b64 s[14:15]
.LBB1_22576:
	v_mov_b32_e32 v12, 0
	v_cmp_ne_u16_sdwa s[8:9], v6, v12 src0_sel:BYTE_0 src1_sel:DWORD
	s_andn2_b64 s[4:5], s[4:5], exec
	s_and_b64 s[8:9], s[8:9], exec
	s_or_b64 s[4:5], s[4:5], s[8:9]
	s_or_b64 exec, exec, s[6:7]
	s_and_saveexec_b64 s[6:7], s[4:5]
	s_cbranch_execz .LBB1_32791
; %bb.58415:
	s_getpc_b64 s[14:15]
.Lpost_getpc14871:
	s_add_u32 s14, s14, (.LBB1_8239-.Lpost_getpc14871)&4294967295
	s_addc_u32 s15, s15, (.LBB1_8239-.Lpost_getpc14871)>>32
	s_setpc_b64 s[14:15]
.LBB1_32791:
	s_getpc_b64 s[14:15]
.Lpost_getpc2059:
	s_add_u32 s14, s14, (.LBB1_8240-.Lpost_getpc2059)&4294967295
	s_addc_u32 s15, s15, (.LBB1_8240-.Lpost_getpc2059)>>32
	s_setpc_b64 s[14:15]
.LBB1_22577:
	s_movk_i32 s4, 0x80
	v_cmp_eq_u16_e32 vcc, s4, v6
	s_mov_b64 s[4:5], -1
                                        ; implicit-def: $sgpr10
	s_and_saveexec_b64 s[8:9], vcc
; %bb.22578:
	s_mov_b32 s10, 0x7f800001
	s_xor_b64 s[4:5], exec, -1
; %bb.22579:
	s_or_b64 exec, exec, s[8:9]
	s_and_b64 s[4:5], s[4:5], exec
                                        ; implicit-def: $vgpr6
	s_or_saveexec_b64 s[6:7], s[6:7]
	v_mov_b32_e32 v2, s10
	s_xor_b64 exec, exec, s[6:7]
	s_cbranch_execnz .LBB1_22580
; %bb.58417:
	s_getpc_b64 s[14:15]
.Lpost_getpc14872:
	s_add_u32 s14, s14, (.LBB1_8242-.Lpost_getpc14872)&4294967295
	s_addc_u32 s15, s15, (.LBB1_8242-.Lpost_getpc14872)>>32
	s_setpc_b64 s[14:15]
.LBB1_22580:
	v_cmp_ne_u16_e32 vcc, 0, v6
	s_andn2_b64 s[4:5], s[4:5], exec
	s_and_b64 s[8:9], vcc, exec
	v_mov_b32_e32 v2, 0
	s_or_b64 s[4:5], s[4:5], s[8:9]
	s_or_b64 exec, exec, s[6:7]
	s_and_saveexec_b64 s[6:7], s[4:5]
	s_cbranch_execz .LBB1_32793
; %bb.58419:
	s_getpc_b64 s[14:15]
.Lpost_getpc14873:
	s_add_u32 s14, s14, (.LBB1_8243-.Lpost_getpc14873)&4294967295
	s_addc_u32 s15, s15, (.LBB1_8243-.Lpost_getpc14873)>>32
	s_setpc_b64 s[14:15]
.LBB1_32793:
	s_getpc_b64 s[14:15]
.Lpost_getpc2060:
	s_add_u32 s14, s14, (.LBB1_8244-.Lpost_getpc2060)&4294967295
	s_addc_u32 s15, s15, (.LBB1_8244-.Lpost_getpc2060)>>32
	s_setpc_b64 s[14:15]
.LBB1_22581:
	s_movk_i32 s4, 0x80
	v_cmp_eq_u16_e32 vcc, s4, v6
	s_mov_b64 s[4:5], -1
                                        ; implicit-def: $sgpr10
	s_and_saveexec_b64 s[8:9], vcc
; %bb.22582:
	s_mov_b32 s10, 0x7f800001
	s_xor_b64 s[4:5], exec, -1
; %bb.22583:
	s_or_b64 exec, exec, s[8:9]
	s_and_b64 s[4:5], s[4:5], exec
                                        ; implicit-def: $vgpr6
	s_or_saveexec_b64 s[6:7], s[6:7]
	v_mov_b32_e32 v12, s10
	s_xor_b64 exec, exec, s[6:7]
	s_cbranch_execnz .LBB1_22584
; %bb.58421:
	s_getpc_b64 s[14:15]
.Lpost_getpc14874:
	s_add_u32 s14, s14, (.LBB1_8246-.Lpost_getpc14874)&4294967295
	s_addc_u32 s15, s15, (.LBB1_8246-.Lpost_getpc14874)>>32
	s_setpc_b64 s[14:15]
.LBB1_22584:
	v_cmp_ne_u16_e32 vcc, 0, v6
	s_andn2_b64 s[4:5], s[4:5], exec
	s_and_b64 s[8:9], vcc, exec
	v_mov_b32_e32 v12, 0
	s_or_b64 s[4:5], s[4:5], s[8:9]
	s_or_b64 exec, exec, s[6:7]
	s_and_saveexec_b64 s[6:7], s[4:5]
	s_cbranch_execz .LBB1_32795
; %bb.58423:
	s_getpc_b64 s[14:15]
.Lpost_getpc14875:
	s_add_u32 s14, s14, (.LBB1_8247-.Lpost_getpc14875)&4294967295
	s_addc_u32 s15, s15, (.LBB1_8247-.Lpost_getpc14875)>>32
	s_setpc_b64 s[14:15]
.LBB1_32795:
	s_getpc_b64 s[14:15]
.Lpost_getpc2061:
	s_add_u32 s14, s14, (.LBB1_8248-.Lpost_getpc2061)&4294967295
	s_addc_u32 s15, s15, (.LBB1_8248-.Lpost_getpc2061)>>32
	s_setpc_b64 s[14:15]
.LBB1_22585:
	s_movk_i32 s4, 0x80
	v_cmp_eq_u16_sdwa s[12:13], v7, s4 src0_sel:BYTE_3 src1_sel:DWORD
	s_mov_b64 s[4:5], -1
                                        ; implicit-def: $sgpr10
	s_and_saveexec_b64 s[8:9], s[12:13]
; %bb.22586:
	s_mov_b32 s10, 0x7f800001
	s_xor_b64 s[4:5], exec, -1
; %bb.22587:
	s_or_b64 exec, exec, s[8:9]
	s_and_b64 s[4:5], s[4:5], exec
	s_or_saveexec_b64 s[6:7], s[6:7]
	v_mov_b32_e32 v2, s10
	s_xor_b64 exec, exec, s[6:7]
	s_cbranch_execnz .LBB1_22588
; %bb.58425:
	s_getpc_b64 s[14:15]
.Lpost_getpc14876:
	s_add_u32 s14, s14, (.LBB1_8250-.Lpost_getpc14876)&4294967295
	s_addc_u32 s15, s15, (.LBB1_8250-.Lpost_getpc14876)>>32
	s_setpc_b64 s[14:15]
.LBB1_22588:
	v_mov_b32_e32 v2, 0
	v_cmp_ne_u16_sdwa s[8:9], v7, v2 src0_sel:BYTE_3 src1_sel:DWORD
	s_andn2_b64 s[4:5], s[4:5], exec
	s_and_b64 s[8:9], s[8:9], exec
	s_or_b64 s[4:5], s[4:5], s[8:9]
	s_or_b64 exec, exec, s[6:7]
	s_and_saveexec_b64 s[6:7], s[4:5]
	s_cbranch_execz .LBB1_32797
; %bb.58427:
	s_getpc_b64 s[14:15]
.Lpost_getpc14877:
	s_add_u32 s14, s14, (.LBB1_8251-.Lpost_getpc14877)&4294967295
	s_addc_u32 s15, s15, (.LBB1_8251-.Lpost_getpc14877)>>32
	s_setpc_b64 s[14:15]
.LBB1_32797:
	s_getpc_b64 s[14:15]
.Lpost_getpc2062:
	s_add_u32 s14, s14, (.LBB1_8252-.Lpost_getpc2062)&4294967295
	s_addc_u32 s15, s15, (.LBB1_8252-.Lpost_getpc2062)>>32
	s_setpc_b64 s[14:15]
.LBB1_22589:
	s_movk_i32 s4, 0x80
	v_cmp_eq_u16_sdwa s[12:13], v3, s4 src0_sel:BYTE_3 src1_sel:DWORD
	s_mov_b64 s[4:5], -1
                                        ; implicit-def: $sgpr10
	s_and_saveexec_b64 s[8:9], s[12:13]
; %bb.22590:
	s_mov_b32 s10, 0x7f800001
	s_xor_b64 s[4:5], exec, -1
; %bb.22591:
	s_or_b64 exec, exec, s[8:9]
	s_and_b64 s[4:5], s[4:5], exec
	s_or_saveexec_b64 s[6:7], s[6:7]
	v_mov_b32_e32 v6, s10
	s_xor_b64 exec, exec, s[6:7]
	s_cbranch_execnz .LBB1_22592
; %bb.58429:
	s_getpc_b64 s[14:15]
.Lpost_getpc14878:
	s_add_u32 s14, s14, (.LBB1_8254-.Lpost_getpc14878)&4294967295
	s_addc_u32 s15, s15, (.LBB1_8254-.Lpost_getpc14878)>>32
	s_setpc_b64 s[14:15]
.LBB1_22592:
	v_mov_b32_e32 v6, 0
	v_cmp_ne_u16_sdwa s[8:9], v3, v6 src0_sel:BYTE_3 src1_sel:DWORD
	s_andn2_b64 s[4:5], s[4:5], exec
	s_and_b64 s[8:9], s[8:9], exec
	s_or_b64 s[4:5], s[4:5], s[8:9]
	s_or_b64 exec, exec, s[6:7]
	s_and_saveexec_b64 s[6:7], s[4:5]
	s_cbranch_execz .LBB1_32799
; %bb.58431:
	s_getpc_b64 s[14:15]
.Lpost_getpc14879:
	s_add_u32 s14, s14, (.LBB1_8255-.Lpost_getpc14879)&4294967295
	s_addc_u32 s15, s15, (.LBB1_8255-.Lpost_getpc14879)>>32
	s_setpc_b64 s[14:15]
.LBB1_32799:
	s_getpc_b64 s[14:15]
.Lpost_getpc2063:
	s_add_u32 s14, s14, (.LBB1_8256-.Lpost_getpc2063)&4294967295
	s_addc_u32 s15, s15, (.LBB1_8256-.Lpost_getpc2063)>>32
	s_setpc_b64 s[14:15]
.LBB1_22593:
	s_movk_i32 s4, 0x80
	v_cmp_eq_u16_sdwa s[12:13], v8, s4 src0_sel:BYTE_0 src1_sel:DWORD
	s_mov_b64 s[4:5], -1
                                        ; implicit-def: $sgpr10
	s_and_saveexec_b64 s[8:9], s[12:13]
; %bb.22594:
	s_mov_b32 s10, 0x7f800001
	s_xor_b64 s[4:5], exec, -1
; %bb.22595:
	s_or_b64 exec, exec, s[8:9]
	s_and_b64 s[4:5], s[4:5], exec
	s_or_saveexec_b64 s[6:7], s[6:7]
	v_mov_b32_e32 v2, s10
	s_xor_b64 exec, exec, s[6:7]
	s_cbranch_execnz .LBB1_22596
; %bb.58433:
	s_getpc_b64 s[14:15]
.Lpost_getpc14880:
	s_add_u32 s14, s14, (.LBB1_8258-.Lpost_getpc14880)&4294967295
	s_addc_u32 s15, s15, (.LBB1_8258-.Lpost_getpc14880)>>32
	s_setpc_b64 s[14:15]
.LBB1_22596:
	v_mov_b32_e32 v2, 0
	v_cmp_ne_u16_sdwa s[8:9], v8, v2 src0_sel:BYTE_0 src1_sel:DWORD
	s_andn2_b64 s[4:5], s[4:5], exec
	s_and_b64 s[8:9], s[8:9], exec
	s_or_b64 s[4:5], s[4:5], s[8:9]
	s_or_b64 exec, exec, s[6:7]
	s_and_saveexec_b64 s[6:7], s[4:5]
	s_cbranch_execz .LBB1_32801
; %bb.58435:
	s_getpc_b64 s[14:15]
.Lpost_getpc14881:
	s_add_u32 s14, s14, (.LBB1_8259-.Lpost_getpc14881)&4294967295
	s_addc_u32 s15, s15, (.LBB1_8259-.Lpost_getpc14881)>>32
	s_setpc_b64 s[14:15]
.LBB1_32801:
	s_getpc_b64 s[14:15]
.Lpost_getpc2064:
	s_add_u32 s14, s14, (.LBB1_8260-.Lpost_getpc2064)&4294967295
	s_addc_u32 s15, s15, (.LBB1_8260-.Lpost_getpc2064)>>32
	s_setpc_b64 s[14:15]
.LBB1_22597:
	s_movk_i32 s4, 0x80
	v_cmp_eq_u16_sdwa s[12:13], v4, s4 src0_sel:BYTE_0 src1_sel:DWORD
	s_mov_b64 s[4:5], -1
                                        ; implicit-def: $sgpr10
	s_and_saveexec_b64 s[8:9], s[12:13]
; %bb.22598:
	s_mov_b32 s10, 0x7f800001
	s_xor_b64 s[4:5], exec, -1
; %bb.22599:
	s_or_b64 exec, exec, s[8:9]
	s_and_b64 s[4:5], s[4:5], exec
	s_or_saveexec_b64 s[6:7], s[6:7]
	v_mov_b32_e32 v3, s10
	s_xor_b64 exec, exec, s[6:7]
	s_cbranch_execnz .LBB1_22600
; %bb.58437:
	s_getpc_b64 s[14:15]
.Lpost_getpc14882:
	s_add_u32 s14, s14, (.LBB1_8262-.Lpost_getpc14882)&4294967295
	s_addc_u32 s15, s15, (.LBB1_8262-.Lpost_getpc14882)>>32
	s_setpc_b64 s[14:15]
.LBB1_22600:
	v_mov_b32_e32 v3, 0
	v_cmp_ne_u16_sdwa s[8:9], v4, v3 src0_sel:BYTE_0 src1_sel:DWORD
	s_andn2_b64 s[4:5], s[4:5], exec
	s_and_b64 s[8:9], s[8:9], exec
	s_or_b64 s[4:5], s[4:5], s[8:9]
	s_or_b64 exec, exec, s[6:7]
	s_and_saveexec_b64 s[6:7], s[4:5]
	s_cbranch_execz .LBB1_32803
; %bb.58439:
	s_getpc_b64 s[14:15]
.Lpost_getpc14883:
	s_add_u32 s14, s14, (.LBB1_8263-.Lpost_getpc14883)&4294967295
	s_addc_u32 s15, s15, (.LBB1_8263-.Lpost_getpc14883)>>32
	s_setpc_b64 s[14:15]
.LBB1_32803:
	s_getpc_b64 s[14:15]
.Lpost_getpc2065:
	s_add_u32 s14, s14, (.LBB1_8264-.Lpost_getpc2065)&4294967295
	s_addc_u32 s15, s15, (.LBB1_8264-.Lpost_getpc2065)>>32
	s_setpc_b64 s[14:15]
.LBB1_22601:
	s_movk_i32 s4, 0x80
	v_cmp_eq_u16_sdwa s[12:13], v3, s4 src0_sel:BYTE_0 src1_sel:DWORD
	s_mov_b64 s[4:5], -1
                                        ; implicit-def: $sgpr10
	s_and_saveexec_b64 s[8:9], s[12:13]
; %bb.22602:
	s_mov_b32 s10, 0x7f800001
	s_xor_b64 s[4:5], exec, -1
; %bb.22603:
	s_or_b64 exec, exec, s[8:9]
	s_and_b64 s[4:5], s[4:5], exec
	s_or_saveexec_b64 s[6:7], s[6:7]
	v_mov_b32_e32 v2, s10
	s_xor_b64 exec, exec, s[6:7]
	s_cbranch_execnz .LBB1_22604
; %bb.58441:
	s_getpc_b64 s[14:15]
.Lpost_getpc14884:
	s_add_u32 s14, s14, (.LBB1_8266-.Lpost_getpc14884)&4294967295
	s_addc_u32 s15, s15, (.LBB1_8266-.Lpost_getpc14884)>>32
	s_setpc_b64 s[14:15]
.LBB1_22604:
	v_mov_b32_e32 v2, 0
	v_cmp_ne_u16_sdwa s[8:9], v3, v2 src0_sel:BYTE_0 src1_sel:DWORD
	s_andn2_b64 s[4:5], s[4:5], exec
	s_and_b64 s[8:9], s[8:9], exec
	s_or_b64 s[4:5], s[4:5], s[8:9]
	s_or_b64 exec, exec, s[6:7]
	s_and_saveexec_b64 s[6:7], s[4:5]
	s_cbranch_execz .LBB1_32805
; %bb.58443:
	s_getpc_b64 s[14:15]
.Lpost_getpc14885:
	s_add_u32 s14, s14, (.LBB1_8267-.Lpost_getpc14885)&4294967295
	s_addc_u32 s15, s15, (.LBB1_8267-.Lpost_getpc14885)>>32
	s_setpc_b64 s[14:15]
.LBB1_32805:
	s_getpc_b64 s[14:15]
.Lpost_getpc2066:
	s_add_u32 s14, s14, (.LBB1_8268-.Lpost_getpc2066)&4294967295
	s_addc_u32 s15, s15, (.LBB1_8268-.Lpost_getpc2066)>>32
	s_setpc_b64 s[14:15]
.LBB1_22605:
	s_movk_i32 s4, 0x80
	v_cmp_eq_u16_sdwa s[12:13], v3, s4 src0_sel:BYTE_0 src1_sel:DWORD
	s_mov_b64 s[4:5], -1
                                        ; implicit-def: $sgpr10
	s_and_saveexec_b64 s[8:9], s[12:13]
; %bb.22606:
	s_mov_b32 s10, 0x7f800001
	s_xor_b64 s[4:5], exec, -1
; %bb.22607:
	s_or_b64 exec, exec, s[8:9]
	s_and_b64 s[4:5], s[4:5], exec
	s_or_saveexec_b64 s[6:7], s[6:7]
	v_mov_b32_e32 v6, s10
	s_xor_b64 exec, exec, s[6:7]
	s_cbranch_execnz .LBB1_22608
; %bb.58445:
	s_getpc_b64 s[14:15]
.Lpost_getpc14886:
	s_add_u32 s14, s14, (.LBB1_8270-.Lpost_getpc14886)&4294967295
	s_addc_u32 s15, s15, (.LBB1_8270-.Lpost_getpc14886)>>32
	s_setpc_b64 s[14:15]
.LBB1_22608:
	v_mov_b32_e32 v6, 0
	v_cmp_ne_u16_sdwa s[8:9], v3, v6 src0_sel:BYTE_0 src1_sel:DWORD
	s_andn2_b64 s[4:5], s[4:5], exec
	s_and_b64 s[8:9], s[8:9], exec
	s_or_b64 s[4:5], s[4:5], s[8:9]
	s_or_b64 exec, exec, s[6:7]
	s_and_saveexec_b64 s[6:7], s[4:5]
	s_cbranch_execz .LBB1_32807
; %bb.58447:
	s_getpc_b64 s[14:15]
.Lpost_getpc14887:
	s_add_u32 s14, s14, (.LBB1_8271-.Lpost_getpc14887)&4294967295
	s_addc_u32 s15, s15, (.LBB1_8271-.Lpost_getpc14887)>>32
	s_setpc_b64 s[14:15]
.LBB1_32807:
	s_getpc_b64 s[14:15]
.Lpost_getpc2067:
	s_add_u32 s14, s14, (.LBB1_8272-.Lpost_getpc2067)&4294967295
	s_addc_u32 s15, s15, (.LBB1_8272-.Lpost_getpc2067)>>32
	s_setpc_b64 s[14:15]
.LBB1_22609:
	s_movk_i32 s4, 0x80
	v_cmp_eq_u16_e32 vcc, s4, v3
	s_mov_b64 s[4:5], -1
                                        ; implicit-def: $sgpr10
	s_and_saveexec_b64 s[8:9], vcc
; %bb.22610:
	s_mov_b32 s10, 0x7f800001
	s_xor_b64 s[4:5], exec, -1
; %bb.22611:
	s_or_b64 exec, exec, s[8:9]
	s_and_b64 s[4:5], s[4:5], exec
                                        ; implicit-def: $vgpr3
	s_or_saveexec_b64 s[6:7], s[6:7]
	v_mov_b32_e32 v2, s10
	s_xor_b64 exec, exec, s[6:7]
	s_cbranch_execnz .LBB1_22612
; %bb.58449:
	s_getpc_b64 s[14:15]
.Lpost_getpc14888:
	s_add_u32 s14, s14, (.LBB1_8274-.Lpost_getpc14888)&4294967295
	s_addc_u32 s15, s15, (.LBB1_8274-.Lpost_getpc14888)>>32
	s_setpc_b64 s[14:15]
.LBB1_22612:
	v_cmp_ne_u16_e32 vcc, 0, v3
	s_andn2_b64 s[4:5], s[4:5], exec
	s_and_b64 s[8:9], vcc, exec
	v_mov_b32_e32 v2, 0
	s_or_b64 s[4:5], s[4:5], s[8:9]
	s_or_b64 exec, exec, s[6:7]
	s_and_saveexec_b64 s[6:7], s[4:5]
	s_cbranch_execz .LBB1_32809
; %bb.58451:
	s_getpc_b64 s[14:15]
.Lpost_getpc14889:
	s_add_u32 s14, s14, (.LBB1_8275-.Lpost_getpc14889)&4294967295
	s_addc_u32 s15, s15, (.LBB1_8275-.Lpost_getpc14889)>>32
	s_setpc_b64 s[14:15]
.LBB1_32809:
	s_getpc_b64 s[14:15]
.Lpost_getpc2068:
	s_add_u32 s14, s14, (.LBB1_8276-.Lpost_getpc2068)&4294967295
	s_addc_u32 s15, s15, (.LBB1_8276-.Lpost_getpc2068)>>32
	s_setpc_b64 s[14:15]
.LBB1_22613:
	s_movk_i32 s4, 0x80
	v_cmp_eq_u16_e32 vcc, s4, v3
	s_mov_b64 s[4:5], -1
                                        ; implicit-def: $sgpr10
	s_and_saveexec_b64 s[8:9], vcc
; %bb.22614:
	s_mov_b32 s10, 0x7f800001
	s_xor_b64 s[4:5], exec, -1
; %bb.22615:
	s_or_b64 exec, exec, s[8:9]
	s_and_b64 s[4:5], s[4:5], exec
                                        ; implicit-def: $vgpr3
	s_or_saveexec_b64 s[6:7], s[6:7]
	v_mov_b32_e32 v6, s10
	s_xor_b64 exec, exec, s[6:7]
	s_cbranch_execnz .LBB1_22616
; %bb.58453:
	s_getpc_b64 s[14:15]
.Lpost_getpc14890:
	s_add_u32 s14, s14, (.LBB1_8278-.Lpost_getpc14890)&4294967295
	s_addc_u32 s15, s15, (.LBB1_8278-.Lpost_getpc14890)>>32
	s_setpc_b64 s[14:15]
.LBB1_22616:
	v_cmp_ne_u16_e32 vcc, 0, v3
	s_andn2_b64 s[4:5], s[4:5], exec
	s_and_b64 s[8:9], vcc, exec
	v_mov_b32_e32 v6, 0
	s_or_b64 s[4:5], s[4:5], s[8:9]
	s_or_b64 exec, exec, s[6:7]
	s_and_saveexec_b64 s[6:7], s[4:5]
	s_cbranch_execz .LBB1_32811
; %bb.58455:
	s_getpc_b64 s[14:15]
.Lpost_getpc14891:
	s_add_u32 s14, s14, (.LBB1_8279-.Lpost_getpc14891)&4294967295
	s_addc_u32 s15, s15, (.LBB1_8279-.Lpost_getpc14891)>>32
	s_setpc_b64 s[14:15]
.LBB1_32811:
	s_getpc_b64 s[14:15]
.Lpost_getpc2069:
	s_add_u32 s14, s14, (.LBB1_8280-.Lpost_getpc2069)&4294967295
	s_addc_u32 s15, s15, (.LBB1_8280-.Lpost_getpc2069)>>32
	s_setpc_b64 s[14:15]
.LBB1_22617:
	s_movk_i32 s4, 0x80
	v_cmp_eq_u16_sdwa s[12:13], v8, s4 src0_sel:BYTE_3 src1_sel:DWORD
	s_mov_b64 s[4:5], -1
                                        ; implicit-def: $sgpr10
	s_and_saveexec_b64 s[8:9], s[12:13]
; %bb.22618:
	s_mov_b32 s10, 0x7f800001
	s_xor_b64 s[4:5], exec, -1
; %bb.22619:
	s_or_b64 exec, exec, s[8:9]
	s_and_b64 s[4:5], s[4:5], exec
	s_or_saveexec_b64 s[6:7], s[6:7]
	v_mov_b32_e32 v2, s10
	s_xor_b64 exec, exec, s[6:7]
	s_cbranch_execnz .LBB1_22620
; %bb.58457:
	s_getpc_b64 s[14:15]
.Lpost_getpc14892:
	s_add_u32 s14, s14, (.LBB1_8282-.Lpost_getpc14892)&4294967295
	s_addc_u32 s15, s15, (.LBB1_8282-.Lpost_getpc14892)>>32
	s_setpc_b64 s[14:15]
.LBB1_22620:
	v_mov_b32_e32 v2, 0
	v_cmp_ne_u16_sdwa s[8:9], v8, v2 src0_sel:BYTE_3 src1_sel:DWORD
	s_andn2_b64 s[4:5], s[4:5], exec
	s_and_b64 s[8:9], s[8:9], exec
	s_or_b64 s[4:5], s[4:5], s[8:9]
	s_or_b64 exec, exec, s[6:7]
	s_and_saveexec_b64 s[6:7], s[4:5]
	s_cbranch_execz .LBB1_32813
; %bb.58459:
	s_getpc_b64 s[14:15]
.Lpost_getpc14893:
	s_add_u32 s14, s14, (.LBB1_8283-.Lpost_getpc14893)&4294967295
	s_addc_u32 s15, s15, (.LBB1_8283-.Lpost_getpc14893)>>32
	s_setpc_b64 s[14:15]
.LBB1_32813:
	s_getpc_b64 s[14:15]
.Lpost_getpc2070:
	s_add_u32 s14, s14, (.LBB1_8284-.Lpost_getpc2070)&4294967295
	s_addc_u32 s15, s15, (.LBB1_8284-.Lpost_getpc2070)>>32
	s_setpc_b64 s[14:15]
.LBB1_22621:
	s_movk_i32 s4, 0x80
	v_cmp_eq_u16_sdwa s[12:13], v4, s4 src0_sel:BYTE_3 src1_sel:DWORD
	s_mov_b64 s[4:5], -1
                                        ; implicit-def: $sgpr10
	s_and_saveexec_b64 s[8:9], s[12:13]
; %bb.22622:
	s_mov_b32 s10, 0x7f800001
	s_xor_b64 s[4:5], exec, -1
; %bb.22623:
	s_or_b64 exec, exec, s[8:9]
	s_and_b64 s[4:5], s[4:5], exec
	s_or_saveexec_b64 s[6:7], s[6:7]
	v_mov_b32_e32 v3, s10
	s_xor_b64 exec, exec, s[6:7]
	s_cbranch_execnz .LBB1_22624
; %bb.58461:
	s_getpc_b64 s[14:15]
.Lpost_getpc14894:
	s_add_u32 s14, s14, (.LBB1_8286-.Lpost_getpc14894)&4294967295
	s_addc_u32 s15, s15, (.LBB1_8286-.Lpost_getpc14894)>>32
	s_setpc_b64 s[14:15]
.LBB1_22624:
	v_mov_b32_e32 v3, 0
	v_cmp_ne_u16_sdwa s[8:9], v4, v3 src0_sel:BYTE_3 src1_sel:DWORD
	s_andn2_b64 s[4:5], s[4:5], exec
	s_and_b64 s[8:9], s[8:9], exec
	s_or_b64 s[4:5], s[4:5], s[8:9]
	s_or_b64 exec, exec, s[6:7]
	s_and_saveexec_b64 s[6:7], s[4:5]
	s_cbranch_execz .LBB1_32815
; %bb.58463:
	s_getpc_b64 s[14:15]
.Lpost_getpc14895:
	s_add_u32 s14, s14, (.LBB1_8287-.Lpost_getpc14895)&4294967295
	s_addc_u32 s15, s15, (.LBB1_8287-.Lpost_getpc14895)>>32
	s_setpc_b64 s[14:15]
.LBB1_32815:
	s_getpc_b64 s[14:15]
.Lpost_getpc2071:
	s_add_u32 s14, s14, (.LBB1_8288-.Lpost_getpc2071)&4294967295
	s_addc_u32 s15, s15, (.LBB1_8288-.Lpost_getpc2071)>>32
	s_setpc_b64 s[14:15]
.LBB1_22625:
	s_movk_i32 s4, 0x80
	v_cmp_eq_u16_sdwa s[12:13], v9, s4 src0_sel:BYTE_0 src1_sel:DWORD
	s_mov_b64 s[4:5], -1
                                        ; implicit-def: $sgpr10
	s_and_saveexec_b64 s[8:9], s[12:13]
; %bb.22626:
	s_mov_b32 s10, 0x7f800001
	s_xor_b64 s[4:5], exec, -1
; %bb.22627:
	s_or_b64 exec, exec, s[8:9]
	s_and_b64 s[4:5], s[4:5], exec
	s_or_saveexec_b64 s[6:7], s[6:7]
	v_mov_b32_e32 v2, s10
	s_xor_b64 exec, exec, s[6:7]
	s_cbranch_execnz .LBB1_22628
; %bb.58465:
	s_getpc_b64 s[14:15]
.Lpost_getpc14896:
	s_add_u32 s14, s14, (.LBB1_8290-.Lpost_getpc14896)&4294967295
	s_addc_u32 s15, s15, (.LBB1_8290-.Lpost_getpc14896)>>32
	s_setpc_b64 s[14:15]
.LBB1_22628:
	v_mov_b32_e32 v2, 0
	v_cmp_ne_u16_sdwa s[8:9], v9, v2 src0_sel:BYTE_0 src1_sel:DWORD
	s_andn2_b64 s[4:5], s[4:5], exec
	s_and_b64 s[8:9], s[8:9], exec
	s_or_b64 s[4:5], s[4:5], s[8:9]
	s_or_b64 exec, exec, s[6:7]
	s_and_saveexec_b64 s[6:7], s[4:5]
	s_cbranch_execz .LBB1_32817
; %bb.58467:
	s_getpc_b64 s[14:15]
.Lpost_getpc14897:
	s_add_u32 s14, s14, (.LBB1_8291-.Lpost_getpc14897)&4294967295
	s_addc_u32 s15, s15, (.LBB1_8291-.Lpost_getpc14897)>>32
	s_setpc_b64 s[14:15]
.LBB1_32817:
	s_getpc_b64 s[14:15]
.Lpost_getpc2072:
	s_add_u32 s14, s14, (.LBB1_8292-.Lpost_getpc2072)&4294967295
	s_addc_u32 s15, s15, (.LBB1_8292-.Lpost_getpc2072)>>32
	s_setpc_b64 s[14:15]
.LBB1_22629:
	s_movk_i32 s4, 0x80
	v_cmp_eq_u16_sdwa s[12:13], v5, s4 src0_sel:BYTE_0 src1_sel:DWORD
	s_mov_b64 s[4:5], -1
                                        ; implicit-def: $sgpr10
	s_and_saveexec_b64 s[8:9], s[12:13]
; %bb.22630:
	s_mov_b32 s10, 0x7f800001
	s_xor_b64 s[4:5], exec, -1
; %bb.22631:
	s_or_b64 exec, exec, s[8:9]
	s_and_b64 s[4:5], s[4:5], exec
	s_or_saveexec_b64 s[6:7], s[6:7]
	v_mov_b32_e32 v3, s10
	s_xor_b64 exec, exec, s[6:7]
	s_cbranch_execnz .LBB1_22632
; %bb.58469:
	s_getpc_b64 s[14:15]
.Lpost_getpc14898:
	s_add_u32 s14, s14, (.LBB1_8294-.Lpost_getpc14898)&4294967295
	s_addc_u32 s15, s15, (.LBB1_8294-.Lpost_getpc14898)>>32
	s_setpc_b64 s[14:15]
.LBB1_22632:
	v_mov_b32_e32 v3, 0
	v_cmp_ne_u16_sdwa s[8:9], v5, v3 src0_sel:BYTE_0 src1_sel:DWORD
	s_andn2_b64 s[4:5], s[4:5], exec
	s_and_b64 s[8:9], s[8:9], exec
	s_or_b64 s[4:5], s[4:5], s[8:9]
	s_or_b64 exec, exec, s[6:7]
	s_and_saveexec_b64 s[6:7], s[4:5]
	s_cbranch_execz .LBB1_32819
; %bb.58471:
	s_getpc_b64 s[14:15]
.Lpost_getpc14899:
	s_add_u32 s14, s14, (.LBB1_8295-.Lpost_getpc14899)&4294967295
	s_addc_u32 s15, s15, (.LBB1_8295-.Lpost_getpc14899)>>32
	s_setpc_b64 s[14:15]
.LBB1_32819:
	s_getpc_b64 s[14:15]
.Lpost_getpc2073:
	s_add_u32 s14, s14, (.LBB1_8296-.Lpost_getpc2073)&4294967295
	s_addc_u32 s15, s15, (.LBB1_8296-.Lpost_getpc2073)>>32
	s_setpc_b64 s[14:15]
.LBB1_22633:
	s_movk_i32 s4, 0x80
	v_cmp_eq_u16_sdwa s[12:13], v3, s4 src0_sel:BYTE_0 src1_sel:DWORD
	s_mov_b64 s[4:5], -1
                                        ; implicit-def: $sgpr10
	s_and_saveexec_b64 s[8:9], s[12:13]
; %bb.22634:
	s_mov_b32 s10, 0x7f800001
	s_xor_b64 s[4:5], exec, -1
; %bb.22635:
	s_or_b64 exec, exec, s[8:9]
	s_and_b64 s[4:5], s[4:5], exec
	s_or_saveexec_b64 s[6:7], s[6:7]
	v_mov_b32_e32 v2, s10
	s_xor_b64 exec, exec, s[6:7]
	s_cbranch_execnz .LBB1_22636
; %bb.58473:
	s_getpc_b64 s[14:15]
.Lpost_getpc14900:
	s_add_u32 s14, s14, (.LBB1_8298-.Lpost_getpc14900)&4294967295
	s_addc_u32 s15, s15, (.LBB1_8298-.Lpost_getpc14900)>>32
	s_setpc_b64 s[14:15]
.LBB1_22636:
	v_mov_b32_e32 v2, 0
	v_cmp_ne_u16_sdwa s[8:9], v3, v2 src0_sel:BYTE_0 src1_sel:DWORD
	s_andn2_b64 s[4:5], s[4:5], exec
	s_and_b64 s[8:9], s[8:9], exec
	s_or_b64 s[4:5], s[4:5], s[8:9]
	s_or_b64 exec, exec, s[6:7]
	s_and_saveexec_b64 s[6:7], s[4:5]
	s_cbranch_execz .LBB1_32821
; %bb.58475:
	s_getpc_b64 s[14:15]
.Lpost_getpc14901:
	s_add_u32 s14, s14, (.LBB1_8299-.Lpost_getpc14901)&4294967295
	s_addc_u32 s15, s15, (.LBB1_8299-.Lpost_getpc14901)>>32
	s_setpc_b64 s[14:15]
.LBB1_32821:
	s_getpc_b64 s[14:15]
.Lpost_getpc2074:
	s_add_u32 s14, s14, (.LBB1_8300-.Lpost_getpc2074)&4294967295
	s_addc_u32 s15, s15, (.LBB1_8300-.Lpost_getpc2074)>>32
	s_setpc_b64 s[14:15]
.LBB1_22637:
	s_movk_i32 s4, 0x80
	v_cmp_eq_u16_sdwa s[12:13], v3, s4 src0_sel:BYTE_0 src1_sel:DWORD
	s_mov_b64 s[4:5], -1
                                        ; implicit-def: $sgpr10
	s_and_saveexec_b64 s[8:9], s[12:13]
; %bb.22638:
	s_mov_b32 s10, 0x7f800001
	s_xor_b64 s[4:5], exec, -1
; %bb.22639:
	s_or_b64 exec, exec, s[8:9]
	s_and_b64 s[4:5], s[4:5], exec
	s_or_saveexec_b64 s[6:7], s[6:7]
	v_mov_b32_e32 v4, s10
	s_xor_b64 exec, exec, s[6:7]
	s_cbranch_execnz .LBB1_22640
; %bb.58477:
	s_getpc_b64 s[14:15]
.Lpost_getpc14902:
	s_add_u32 s14, s14, (.LBB1_8302-.Lpost_getpc14902)&4294967295
	s_addc_u32 s15, s15, (.LBB1_8302-.Lpost_getpc14902)>>32
	s_setpc_b64 s[14:15]
.LBB1_22640:
	v_mov_b32_e32 v4, 0
	v_cmp_ne_u16_sdwa s[8:9], v3, v4 src0_sel:BYTE_0 src1_sel:DWORD
	s_andn2_b64 s[4:5], s[4:5], exec
	s_and_b64 s[8:9], s[8:9], exec
	s_or_b64 s[4:5], s[4:5], s[8:9]
	s_or_b64 exec, exec, s[6:7]
	s_and_saveexec_b64 s[6:7], s[4:5]
	s_cbranch_execz .LBB1_32823
; %bb.58479:
	s_getpc_b64 s[14:15]
.Lpost_getpc14903:
	s_add_u32 s14, s14, (.LBB1_8303-.Lpost_getpc14903)&4294967295
	s_addc_u32 s15, s15, (.LBB1_8303-.Lpost_getpc14903)>>32
	s_setpc_b64 s[14:15]
.LBB1_32823:
	s_getpc_b64 s[14:15]
.Lpost_getpc2075:
	s_add_u32 s14, s14, (.LBB1_8304-.Lpost_getpc2075)&4294967295
	s_addc_u32 s15, s15, (.LBB1_8304-.Lpost_getpc2075)>>32
	s_setpc_b64 s[14:15]
.LBB1_22641:
	s_movk_i32 s4, 0x80
	v_cmp_eq_u16_e32 vcc, s4, v3
	s_mov_b64 s[4:5], -1
                                        ; implicit-def: $sgpr10
	s_and_saveexec_b64 s[8:9], vcc
; %bb.22642:
	s_mov_b32 s10, 0x7f800001
	s_xor_b64 s[4:5], exec, -1
; %bb.22643:
	s_or_b64 exec, exec, s[8:9]
	s_and_b64 s[4:5], s[4:5], exec
                                        ; implicit-def: $vgpr3
	s_or_saveexec_b64 s[6:7], s[6:7]
	v_mov_b32_e32 v2, s10
	s_xor_b64 exec, exec, s[6:7]
	s_cbranch_execnz .LBB1_22644
; %bb.58481:
	s_getpc_b64 s[14:15]
.Lpost_getpc14904:
	s_add_u32 s14, s14, (.LBB1_8306-.Lpost_getpc14904)&4294967295
	s_addc_u32 s15, s15, (.LBB1_8306-.Lpost_getpc14904)>>32
	s_setpc_b64 s[14:15]
.LBB1_22644:
	v_cmp_ne_u16_e32 vcc, 0, v3
	s_andn2_b64 s[4:5], s[4:5], exec
	s_and_b64 s[8:9], vcc, exec
	v_mov_b32_e32 v2, 0
	s_or_b64 s[4:5], s[4:5], s[8:9]
	s_or_b64 exec, exec, s[6:7]
	s_and_saveexec_b64 s[6:7], s[4:5]
	s_cbranch_execz .LBB1_32825
; %bb.58483:
	s_getpc_b64 s[14:15]
.Lpost_getpc14905:
	s_add_u32 s14, s14, (.LBB1_8307-.Lpost_getpc14905)&4294967295
	s_addc_u32 s15, s15, (.LBB1_8307-.Lpost_getpc14905)>>32
	s_setpc_b64 s[14:15]
.LBB1_32825:
	s_getpc_b64 s[14:15]
.Lpost_getpc2076:
	s_add_u32 s14, s14, (.LBB1_8308-.Lpost_getpc2076)&4294967295
	s_addc_u32 s15, s15, (.LBB1_8308-.Lpost_getpc2076)>>32
	s_setpc_b64 s[14:15]
.LBB1_22645:
	s_movk_i32 s4, 0x80
	v_cmp_eq_u16_e32 vcc, s4, v3
	s_mov_b64 s[4:5], -1
                                        ; implicit-def: $sgpr10
	s_and_saveexec_b64 s[8:9], vcc
; %bb.22646:
	s_mov_b32 s10, 0x7f800001
	s_xor_b64 s[4:5], exec, -1
; %bb.22647:
	s_or_b64 exec, exec, s[8:9]
	s_and_b64 s[4:5], s[4:5], exec
                                        ; implicit-def: $vgpr3
	s_or_saveexec_b64 s[6:7], s[6:7]
	v_mov_b32_e32 v4, s10
	s_xor_b64 exec, exec, s[6:7]
	s_cbranch_execnz .LBB1_22648
; %bb.58485:
	s_getpc_b64 s[14:15]
.Lpost_getpc14906:
	s_add_u32 s14, s14, (.LBB1_8310-.Lpost_getpc14906)&4294967295
	s_addc_u32 s15, s15, (.LBB1_8310-.Lpost_getpc14906)>>32
	s_setpc_b64 s[14:15]
.LBB1_22648:
	v_cmp_ne_u16_e32 vcc, 0, v3
	s_andn2_b64 s[4:5], s[4:5], exec
	s_and_b64 s[8:9], vcc, exec
	v_mov_b32_e32 v4, 0
	s_or_b64 s[4:5], s[4:5], s[8:9]
	s_or_b64 exec, exec, s[6:7]
	s_and_saveexec_b64 s[6:7], s[4:5]
	s_cbranch_execz .LBB1_32827
; %bb.58487:
	s_getpc_b64 s[14:15]
.Lpost_getpc14907:
	s_add_u32 s14, s14, (.LBB1_8311-.Lpost_getpc14907)&4294967295
	s_addc_u32 s15, s15, (.LBB1_8311-.Lpost_getpc14907)>>32
	s_setpc_b64 s[14:15]
.LBB1_32827:
	s_getpc_b64 s[14:15]
.Lpost_getpc2077:
	s_add_u32 s14, s14, (.LBB1_8312-.Lpost_getpc2077)&4294967295
	s_addc_u32 s15, s15, (.LBB1_8312-.Lpost_getpc2077)>>32
	s_setpc_b64 s[14:15]
.LBB1_22649:
	s_movk_i32 s4, 0x80
	v_cmp_eq_u16_sdwa s[12:13], v9, s4 src0_sel:BYTE_3 src1_sel:DWORD
	s_mov_b64 s[4:5], -1
                                        ; implicit-def: $sgpr10
	s_and_saveexec_b64 s[8:9], s[12:13]
; %bb.22650:
	s_mov_b32 s10, 0x7f800001
	s_xor_b64 s[4:5], exec, -1
; %bb.22651:
	s_or_b64 exec, exec, s[8:9]
	s_and_b64 s[4:5], s[4:5], exec
	s_or_saveexec_b64 s[6:7], s[6:7]
	v_mov_b32_e32 v2, s10
	s_xor_b64 exec, exec, s[6:7]
	s_cbranch_execnz .LBB1_22652
; %bb.58489:
	s_getpc_b64 s[14:15]
.Lpost_getpc14908:
	s_add_u32 s14, s14, (.LBB1_8314-.Lpost_getpc14908)&4294967295
	s_addc_u32 s15, s15, (.LBB1_8314-.Lpost_getpc14908)>>32
	s_setpc_b64 s[14:15]
.LBB1_22652:
	v_mov_b32_e32 v2, 0
	v_cmp_ne_u16_sdwa s[8:9], v9, v2 src0_sel:BYTE_3 src1_sel:DWORD
	s_andn2_b64 s[4:5], s[4:5], exec
	s_and_b64 s[8:9], s[8:9], exec
	s_or_b64 s[4:5], s[4:5], s[8:9]
	s_or_b64 exec, exec, s[6:7]
	s_and_saveexec_b64 s[6:7], s[4:5]
	s_cbranch_execz .LBB1_32829
; %bb.58491:
	s_getpc_b64 s[14:15]
.Lpost_getpc14909:
	s_add_u32 s14, s14, (.LBB1_8315-.Lpost_getpc14909)&4294967295
	s_addc_u32 s15, s15, (.LBB1_8315-.Lpost_getpc14909)>>32
	s_setpc_b64 s[14:15]
.LBB1_32829:
	s_getpc_b64 s[14:15]
.Lpost_getpc2078:
	s_add_u32 s14, s14, (.LBB1_8316-.Lpost_getpc2078)&4294967295
	s_addc_u32 s15, s15, (.LBB1_8316-.Lpost_getpc2078)>>32
	s_setpc_b64 s[14:15]
.LBB1_22653:
	s_movk_i32 s4, 0x80
	v_cmp_eq_u16_sdwa s[12:13], v5, s4 src0_sel:BYTE_3 src1_sel:DWORD
	s_mov_b64 s[4:5], -1
                                        ; implicit-def: $sgpr10
	s_and_saveexec_b64 s[8:9], s[12:13]
; %bb.22654:
	s_mov_b32 s10, 0x7f800001
	s_xor_b64 s[4:5], exec, -1
; %bb.22655:
	s_or_b64 exec, exec, s[8:9]
	s_and_b64 s[4:5], s[4:5], exec
	s_or_saveexec_b64 s[6:7], s[6:7]
	v_mov_b32_e32 v3, s10
	s_xor_b64 exec, exec, s[6:7]
	s_cbranch_execnz .LBB1_22656
; %bb.58493:
	s_getpc_b64 s[14:15]
.Lpost_getpc14910:
	s_add_u32 s14, s14, (.LBB1_8318-.Lpost_getpc14910)&4294967295
	s_addc_u32 s15, s15, (.LBB1_8318-.Lpost_getpc14910)>>32
	s_setpc_b64 s[14:15]
.LBB1_22656:
	v_mov_b32_e32 v3, 0
	v_cmp_ne_u16_sdwa s[8:9], v5, v3 src0_sel:BYTE_3 src1_sel:DWORD
	s_andn2_b64 s[4:5], s[4:5], exec
	s_and_b64 s[8:9], s[8:9], exec
	s_or_b64 s[4:5], s[4:5], s[8:9]
	s_or_b64 exec, exec, s[6:7]
	s_and_saveexec_b64 s[6:7], s[4:5]
	s_cbranch_execz .LBB1_32831
; %bb.58495:
	s_getpc_b64 s[14:15]
.Lpost_getpc14911:
	s_add_u32 s14, s14, (.LBB1_8319-.Lpost_getpc14911)&4294967295
	s_addc_u32 s15, s15, (.LBB1_8319-.Lpost_getpc14911)>>32
	s_setpc_b64 s[14:15]
.LBB1_32831:
	s_getpc_b64 s[14:15]
.Lpost_getpc2079:
	s_add_u32 s14, s14, (.LBB1_8320-.Lpost_getpc2079)&4294967295
	s_addc_u32 s15, s15, (.LBB1_8320-.Lpost_getpc2079)>>32
	s_setpc_b64 s[14:15]
.LBB1_22657:
	s_movk_i32 s4, 0x80
	v_cmp_eq_u16_sdwa s[12:13], v6, s4 src0_sel:BYTE_0 src1_sel:DWORD
	s_mov_b64 s[4:5], -1
                                        ; implicit-def: $sgpr10
	s_and_saveexec_b64 s[8:9], s[12:13]
; %bb.22658:
	s_mov_b32 s10, 0x7f800001
	s_xor_b64 s[4:5], exec, -1
; %bb.22659:
	s_or_b64 exec, exec, s[8:9]
	s_and_b64 s[4:5], s[4:5], exec
	s_or_saveexec_b64 s[6:7], s[6:7]
	v_mov_b32_e32 v12, s10
	s_xor_b64 exec, exec, s[6:7]
	s_cbranch_execnz .LBB1_22660
; %bb.58497:
	s_getpc_b64 s[14:15]
.Lpost_getpc14912:
	s_add_u32 s14, s14, (.LBB1_8322-.Lpost_getpc14912)&4294967295
	s_addc_u32 s15, s15, (.LBB1_8322-.Lpost_getpc14912)>>32
	s_setpc_b64 s[14:15]
.LBB1_22660:
	v_mov_b32_e32 v12, 0
	v_cmp_ne_u16_sdwa s[8:9], v6, v12 src0_sel:BYTE_0 src1_sel:DWORD
	s_andn2_b64 s[4:5], s[4:5], exec
	s_and_b64 s[8:9], s[8:9], exec
	s_or_b64 s[4:5], s[4:5], s[8:9]
	s_or_b64 exec, exec, s[6:7]
	s_and_saveexec_b64 s[6:7], s[4:5]
	s_cbranch_execz .LBB1_32833
; %bb.58499:
	s_getpc_b64 s[14:15]
.Lpost_getpc14913:
	s_add_u32 s14, s14, (.LBB1_8323-.Lpost_getpc14913)&4294967295
	s_addc_u32 s15, s15, (.LBB1_8323-.Lpost_getpc14913)>>32
	s_setpc_b64 s[14:15]
.LBB1_32833:
	s_getpc_b64 s[14:15]
.Lpost_getpc2080:
	s_add_u32 s14, s14, (.LBB1_8324-.Lpost_getpc2080)&4294967295
	s_addc_u32 s15, s15, (.LBB1_8324-.Lpost_getpc2080)>>32
	s_setpc_b64 s[14:15]
.LBB1_22661:
	s_movk_i32 s4, 0x80
	v_cmp_eq_u16_sdwa s[12:13], v2, s4 src0_sel:BYTE_0 src1_sel:DWORD
	s_mov_b64 s[4:5], -1
                                        ; implicit-def: $sgpr10
	s_and_saveexec_b64 s[8:9], s[12:13]
; %bb.22662:
	s_mov_b32 s10, 0x7f800001
	s_xor_b64 s[4:5], exec, -1
; %bb.22663:
	s_or_b64 exec, exec, s[8:9]
	s_and_b64 s[4:5], s[4:5], exec
	s_or_saveexec_b64 s[6:7], s[6:7]
	v_mov_b32_e32 v13, s10
	s_xor_b64 exec, exec, s[6:7]
	s_cbranch_execnz .LBB1_22664
; %bb.58501:
	s_getpc_b64 s[14:15]
.Lpost_getpc14914:
	s_add_u32 s14, s14, (.LBB1_8326-.Lpost_getpc14914)&4294967295
	s_addc_u32 s15, s15, (.LBB1_8326-.Lpost_getpc14914)>>32
	s_setpc_b64 s[14:15]
.LBB1_22664:
	v_mov_b32_e32 v13, 0
	v_cmp_ne_u16_sdwa s[8:9], v2, v13 src0_sel:BYTE_0 src1_sel:DWORD
	s_andn2_b64 s[4:5], s[4:5], exec
	s_and_b64 s[8:9], s[8:9], exec
	s_or_b64 s[4:5], s[4:5], s[8:9]
	s_or_b64 exec, exec, s[6:7]
	s_and_saveexec_b64 s[6:7], s[4:5]
	s_cbranch_execz .LBB1_32835
; %bb.58503:
	s_getpc_b64 s[14:15]
.Lpost_getpc14915:
	s_add_u32 s14, s14, (.LBB1_8327-.Lpost_getpc14915)&4294967295
	s_addc_u32 s15, s15, (.LBB1_8327-.Lpost_getpc14915)>>32
	s_setpc_b64 s[14:15]
.LBB1_32835:
	s_getpc_b64 s[14:15]
.Lpost_getpc2081:
	s_add_u32 s14, s14, (.LBB1_8328-.Lpost_getpc2081)&4294967295
	s_addc_u32 s15, s15, (.LBB1_8328-.Lpost_getpc2081)>>32
	s_setpc_b64 s[14:15]
.LBB1_22665:
	s_movk_i32 s4, 0x80
	v_cmp_eq_u16_sdwa s[12:13], v13, s4 src0_sel:BYTE_0 src1_sel:DWORD
	s_mov_b64 s[4:5], -1
                                        ; implicit-def: $sgpr10
	s_and_saveexec_b64 s[8:9], s[12:13]
; %bb.22666:
	s_mov_b32 s10, 0x7f800001
	s_xor_b64 s[4:5], exec, -1
; %bb.22667:
	s_or_b64 exec, exec, s[8:9]
	s_and_b64 s[4:5], s[4:5], exec
	s_or_saveexec_b64 s[6:7], s[6:7]
	v_mov_b32_e32 v12, s10
	s_xor_b64 exec, exec, s[6:7]
	s_cbranch_execnz .LBB1_22668
; %bb.58505:
	s_getpc_b64 s[14:15]
.Lpost_getpc14916:
	s_add_u32 s14, s14, (.LBB1_8330-.Lpost_getpc14916)&4294967295
	s_addc_u32 s15, s15, (.LBB1_8330-.Lpost_getpc14916)>>32
	s_setpc_b64 s[14:15]
.LBB1_22668:
	v_mov_b32_e32 v12, 0
	v_cmp_ne_u16_sdwa s[8:9], v13, v12 src0_sel:BYTE_0 src1_sel:DWORD
	s_andn2_b64 s[4:5], s[4:5], exec
	s_and_b64 s[8:9], s[8:9], exec
	s_or_b64 s[4:5], s[4:5], s[8:9]
	s_or_b64 exec, exec, s[6:7]
	s_and_saveexec_b64 s[6:7], s[4:5]
	s_cbranch_execz .LBB1_32837
; %bb.58507:
	s_getpc_b64 s[14:15]
.Lpost_getpc14917:
	s_add_u32 s14, s14, (.LBB1_8331-.Lpost_getpc14917)&4294967295
	s_addc_u32 s15, s15, (.LBB1_8331-.Lpost_getpc14917)>>32
	s_setpc_b64 s[14:15]
.LBB1_32837:
	s_getpc_b64 s[14:15]
.Lpost_getpc2082:
	s_add_u32 s14, s14, (.LBB1_8332-.Lpost_getpc2082)&4294967295
	s_addc_u32 s15, s15, (.LBB1_8332-.Lpost_getpc2082)>>32
	s_setpc_b64 s[14:15]
.LBB1_22669:
	s_movk_i32 s4, 0x80
	v_cmp_eq_u16_sdwa s[12:13], v13, s4 src0_sel:BYTE_0 src1_sel:DWORD
	s_mov_b64 s[4:5], -1
                                        ; implicit-def: $sgpr10
	s_and_saveexec_b64 s[8:9], s[12:13]
; %bb.22670:
	s_mov_b32 s10, 0x7f800001
	s_xor_b64 s[4:5], exec, -1
; %bb.22671:
	s_or_b64 exec, exec, s[8:9]
	s_and_b64 s[4:5], s[4:5], exec
	s_or_saveexec_b64 s[6:7], s[6:7]
	v_mov_b32_e32 v14, s10
	s_xor_b64 exec, exec, s[6:7]
	s_cbranch_execnz .LBB1_22672
; %bb.58509:
	s_getpc_b64 s[14:15]
.Lpost_getpc14918:
	s_add_u32 s14, s14, (.LBB1_8334-.Lpost_getpc14918)&4294967295
	s_addc_u32 s15, s15, (.LBB1_8334-.Lpost_getpc14918)>>32
	s_setpc_b64 s[14:15]
.LBB1_22672:
	v_mov_b32_e32 v14, 0
	v_cmp_ne_u16_sdwa s[8:9], v13, v14 src0_sel:BYTE_0 src1_sel:DWORD
	s_andn2_b64 s[4:5], s[4:5], exec
	s_and_b64 s[8:9], s[8:9], exec
	s_or_b64 s[4:5], s[4:5], s[8:9]
	s_or_b64 exec, exec, s[6:7]
	s_and_saveexec_b64 s[6:7], s[4:5]
	s_cbranch_execz .LBB1_32839
; %bb.58511:
	s_getpc_b64 s[14:15]
.Lpost_getpc14919:
	s_add_u32 s14, s14, (.LBB1_8335-.Lpost_getpc14919)&4294967295
	s_addc_u32 s15, s15, (.LBB1_8335-.Lpost_getpc14919)>>32
	s_setpc_b64 s[14:15]
.LBB1_32839:
	s_getpc_b64 s[14:15]
.Lpost_getpc2083:
	s_add_u32 s14, s14, (.LBB1_8336-.Lpost_getpc2083)&4294967295
	s_addc_u32 s15, s15, (.LBB1_8336-.Lpost_getpc2083)>>32
	s_setpc_b64 s[14:15]
.LBB1_22673:
	s_movk_i32 s4, 0x80
	v_cmp_eq_u16_e32 vcc, s4, v13
	s_mov_b64 s[4:5], -1
                                        ; implicit-def: $sgpr10
	s_and_saveexec_b64 s[8:9], vcc
; %bb.22674:
	s_mov_b32 s10, 0x7f800001
	s_xor_b64 s[4:5], exec, -1
; %bb.22675:
	s_or_b64 exec, exec, s[8:9]
	s_and_b64 s[4:5], s[4:5], exec
                                        ; implicit-def: $vgpr13
	s_or_saveexec_b64 s[6:7], s[6:7]
	v_mov_b32_e32 v12, s10
	s_xor_b64 exec, exec, s[6:7]
	s_cbranch_execnz .LBB1_22676
; %bb.58513:
	s_getpc_b64 s[14:15]
.Lpost_getpc14920:
	s_add_u32 s14, s14, (.LBB1_8338-.Lpost_getpc14920)&4294967295
	s_addc_u32 s15, s15, (.LBB1_8338-.Lpost_getpc14920)>>32
	s_setpc_b64 s[14:15]
.LBB1_22676:
	v_cmp_ne_u16_e32 vcc, 0, v13
	s_andn2_b64 s[4:5], s[4:5], exec
	s_and_b64 s[8:9], vcc, exec
	v_mov_b32_e32 v12, 0
	s_or_b64 s[4:5], s[4:5], s[8:9]
	s_or_b64 exec, exec, s[6:7]
	s_and_saveexec_b64 s[6:7], s[4:5]
	s_cbranch_execz .LBB1_32841
; %bb.58515:
	s_getpc_b64 s[14:15]
.Lpost_getpc14921:
	s_add_u32 s14, s14, (.LBB1_8339-.Lpost_getpc14921)&4294967295
	s_addc_u32 s15, s15, (.LBB1_8339-.Lpost_getpc14921)>>32
	s_setpc_b64 s[14:15]
.LBB1_32841:
	s_getpc_b64 s[14:15]
.Lpost_getpc2084:
	s_add_u32 s14, s14, (.LBB1_8340-.Lpost_getpc2084)&4294967295
	s_addc_u32 s15, s15, (.LBB1_8340-.Lpost_getpc2084)>>32
	s_setpc_b64 s[14:15]
.LBB1_22677:
	s_movk_i32 s4, 0x80
	v_cmp_eq_u16_e32 vcc, s4, v13
	s_mov_b64 s[4:5], -1
                                        ; implicit-def: $sgpr10
	s_and_saveexec_b64 s[8:9], vcc
; %bb.22678:
	s_mov_b32 s10, 0x7f800001
	s_xor_b64 s[4:5], exec, -1
; %bb.22679:
	s_or_b64 exec, exec, s[8:9]
	s_and_b64 s[4:5], s[4:5], exec
                                        ; implicit-def: $vgpr13
	s_or_saveexec_b64 s[6:7], s[6:7]
	v_mov_b32_e32 v14, s10
	s_xor_b64 exec, exec, s[6:7]
	s_cbranch_execnz .LBB1_22680
; %bb.58517:
	s_getpc_b64 s[14:15]
.Lpost_getpc14922:
	s_add_u32 s14, s14, (.LBB1_8342-.Lpost_getpc14922)&4294967295
	s_addc_u32 s15, s15, (.LBB1_8342-.Lpost_getpc14922)>>32
	s_setpc_b64 s[14:15]
.LBB1_22680:
	v_cmp_ne_u16_e32 vcc, 0, v13
	s_andn2_b64 s[4:5], s[4:5], exec
	s_and_b64 s[8:9], vcc, exec
	v_mov_b32_e32 v14, 0
	s_or_b64 s[4:5], s[4:5], s[8:9]
	s_or_b64 exec, exec, s[6:7]
	s_and_saveexec_b64 s[6:7], s[4:5]
	s_cbranch_execz .LBB1_32843
; %bb.58519:
	s_getpc_b64 s[14:15]
.Lpost_getpc14923:
	s_add_u32 s14, s14, (.LBB1_8343-.Lpost_getpc14923)&4294967295
	s_addc_u32 s15, s15, (.LBB1_8343-.Lpost_getpc14923)>>32
	s_setpc_b64 s[14:15]
.LBB1_32843:
	s_getpc_b64 s[14:15]
.Lpost_getpc2085:
	s_add_u32 s14, s14, (.LBB1_8344-.Lpost_getpc2085)&4294967295
	s_addc_u32 s15, s15, (.LBB1_8344-.Lpost_getpc2085)>>32
	s_setpc_b64 s[14:15]
.LBB1_22681:
	s_movk_i32 s4, 0x80
	v_cmp_eq_u16_sdwa s[12:13], v6, s4 src0_sel:BYTE_3 src1_sel:DWORD
	s_mov_b64 s[4:5], -1
                                        ; implicit-def: $sgpr10
	s_and_saveexec_b64 s[8:9], s[12:13]
; %bb.22682:
	s_mov_b32 s10, 0x7f800001
	s_xor_b64 s[4:5], exec, -1
; %bb.22683:
	s_or_b64 exec, exec, s[8:9]
	s_and_b64 s[4:5], s[4:5], exec
	s_or_saveexec_b64 s[6:7], s[6:7]
	v_mov_b32_e32 v12, s10
	s_xor_b64 exec, exec, s[6:7]
	s_cbranch_execnz .LBB1_22684
; %bb.58521:
	s_getpc_b64 s[14:15]
.Lpost_getpc14924:
	s_add_u32 s14, s14, (.LBB1_8346-.Lpost_getpc14924)&4294967295
	s_addc_u32 s15, s15, (.LBB1_8346-.Lpost_getpc14924)>>32
	s_setpc_b64 s[14:15]
.LBB1_22684:
	v_mov_b32_e32 v12, 0
	v_cmp_ne_u16_sdwa s[8:9], v6, v12 src0_sel:BYTE_3 src1_sel:DWORD
	s_andn2_b64 s[4:5], s[4:5], exec
	s_and_b64 s[8:9], s[8:9], exec
	s_or_b64 s[4:5], s[4:5], s[8:9]
	s_or_b64 exec, exec, s[6:7]
	s_and_saveexec_b64 s[6:7], s[4:5]
	s_cbranch_execz .LBB1_32845
; %bb.58523:
	s_getpc_b64 s[14:15]
.Lpost_getpc14925:
	s_add_u32 s14, s14, (.LBB1_8347-.Lpost_getpc14925)&4294967295
	s_addc_u32 s15, s15, (.LBB1_8347-.Lpost_getpc14925)>>32
	s_setpc_b64 s[14:15]
.LBB1_32845:
	s_getpc_b64 s[14:15]
.Lpost_getpc2086:
	s_add_u32 s14, s14, (.LBB1_8348-.Lpost_getpc2086)&4294967295
	s_addc_u32 s15, s15, (.LBB1_8348-.Lpost_getpc2086)>>32
	s_setpc_b64 s[14:15]
.LBB1_22685:
	s_movk_i32 s4, 0x80
	v_cmp_eq_u16_sdwa s[12:13], v2, s4 src0_sel:BYTE_3 src1_sel:DWORD
	s_mov_b64 s[4:5], -1
                                        ; implicit-def: $sgpr10
	s_and_saveexec_b64 s[8:9], s[12:13]
; %bb.22686:
	s_mov_b32 s10, 0x7f800001
	s_xor_b64 s[4:5], exec, -1
; %bb.22687:
	s_or_b64 exec, exec, s[8:9]
	s_and_b64 s[4:5], s[4:5], exec
	s_or_saveexec_b64 s[6:7], s[6:7]
	v_mov_b32_e32 v6, s10
	s_xor_b64 exec, exec, s[6:7]
	s_cbranch_execnz .LBB1_22688
; %bb.58525:
	s_getpc_b64 s[14:15]
.Lpost_getpc14926:
	s_add_u32 s14, s14, (.LBB1_8350-.Lpost_getpc14926)&4294967295
	s_addc_u32 s15, s15, (.LBB1_8350-.Lpost_getpc14926)>>32
	s_setpc_b64 s[14:15]
.LBB1_22688:
	v_mov_b32_e32 v6, 0
	v_cmp_ne_u16_sdwa s[8:9], v2, v6 src0_sel:BYTE_3 src1_sel:DWORD
	s_andn2_b64 s[4:5], s[4:5], exec
	s_and_b64 s[8:9], s[8:9], exec
	s_or_b64 s[4:5], s[4:5], s[8:9]
	s_or_b64 exec, exec, s[6:7]
	s_and_saveexec_b64 s[6:7], s[4:5]
	s_cbranch_execz .LBB1_32847
; %bb.58527:
	s_getpc_b64 s[14:15]
.Lpost_getpc14927:
	s_add_u32 s14, s14, (.LBB1_8351-.Lpost_getpc14927)&4294967295
	s_addc_u32 s15, s15, (.LBB1_8351-.Lpost_getpc14927)>>32
	s_setpc_b64 s[14:15]
.LBB1_32847:
	s_getpc_b64 s[14:15]
.Lpost_getpc2087:
	s_add_u32 s14, s14, (.LBB1_8352-.Lpost_getpc2087)&4294967295
	s_addc_u32 s15, s15, (.LBB1_8352-.Lpost_getpc2087)>>32
	s_setpc_b64 s[14:15]
.LBB1_22689:
	s_movk_i32 s4, 0x80
	v_cmp_eq_u16_sdwa s[12:13], v7, s4 src0_sel:BYTE_0 src1_sel:DWORD
	s_mov_b64 s[4:5], -1
                                        ; implicit-def: $sgpr10
	s_and_saveexec_b64 s[8:9], s[12:13]
; %bb.22690:
	s_mov_b32 s10, 0x7f800001
	s_xor_b64 s[4:5], exec, -1
; %bb.22691:
	s_or_b64 exec, exec, s[8:9]
	s_and_b64 s[4:5], s[4:5], exec
	s_or_saveexec_b64 s[6:7], s[6:7]
	v_mov_b32_e32 v2, s10
	s_xor_b64 exec, exec, s[6:7]
	s_cbranch_execnz .LBB1_22692
; %bb.58529:
	s_getpc_b64 s[14:15]
.Lpost_getpc14928:
	s_add_u32 s14, s14, (.LBB1_8354-.Lpost_getpc14928)&4294967295
	s_addc_u32 s15, s15, (.LBB1_8354-.Lpost_getpc14928)>>32
	s_setpc_b64 s[14:15]
.LBB1_22692:
	v_mov_b32_e32 v2, 0
	v_cmp_ne_u16_sdwa s[8:9], v7, v2 src0_sel:BYTE_0 src1_sel:DWORD
	s_andn2_b64 s[4:5], s[4:5], exec
	s_and_b64 s[8:9], s[8:9], exec
	s_or_b64 s[4:5], s[4:5], s[8:9]
	s_or_b64 exec, exec, s[6:7]
	s_and_saveexec_b64 s[6:7], s[4:5]
	s_cbranch_execz .LBB1_32849
; %bb.58531:
	s_getpc_b64 s[14:15]
.Lpost_getpc14929:
	s_add_u32 s14, s14, (.LBB1_8355-.Lpost_getpc14929)&4294967295
	s_addc_u32 s15, s15, (.LBB1_8355-.Lpost_getpc14929)>>32
	s_setpc_b64 s[14:15]
.LBB1_32849:
	s_getpc_b64 s[14:15]
.Lpost_getpc2088:
	s_add_u32 s14, s14, (.LBB1_8356-.Lpost_getpc2088)&4294967295
	s_addc_u32 s15, s15, (.LBB1_8356-.Lpost_getpc2088)>>32
	s_setpc_b64 s[14:15]
.LBB1_22693:
	s_movk_i32 s4, 0x80
	v_cmp_eq_u16_sdwa s[12:13], v3, s4 src0_sel:BYTE_0 src1_sel:DWORD
	s_mov_b64 s[4:5], -1
                                        ; implicit-def: $sgpr10
	s_and_saveexec_b64 s[8:9], s[12:13]
; %bb.22694:
	s_mov_b32 s10, 0x7f800001
	s_xor_b64 s[4:5], exec, -1
; %bb.22695:
	s_or_b64 exec, exec, s[8:9]
	s_and_b64 s[4:5], s[4:5], exec
	s_or_saveexec_b64 s[6:7], s[6:7]
	v_mov_b32_e32 v6, s10
	s_xor_b64 exec, exec, s[6:7]
	s_cbranch_execnz .LBB1_22696
; %bb.58533:
	s_getpc_b64 s[14:15]
.Lpost_getpc14930:
	s_add_u32 s14, s14, (.LBB1_8358-.Lpost_getpc14930)&4294967295
	s_addc_u32 s15, s15, (.LBB1_8358-.Lpost_getpc14930)>>32
	s_setpc_b64 s[14:15]
.LBB1_22696:
	v_mov_b32_e32 v6, 0
	v_cmp_ne_u16_sdwa s[8:9], v3, v6 src0_sel:BYTE_0 src1_sel:DWORD
	s_andn2_b64 s[4:5], s[4:5], exec
	s_and_b64 s[8:9], s[8:9], exec
	s_or_b64 s[4:5], s[4:5], s[8:9]
	s_or_b64 exec, exec, s[6:7]
	s_and_saveexec_b64 s[6:7], s[4:5]
	s_cbranch_execz .LBB1_32851
; %bb.58535:
	s_getpc_b64 s[14:15]
.Lpost_getpc14931:
	s_add_u32 s14, s14, (.LBB1_8359-.Lpost_getpc14931)&4294967295
	s_addc_u32 s15, s15, (.LBB1_8359-.Lpost_getpc14931)>>32
	s_setpc_b64 s[14:15]
.LBB1_32851:
	s_getpc_b64 s[14:15]
.Lpost_getpc2089:
	s_add_u32 s14, s14, (.LBB1_8360-.Lpost_getpc2089)&4294967295
	s_addc_u32 s15, s15, (.LBB1_8360-.Lpost_getpc2089)>>32
	s_setpc_b64 s[14:15]
.LBB1_22697:
	s_movk_i32 s4, 0x80
	v_cmp_eq_u16_sdwa s[12:13], v6, s4 src0_sel:BYTE_0 src1_sel:DWORD
	s_mov_b64 s[4:5], -1
                                        ; implicit-def: $sgpr10
	s_and_saveexec_b64 s[8:9], s[12:13]
; %bb.22698:
	s_mov_b32 s10, 0x7f800001
	s_xor_b64 s[4:5], exec, -1
; %bb.22699:
	s_or_b64 exec, exec, s[8:9]
	s_and_b64 s[4:5], s[4:5], exec
	s_or_saveexec_b64 s[6:7], s[6:7]
	v_mov_b32_e32 v2, s10
	s_xor_b64 exec, exec, s[6:7]
	s_cbranch_execnz .LBB1_22700
; %bb.58537:
	s_getpc_b64 s[14:15]
.Lpost_getpc14932:
	s_add_u32 s14, s14, (.LBB1_8362-.Lpost_getpc14932)&4294967295
	s_addc_u32 s15, s15, (.LBB1_8362-.Lpost_getpc14932)>>32
	s_setpc_b64 s[14:15]
.LBB1_22700:
	v_mov_b32_e32 v2, 0
	v_cmp_ne_u16_sdwa s[8:9], v6, v2 src0_sel:BYTE_0 src1_sel:DWORD
	s_andn2_b64 s[4:5], s[4:5], exec
	s_and_b64 s[8:9], s[8:9], exec
	s_or_b64 s[4:5], s[4:5], s[8:9]
	s_or_b64 exec, exec, s[6:7]
	s_and_saveexec_b64 s[6:7], s[4:5]
	s_cbranch_execz .LBB1_32853
; %bb.58539:
	s_getpc_b64 s[14:15]
.Lpost_getpc14933:
	s_add_u32 s14, s14, (.LBB1_8363-.Lpost_getpc14933)&4294967295
	s_addc_u32 s15, s15, (.LBB1_8363-.Lpost_getpc14933)>>32
	s_setpc_b64 s[14:15]
.LBB1_32853:
	s_getpc_b64 s[14:15]
.Lpost_getpc2090:
	s_add_u32 s14, s14, (.LBB1_8364-.Lpost_getpc2090)&4294967295
	s_addc_u32 s15, s15, (.LBB1_8364-.Lpost_getpc2090)>>32
	s_setpc_b64 s[14:15]
.LBB1_22701:
	s_movk_i32 s4, 0x80
	v_cmp_eq_u16_sdwa s[12:13], v6, s4 src0_sel:BYTE_0 src1_sel:DWORD
	s_mov_b64 s[4:5], -1
                                        ; implicit-def: $sgpr10
	s_and_saveexec_b64 s[8:9], s[12:13]
; %bb.22702:
	s_mov_b32 s10, 0x7f800001
	s_xor_b64 s[4:5], exec, -1
; %bb.22703:
	s_or_b64 exec, exec, s[8:9]
	s_and_b64 s[4:5], s[4:5], exec
	s_or_saveexec_b64 s[6:7], s[6:7]
	v_mov_b32_e32 v12, s10
	s_xor_b64 exec, exec, s[6:7]
	s_cbranch_execnz .LBB1_22704
; %bb.58541:
	s_getpc_b64 s[14:15]
.Lpost_getpc14934:
	s_add_u32 s14, s14, (.LBB1_8366-.Lpost_getpc14934)&4294967295
	s_addc_u32 s15, s15, (.LBB1_8366-.Lpost_getpc14934)>>32
	s_setpc_b64 s[14:15]
.LBB1_22704:
	v_mov_b32_e32 v12, 0
	v_cmp_ne_u16_sdwa s[8:9], v6, v12 src0_sel:BYTE_0 src1_sel:DWORD
	s_andn2_b64 s[4:5], s[4:5], exec
	s_and_b64 s[8:9], s[8:9], exec
	s_or_b64 s[4:5], s[4:5], s[8:9]
	s_or_b64 exec, exec, s[6:7]
	s_and_saveexec_b64 s[6:7], s[4:5]
	s_cbranch_execz .LBB1_32855
; %bb.58543:
	s_getpc_b64 s[14:15]
.Lpost_getpc14935:
	s_add_u32 s14, s14, (.LBB1_8367-.Lpost_getpc14935)&4294967295
	s_addc_u32 s15, s15, (.LBB1_8367-.Lpost_getpc14935)>>32
	s_setpc_b64 s[14:15]
.LBB1_32855:
	s_getpc_b64 s[14:15]
.Lpost_getpc2091:
	s_add_u32 s14, s14, (.LBB1_8368-.Lpost_getpc2091)&4294967295
	s_addc_u32 s15, s15, (.LBB1_8368-.Lpost_getpc2091)>>32
	s_setpc_b64 s[14:15]
.LBB1_22705:
	s_movk_i32 s4, 0x80
	v_cmp_eq_u16_e32 vcc, s4, v6
	s_mov_b64 s[4:5], -1
                                        ; implicit-def: $sgpr10
	s_and_saveexec_b64 s[8:9], vcc
; %bb.22706:
	s_mov_b32 s10, 0x7f800001
	s_xor_b64 s[4:5], exec, -1
; %bb.22707:
	s_or_b64 exec, exec, s[8:9]
	s_and_b64 s[4:5], s[4:5], exec
                                        ; implicit-def: $vgpr6
	s_or_saveexec_b64 s[6:7], s[6:7]
	v_mov_b32_e32 v2, s10
	s_xor_b64 exec, exec, s[6:7]
	s_cbranch_execnz .LBB1_22708
; %bb.58545:
	s_getpc_b64 s[14:15]
.Lpost_getpc14936:
	s_add_u32 s14, s14, (.LBB1_8370-.Lpost_getpc14936)&4294967295
	s_addc_u32 s15, s15, (.LBB1_8370-.Lpost_getpc14936)>>32
	s_setpc_b64 s[14:15]
.LBB1_22708:
	v_cmp_ne_u16_e32 vcc, 0, v6
	s_andn2_b64 s[4:5], s[4:5], exec
	s_and_b64 s[8:9], vcc, exec
	v_mov_b32_e32 v2, 0
	s_or_b64 s[4:5], s[4:5], s[8:9]
	s_or_b64 exec, exec, s[6:7]
	s_and_saveexec_b64 s[6:7], s[4:5]
	s_cbranch_execz .LBB1_32857
; %bb.58547:
	s_getpc_b64 s[14:15]
.Lpost_getpc14937:
	s_add_u32 s14, s14, (.LBB1_8371-.Lpost_getpc14937)&4294967295
	s_addc_u32 s15, s15, (.LBB1_8371-.Lpost_getpc14937)>>32
	s_setpc_b64 s[14:15]
.LBB1_32857:
	s_getpc_b64 s[14:15]
.Lpost_getpc2092:
	s_add_u32 s14, s14, (.LBB1_8372-.Lpost_getpc2092)&4294967295
	s_addc_u32 s15, s15, (.LBB1_8372-.Lpost_getpc2092)>>32
	s_setpc_b64 s[14:15]
.LBB1_22709:
	s_movk_i32 s4, 0x80
	v_cmp_eq_u16_e32 vcc, s4, v6
	s_mov_b64 s[4:5], -1
                                        ; implicit-def: $sgpr10
	s_and_saveexec_b64 s[8:9], vcc
; %bb.22710:
	s_mov_b32 s10, 0x7f800001
	s_xor_b64 s[4:5], exec, -1
; %bb.22711:
	s_or_b64 exec, exec, s[8:9]
	s_and_b64 s[4:5], s[4:5], exec
                                        ; implicit-def: $vgpr6
	s_or_saveexec_b64 s[6:7], s[6:7]
	v_mov_b32_e32 v12, s10
	s_xor_b64 exec, exec, s[6:7]
	s_cbranch_execnz .LBB1_22712
; %bb.58549:
	s_getpc_b64 s[14:15]
.Lpost_getpc14938:
	s_add_u32 s14, s14, (.LBB1_8374-.Lpost_getpc14938)&4294967295
	s_addc_u32 s15, s15, (.LBB1_8374-.Lpost_getpc14938)>>32
	s_setpc_b64 s[14:15]
.LBB1_22712:
	v_cmp_ne_u16_e32 vcc, 0, v6
	s_andn2_b64 s[4:5], s[4:5], exec
	s_and_b64 s[8:9], vcc, exec
	v_mov_b32_e32 v12, 0
	s_or_b64 s[4:5], s[4:5], s[8:9]
	s_or_b64 exec, exec, s[6:7]
	s_and_saveexec_b64 s[6:7], s[4:5]
	s_cbranch_execz .LBB1_32859
; %bb.58551:
	s_getpc_b64 s[14:15]
.Lpost_getpc14939:
	s_add_u32 s14, s14, (.LBB1_8375-.Lpost_getpc14939)&4294967295
	s_addc_u32 s15, s15, (.LBB1_8375-.Lpost_getpc14939)>>32
	s_setpc_b64 s[14:15]
.LBB1_32859:
	s_getpc_b64 s[14:15]
.Lpost_getpc2093:
	s_add_u32 s14, s14, (.LBB1_8376-.Lpost_getpc2093)&4294967295
	s_addc_u32 s15, s15, (.LBB1_8376-.Lpost_getpc2093)>>32
	s_setpc_b64 s[14:15]
.LBB1_22713:
	s_movk_i32 s4, 0x80
	v_cmp_eq_u16_sdwa s[12:13], v7, s4 src0_sel:BYTE_3 src1_sel:DWORD
	s_mov_b64 s[4:5], -1
                                        ; implicit-def: $sgpr10
	s_and_saveexec_b64 s[8:9], s[12:13]
; %bb.22714:
	s_mov_b32 s10, 0x7f800001
	s_xor_b64 s[4:5], exec, -1
; %bb.22715:
	s_or_b64 exec, exec, s[8:9]
	s_and_b64 s[4:5], s[4:5], exec
	s_or_saveexec_b64 s[6:7], s[6:7]
	v_mov_b32_e32 v2, s10
	s_xor_b64 exec, exec, s[6:7]
	s_cbranch_execnz .LBB1_22716
; %bb.58553:
	s_getpc_b64 s[14:15]
.Lpost_getpc14940:
	s_add_u32 s14, s14, (.LBB1_8378-.Lpost_getpc14940)&4294967295
	s_addc_u32 s15, s15, (.LBB1_8378-.Lpost_getpc14940)>>32
	s_setpc_b64 s[14:15]
.LBB1_22716:
	v_mov_b32_e32 v2, 0
	v_cmp_ne_u16_sdwa s[8:9], v7, v2 src0_sel:BYTE_3 src1_sel:DWORD
	s_andn2_b64 s[4:5], s[4:5], exec
	s_and_b64 s[8:9], s[8:9], exec
	s_or_b64 s[4:5], s[4:5], s[8:9]
	s_or_b64 exec, exec, s[6:7]
	s_and_saveexec_b64 s[6:7], s[4:5]
	s_cbranch_execz .LBB1_32861
; %bb.58555:
	s_getpc_b64 s[14:15]
.Lpost_getpc14941:
	s_add_u32 s14, s14, (.LBB1_8379-.Lpost_getpc14941)&4294967295
	s_addc_u32 s15, s15, (.LBB1_8379-.Lpost_getpc14941)>>32
	s_setpc_b64 s[14:15]
.LBB1_32861:
	s_getpc_b64 s[14:15]
.Lpost_getpc2094:
	s_add_u32 s14, s14, (.LBB1_8380-.Lpost_getpc2094)&4294967295
	s_addc_u32 s15, s15, (.LBB1_8380-.Lpost_getpc2094)>>32
	s_setpc_b64 s[14:15]
.LBB1_22717:
	s_movk_i32 s4, 0x80
	v_cmp_eq_u16_sdwa s[12:13], v3, s4 src0_sel:BYTE_3 src1_sel:DWORD
	s_mov_b64 s[4:5], -1
                                        ; implicit-def: $sgpr10
	s_and_saveexec_b64 s[8:9], s[12:13]
; %bb.22718:
	s_mov_b32 s10, 0x7f800001
	s_xor_b64 s[4:5], exec, -1
; %bb.22719:
	s_or_b64 exec, exec, s[8:9]
	s_and_b64 s[4:5], s[4:5], exec
	s_or_saveexec_b64 s[6:7], s[6:7]
	v_mov_b32_e32 v6, s10
	s_xor_b64 exec, exec, s[6:7]
	s_cbranch_execnz .LBB1_22720
; %bb.58557:
	s_getpc_b64 s[14:15]
.Lpost_getpc14942:
	s_add_u32 s14, s14, (.LBB1_8382-.Lpost_getpc14942)&4294967295
	s_addc_u32 s15, s15, (.LBB1_8382-.Lpost_getpc14942)>>32
	s_setpc_b64 s[14:15]
.LBB1_22720:
	v_mov_b32_e32 v6, 0
	v_cmp_ne_u16_sdwa s[8:9], v3, v6 src0_sel:BYTE_3 src1_sel:DWORD
	s_andn2_b64 s[4:5], s[4:5], exec
	s_and_b64 s[8:9], s[8:9], exec
	s_or_b64 s[4:5], s[4:5], s[8:9]
	s_or_b64 exec, exec, s[6:7]
	s_and_saveexec_b64 s[6:7], s[4:5]
	s_cbranch_execz .LBB1_32863
; %bb.58559:
	s_getpc_b64 s[14:15]
.Lpost_getpc14943:
	s_add_u32 s14, s14, (.LBB1_8383-.Lpost_getpc14943)&4294967295
	s_addc_u32 s15, s15, (.LBB1_8383-.Lpost_getpc14943)>>32
	s_setpc_b64 s[14:15]
.LBB1_32863:
	s_getpc_b64 s[14:15]
.Lpost_getpc2095:
	s_add_u32 s14, s14, (.LBB1_8384-.Lpost_getpc2095)&4294967295
	s_addc_u32 s15, s15, (.LBB1_8384-.Lpost_getpc2095)>>32
	s_setpc_b64 s[14:15]
.LBB1_22721:
	s_movk_i32 s4, 0x80
	v_cmp_eq_u16_sdwa s[12:13], v8, s4 src0_sel:BYTE_0 src1_sel:DWORD
	s_mov_b64 s[4:5], -1
                                        ; implicit-def: $sgpr10
	s_and_saveexec_b64 s[8:9], s[12:13]
; %bb.22722:
	s_mov_b32 s10, 0x7f800001
	s_xor_b64 s[4:5], exec, -1
; %bb.22723:
	s_or_b64 exec, exec, s[8:9]
	s_and_b64 s[4:5], s[4:5], exec
	s_or_saveexec_b64 s[6:7], s[6:7]
	v_mov_b32_e32 v2, s10
	s_xor_b64 exec, exec, s[6:7]
	s_cbranch_execnz .LBB1_22724
; %bb.58561:
	s_getpc_b64 s[14:15]
.Lpost_getpc14944:
	s_add_u32 s14, s14, (.LBB1_8386-.Lpost_getpc14944)&4294967295
	s_addc_u32 s15, s15, (.LBB1_8386-.Lpost_getpc14944)>>32
	s_setpc_b64 s[14:15]
.LBB1_22724:
	v_mov_b32_e32 v2, 0
	v_cmp_ne_u16_sdwa s[8:9], v8, v2 src0_sel:BYTE_0 src1_sel:DWORD
	s_andn2_b64 s[4:5], s[4:5], exec
	s_and_b64 s[8:9], s[8:9], exec
	s_or_b64 s[4:5], s[4:5], s[8:9]
	s_or_b64 exec, exec, s[6:7]
	s_and_saveexec_b64 s[6:7], s[4:5]
	s_cbranch_execz .LBB1_32865
; %bb.58563:
	s_getpc_b64 s[14:15]
.Lpost_getpc14945:
	s_add_u32 s14, s14, (.LBB1_8387-.Lpost_getpc14945)&4294967295
	s_addc_u32 s15, s15, (.LBB1_8387-.Lpost_getpc14945)>>32
	s_setpc_b64 s[14:15]
.LBB1_32865:
	s_getpc_b64 s[14:15]
.Lpost_getpc2096:
	s_add_u32 s14, s14, (.LBB1_8388-.Lpost_getpc2096)&4294967295
	s_addc_u32 s15, s15, (.LBB1_8388-.Lpost_getpc2096)>>32
	s_setpc_b64 s[14:15]
.LBB1_22725:
	s_movk_i32 s4, 0x80
	v_cmp_eq_u16_sdwa s[12:13], v4, s4 src0_sel:BYTE_0 src1_sel:DWORD
	s_mov_b64 s[4:5], -1
                                        ; implicit-def: $sgpr10
	s_and_saveexec_b64 s[8:9], s[12:13]
; %bb.22726:
	s_mov_b32 s10, 0x7f800001
	s_xor_b64 s[4:5], exec, -1
; %bb.22727:
	s_or_b64 exec, exec, s[8:9]
	s_and_b64 s[4:5], s[4:5], exec
	s_or_saveexec_b64 s[6:7], s[6:7]
	v_mov_b32_e32 v3, s10
	s_xor_b64 exec, exec, s[6:7]
	s_cbranch_execnz .LBB1_22728
; %bb.58565:
	s_getpc_b64 s[14:15]
.Lpost_getpc14946:
	s_add_u32 s14, s14, (.LBB1_8390-.Lpost_getpc14946)&4294967295
	s_addc_u32 s15, s15, (.LBB1_8390-.Lpost_getpc14946)>>32
	s_setpc_b64 s[14:15]
.LBB1_22728:
	v_mov_b32_e32 v3, 0
	v_cmp_ne_u16_sdwa s[8:9], v4, v3 src0_sel:BYTE_0 src1_sel:DWORD
	s_andn2_b64 s[4:5], s[4:5], exec
	s_and_b64 s[8:9], s[8:9], exec
	s_or_b64 s[4:5], s[4:5], s[8:9]
	s_or_b64 exec, exec, s[6:7]
	s_and_saveexec_b64 s[6:7], s[4:5]
	s_cbranch_execz .LBB1_32867
; %bb.58567:
	s_getpc_b64 s[14:15]
.Lpost_getpc14947:
	s_add_u32 s14, s14, (.LBB1_8391-.Lpost_getpc14947)&4294967295
	s_addc_u32 s15, s15, (.LBB1_8391-.Lpost_getpc14947)>>32
	s_setpc_b64 s[14:15]
.LBB1_32867:
	s_getpc_b64 s[14:15]
.Lpost_getpc2097:
	s_add_u32 s14, s14, (.LBB1_8392-.Lpost_getpc2097)&4294967295
	s_addc_u32 s15, s15, (.LBB1_8392-.Lpost_getpc2097)>>32
	s_setpc_b64 s[14:15]
.LBB1_22729:
	s_movk_i32 s4, 0x80
	v_cmp_eq_u16_sdwa s[12:13], v3, s4 src0_sel:BYTE_0 src1_sel:DWORD
	s_mov_b64 s[4:5], -1
                                        ; implicit-def: $sgpr10
	s_and_saveexec_b64 s[8:9], s[12:13]
; %bb.22730:
	s_mov_b32 s10, 0x7f800001
	s_xor_b64 s[4:5], exec, -1
; %bb.22731:
	s_or_b64 exec, exec, s[8:9]
	s_and_b64 s[4:5], s[4:5], exec
	s_or_saveexec_b64 s[6:7], s[6:7]
	v_mov_b32_e32 v2, s10
	s_xor_b64 exec, exec, s[6:7]
	s_cbranch_execnz .LBB1_22732
; %bb.58569:
	s_getpc_b64 s[14:15]
.Lpost_getpc14948:
	s_add_u32 s14, s14, (.LBB1_8394-.Lpost_getpc14948)&4294967295
	s_addc_u32 s15, s15, (.LBB1_8394-.Lpost_getpc14948)>>32
	s_setpc_b64 s[14:15]
.LBB1_22732:
	v_mov_b32_e32 v2, 0
	v_cmp_ne_u16_sdwa s[8:9], v3, v2 src0_sel:BYTE_0 src1_sel:DWORD
	s_andn2_b64 s[4:5], s[4:5], exec
	s_and_b64 s[8:9], s[8:9], exec
	s_or_b64 s[4:5], s[4:5], s[8:9]
	s_or_b64 exec, exec, s[6:7]
	s_and_saveexec_b64 s[6:7], s[4:5]
	s_cbranch_execz .LBB1_32869
; %bb.58571:
	s_getpc_b64 s[14:15]
.Lpost_getpc14949:
	s_add_u32 s14, s14, (.LBB1_8395-.Lpost_getpc14949)&4294967295
	s_addc_u32 s15, s15, (.LBB1_8395-.Lpost_getpc14949)>>32
	s_setpc_b64 s[14:15]
.LBB1_32869:
	s_getpc_b64 s[14:15]
.Lpost_getpc2098:
	s_add_u32 s14, s14, (.LBB1_8396-.Lpost_getpc2098)&4294967295
	s_addc_u32 s15, s15, (.LBB1_8396-.Lpost_getpc2098)>>32
	s_setpc_b64 s[14:15]
.LBB1_22733:
	s_movk_i32 s4, 0x80
	v_cmp_eq_u16_sdwa s[12:13], v3, s4 src0_sel:BYTE_0 src1_sel:DWORD
	s_mov_b64 s[4:5], -1
                                        ; implicit-def: $sgpr10
	s_and_saveexec_b64 s[8:9], s[12:13]
; %bb.22734:
	s_mov_b32 s10, 0x7f800001
	s_xor_b64 s[4:5], exec, -1
; %bb.22735:
	s_or_b64 exec, exec, s[8:9]
	s_and_b64 s[4:5], s[4:5], exec
	s_or_saveexec_b64 s[6:7], s[6:7]
	v_mov_b32_e32 v6, s10
	s_xor_b64 exec, exec, s[6:7]
	s_cbranch_execnz .LBB1_22736
; %bb.58573:
	s_getpc_b64 s[14:15]
.Lpost_getpc14950:
	s_add_u32 s14, s14, (.LBB1_8398-.Lpost_getpc14950)&4294967295
	s_addc_u32 s15, s15, (.LBB1_8398-.Lpost_getpc14950)>>32
	s_setpc_b64 s[14:15]
.LBB1_22736:
	v_mov_b32_e32 v6, 0
	v_cmp_ne_u16_sdwa s[8:9], v3, v6 src0_sel:BYTE_0 src1_sel:DWORD
	s_andn2_b64 s[4:5], s[4:5], exec
	s_and_b64 s[8:9], s[8:9], exec
	s_or_b64 s[4:5], s[4:5], s[8:9]
	s_or_b64 exec, exec, s[6:7]
	s_and_saveexec_b64 s[6:7], s[4:5]
	s_cbranch_execz .LBB1_32871
; %bb.58575:
	s_getpc_b64 s[14:15]
.Lpost_getpc14951:
	s_add_u32 s14, s14, (.LBB1_8399-.Lpost_getpc14951)&4294967295
	s_addc_u32 s15, s15, (.LBB1_8399-.Lpost_getpc14951)>>32
	s_setpc_b64 s[14:15]
.LBB1_32871:
	s_getpc_b64 s[14:15]
.Lpost_getpc2099:
	s_add_u32 s14, s14, (.LBB1_8400-.Lpost_getpc2099)&4294967295
	s_addc_u32 s15, s15, (.LBB1_8400-.Lpost_getpc2099)>>32
	s_setpc_b64 s[14:15]
.LBB1_22737:
	s_movk_i32 s4, 0x80
	v_cmp_eq_u16_e32 vcc, s4, v3
	s_mov_b64 s[4:5], -1
                                        ; implicit-def: $sgpr10
	s_and_saveexec_b64 s[8:9], vcc
; %bb.22738:
	s_mov_b32 s10, 0x7f800001
	s_xor_b64 s[4:5], exec, -1
; %bb.22739:
	s_or_b64 exec, exec, s[8:9]
	s_and_b64 s[4:5], s[4:5], exec
                                        ; implicit-def: $vgpr3
	s_or_saveexec_b64 s[6:7], s[6:7]
	v_mov_b32_e32 v2, s10
	s_xor_b64 exec, exec, s[6:7]
	s_cbranch_execnz .LBB1_22740
; %bb.58577:
	s_getpc_b64 s[14:15]
.Lpost_getpc14952:
	s_add_u32 s14, s14, (.LBB1_8402-.Lpost_getpc14952)&4294967295
	s_addc_u32 s15, s15, (.LBB1_8402-.Lpost_getpc14952)>>32
	s_setpc_b64 s[14:15]
.LBB1_22740:
	v_cmp_ne_u16_e32 vcc, 0, v3
	s_andn2_b64 s[4:5], s[4:5], exec
	s_and_b64 s[8:9], vcc, exec
	v_mov_b32_e32 v2, 0
	s_or_b64 s[4:5], s[4:5], s[8:9]
	s_or_b64 exec, exec, s[6:7]
	s_and_saveexec_b64 s[6:7], s[4:5]
	s_cbranch_execz .LBB1_32873
; %bb.58579:
	s_getpc_b64 s[14:15]
.Lpost_getpc14953:
	s_add_u32 s14, s14, (.LBB1_8403-.Lpost_getpc14953)&4294967295
	s_addc_u32 s15, s15, (.LBB1_8403-.Lpost_getpc14953)>>32
	s_setpc_b64 s[14:15]
.LBB1_32873:
	s_getpc_b64 s[14:15]
.Lpost_getpc2100:
	s_add_u32 s14, s14, (.LBB1_8404-.Lpost_getpc2100)&4294967295
	s_addc_u32 s15, s15, (.LBB1_8404-.Lpost_getpc2100)>>32
	s_setpc_b64 s[14:15]
.LBB1_22741:
	s_movk_i32 s4, 0x80
	v_cmp_eq_u16_e32 vcc, s4, v3
	s_mov_b64 s[4:5], -1
                                        ; implicit-def: $sgpr10
	s_and_saveexec_b64 s[8:9], vcc
; %bb.22742:
	s_mov_b32 s10, 0x7f800001
	s_xor_b64 s[4:5], exec, -1
; %bb.22743:
	s_or_b64 exec, exec, s[8:9]
	s_and_b64 s[4:5], s[4:5], exec
                                        ; implicit-def: $vgpr3
	s_or_saveexec_b64 s[6:7], s[6:7]
	v_mov_b32_e32 v6, s10
	s_xor_b64 exec, exec, s[6:7]
	s_cbranch_execnz .LBB1_22744
; %bb.58581:
	s_getpc_b64 s[14:15]
.Lpost_getpc14954:
	s_add_u32 s14, s14, (.LBB1_8406-.Lpost_getpc14954)&4294967295
	s_addc_u32 s15, s15, (.LBB1_8406-.Lpost_getpc14954)>>32
	s_setpc_b64 s[14:15]
.LBB1_22744:
	v_cmp_ne_u16_e32 vcc, 0, v3
	s_andn2_b64 s[4:5], s[4:5], exec
	s_and_b64 s[8:9], vcc, exec
	v_mov_b32_e32 v6, 0
	s_or_b64 s[4:5], s[4:5], s[8:9]
	s_or_b64 exec, exec, s[6:7]
	s_and_saveexec_b64 s[6:7], s[4:5]
	s_cbranch_execz .LBB1_32875
; %bb.58583:
	s_getpc_b64 s[14:15]
.Lpost_getpc14955:
	s_add_u32 s14, s14, (.LBB1_8407-.Lpost_getpc14955)&4294967295
	s_addc_u32 s15, s15, (.LBB1_8407-.Lpost_getpc14955)>>32
	s_setpc_b64 s[14:15]
.LBB1_32875:
	s_getpc_b64 s[14:15]
.Lpost_getpc2101:
	s_add_u32 s14, s14, (.LBB1_8408-.Lpost_getpc2101)&4294967295
	s_addc_u32 s15, s15, (.LBB1_8408-.Lpost_getpc2101)>>32
	s_setpc_b64 s[14:15]
.LBB1_22745:
	s_movk_i32 s4, 0x80
	v_cmp_eq_u16_sdwa s[12:13], v8, s4 src0_sel:BYTE_3 src1_sel:DWORD
	s_mov_b64 s[4:5], -1
                                        ; implicit-def: $sgpr10
	s_and_saveexec_b64 s[8:9], s[12:13]
; %bb.22746:
	s_mov_b32 s10, 0x7f800001
	s_xor_b64 s[4:5], exec, -1
; %bb.22747:
	s_or_b64 exec, exec, s[8:9]
	s_and_b64 s[4:5], s[4:5], exec
	s_or_saveexec_b64 s[6:7], s[6:7]
	v_mov_b32_e32 v2, s10
	s_xor_b64 exec, exec, s[6:7]
	s_cbranch_execnz .LBB1_22748
; %bb.58585:
	s_getpc_b64 s[14:15]
.Lpost_getpc14956:
	s_add_u32 s14, s14, (.LBB1_8410-.Lpost_getpc14956)&4294967295
	s_addc_u32 s15, s15, (.LBB1_8410-.Lpost_getpc14956)>>32
	s_setpc_b64 s[14:15]
.LBB1_22748:
	v_mov_b32_e32 v2, 0
	v_cmp_ne_u16_sdwa s[8:9], v8, v2 src0_sel:BYTE_3 src1_sel:DWORD
	s_andn2_b64 s[4:5], s[4:5], exec
	s_and_b64 s[8:9], s[8:9], exec
	s_or_b64 s[4:5], s[4:5], s[8:9]
	s_or_b64 exec, exec, s[6:7]
	s_and_saveexec_b64 s[6:7], s[4:5]
	s_cbranch_execz .LBB1_32877
; %bb.58587:
	s_getpc_b64 s[14:15]
.Lpost_getpc14957:
	s_add_u32 s14, s14, (.LBB1_8411-.Lpost_getpc14957)&4294967295
	s_addc_u32 s15, s15, (.LBB1_8411-.Lpost_getpc14957)>>32
	s_setpc_b64 s[14:15]
.LBB1_32877:
	s_getpc_b64 s[14:15]
.Lpost_getpc2102:
	s_add_u32 s14, s14, (.LBB1_8412-.Lpost_getpc2102)&4294967295
	s_addc_u32 s15, s15, (.LBB1_8412-.Lpost_getpc2102)>>32
	s_setpc_b64 s[14:15]
.LBB1_22749:
	s_movk_i32 s4, 0x80
	v_cmp_eq_u16_sdwa s[12:13], v4, s4 src0_sel:BYTE_3 src1_sel:DWORD
	s_mov_b64 s[4:5], -1
                                        ; implicit-def: $sgpr10
	s_and_saveexec_b64 s[8:9], s[12:13]
; %bb.22750:
	s_mov_b32 s10, 0x7f800001
	s_xor_b64 s[4:5], exec, -1
; %bb.22751:
	s_or_b64 exec, exec, s[8:9]
	s_and_b64 s[4:5], s[4:5], exec
	s_or_saveexec_b64 s[6:7], s[6:7]
	v_mov_b32_e32 v3, s10
	s_xor_b64 exec, exec, s[6:7]
	s_cbranch_execnz .LBB1_22752
; %bb.58589:
	s_getpc_b64 s[14:15]
.Lpost_getpc14958:
	s_add_u32 s14, s14, (.LBB1_8414-.Lpost_getpc14958)&4294967295
	s_addc_u32 s15, s15, (.LBB1_8414-.Lpost_getpc14958)>>32
	s_setpc_b64 s[14:15]
.LBB1_22752:
	v_mov_b32_e32 v3, 0
	v_cmp_ne_u16_sdwa s[8:9], v4, v3 src0_sel:BYTE_3 src1_sel:DWORD
	s_andn2_b64 s[4:5], s[4:5], exec
	s_and_b64 s[8:9], s[8:9], exec
	s_or_b64 s[4:5], s[4:5], s[8:9]
	s_or_b64 exec, exec, s[6:7]
	s_and_saveexec_b64 s[6:7], s[4:5]
	s_cbranch_execz .LBB1_32879
; %bb.58591:
	s_getpc_b64 s[14:15]
.Lpost_getpc14959:
	s_add_u32 s14, s14, (.LBB1_8415-.Lpost_getpc14959)&4294967295
	s_addc_u32 s15, s15, (.LBB1_8415-.Lpost_getpc14959)>>32
	s_setpc_b64 s[14:15]
.LBB1_32879:
	s_getpc_b64 s[14:15]
.Lpost_getpc2103:
	s_add_u32 s14, s14, (.LBB1_8416-.Lpost_getpc2103)&4294967295
	s_addc_u32 s15, s15, (.LBB1_8416-.Lpost_getpc2103)>>32
	s_setpc_b64 s[14:15]
.LBB1_22753:
	s_movk_i32 s4, 0x80
	v_cmp_eq_u16_sdwa s[12:13], v9, s4 src0_sel:BYTE_0 src1_sel:DWORD
	s_mov_b64 s[4:5], -1
                                        ; implicit-def: $sgpr10
	s_and_saveexec_b64 s[8:9], s[12:13]
; %bb.22754:
	s_mov_b32 s10, 0x7f800001
	s_xor_b64 s[4:5], exec, -1
; %bb.22755:
	s_or_b64 exec, exec, s[8:9]
	s_and_b64 s[4:5], s[4:5], exec
	s_or_saveexec_b64 s[6:7], s[6:7]
	v_mov_b32_e32 v2, s10
	s_xor_b64 exec, exec, s[6:7]
	s_cbranch_execnz .LBB1_22756
; %bb.58593:
	s_getpc_b64 s[14:15]
.Lpost_getpc14960:
	s_add_u32 s14, s14, (.LBB1_8418-.Lpost_getpc14960)&4294967295
	s_addc_u32 s15, s15, (.LBB1_8418-.Lpost_getpc14960)>>32
	s_setpc_b64 s[14:15]
.LBB1_22756:
	v_mov_b32_e32 v2, 0
	v_cmp_ne_u16_sdwa s[8:9], v9, v2 src0_sel:BYTE_0 src1_sel:DWORD
	s_andn2_b64 s[4:5], s[4:5], exec
	s_and_b64 s[8:9], s[8:9], exec
	s_or_b64 s[4:5], s[4:5], s[8:9]
	s_or_b64 exec, exec, s[6:7]
	s_and_saveexec_b64 s[6:7], s[4:5]
	s_cbranch_execz .LBB1_32881
; %bb.58595:
	s_getpc_b64 s[14:15]
.Lpost_getpc14961:
	s_add_u32 s14, s14, (.LBB1_8419-.Lpost_getpc14961)&4294967295
	s_addc_u32 s15, s15, (.LBB1_8419-.Lpost_getpc14961)>>32
	s_setpc_b64 s[14:15]
.LBB1_32881:
	s_getpc_b64 s[14:15]
.Lpost_getpc2104:
	s_add_u32 s14, s14, (.LBB1_8420-.Lpost_getpc2104)&4294967295
	s_addc_u32 s15, s15, (.LBB1_8420-.Lpost_getpc2104)>>32
	s_setpc_b64 s[14:15]
.LBB1_22757:
	s_movk_i32 s4, 0x80
	v_cmp_eq_u16_sdwa s[12:13], v5, s4 src0_sel:BYTE_0 src1_sel:DWORD
	s_mov_b64 s[4:5], -1
                                        ; implicit-def: $sgpr10
	s_and_saveexec_b64 s[8:9], s[12:13]
; %bb.22758:
	s_mov_b32 s10, 0x7f800001
	s_xor_b64 s[4:5], exec, -1
; %bb.22759:
	s_or_b64 exec, exec, s[8:9]
	s_and_b64 s[4:5], s[4:5], exec
	s_or_saveexec_b64 s[6:7], s[6:7]
	v_mov_b32_e32 v3, s10
	s_xor_b64 exec, exec, s[6:7]
	s_cbranch_execnz .LBB1_22760
; %bb.58597:
	s_getpc_b64 s[14:15]
.Lpost_getpc14962:
	s_add_u32 s14, s14, (.LBB1_8422-.Lpost_getpc14962)&4294967295
	s_addc_u32 s15, s15, (.LBB1_8422-.Lpost_getpc14962)>>32
	s_setpc_b64 s[14:15]
.LBB1_22760:
	v_mov_b32_e32 v3, 0
	v_cmp_ne_u16_sdwa s[8:9], v5, v3 src0_sel:BYTE_0 src1_sel:DWORD
	s_andn2_b64 s[4:5], s[4:5], exec
	s_and_b64 s[8:9], s[8:9], exec
	s_or_b64 s[4:5], s[4:5], s[8:9]
	s_or_b64 exec, exec, s[6:7]
	s_and_saveexec_b64 s[6:7], s[4:5]
	s_cbranch_execz .LBB1_32883
; %bb.58599:
	s_getpc_b64 s[14:15]
.Lpost_getpc14963:
	s_add_u32 s14, s14, (.LBB1_8423-.Lpost_getpc14963)&4294967295
	s_addc_u32 s15, s15, (.LBB1_8423-.Lpost_getpc14963)>>32
	s_setpc_b64 s[14:15]
.LBB1_32883:
	s_getpc_b64 s[14:15]
.Lpost_getpc2105:
	s_add_u32 s14, s14, (.LBB1_8424-.Lpost_getpc2105)&4294967295
	s_addc_u32 s15, s15, (.LBB1_8424-.Lpost_getpc2105)>>32
	s_setpc_b64 s[14:15]
.LBB1_22761:
	s_movk_i32 s4, 0x80
	v_cmp_eq_u16_sdwa s[12:13], v3, s4 src0_sel:BYTE_0 src1_sel:DWORD
	s_mov_b64 s[4:5], -1
                                        ; implicit-def: $sgpr10
	s_and_saveexec_b64 s[8:9], s[12:13]
; %bb.22762:
	s_mov_b32 s10, 0x7f800001
	s_xor_b64 s[4:5], exec, -1
; %bb.22763:
	s_or_b64 exec, exec, s[8:9]
	s_and_b64 s[4:5], s[4:5], exec
	s_or_saveexec_b64 s[6:7], s[6:7]
	v_mov_b32_e32 v2, s10
	s_xor_b64 exec, exec, s[6:7]
	s_cbranch_execnz .LBB1_22764
; %bb.58601:
	s_getpc_b64 s[14:15]
.Lpost_getpc14964:
	s_add_u32 s14, s14, (.LBB1_8426-.Lpost_getpc14964)&4294967295
	s_addc_u32 s15, s15, (.LBB1_8426-.Lpost_getpc14964)>>32
	s_setpc_b64 s[14:15]
.LBB1_22764:
	v_mov_b32_e32 v2, 0
	v_cmp_ne_u16_sdwa s[8:9], v3, v2 src0_sel:BYTE_0 src1_sel:DWORD
	s_andn2_b64 s[4:5], s[4:5], exec
	s_and_b64 s[8:9], s[8:9], exec
	s_or_b64 s[4:5], s[4:5], s[8:9]
	s_or_b64 exec, exec, s[6:7]
	s_and_saveexec_b64 s[6:7], s[4:5]
	s_cbranch_execz .LBB1_32885
; %bb.58603:
	s_getpc_b64 s[14:15]
.Lpost_getpc14965:
	s_add_u32 s14, s14, (.LBB1_8427-.Lpost_getpc14965)&4294967295
	s_addc_u32 s15, s15, (.LBB1_8427-.Lpost_getpc14965)>>32
	s_setpc_b64 s[14:15]
.LBB1_32885:
	s_getpc_b64 s[14:15]
.Lpost_getpc2106:
	s_add_u32 s14, s14, (.LBB1_8428-.Lpost_getpc2106)&4294967295
	s_addc_u32 s15, s15, (.LBB1_8428-.Lpost_getpc2106)>>32
	s_setpc_b64 s[14:15]
.LBB1_22765:
	s_movk_i32 s4, 0x80
	v_cmp_eq_u16_sdwa s[12:13], v3, s4 src0_sel:BYTE_0 src1_sel:DWORD
	s_mov_b64 s[4:5], -1
                                        ; implicit-def: $sgpr10
	s_and_saveexec_b64 s[8:9], s[12:13]
; %bb.22766:
	s_mov_b32 s10, 0x7f800001
	s_xor_b64 s[4:5], exec, -1
; %bb.22767:
	s_or_b64 exec, exec, s[8:9]
	s_and_b64 s[4:5], s[4:5], exec
	s_or_saveexec_b64 s[6:7], s[6:7]
	v_mov_b32_e32 v4, s10
	s_xor_b64 exec, exec, s[6:7]
	s_cbranch_execnz .LBB1_22768
; %bb.58605:
	s_getpc_b64 s[14:15]
.Lpost_getpc14966:
	s_add_u32 s14, s14, (.LBB1_8430-.Lpost_getpc14966)&4294967295
	s_addc_u32 s15, s15, (.LBB1_8430-.Lpost_getpc14966)>>32
	s_setpc_b64 s[14:15]
.LBB1_22768:
	v_mov_b32_e32 v4, 0
	v_cmp_ne_u16_sdwa s[8:9], v3, v4 src0_sel:BYTE_0 src1_sel:DWORD
	s_andn2_b64 s[4:5], s[4:5], exec
	s_and_b64 s[8:9], s[8:9], exec
	s_or_b64 s[4:5], s[4:5], s[8:9]
	s_or_b64 exec, exec, s[6:7]
	s_and_saveexec_b64 s[6:7], s[4:5]
	s_cbranch_execz .LBB1_32887
; %bb.58607:
	s_getpc_b64 s[14:15]
.Lpost_getpc14967:
	s_add_u32 s14, s14, (.LBB1_8431-.Lpost_getpc14967)&4294967295
	s_addc_u32 s15, s15, (.LBB1_8431-.Lpost_getpc14967)>>32
	s_setpc_b64 s[14:15]
.LBB1_32887:
	s_getpc_b64 s[14:15]
.Lpost_getpc2107:
	s_add_u32 s14, s14, (.LBB1_8432-.Lpost_getpc2107)&4294967295
	s_addc_u32 s15, s15, (.LBB1_8432-.Lpost_getpc2107)>>32
	s_setpc_b64 s[14:15]
.LBB1_22769:
	s_movk_i32 s4, 0x80
	v_cmp_eq_u16_e32 vcc, s4, v3
	s_mov_b64 s[4:5], -1
                                        ; implicit-def: $sgpr10
	s_and_saveexec_b64 s[8:9], vcc
; %bb.22770:
	s_mov_b32 s10, 0x7f800001
	s_xor_b64 s[4:5], exec, -1
; %bb.22771:
	s_or_b64 exec, exec, s[8:9]
	s_and_b64 s[4:5], s[4:5], exec
                                        ; implicit-def: $vgpr3
	s_or_saveexec_b64 s[6:7], s[6:7]
	v_mov_b32_e32 v2, s10
	s_xor_b64 exec, exec, s[6:7]
	s_cbranch_execnz .LBB1_22772
; %bb.58609:
	s_getpc_b64 s[14:15]
.Lpost_getpc14968:
	s_add_u32 s14, s14, (.LBB1_8434-.Lpost_getpc14968)&4294967295
	s_addc_u32 s15, s15, (.LBB1_8434-.Lpost_getpc14968)>>32
	s_setpc_b64 s[14:15]
.LBB1_22772:
	v_cmp_ne_u16_e32 vcc, 0, v3
	s_andn2_b64 s[4:5], s[4:5], exec
	s_and_b64 s[8:9], vcc, exec
	v_mov_b32_e32 v2, 0
	s_or_b64 s[4:5], s[4:5], s[8:9]
	s_or_b64 exec, exec, s[6:7]
	s_and_saveexec_b64 s[6:7], s[4:5]
	s_cbranch_execz .LBB1_32889
; %bb.58611:
	s_getpc_b64 s[14:15]
.Lpost_getpc14969:
	s_add_u32 s14, s14, (.LBB1_8435-.Lpost_getpc14969)&4294967295
	s_addc_u32 s15, s15, (.LBB1_8435-.Lpost_getpc14969)>>32
	s_setpc_b64 s[14:15]
.LBB1_32889:
	s_getpc_b64 s[14:15]
.Lpost_getpc2108:
	s_add_u32 s14, s14, (.LBB1_8436-.Lpost_getpc2108)&4294967295
	s_addc_u32 s15, s15, (.LBB1_8436-.Lpost_getpc2108)>>32
	s_setpc_b64 s[14:15]
.LBB1_22773:
	s_movk_i32 s4, 0x80
	v_cmp_eq_u16_e32 vcc, s4, v3
	s_mov_b64 s[4:5], -1
                                        ; implicit-def: $sgpr10
	s_and_saveexec_b64 s[8:9], vcc
; %bb.22774:
	s_mov_b32 s10, 0x7f800001
	s_xor_b64 s[4:5], exec, -1
; %bb.22775:
	s_or_b64 exec, exec, s[8:9]
	s_and_b64 s[4:5], s[4:5], exec
                                        ; implicit-def: $vgpr3
	s_or_saveexec_b64 s[6:7], s[6:7]
	v_mov_b32_e32 v4, s10
	s_xor_b64 exec, exec, s[6:7]
	s_cbranch_execnz .LBB1_22776
; %bb.58613:
	s_getpc_b64 s[14:15]
.Lpost_getpc14970:
	s_add_u32 s14, s14, (.LBB1_8438-.Lpost_getpc14970)&4294967295
	s_addc_u32 s15, s15, (.LBB1_8438-.Lpost_getpc14970)>>32
	s_setpc_b64 s[14:15]
.LBB1_22776:
	v_cmp_ne_u16_e32 vcc, 0, v3
	s_andn2_b64 s[4:5], s[4:5], exec
	s_and_b64 s[8:9], vcc, exec
	v_mov_b32_e32 v4, 0
	s_or_b64 s[4:5], s[4:5], s[8:9]
	s_or_b64 exec, exec, s[6:7]
	s_and_saveexec_b64 s[6:7], s[4:5]
	s_cbranch_execz .LBB1_32891
; %bb.58615:
	s_getpc_b64 s[14:15]
.Lpost_getpc14971:
	s_add_u32 s14, s14, (.LBB1_8439-.Lpost_getpc14971)&4294967295
	s_addc_u32 s15, s15, (.LBB1_8439-.Lpost_getpc14971)>>32
	s_setpc_b64 s[14:15]
.LBB1_32891:
	s_getpc_b64 s[14:15]
.Lpost_getpc2109:
	s_add_u32 s14, s14, (.LBB1_8440-.Lpost_getpc2109)&4294967295
	s_addc_u32 s15, s15, (.LBB1_8440-.Lpost_getpc2109)>>32
	s_setpc_b64 s[14:15]
.LBB1_22777:
	s_movk_i32 s4, 0x80
	v_cmp_eq_u16_sdwa s[12:13], v9, s4 src0_sel:BYTE_3 src1_sel:DWORD
	s_mov_b64 s[4:5], -1
                                        ; implicit-def: $sgpr10
	s_and_saveexec_b64 s[8:9], s[12:13]
; %bb.22778:
	s_mov_b32 s10, 0x7f800001
	s_xor_b64 s[4:5], exec, -1
; %bb.22779:
	s_or_b64 exec, exec, s[8:9]
	s_and_b64 s[4:5], s[4:5], exec
	s_or_saveexec_b64 s[6:7], s[6:7]
	v_mov_b32_e32 v2, s10
	s_xor_b64 exec, exec, s[6:7]
	s_cbranch_execnz .LBB1_22780
; %bb.58617:
	s_getpc_b64 s[14:15]
.Lpost_getpc14972:
	s_add_u32 s14, s14, (.LBB1_8442-.Lpost_getpc14972)&4294967295
	s_addc_u32 s15, s15, (.LBB1_8442-.Lpost_getpc14972)>>32
	s_setpc_b64 s[14:15]
.LBB1_22780:
	v_mov_b32_e32 v2, 0
	v_cmp_ne_u16_sdwa s[8:9], v9, v2 src0_sel:BYTE_3 src1_sel:DWORD
	s_andn2_b64 s[4:5], s[4:5], exec
	s_and_b64 s[8:9], s[8:9], exec
	s_or_b64 s[4:5], s[4:5], s[8:9]
	s_or_b64 exec, exec, s[6:7]
	s_and_saveexec_b64 s[6:7], s[4:5]
	s_cbranch_execz .LBB1_32893
; %bb.58619:
	s_getpc_b64 s[14:15]
.Lpost_getpc14973:
	s_add_u32 s14, s14, (.LBB1_8443-.Lpost_getpc14973)&4294967295
	s_addc_u32 s15, s15, (.LBB1_8443-.Lpost_getpc14973)>>32
	s_setpc_b64 s[14:15]
.LBB1_32893:
	s_getpc_b64 s[14:15]
.Lpost_getpc2110:
	s_add_u32 s14, s14, (.LBB1_8444-.Lpost_getpc2110)&4294967295
	s_addc_u32 s15, s15, (.LBB1_8444-.Lpost_getpc2110)>>32
	s_setpc_b64 s[14:15]
.LBB1_22781:
	s_movk_i32 s4, 0x80
	v_cmp_eq_u16_sdwa s[12:13], v5, s4 src0_sel:BYTE_3 src1_sel:DWORD
	s_mov_b64 s[4:5], -1
                                        ; implicit-def: $sgpr10
	s_and_saveexec_b64 s[8:9], s[12:13]
; %bb.22782:
	s_mov_b32 s10, 0x7f800001
	s_xor_b64 s[4:5], exec, -1
; %bb.22783:
	s_or_b64 exec, exec, s[8:9]
	s_and_b64 s[4:5], s[4:5], exec
	s_or_saveexec_b64 s[6:7], s[6:7]
	v_mov_b32_e32 v3, s10
	s_xor_b64 exec, exec, s[6:7]
	s_cbranch_execnz .LBB1_22784
; %bb.58621:
	s_getpc_b64 s[14:15]
.Lpost_getpc14974:
	s_add_u32 s14, s14, (.LBB1_8446-.Lpost_getpc14974)&4294967295
	s_addc_u32 s15, s15, (.LBB1_8446-.Lpost_getpc14974)>>32
	s_setpc_b64 s[14:15]
.LBB1_22784:
	v_mov_b32_e32 v3, 0
	v_cmp_ne_u16_sdwa s[8:9], v5, v3 src0_sel:BYTE_3 src1_sel:DWORD
	s_andn2_b64 s[4:5], s[4:5], exec
	s_and_b64 s[8:9], s[8:9], exec
	s_or_b64 s[4:5], s[4:5], s[8:9]
	s_or_b64 exec, exec, s[6:7]
	s_and_saveexec_b64 s[6:7], s[4:5]
	s_cbranch_execz .LBB1_32895
; %bb.58623:
	s_getpc_b64 s[14:15]
.Lpost_getpc14975:
	s_add_u32 s14, s14, (.LBB1_8447-.Lpost_getpc14975)&4294967295
	s_addc_u32 s15, s15, (.LBB1_8447-.Lpost_getpc14975)>>32
	s_setpc_b64 s[14:15]
.LBB1_32895:
	s_getpc_b64 s[14:15]
.Lpost_getpc2111:
	s_add_u32 s14, s14, (.LBB1_8448-.Lpost_getpc2111)&4294967295
	s_addc_u32 s15, s15, (.LBB1_8448-.Lpost_getpc2111)>>32
	s_setpc_b64 s[14:15]
.LBB1_22785:
	s_movk_i32 s4, 0x80
	v_cmp_eq_u16_sdwa s[12:13], v6, s4 src0_sel:BYTE_0 src1_sel:DWORD
	s_mov_b64 s[4:5], -1
                                        ; implicit-def: $sgpr10
	s_and_saveexec_b64 s[8:9], s[12:13]
; %bb.22786:
	s_mov_b32 s10, 0x7f800001
	s_xor_b64 s[4:5], exec, -1
; %bb.22787:
	s_or_b64 exec, exec, s[8:9]
	s_and_b64 s[4:5], s[4:5], exec
	s_or_saveexec_b64 s[6:7], s[6:7]
	v_mov_b32_e32 v12, s10
	s_xor_b64 exec, exec, s[6:7]
	s_cbranch_execnz .LBB1_22788
; %bb.58625:
	s_getpc_b64 s[14:15]
.Lpost_getpc14976:
	s_add_u32 s14, s14, (.LBB1_8450-.Lpost_getpc14976)&4294967295
	s_addc_u32 s15, s15, (.LBB1_8450-.Lpost_getpc14976)>>32
	s_setpc_b64 s[14:15]
.LBB1_22788:
	v_mov_b32_e32 v12, 0
	v_cmp_ne_u16_sdwa s[8:9], v6, v12 src0_sel:BYTE_0 src1_sel:DWORD
	s_andn2_b64 s[4:5], s[4:5], exec
	s_and_b64 s[8:9], s[8:9], exec
	s_or_b64 s[4:5], s[4:5], s[8:9]
	s_or_b64 exec, exec, s[6:7]
	s_and_saveexec_b64 s[6:7], s[4:5]
	s_cbranch_execz .LBB1_32897
; %bb.58627:
	s_getpc_b64 s[14:15]
.Lpost_getpc14977:
	s_add_u32 s14, s14, (.LBB1_8451-.Lpost_getpc14977)&4294967295
	s_addc_u32 s15, s15, (.LBB1_8451-.Lpost_getpc14977)>>32
	s_setpc_b64 s[14:15]
.LBB1_32897:
	s_getpc_b64 s[14:15]
.Lpost_getpc2112:
	s_add_u32 s14, s14, (.LBB1_8452-.Lpost_getpc2112)&4294967295
	s_addc_u32 s15, s15, (.LBB1_8452-.Lpost_getpc2112)>>32
	s_setpc_b64 s[14:15]
.LBB1_22789:
	s_movk_i32 s4, 0x80
	v_cmp_eq_u16_sdwa s[12:13], v2, s4 src0_sel:BYTE_0 src1_sel:DWORD
	s_mov_b64 s[4:5], -1
                                        ; implicit-def: $sgpr10
	s_and_saveexec_b64 s[8:9], s[12:13]
; %bb.22790:
	s_mov_b32 s10, 0x7f800001
	s_xor_b64 s[4:5], exec, -1
; %bb.22791:
	s_or_b64 exec, exec, s[8:9]
	s_and_b64 s[4:5], s[4:5], exec
	s_or_saveexec_b64 s[6:7], s[6:7]
	v_mov_b32_e32 v13, s10
	s_xor_b64 exec, exec, s[6:7]
	s_cbranch_execnz .LBB1_22792
; %bb.58629:
	s_getpc_b64 s[14:15]
.Lpost_getpc14978:
	s_add_u32 s14, s14, (.LBB1_8454-.Lpost_getpc14978)&4294967295
	s_addc_u32 s15, s15, (.LBB1_8454-.Lpost_getpc14978)>>32
	s_setpc_b64 s[14:15]
.LBB1_22792:
	v_mov_b32_e32 v13, 0
	v_cmp_ne_u16_sdwa s[8:9], v2, v13 src0_sel:BYTE_0 src1_sel:DWORD
	s_andn2_b64 s[4:5], s[4:5], exec
	s_and_b64 s[8:9], s[8:9], exec
	s_or_b64 s[4:5], s[4:5], s[8:9]
	s_or_b64 exec, exec, s[6:7]
	s_and_saveexec_b64 s[6:7], s[4:5]
	s_cbranch_execz .LBB1_32899
; %bb.58631:
	s_getpc_b64 s[14:15]
.Lpost_getpc14979:
	s_add_u32 s14, s14, (.LBB1_8455-.Lpost_getpc14979)&4294967295
	s_addc_u32 s15, s15, (.LBB1_8455-.Lpost_getpc14979)>>32
	s_setpc_b64 s[14:15]
.LBB1_32899:
	s_getpc_b64 s[14:15]
.Lpost_getpc2113:
	s_add_u32 s14, s14, (.LBB1_8456-.Lpost_getpc2113)&4294967295
	s_addc_u32 s15, s15, (.LBB1_8456-.Lpost_getpc2113)>>32
	s_setpc_b64 s[14:15]
.LBB1_22793:
	s_movk_i32 s4, 0x80
	v_cmp_eq_u16_sdwa s[12:13], v13, s4 src0_sel:BYTE_0 src1_sel:DWORD
	s_mov_b64 s[4:5], -1
                                        ; implicit-def: $sgpr10
	s_and_saveexec_b64 s[8:9], s[12:13]
; %bb.22794:
	s_mov_b32 s10, 0x7f800001
	s_xor_b64 s[4:5], exec, -1
; %bb.22795:
	s_or_b64 exec, exec, s[8:9]
	s_and_b64 s[4:5], s[4:5], exec
	s_or_saveexec_b64 s[6:7], s[6:7]
	v_mov_b32_e32 v12, s10
	s_xor_b64 exec, exec, s[6:7]
	s_cbranch_execnz .LBB1_22796
; %bb.58633:
	s_getpc_b64 s[14:15]
.Lpost_getpc14980:
	s_add_u32 s14, s14, (.LBB1_8458-.Lpost_getpc14980)&4294967295
	s_addc_u32 s15, s15, (.LBB1_8458-.Lpost_getpc14980)>>32
	s_setpc_b64 s[14:15]
.LBB1_22796:
	v_mov_b32_e32 v12, 0
	v_cmp_ne_u16_sdwa s[8:9], v13, v12 src0_sel:BYTE_0 src1_sel:DWORD
	s_andn2_b64 s[4:5], s[4:5], exec
	s_and_b64 s[8:9], s[8:9], exec
	s_or_b64 s[4:5], s[4:5], s[8:9]
	s_or_b64 exec, exec, s[6:7]
	s_and_saveexec_b64 s[6:7], s[4:5]
	s_cbranch_execz .LBB1_32901
; %bb.58635:
	s_getpc_b64 s[14:15]
.Lpost_getpc14981:
	s_add_u32 s14, s14, (.LBB1_8459-.Lpost_getpc14981)&4294967295
	s_addc_u32 s15, s15, (.LBB1_8459-.Lpost_getpc14981)>>32
	s_setpc_b64 s[14:15]
.LBB1_32901:
	s_getpc_b64 s[14:15]
.Lpost_getpc2114:
	s_add_u32 s14, s14, (.LBB1_8460-.Lpost_getpc2114)&4294967295
	s_addc_u32 s15, s15, (.LBB1_8460-.Lpost_getpc2114)>>32
	s_setpc_b64 s[14:15]
.LBB1_22797:
	s_movk_i32 s4, 0x80
	v_cmp_eq_u16_sdwa s[12:13], v13, s4 src0_sel:BYTE_0 src1_sel:DWORD
	s_mov_b64 s[4:5], -1
                                        ; implicit-def: $sgpr10
	s_and_saveexec_b64 s[8:9], s[12:13]
; %bb.22798:
	s_mov_b32 s10, 0x7f800001
	s_xor_b64 s[4:5], exec, -1
; %bb.22799:
	s_or_b64 exec, exec, s[8:9]
	s_and_b64 s[4:5], s[4:5], exec
	s_or_saveexec_b64 s[6:7], s[6:7]
	v_mov_b32_e32 v14, s10
	s_xor_b64 exec, exec, s[6:7]
	s_cbranch_execnz .LBB1_22800
; %bb.58637:
	s_getpc_b64 s[14:15]
.Lpost_getpc14982:
	s_add_u32 s14, s14, (.LBB1_8462-.Lpost_getpc14982)&4294967295
	s_addc_u32 s15, s15, (.LBB1_8462-.Lpost_getpc14982)>>32
	s_setpc_b64 s[14:15]
.LBB1_22800:
	v_mov_b32_e32 v14, 0
	v_cmp_ne_u16_sdwa s[8:9], v13, v14 src0_sel:BYTE_0 src1_sel:DWORD
	s_andn2_b64 s[4:5], s[4:5], exec
	s_and_b64 s[8:9], s[8:9], exec
	s_or_b64 s[4:5], s[4:5], s[8:9]
	s_or_b64 exec, exec, s[6:7]
	s_and_saveexec_b64 s[6:7], s[4:5]
	s_cbranch_execz .LBB1_32903
; %bb.58639:
	s_getpc_b64 s[14:15]
.Lpost_getpc14983:
	s_add_u32 s14, s14, (.LBB1_8463-.Lpost_getpc14983)&4294967295
	s_addc_u32 s15, s15, (.LBB1_8463-.Lpost_getpc14983)>>32
	s_setpc_b64 s[14:15]
.LBB1_32903:
	s_getpc_b64 s[14:15]
.Lpost_getpc2115:
	s_add_u32 s14, s14, (.LBB1_8464-.Lpost_getpc2115)&4294967295
	s_addc_u32 s15, s15, (.LBB1_8464-.Lpost_getpc2115)>>32
	s_setpc_b64 s[14:15]
.LBB1_22801:
	s_movk_i32 s4, 0x80
	v_cmp_eq_u16_e32 vcc, s4, v13
	s_mov_b64 s[4:5], -1
                                        ; implicit-def: $sgpr10
	s_and_saveexec_b64 s[8:9], vcc
; %bb.22802:
	s_mov_b32 s10, 0x7f800001
	s_xor_b64 s[4:5], exec, -1
; %bb.22803:
	s_or_b64 exec, exec, s[8:9]
	s_and_b64 s[4:5], s[4:5], exec
                                        ; implicit-def: $vgpr13
	s_or_saveexec_b64 s[6:7], s[6:7]
	v_mov_b32_e32 v12, s10
	s_xor_b64 exec, exec, s[6:7]
	s_cbranch_execnz .LBB1_22804
; %bb.58641:
	s_getpc_b64 s[14:15]
.Lpost_getpc14984:
	s_add_u32 s14, s14, (.LBB1_8466-.Lpost_getpc14984)&4294967295
	s_addc_u32 s15, s15, (.LBB1_8466-.Lpost_getpc14984)>>32
	s_setpc_b64 s[14:15]
.LBB1_22804:
	v_cmp_ne_u16_e32 vcc, 0, v13
	s_andn2_b64 s[4:5], s[4:5], exec
	s_and_b64 s[8:9], vcc, exec
	v_mov_b32_e32 v12, 0
	s_or_b64 s[4:5], s[4:5], s[8:9]
	s_or_b64 exec, exec, s[6:7]
	s_and_saveexec_b64 s[6:7], s[4:5]
	s_cbranch_execz .LBB1_32905
; %bb.58643:
	s_getpc_b64 s[14:15]
.Lpost_getpc14985:
	s_add_u32 s14, s14, (.LBB1_8467-.Lpost_getpc14985)&4294967295
	s_addc_u32 s15, s15, (.LBB1_8467-.Lpost_getpc14985)>>32
	s_setpc_b64 s[14:15]
.LBB1_32905:
	s_getpc_b64 s[14:15]
.Lpost_getpc2116:
	s_add_u32 s14, s14, (.LBB1_8468-.Lpost_getpc2116)&4294967295
	s_addc_u32 s15, s15, (.LBB1_8468-.Lpost_getpc2116)>>32
	s_setpc_b64 s[14:15]
.LBB1_22805:
	s_movk_i32 s4, 0x80
	v_cmp_eq_u16_e32 vcc, s4, v13
	s_mov_b64 s[4:5], -1
                                        ; implicit-def: $sgpr10
	s_and_saveexec_b64 s[8:9], vcc
; %bb.22806:
	s_mov_b32 s10, 0x7f800001
	s_xor_b64 s[4:5], exec, -1
; %bb.22807:
	s_or_b64 exec, exec, s[8:9]
	s_and_b64 s[4:5], s[4:5], exec
                                        ; implicit-def: $vgpr13
	s_or_saveexec_b64 s[6:7], s[6:7]
	v_mov_b32_e32 v14, s10
	s_xor_b64 exec, exec, s[6:7]
	s_cbranch_execnz .LBB1_22808
; %bb.58645:
	s_getpc_b64 s[14:15]
.Lpost_getpc14986:
	s_add_u32 s14, s14, (.LBB1_8470-.Lpost_getpc14986)&4294967295
	s_addc_u32 s15, s15, (.LBB1_8470-.Lpost_getpc14986)>>32
	s_setpc_b64 s[14:15]
.LBB1_22808:
	v_cmp_ne_u16_e32 vcc, 0, v13
	s_andn2_b64 s[4:5], s[4:5], exec
	s_and_b64 s[8:9], vcc, exec
	v_mov_b32_e32 v14, 0
	s_or_b64 s[4:5], s[4:5], s[8:9]
	s_or_b64 exec, exec, s[6:7]
	s_and_saveexec_b64 s[6:7], s[4:5]
	s_cbranch_execz .LBB1_32907
; %bb.58647:
	s_getpc_b64 s[14:15]
.Lpost_getpc14987:
	s_add_u32 s14, s14, (.LBB1_8471-.Lpost_getpc14987)&4294967295
	s_addc_u32 s15, s15, (.LBB1_8471-.Lpost_getpc14987)>>32
	s_setpc_b64 s[14:15]
.LBB1_32907:
	s_getpc_b64 s[14:15]
.Lpost_getpc2117:
	s_add_u32 s14, s14, (.LBB1_8472-.Lpost_getpc2117)&4294967295
	s_addc_u32 s15, s15, (.LBB1_8472-.Lpost_getpc2117)>>32
	s_setpc_b64 s[14:15]
.LBB1_22809:
	s_movk_i32 s4, 0x80
	v_cmp_eq_u16_sdwa s[12:13], v6, s4 src0_sel:BYTE_3 src1_sel:DWORD
	s_mov_b64 s[4:5], -1
                                        ; implicit-def: $sgpr10
	s_and_saveexec_b64 s[8:9], s[12:13]
; %bb.22810:
	s_mov_b32 s10, 0x7f800001
	s_xor_b64 s[4:5], exec, -1
; %bb.22811:
	s_or_b64 exec, exec, s[8:9]
	s_and_b64 s[4:5], s[4:5], exec
	s_or_saveexec_b64 s[6:7], s[6:7]
	v_mov_b32_e32 v12, s10
	s_xor_b64 exec, exec, s[6:7]
	s_cbranch_execnz .LBB1_22812
; %bb.58649:
	s_getpc_b64 s[14:15]
.Lpost_getpc14988:
	s_add_u32 s14, s14, (.LBB1_8474-.Lpost_getpc14988)&4294967295
	s_addc_u32 s15, s15, (.LBB1_8474-.Lpost_getpc14988)>>32
	s_setpc_b64 s[14:15]
.LBB1_22812:
	v_mov_b32_e32 v12, 0
	v_cmp_ne_u16_sdwa s[8:9], v6, v12 src0_sel:BYTE_3 src1_sel:DWORD
	s_andn2_b64 s[4:5], s[4:5], exec
	s_and_b64 s[8:9], s[8:9], exec
	s_or_b64 s[4:5], s[4:5], s[8:9]
	s_or_b64 exec, exec, s[6:7]
	s_and_saveexec_b64 s[6:7], s[4:5]
	s_cbranch_execz .LBB1_32909
; %bb.58651:
	s_getpc_b64 s[14:15]
.Lpost_getpc14989:
	s_add_u32 s14, s14, (.LBB1_8475-.Lpost_getpc14989)&4294967295
	s_addc_u32 s15, s15, (.LBB1_8475-.Lpost_getpc14989)>>32
	s_setpc_b64 s[14:15]
.LBB1_32909:
	s_getpc_b64 s[14:15]
.Lpost_getpc2118:
	s_add_u32 s14, s14, (.LBB1_8476-.Lpost_getpc2118)&4294967295
	s_addc_u32 s15, s15, (.LBB1_8476-.Lpost_getpc2118)>>32
	s_setpc_b64 s[14:15]
.LBB1_22813:
	s_movk_i32 s4, 0x80
	v_cmp_eq_u16_sdwa s[12:13], v2, s4 src0_sel:BYTE_3 src1_sel:DWORD
	s_mov_b64 s[4:5], -1
                                        ; implicit-def: $sgpr10
	s_and_saveexec_b64 s[8:9], s[12:13]
; %bb.22814:
	s_mov_b32 s10, 0x7f800001
	s_xor_b64 s[4:5], exec, -1
; %bb.22815:
	s_or_b64 exec, exec, s[8:9]
	s_and_b64 s[4:5], s[4:5], exec
	s_or_saveexec_b64 s[6:7], s[6:7]
	v_mov_b32_e32 v6, s10
	s_xor_b64 exec, exec, s[6:7]
	s_cbranch_execnz .LBB1_22816
; %bb.58653:
	s_getpc_b64 s[14:15]
.Lpost_getpc14990:
	s_add_u32 s14, s14, (.LBB1_8478-.Lpost_getpc14990)&4294967295
	s_addc_u32 s15, s15, (.LBB1_8478-.Lpost_getpc14990)>>32
	s_setpc_b64 s[14:15]
.LBB1_22816:
	v_mov_b32_e32 v6, 0
	v_cmp_ne_u16_sdwa s[8:9], v2, v6 src0_sel:BYTE_3 src1_sel:DWORD
	s_andn2_b64 s[4:5], s[4:5], exec
	s_and_b64 s[8:9], s[8:9], exec
	s_or_b64 s[4:5], s[4:5], s[8:9]
	s_or_b64 exec, exec, s[6:7]
	s_and_saveexec_b64 s[6:7], s[4:5]
	s_cbranch_execz .LBB1_32911
; %bb.58655:
	s_getpc_b64 s[14:15]
.Lpost_getpc14991:
	s_add_u32 s14, s14, (.LBB1_8479-.Lpost_getpc14991)&4294967295
	s_addc_u32 s15, s15, (.LBB1_8479-.Lpost_getpc14991)>>32
	s_setpc_b64 s[14:15]
.LBB1_32911:
	s_getpc_b64 s[14:15]
.Lpost_getpc2119:
	s_add_u32 s14, s14, (.LBB1_8480-.Lpost_getpc2119)&4294967295
	s_addc_u32 s15, s15, (.LBB1_8480-.Lpost_getpc2119)>>32
	s_setpc_b64 s[14:15]
.LBB1_22817:
	s_movk_i32 s4, 0x80
	v_cmp_eq_u16_sdwa s[12:13], v7, s4 src0_sel:BYTE_0 src1_sel:DWORD
	s_mov_b64 s[4:5], -1
                                        ; implicit-def: $sgpr10
	s_and_saveexec_b64 s[8:9], s[12:13]
; %bb.22818:
	s_mov_b32 s10, 0x7f800001
	s_xor_b64 s[4:5], exec, -1
; %bb.22819:
	s_or_b64 exec, exec, s[8:9]
	s_and_b64 s[4:5], s[4:5], exec
	s_or_saveexec_b64 s[6:7], s[6:7]
	v_mov_b32_e32 v2, s10
	s_xor_b64 exec, exec, s[6:7]
	s_cbranch_execnz .LBB1_22820
; %bb.58657:
	s_getpc_b64 s[14:15]
.Lpost_getpc14992:
	s_add_u32 s14, s14, (.LBB1_8482-.Lpost_getpc14992)&4294967295
	s_addc_u32 s15, s15, (.LBB1_8482-.Lpost_getpc14992)>>32
	s_setpc_b64 s[14:15]
.LBB1_22820:
	v_mov_b32_e32 v2, 0
	v_cmp_ne_u16_sdwa s[8:9], v7, v2 src0_sel:BYTE_0 src1_sel:DWORD
	s_andn2_b64 s[4:5], s[4:5], exec
	s_and_b64 s[8:9], s[8:9], exec
	s_or_b64 s[4:5], s[4:5], s[8:9]
	s_or_b64 exec, exec, s[6:7]
	s_and_saveexec_b64 s[6:7], s[4:5]
	s_cbranch_execz .LBB1_32913
; %bb.58659:
	s_getpc_b64 s[14:15]
.Lpost_getpc14993:
	s_add_u32 s14, s14, (.LBB1_8483-.Lpost_getpc14993)&4294967295
	s_addc_u32 s15, s15, (.LBB1_8483-.Lpost_getpc14993)>>32
	s_setpc_b64 s[14:15]
.LBB1_32913:
	s_getpc_b64 s[14:15]
.Lpost_getpc2120:
	s_add_u32 s14, s14, (.LBB1_8484-.Lpost_getpc2120)&4294967295
	s_addc_u32 s15, s15, (.LBB1_8484-.Lpost_getpc2120)>>32
	s_setpc_b64 s[14:15]
.LBB1_22821:
	s_movk_i32 s4, 0x80
	v_cmp_eq_u16_sdwa s[12:13], v3, s4 src0_sel:BYTE_0 src1_sel:DWORD
	s_mov_b64 s[4:5], -1
                                        ; implicit-def: $sgpr10
	s_and_saveexec_b64 s[8:9], s[12:13]
; %bb.22822:
	s_mov_b32 s10, 0x7f800001
	s_xor_b64 s[4:5], exec, -1
; %bb.22823:
	s_or_b64 exec, exec, s[8:9]
	s_and_b64 s[4:5], s[4:5], exec
	s_or_saveexec_b64 s[6:7], s[6:7]
	v_mov_b32_e32 v6, s10
	s_xor_b64 exec, exec, s[6:7]
	s_cbranch_execnz .LBB1_22824
; %bb.58661:
	s_getpc_b64 s[14:15]
.Lpost_getpc14994:
	s_add_u32 s14, s14, (.LBB1_8486-.Lpost_getpc14994)&4294967295
	s_addc_u32 s15, s15, (.LBB1_8486-.Lpost_getpc14994)>>32
	s_setpc_b64 s[14:15]
.LBB1_22824:
	v_mov_b32_e32 v6, 0
	v_cmp_ne_u16_sdwa s[8:9], v3, v6 src0_sel:BYTE_0 src1_sel:DWORD
	s_andn2_b64 s[4:5], s[4:5], exec
	s_and_b64 s[8:9], s[8:9], exec
	s_or_b64 s[4:5], s[4:5], s[8:9]
	s_or_b64 exec, exec, s[6:7]
	s_and_saveexec_b64 s[6:7], s[4:5]
	s_cbranch_execz .LBB1_32915
; %bb.58663:
	s_getpc_b64 s[14:15]
.Lpost_getpc14995:
	s_add_u32 s14, s14, (.LBB1_8487-.Lpost_getpc14995)&4294967295
	s_addc_u32 s15, s15, (.LBB1_8487-.Lpost_getpc14995)>>32
	s_setpc_b64 s[14:15]
.LBB1_32915:
	s_getpc_b64 s[14:15]
.Lpost_getpc2121:
	s_add_u32 s14, s14, (.LBB1_8488-.Lpost_getpc2121)&4294967295
	s_addc_u32 s15, s15, (.LBB1_8488-.Lpost_getpc2121)>>32
	s_setpc_b64 s[14:15]
.LBB1_22825:
	s_movk_i32 s4, 0x80
	v_cmp_eq_u16_sdwa s[12:13], v6, s4 src0_sel:BYTE_0 src1_sel:DWORD
	s_mov_b64 s[4:5], -1
                                        ; implicit-def: $sgpr10
	s_and_saveexec_b64 s[8:9], s[12:13]
; %bb.22826:
	s_mov_b32 s10, 0x7f800001
	s_xor_b64 s[4:5], exec, -1
; %bb.22827:
	s_or_b64 exec, exec, s[8:9]
	s_and_b64 s[4:5], s[4:5], exec
	s_or_saveexec_b64 s[6:7], s[6:7]
	v_mov_b32_e32 v2, s10
	s_xor_b64 exec, exec, s[6:7]
	s_cbranch_execnz .LBB1_22828
; %bb.58665:
	s_getpc_b64 s[14:15]
.Lpost_getpc14996:
	s_add_u32 s14, s14, (.LBB1_8490-.Lpost_getpc14996)&4294967295
	s_addc_u32 s15, s15, (.LBB1_8490-.Lpost_getpc14996)>>32
	s_setpc_b64 s[14:15]
.LBB1_22828:
	v_mov_b32_e32 v2, 0
	v_cmp_ne_u16_sdwa s[8:9], v6, v2 src0_sel:BYTE_0 src1_sel:DWORD
	s_andn2_b64 s[4:5], s[4:5], exec
	s_and_b64 s[8:9], s[8:9], exec
	s_or_b64 s[4:5], s[4:5], s[8:9]
	s_or_b64 exec, exec, s[6:7]
	s_and_saveexec_b64 s[6:7], s[4:5]
	s_cbranch_execz .LBB1_32917
; %bb.58667:
	s_getpc_b64 s[14:15]
.Lpost_getpc14997:
	s_add_u32 s14, s14, (.LBB1_8491-.Lpost_getpc14997)&4294967295
	s_addc_u32 s15, s15, (.LBB1_8491-.Lpost_getpc14997)>>32
	s_setpc_b64 s[14:15]
.LBB1_32917:
	s_getpc_b64 s[14:15]
.Lpost_getpc2122:
	s_add_u32 s14, s14, (.LBB1_8492-.Lpost_getpc2122)&4294967295
	s_addc_u32 s15, s15, (.LBB1_8492-.Lpost_getpc2122)>>32
	s_setpc_b64 s[14:15]
.LBB1_22829:
	s_movk_i32 s4, 0x80
	v_cmp_eq_u16_sdwa s[12:13], v6, s4 src0_sel:BYTE_0 src1_sel:DWORD
	s_mov_b64 s[4:5], -1
                                        ; implicit-def: $sgpr10
	s_and_saveexec_b64 s[8:9], s[12:13]
; %bb.22830:
	s_mov_b32 s10, 0x7f800001
	s_xor_b64 s[4:5], exec, -1
; %bb.22831:
	s_or_b64 exec, exec, s[8:9]
	s_and_b64 s[4:5], s[4:5], exec
	s_or_saveexec_b64 s[6:7], s[6:7]
	v_mov_b32_e32 v12, s10
	s_xor_b64 exec, exec, s[6:7]
	s_cbranch_execnz .LBB1_22832
; %bb.58669:
	s_getpc_b64 s[14:15]
.Lpost_getpc14998:
	s_add_u32 s14, s14, (.LBB1_8494-.Lpost_getpc14998)&4294967295
	s_addc_u32 s15, s15, (.LBB1_8494-.Lpost_getpc14998)>>32
	s_setpc_b64 s[14:15]
.LBB1_22832:
	v_mov_b32_e32 v12, 0
	v_cmp_ne_u16_sdwa s[8:9], v6, v12 src0_sel:BYTE_0 src1_sel:DWORD
	s_andn2_b64 s[4:5], s[4:5], exec
	s_and_b64 s[8:9], s[8:9], exec
	s_or_b64 s[4:5], s[4:5], s[8:9]
	s_or_b64 exec, exec, s[6:7]
	s_and_saveexec_b64 s[6:7], s[4:5]
	s_cbranch_execz .LBB1_32919
; %bb.58671:
	s_getpc_b64 s[14:15]
.Lpost_getpc14999:
	s_add_u32 s14, s14, (.LBB1_8495-.Lpost_getpc14999)&4294967295
	s_addc_u32 s15, s15, (.LBB1_8495-.Lpost_getpc14999)>>32
	s_setpc_b64 s[14:15]
.LBB1_32919:
	s_getpc_b64 s[14:15]
.Lpost_getpc2123:
	s_add_u32 s14, s14, (.LBB1_8496-.Lpost_getpc2123)&4294967295
	s_addc_u32 s15, s15, (.LBB1_8496-.Lpost_getpc2123)>>32
	s_setpc_b64 s[14:15]
.LBB1_22833:
	s_movk_i32 s4, 0x80
	v_cmp_eq_u16_e32 vcc, s4, v6
	s_mov_b64 s[4:5], -1
                                        ; implicit-def: $sgpr10
	s_and_saveexec_b64 s[8:9], vcc
; %bb.22834:
	s_mov_b32 s10, 0x7f800001
	s_xor_b64 s[4:5], exec, -1
; %bb.22835:
	s_or_b64 exec, exec, s[8:9]
	s_and_b64 s[4:5], s[4:5], exec
                                        ; implicit-def: $vgpr6
	s_or_saveexec_b64 s[6:7], s[6:7]
	v_mov_b32_e32 v2, s10
	s_xor_b64 exec, exec, s[6:7]
	s_cbranch_execnz .LBB1_22836
; %bb.58673:
	s_getpc_b64 s[14:15]
.Lpost_getpc15000:
	s_add_u32 s14, s14, (.LBB1_8498-.Lpost_getpc15000)&4294967295
	s_addc_u32 s15, s15, (.LBB1_8498-.Lpost_getpc15000)>>32
	s_setpc_b64 s[14:15]
.LBB1_22836:
	v_cmp_ne_u16_e32 vcc, 0, v6
	s_andn2_b64 s[4:5], s[4:5], exec
	s_and_b64 s[8:9], vcc, exec
	v_mov_b32_e32 v2, 0
	s_or_b64 s[4:5], s[4:5], s[8:9]
	s_or_b64 exec, exec, s[6:7]
	s_and_saveexec_b64 s[6:7], s[4:5]
	s_cbranch_execz .LBB1_32921
; %bb.58675:
	s_getpc_b64 s[14:15]
.Lpost_getpc15001:
	s_add_u32 s14, s14, (.LBB1_8499-.Lpost_getpc15001)&4294967295
	s_addc_u32 s15, s15, (.LBB1_8499-.Lpost_getpc15001)>>32
	s_setpc_b64 s[14:15]
.LBB1_32921:
	s_getpc_b64 s[14:15]
.Lpost_getpc2124:
	s_add_u32 s14, s14, (.LBB1_8500-.Lpost_getpc2124)&4294967295
	s_addc_u32 s15, s15, (.LBB1_8500-.Lpost_getpc2124)>>32
	s_setpc_b64 s[14:15]
.LBB1_22837:
	s_movk_i32 s4, 0x80
	v_cmp_eq_u16_e32 vcc, s4, v6
	s_mov_b64 s[4:5], -1
                                        ; implicit-def: $sgpr10
	s_and_saveexec_b64 s[8:9], vcc
; %bb.22838:
	s_mov_b32 s10, 0x7f800001
	s_xor_b64 s[4:5], exec, -1
; %bb.22839:
	s_or_b64 exec, exec, s[8:9]
	s_and_b64 s[4:5], s[4:5], exec
                                        ; implicit-def: $vgpr6
	s_or_saveexec_b64 s[6:7], s[6:7]
	v_mov_b32_e32 v12, s10
	s_xor_b64 exec, exec, s[6:7]
	s_cbranch_execnz .LBB1_22840
; %bb.58677:
	s_getpc_b64 s[14:15]
.Lpost_getpc15002:
	s_add_u32 s14, s14, (.LBB1_8502-.Lpost_getpc15002)&4294967295
	s_addc_u32 s15, s15, (.LBB1_8502-.Lpost_getpc15002)>>32
	s_setpc_b64 s[14:15]
.LBB1_22840:
	v_cmp_ne_u16_e32 vcc, 0, v6
	s_andn2_b64 s[4:5], s[4:5], exec
	s_and_b64 s[8:9], vcc, exec
	v_mov_b32_e32 v12, 0
	s_or_b64 s[4:5], s[4:5], s[8:9]
	s_or_b64 exec, exec, s[6:7]
	s_and_saveexec_b64 s[6:7], s[4:5]
	s_cbranch_execz .LBB1_32923
; %bb.58679:
	s_getpc_b64 s[14:15]
.Lpost_getpc15003:
	s_add_u32 s14, s14, (.LBB1_8503-.Lpost_getpc15003)&4294967295
	s_addc_u32 s15, s15, (.LBB1_8503-.Lpost_getpc15003)>>32
	s_setpc_b64 s[14:15]
.LBB1_32923:
	s_getpc_b64 s[14:15]
.Lpost_getpc2125:
	s_add_u32 s14, s14, (.LBB1_8504-.Lpost_getpc2125)&4294967295
	s_addc_u32 s15, s15, (.LBB1_8504-.Lpost_getpc2125)>>32
	s_setpc_b64 s[14:15]
.LBB1_22841:
	s_movk_i32 s4, 0x80
	v_cmp_eq_u16_sdwa s[12:13], v7, s4 src0_sel:BYTE_3 src1_sel:DWORD
	s_mov_b64 s[4:5], -1
                                        ; implicit-def: $sgpr10
	s_and_saveexec_b64 s[8:9], s[12:13]
; %bb.22842:
	s_mov_b32 s10, 0x7f800001
	s_xor_b64 s[4:5], exec, -1
; %bb.22843:
	s_or_b64 exec, exec, s[8:9]
	s_and_b64 s[4:5], s[4:5], exec
	s_or_saveexec_b64 s[6:7], s[6:7]
	v_mov_b32_e32 v2, s10
	s_xor_b64 exec, exec, s[6:7]
	s_cbranch_execnz .LBB1_22844
; %bb.58681:
	s_getpc_b64 s[14:15]
.Lpost_getpc15004:
	s_add_u32 s14, s14, (.LBB1_8506-.Lpost_getpc15004)&4294967295
	s_addc_u32 s15, s15, (.LBB1_8506-.Lpost_getpc15004)>>32
	s_setpc_b64 s[14:15]
.LBB1_22844:
	v_mov_b32_e32 v2, 0
	v_cmp_ne_u16_sdwa s[8:9], v7, v2 src0_sel:BYTE_3 src1_sel:DWORD
	s_andn2_b64 s[4:5], s[4:5], exec
	s_and_b64 s[8:9], s[8:9], exec
	s_or_b64 s[4:5], s[4:5], s[8:9]
	s_or_b64 exec, exec, s[6:7]
	s_and_saveexec_b64 s[6:7], s[4:5]
	s_cbranch_execz .LBB1_32925
; %bb.58683:
	s_getpc_b64 s[14:15]
.Lpost_getpc15005:
	s_add_u32 s14, s14, (.LBB1_8507-.Lpost_getpc15005)&4294967295
	s_addc_u32 s15, s15, (.LBB1_8507-.Lpost_getpc15005)>>32
	s_setpc_b64 s[14:15]
.LBB1_32925:
	s_getpc_b64 s[14:15]
.Lpost_getpc2126:
	s_add_u32 s14, s14, (.LBB1_8508-.Lpost_getpc2126)&4294967295
	s_addc_u32 s15, s15, (.LBB1_8508-.Lpost_getpc2126)>>32
	s_setpc_b64 s[14:15]
.LBB1_22845:
	s_movk_i32 s4, 0x80
	v_cmp_eq_u16_sdwa s[12:13], v3, s4 src0_sel:BYTE_3 src1_sel:DWORD
	s_mov_b64 s[4:5], -1
                                        ; implicit-def: $sgpr10
	s_and_saveexec_b64 s[8:9], s[12:13]
; %bb.22846:
	s_mov_b32 s10, 0x7f800001
	s_xor_b64 s[4:5], exec, -1
; %bb.22847:
	s_or_b64 exec, exec, s[8:9]
	s_and_b64 s[4:5], s[4:5], exec
	s_or_saveexec_b64 s[6:7], s[6:7]
	v_mov_b32_e32 v6, s10
	s_xor_b64 exec, exec, s[6:7]
	s_cbranch_execnz .LBB1_22848
; %bb.58685:
	s_getpc_b64 s[14:15]
.Lpost_getpc15006:
	s_add_u32 s14, s14, (.LBB1_8510-.Lpost_getpc15006)&4294967295
	s_addc_u32 s15, s15, (.LBB1_8510-.Lpost_getpc15006)>>32
	s_setpc_b64 s[14:15]
.LBB1_22848:
	v_mov_b32_e32 v6, 0
	v_cmp_ne_u16_sdwa s[8:9], v3, v6 src0_sel:BYTE_3 src1_sel:DWORD
	s_andn2_b64 s[4:5], s[4:5], exec
	s_and_b64 s[8:9], s[8:9], exec
	s_or_b64 s[4:5], s[4:5], s[8:9]
	s_or_b64 exec, exec, s[6:7]
	s_and_saveexec_b64 s[6:7], s[4:5]
	s_cbranch_execz .LBB1_32927
; %bb.58687:
	s_getpc_b64 s[14:15]
.Lpost_getpc15007:
	s_add_u32 s14, s14, (.LBB1_8511-.Lpost_getpc15007)&4294967295
	s_addc_u32 s15, s15, (.LBB1_8511-.Lpost_getpc15007)>>32
	s_setpc_b64 s[14:15]
.LBB1_32927:
	s_getpc_b64 s[14:15]
.Lpost_getpc2127:
	s_add_u32 s14, s14, (.LBB1_8512-.Lpost_getpc2127)&4294967295
	s_addc_u32 s15, s15, (.LBB1_8512-.Lpost_getpc2127)>>32
	s_setpc_b64 s[14:15]
.LBB1_22849:
	s_movk_i32 s4, 0x80
	v_cmp_eq_u16_sdwa s[12:13], v8, s4 src0_sel:BYTE_0 src1_sel:DWORD
	s_mov_b64 s[4:5], -1
                                        ; implicit-def: $sgpr10
	s_and_saveexec_b64 s[8:9], s[12:13]
; %bb.22850:
	s_mov_b32 s10, 0x7f800001
	s_xor_b64 s[4:5], exec, -1
; %bb.22851:
	s_or_b64 exec, exec, s[8:9]
	s_and_b64 s[4:5], s[4:5], exec
	s_or_saveexec_b64 s[6:7], s[6:7]
	v_mov_b32_e32 v2, s10
	s_xor_b64 exec, exec, s[6:7]
	s_cbranch_execnz .LBB1_22852
; %bb.58689:
	s_getpc_b64 s[14:15]
.Lpost_getpc15008:
	s_add_u32 s14, s14, (.LBB1_8514-.Lpost_getpc15008)&4294967295
	s_addc_u32 s15, s15, (.LBB1_8514-.Lpost_getpc15008)>>32
	s_setpc_b64 s[14:15]
.LBB1_22852:
	v_mov_b32_e32 v2, 0
	v_cmp_ne_u16_sdwa s[8:9], v8, v2 src0_sel:BYTE_0 src1_sel:DWORD
	s_andn2_b64 s[4:5], s[4:5], exec
	s_and_b64 s[8:9], s[8:9], exec
	s_or_b64 s[4:5], s[4:5], s[8:9]
	s_or_b64 exec, exec, s[6:7]
	s_and_saveexec_b64 s[6:7], s[4:5]
	s_cbranch_execz .LBB1_32929
; %bb.58691:
	s_getpc_b64 s[14:15]
.Lpost_getpc15009:
	s_add_u32 s14, s14, (.LBB1_8515-.Lpost_getpc15009)&4294967295
	s_addc_u32 s15, s15, (.LBB1_8515-.Lpost_getpc15009)>>32
	s_setpc_b64 s[14:15]
.LBB1_32929:
	s_getpc_b64 s[14:15]
.Lpost_getpc2128:
	s_add_u32 s14, s14, (.LBB1_8516-.Lpost_getpc2128)&4294967295
	s_addc_u32 s15, s15, (.LBB1_8516-.Lpost_getpc2128)>>32
	s_setpc_b64 s[14:15]
.LBB1_22853:
	s_movk_i32 s4, 0x80
	v_cmp_eq_u16_sdwa s[12:13], v4, s4 src0_sel:BYTE_0 src1_sel:DWORD
	s_mov_b64 s[4:5], -1
                                        ; implicit-def: $sgpr10
	s_and_saveexec_b64 s[8:9], s[12:13]
; %bb.22854:
	s_mov_b32 s10, 0x7f800001
	s_xor_b64 s[4:5], exec, -1
; %bb.22855:
	s_or_b64 exec, exec, s[8:9]
	s_and_b64 s[4:5], s[4:5], exec
	s_or_saveexec_b64 s[6:7], s[6:7]
	v_mov_b32_e32 v3, s10
	s_xor_b64 exec, exec, s[6:7]
	s_cbranch_execnz .LBB1_22856
; %bb.58693:
	s_getpc_b64 s[14:15]
.Lpost_getpc15010:
	s_add_u32 s14, s14, (.LBB1_8518-.Lpost_getpc15010)&4294967295
	s_addc_u32 s15, s15, (.LBB1_8518-.Lpost_getpc15010)>>32
	s_setpc_b64 s[14:15]
.LBB1_22856:
	v_mov_b32_e32 v3, 0
	v_cmp_ne_u16_sdwa s[8:9], v4, v3 src0_sel:BYTE_0 src1_sel:DWORD
	s_andn2_b64 s[4:5], s[4:5], exec
	s_and_b64 s[8:9], s[8:9], exec
	s_or_b64 s[4:5], s[4:5], s[8:9]
	s_or_b64 exec, exec, s[6:7]
	s_and_saveexec_b64 s[6:7], s[4:5]
	s_cbranch_execz .LBB1_32931
; %bb.58695:
	s_getpc_b64 s[14:15]
.Lpost_getpc15011:
	s_add_u32 s14, s14, (.LBB1_8519-.Lpost_getpc15011)&4294967295
	s_addc_u32 s15, s15, (.LBB1_8519-.Lpost_getpc15011)>>32
	s_setpc_b64 s[14:15]
.LBB1_32931:
	s_getpc_b64 s[14:15]
.Lpost_getpc2129:
	s_add_u32 s14, s14, (.LBB1_8520-.Lpost_getpc2129)&4294967295
	s_addc_u32 s15, s15, (.LBB1_8520-.Lpost_getpc2129)>>32
	s_setpc_b64 s[14:15]
.LBB1_22857:
	s_movk_i32 s4, 0x80
	v_cmp_eq_u16_sdwa s[12:13], v3, s4 src0_sel:BYTE_0 src1_sel:DWORD
	s_mov_b64 s[4:5], -1
                                        ; implicit-def: $sgpr10
	s_and_saveexec_b64 s[8:9], s[12:13]
; %bb.22858:
	s_mov_b32 s10, 0x7f800001
	s_xor_b64 s[4:5], exec, -1
; %bb.22859:
	s_or_b64 exec, exec, s[8:9]
	s_and_b64 s[4:5], s[4:5], exec
	s_or_saveexec_b64 s[6:7], s[6:7]
	v_mov_b32_e32 v2, s10
	s_xor_b64 exec, exec, s[6:7]
	s_cbranch_execnz .LBB1_22860
; %bb.58697:
	s_getpc_b64 s[14:15]
.Lpost_getpc15012:
	s_add_u32 s14, s14, (.LBB1_8522-.Lpost_getpc15012)&4294967295
	s_addc_u32 s15, s15, (.LBB1_8522-.Lpost_getpc15012)>>32
	s_setpc_b64 s[14:15]
.LBB1_22860:
	v_mov_b32_e32 v2, 0
	v_cmp_ne_u16_sdwa s[8:9], v3, v2 src0_sel:BYTE_0 src1_sel:DWORD
	s_andn2_b64 s[4:5], s[4:5], exec
	s_and_b64 s[8:9], s[8:9], exec
	s_or_b64 s[4:5], s[4:5], s[8:9]
	s_or_b64 exec, exec, s[6:7]
	s_and_saveexec_b64 s[6:7], s[4:5]
	s_cbranch_execz .LBB1_32933
; %bb.58699:
	s_getpc_b64 s[14:15]
.Lpost_getpc15013:
	s_add_u32 s14, s14, (.LBB1_8523-.Lpost_getpc15013)&4294967295
	s_addc_u32 s15, s15, (.LBB1_8523-.Lpost_getpc15013)>>32
	s_setpc_b64 s[14:15]
.LBB1_32933:
	s_getpc_b64 s[14:15]
.Lpost_getpc2130:
	s_add_u32 s14, s14, (.LBB1_8524-.Lpost_getpc2130)&4294967295
	s_addc_u32 s15, s15, (.LBB1_8524-.Lpost_getpc2130)>>32
	s_setpc_b64 s[14:15]
.LBB1_22861:
	s_movk_i32 s4, 0x80
	v_cmp_eq_u16_sdwa s[12:13], v3, s4 src0_sel:BYTE_0 src1_sel:DWORD
	s_mov_b64 s[4:5], -1
                                        ; implicit-def: $sgpr10
	s_and_saveexec_b64 s[8:9], s[12:13]
; %bb.22862:
	s_mov_b32 s10, 0x7f800001
	s_xor_b64 s[4:5], exec, -1
; %bb.22863:
	s_or_b64 exec, exec, s[8:9]
	s_and_b64 s[4:5], s[4:5], exec
	s_or_saveexec_b64 s[6:7], s[6:7]
	v_mov_b32_e32 v6, s10
	s_xor_b64 exec, exec, s[6:7]
	s_cbranch_execnz .LBB1_22864
; %bb.58701:
	s_getpc_b64 s[14:15]
.Lpost_getpc15014:
	s_add_u32 s14, s14, (.LBB1_8526-.Lpost_getpc15014)&4294967295
	s_addc_u32 s15, s15, (.LBB1_8526-.Lpost_getpc15014)>>32
	s_setpc_b64 s[14:15]
.LBB1_22864:
	v_mov_b32_e32 v6, 0
	v_cmp_ne_u16_sdwa s[8:9], v3, v6 src0_sel:BYTE_0 src1_sel:DWORD
	s_andn2_b64 s[4:5], s[4:5], exec
	s_and_b64 s[8:9], s[8:9], exec
	s_or_b64 s[4:5], s[4:5], s[8:9]
	s_or_b64 exec, exec, s[6:7]
	s_and_saveexec_b64 s[6:7], s[4:5]
	s_cbranch_execz .LBB1_32935
; %bb.58703:
	s_getpc_b64 s[14:15]
.Lpost_getpc15015:
	s_add_u32 s14, s14, (.LBB1_8527-.Lpost_getpc15015)&4294967295
	s_addc_u32 s15, s15, (.LBB1_8527-.Lpost_getpc15015)>>32
	s_setpc_b64 s[14:15]
.LBB1_32935:
	s_getpc_b64 s[14:15]
.Lpost_getpc2131:
	s_add_u32 s14, s14, (.LBB1_8528-.Lpost_getpc2131)&4294967295
	s_addc_u32 s15, s15, (.LBB1_8528-.Lpost_getpc2131)>>32
	s_setpc_b64 s[14:15]
.LBB1_22865:
	s_movk_i32 s4, 0x80
	v_cmp_eq_u16_e32 vcc, s4, v3
	s_mov_b64 s[4:5], -1
                                        ; implicit-def: $sgpr10
	s_and_saveexec_b64 s[8:9], vcc
; %bb.22866:
	s_mov_b32 s10, 0x7f800001
	s_xor_b64 s[4:5], exec, -1
; %bb.22867:
	s_or_b64 exec, exec, s[8:9]
	s_and_b64 s[4:5], s[4:5], exec
                                        ; implicit-def: $vgpr3
	s_or_saveexec_b64 s[6:7], s[6:7]
	v_mov_b32_e32 v2, s10
	s_xor_b64 exec, exec, s[6:7]
	s_cbranch_execnz .LBB1_22868
; %bb.58705:
	s_getpc_b64 s[14:15]
.Lpost_getpc15016:
	s_add_u32 s14, s14, (.LBB1_8530-.Lpost_getpc15016)&4294967295
	s_addc_u32 s15, s15, (.LBB1_8530-.Lpost_getpc15016)>>32
	s_setpc_b64 s[14:15]
.LBB1_22868:
	v_cmp_ne_u16_e32 vcc, 0, v3
	s_andn2_b64 s[4:5], s[4:5], exec
	s_and_b64 s[8:9], vcc, exec
	v_mov_b32_e32 v2, 0
	s_or_b64 s[4:5], s[4:5], s[8:9]
	s_or_b64 exec, exec, s[6:7]
	s_and_saveexec_b64 s[6:7], s[4:5]
	s_cbranch_execz .LBB1_32937
; %bb.58707:
	s_getpc_b64 s[14:15]
.Lpost_getpc15017:
	s_add_u32 s14, s14, (.LBB1_8531-.Lpost_getpc15017)&4294967295
	s_addc_u32 s15, s15, (.LBB1_8531-.Lpost_getpc15017)>>32
	s_setpc_b64 s[14:15]
.LBB1_32937:
	s_getpc_b64 s[14:15]
.Lpost_getpc2132:
	s_add_u32 s14, s14, (.LBB1_8532-.Lpost_getpc2132)&4294967295
	s_addc_u32 s15, s15, (.LBB1_8532-.Lpost_getpc2132)>>32
	s_setpc_b64 s[14:15]
.LBB1_22869:
	s_movk_i32 s4, 0x80
	v_cmp_eq_u16_e32 vcc, s4, v3
	s_mov_b64 s[4:5], -1
                                        ; implicit-def: $sgpr10
	s_and_saveexec_b64 s[8:9], vcc
; %bb.22870:
	s_mov_b32 s10, 0x7f800001
	s_xor_b64 s[4:5], exec, -1
; %bb.22871:
	s_or_b64 exec, exec, s[8:9]
	s_and_b64 s[4:5], s[4:5], exec
                                        ; implicit-def: $vgpr3
	s_or_saveexec_b64 s[6:7], s[6:7]
	v_mov_b32_e32 v6, s10
	s_xor_b64 exec, exec, s[6:7]
	s_cbranch_execnz .LBB1_22872
; %bb.58709:
	s_getpc_b64 s[14:15]
.Lpost_getpc15018:
	s_add_u32 s14, s14, (.LBB1_8534-.Lpost_getpc15018)&4294967295
	s_addc_u32 s15, s15, (.LBB1_8534-.Lpost_getpc15018)>>32
	s_setpc_b64 s[14:15]
.LBB1_22872:
	v_cmp_ne_u16_e32 vcc, 0, v3
	s_andn2_b64 s[4:5], s[4:5], exec
	s_and_b64 s[8:9], vcc, exec
	v_mov_b32_e32 v6, 0
	s_or_b64 s[4:5], s[4:5], s[8:9]
	s_or_b64 exec, exec, s[6:7]
	s_and_saveexec_b64 s[6:7], s[4:5]
	s_cbranch_execz .LBB1_32939
; %bb.58711:
	s_getpc_b64 s[14:15]
.Lpost_getpc15019:
	s_add_u32 s14, s14, (.LBB1_8535-.Lpost_getpc15019)&4294967295
	s_addc_u32 s15, s15, (.LBB1_8535-.Lpost_getpc15019)>>32
	s_setpc_b64 s[14:15]
.LBB1_32939:
	s_getpc_b64 s[14:15]
.Lpost_getpc2133:
	s_add_u32 s14, s14, (.LBB1_8536-.Lpost_getpc2133)&4294967295
	s_addc_u32 s15, s15, (.LBB1_8536-.Lpost_getpc2133)>>32
	s_setpc_b64 s[14:15]
.LBB1_22873:
	s_movk_i32 s4, 0x80
	v_cmp_eq_u16_sdwa s[12:13], v8, s4 src0_sel:BYTE_3 src1_sel:DWORD
	s_mov_b64 s[4:5], -1
                                        ; implicit-def: $sgpr10
	s_and_saveexec_b64 s[8:9], s[12:13]
; %bb.22874:
	s_mov_b32 s10, 0x7f800001
	s_xor_b64 s[4:5], exec, -1
; %bb.22875:
	s_or_b64 exec, exec, s[8:9]
	s_and_b64 s[4:5], s[4:5], exec
	s_or_saveexec_b64 s[6:7], s[6:7]
	v_mov_b32_e32 v2, s10
	s_xor_b64 exec, exec, s[6:7]
	s_cbranch_execnz .LBB1_22876
; %bb.58713:
	s_getpc_b64 s[14:15]
.Lpost_getpc15020:
	s_add_u32 s14, s14, (.LBB1_8538-.Lpost_getpc15020)&4294967295
	s_addc_u32 s15, s15, (.LBB1_8538-.Lpost_getpc15020)>>32
	s_setpc_b64 s[14:15]
.LBB1_22876:
	v_mov_b32_e32 v2, 0
	v_cmp_ne_u16_sdwa s[8:9], v8, v2 src0_sel:BYTE_3 src1_sel:DWORD
	s_andn2_b64 s[4:5], s[4:5], exec
	s_and_b64 s[8:9], s[8:9], exec
	s_or_b64 s[4:5], s[4:5], s[8:9]
	s_or_b64 exec, exec, s[6:7]
	s_and_saveexec_b64 s[6:7], s[4:5]
	s_cbranch_execz .LBB1_32941
; %bb.58715:
	s_getpc_b64 s[14:15]
.Lpost_getpc15021:
	s_add_u32 s14, s14, (.LBB1_8539-.Lpost_getpc15021)&4294967295
	s_addc_u32 s15, s15, (.LBB1_8539-.Lpost_getpc15021)>>32
	s_setpc_b64 s[14:15]
.LBB1_32941:
	s_getpc_b64 s[14:15]
.Lpost_getpc2134:
	s_add_u32 s14, s14, (.LBB1_8540-.Lpost_getpc2134)&4294967295
	s_addc_u32 s15, s15, (.LBB1_8540-.Lpost_getpc2134)>>32
	s_setpc_b64 s[14:15]
.LBB1_22877:
	s_movk_i32 s4, 0x80
	v_cmp_eq_u16_sdwa s[12:13], v4, s4 src0_sel:BYTE_3 src1_sel:DWORD
	s_mov_b64 s[4:5], -1
                                        ; implicit-def: $sgpr10
	s_and_saveexec_b64 s[8:9], s[12:13]
; %bb.22878:
	s_mov_b32 s10, 0x7f800001
	s_xor_b64 s[4:5], exec, -1
; %bb.22879:
	s_or_b64 exec, exec, s[8:9]
	s_and_b64 s[4:5], s[4:5], exec
	s_or_saveexec_b64 s[6:7], s[6:7]
	v_mov_b32_e32 v3, s10
	s_xor_b64 exec, exec, s[6:7]
	s_cbranch_execnz .LBB1_22880
; %bb.58717:
	s_getpc_b64 s[14:15]
.Lpost_getpc15022:
	s_add_u32 s14, s14, (.LBB1_8542-.Lpost_getpc15022)&4294967295
	s_addc_u32 s15, s15, (.LBB1_8542-.Lpost_getpc15022)>>32
	s_setpc_b64 s[14:15]
.LBB1_22880:
	v_mov_b32_e32 v3, 0
	v_cmp_ne_u16_sdwa s[8:9], v4, v3 src0_sel:BYTE_3 src1_sel:DWORD
	s_andn2_b64 s[4:5], s[4:5], exec
	s_and_b64 s[8:9], s[8:9], exec
	s_or_b64 s[4:5], s[4:5], s[8:9]
	s_or_b64 exec, exec, s[6:7]
	s_and_saveexec_b64 s[6:7], s[4:5]
	s_cbranch_execz .LBB1_32943
; %bb.58719:
	s_getpc_b64 s[14:15]
.Lpost_getpc15023:
	s_add_u32 s14, s14, (.LBB1_8543-.Lpost_getpc15023)&4294967295
	s_addc_u32 s15, s15, (.LBB1_8543-.Lpost_getpc15023)>>32
	s_setpc_b64 s[14:15]
.LBB1_32943:
	s_getpc_b64 s[14:15]
.Lpost_getpc2135:
	s_add_u32 s14, s14, (.LBB1_8544-.Lpost_getpc2135)&4294967295
	s_addc_u32 s15, s15, (.LBB1_8544-.Lpost_getpc2135)>>32
	s_setpc_b64 s[14:15]
.LBB1_22881:
	s_movk_i32 s4, 0x80
	v_cmp_eq_u16_sdwa s[12:13], v9, s4 src0_sel:BYTE_0 src1_sel:DWORD
	s_mov_b64 s[4:5], -1
                                        ; implicit-def: $sgpr10
	s_and_saveexec_b64 s[8:9], s[12:13]
; %bb.22882:
	s_mov_b32 s10, 0x7f800001
	s_xor_b64 s[4:5], exec, -1
; %bb.22883:
	s_or_b64 exec, exec, s[8:9]
	s_and_b64 s[4:5], s[4:5], exec
	s_or_saveexec_b64 s[6:7], s[6:7]
	v_mov_b32_e32 v2, s10
	s_xor_b64 exec, exec, s[6:7]
	s_cbranch_execnz .LBB1_22884
; %bb.58721:
	s_getpc_b64 s[14:15]
.Lpost_getpc15024:
	s_add_u32 s14, s14, (.LBB1_8546-.Lpost_getpc15024)&4294967295
	s_addc_u32 s15, s15, (.LBB1_8546-.Lpost_getpc15024)>>32
	s_setpc_b64 s[14:15]
.LBB1_22884:
	v_mov_b32_e32 v2, 0
	v_cmp_ne_u16_sdwa s[8:9], v9, v2 src0_sel:BYTE_0 src1_sel:DWORD
	s_andn2_b64 s[4:5], s[4:5], exec
	s_and_b64 s[8:9], s[8:9], exec
	s_or_b64 s[4:5], s[4:5], s[8:9]
	s_or_b64 exec, exec, s[6:7]
	s_and_saveexec_b64 s[6:7], s[4:5]
	s_cbranch_execz .LBB1_32945
; %bb.58723:
	s_getpc_b64 s[14:15]
.Lpost_getpc15025:
	s_add_u32 s14, s14, (.LBB1_8547-.Lpost_getpc15025)&4294967295
	s_addc_u32 s15, s15, (.LBB1_8547-.Lpost_getpc15025)>>32
	s_setpc_b64 s[14:15]
.LBB1_32945:
	s_getpc_b64 s[14:15]
.Lpost_getpc2136:
	s_add_u32 s14, s14, (.LBB1_8548-.Lpost_getpc2136)&4294967295
	s_addc_u32 s15, s15, (.LBB1_8548-.Lpost_getpc2136)>>32
	s_setpc_b64 s[14:15]
.LBB1_22885:
	s_movk_i32 s4, 0x80
	v_cmp_eq_u16_sdwa s[12:13], v5, s4 src0_sel:BYTE_0 src1_sel:DWORD
	s_mov_b64 s[4:5], -1
                                        ; implicit-def: $sgpr10
	s_and_saveexec_b64 s[8:9], s[12:13]
; %bb.22886:
	s_mov_b32 s10, 0x7f800001
	s_xor_b64 s[4:5], exec, -1
; %bb.22887:
	s_or_b64 exec, exec, s[8:9]
	s_and_b64 s[4:5], s[4:5], exec
	s_or_saveexec_b64 s[6:7], s[6:7]
	v_mov_b32_e32 v3, s10
	s_xor_b64 exec, exec, s[6:7]
	s_cbranch_execnz .LBB1_22888
; %bb.58725:
	s_getpc_b64 s[14:15]
.Lpost_getpc15026:
	s_add_u32 s14, s14, (.LBB1_8550-.Lpost_getpc15026)&4294967295
	s_addc_u32 s15, s15, (.LBB1_8550-.Lpost_getpc15026)>>32
	s_setpc_b64 s[14:15]
.LBB1_22888:
	v_mov_b32_e32 v3, 0
	v_cmp_ne_u16_sdwa s[8:9], v5, v3 src0_sel:BYTE_0 src1_sel:DWORD
	s_andn2_b64 s[4:5], s[4:5], exec
	s_and_b64 s[8:9], s[8:9], exec
	s_or_b64 s[4:5], s[4:5], s[8:9]
	s_or_b64 exec, exec, s[6:7]
	s_and_saveexec_b64 s[6:7], s[4:5]
	s_cbranch_execz .LBB1_32947
; %bb.58727:
	s_getpc_b64 s[14:15]
.Lpost_getpc15027:
	s_add_u32 s14, s14, (.LBB1_8551-.Lpost_getpc15027)&4294967295
	s_addc_u32 s15, s15, (.LBB1_8551-.Lpost_getpc15027)>>32
	s_setpc_b64 s[14:15]
.LBB1_32947:
	s_getpc_b64 s[14:15]
.Lpost_getpc2137:
	s_add_u32 s14, s14, (.LBB1_8552-.Lpost_getpc2137)&4294967295
	s_addc_u32 s15, s15, (.LBB1_8552-.Lpost_getpc2137)>>32
	s_setpc_b64 s[14:15]
.LBB1_22889:
	s_movk_i32 s4, 0x80
	v_cmp_eq_u16_sdwa s[12:13], v3, s4 src0_sel:BYTE_0 src1_sel:DWORD
	s_mov_b64 s[4:5], -1
                                        ; implicit-def: $sgpr10
	s_and_saveexec_b64 s[8:9], s[12:13]
; %bb.22890:
	s_mov_b32 s10, 0x7f800001
	s_xor_b64 s[4:5], exec, -1
; %bb.22891:
	s_or_b64 exec, exec, s[8:9]
	s_and_b64 s[4:5], s[4:5], exec
	s_or_saveexec_b64 s[6:7], s[6:7]
	v_mov_b32_e32 v2, s10
	s_xor_b64 exec, exec, s[6:7]
	s_cbranch_execnz .LBB1_22892
; %bb.58729:
	s_getpc_b64 s[14:15]
.Lpost_getpc15028:
	s_add_u32 s14, s14, (.LBB1_8554-.Lpost_getpc15028)&4294967295
	s_addc_u32 s15, s15, (.LBB1_8554-.Lpost_getpc15028)>>32
	s_setpc_b64 s[14:15]
.LBB1_22892:
	v_mov_b32_e32 v2, 0
	v_cmp_ne_u16_sdwa s[8:9], v3, v2 src0_sel:BYTE_0 src1_sel:DWORD
	s_andn2_b64 s[4:5], s[4:5], exec
	s_and_b64 s[8:9], s[8:9], exec
	s_or_b64 s[4:5], s[4:5], s[8:9]
	s_or_b64 exec, exec, s[6:7]
	s_and_saveexec_b64 s[6:7], s[4:5]
	s_cbranch_execz .LBB1_32949
; %bb.58731:
	s_getpc_b64 s[14:15]
.Lpost_getpc15029:
	s_add_u32 s14, s14, (.LBB1_8555-.Lpost_getpc15029)&4294967295
	s_addc_u32 s15, s15, (.LBB1_8555-.Lpost_getpc15029)>>32
	s_setpc_b64 s[14:15]
.LBB1_32949:
	s_getpc_b64 s[14:15]
.Lpost_getpc2138:
	s_add_u32 s14, s14, (.LBB1_8556-.Lpost_getpc2138)&4294967295
	s_addc_u32 s15, s15, (.LBB1_8556-.Lpost_getpc2138)>>32
	s_setpc_b64 s[14:15]
.LBB1_22893:
	s_movk_i32 s4, 0x80
	v_cmp_eq_u16_sdwa s[12:13], v3, s4 src0_sel:BYTE_0 src1_sel:DWORD
	s_mov_b64 s[4:5], -1
                                        ; implicit-def: $sgpr10
	s_and_saveexec_b64 s[8:9], s[12:13]
; %bb.22894:
	s_mov_b32 s10, 0x7f800001
	s_xor_b64 s[4:5], exec, -1
; %bb.22895:
	s_or_b64 exec, exec, s[8:9]
	s_and_b64 s[4:5], s[4:5], exec
	s_or_saveexec_b64 s[6:7], s[6:7]
	v_mov_b32_e32 v4, s10
	s_xor_b64 exec, exec, s[6:7]
	s_cbranch_execnz .LBB1_22896
; %bb.58733:
	s_getpc_b64 s[14:15]
.Lpost_getpc15030:
	s_add_u32 s14, s14, (.LBB1_8558-.Lpost_getpc15030)&4294967295
	s_addc_u32 s15, s15, (.LBB1_8558-.Lpost_getpc15030)>>32
	s_setpc_b64 s[14:15]
.LBB1_22896:
	v_mov_b32_e32 v4, 0
	v_cmp_ne_u16_sdwa s[8:9], v3, v4 src0_sel:BYTE_0 src1_sel:DWORD
	s_andn2_b64 s[4:5], s[4:5], exec
	s_and_b64 s[8:9], s[8:9], exec
	s_or_b64 s[4:5], s[4:5], s[8:9]
	s_or_b64 exec, exec, s[6:7]
	s_and_saveexec_b64 s[6:7], s[4:5]
	s_cbranch_execz .LBB1_32951
; %bb.58735:
	s_getpc_b64 s[14:15]
.Lpost_getpc15031:
	s_add_u32 s14, s14, (.LBB1_8559-.Lpost_getpc15031)&4294967295
	s_addc_u32 s15, s15, (.LBB1_8559-.Lpost_getpc15031)>>32
	s_setpc_b64 s[14:15]
.LBB1_32951:
	s_getpc_b64 s[14:15]
.Lpost_getpc2139:
	s_add_u32 s14, s14, (.LBB1_8560-.Lpost_getpc2139)&4294967295
	s_addc_u32 s15, s15, (.LBB1_8560-.Lpost_getpc2139)>>32
	s_setpc_b64 s[14:15]
.LBB1_22897:
	s_movk_i32 s4, 0x80
	v_cmp_eq_u16_e32 vcc, s4, v3
	s_mov_b64 s[4:5], -1
                                        ; implicit-def: $sgpr10
	s_and_saveexec_b64 s[8:9], vcc
; %bb.22898:
	s_mov_b32 s10, 0x7f800001
	s_xor_b64 s[4:5], exec, -1
; %bb.22899:
	s_or_b64 exec, exec, s[8:9]
	s_and_b64 s[4:5], s[4:5], exec
                                        ; implicit-def: $vgpr3
	s_or_saveexec_b64 s[6:7], s[6:7]
	v_mov_b32_e32 v2, s10
	s_xor_b64 exec, exec, s[6:7]
	s_cbranch_execnz .LBB1_22900
; %bb.58737:
	s_getpc_b64 s[14:15]
.Lpost_getpc15032:
	s_add_u32 s14, s14, (.LBB1_8562-.Lpost_getpc15032)&4294967295
	s_addc_u32 s15, s15, (.LBB1_8562-.Lpost_getpc15032)>>32
	s_setpc_b64 s[14:15]
.LBB1_22900:
	v_cmp_ne_u16_e32 vcc, 0, v3
	s_andn2_b64 s[4:5], s[4:5], exec
	s_and_b64 s[8:9], vcc, exec
	v_mov_b32_e32 v2, 0
	s_or_b64 s[4:5], s[4:5], s[8:9]
	s_or_b64 exec, exec, s[6:7]
	s_and_saveexec_b64 s[6:7], s[4:5]
	s_cbranch_execz .LBB1_32953
; %bb.58739:
	s_getpc_b64 s[14:15]
.Lpost_getpc15033:
	s_add_u32 s14, s14, (.LBB1_8563-.Lpost_getpc15033)&4294967295
	s_addc_u32 s15, s15, (.LBB1_8563-.Lpost_getpc15033)>>32
	s_setpc_b64 s[14:15]
.LBB1_32953:
	s_getpc_b64 s[14:15]
.Lpost_getpc2140:
	s_add_u32 s14, s14, (.LBB1_8564-.Lpost_getpc2140)&4294967295
	s_addc_u32 s15, s15, (.LBB1_8564-.Lpost_getpc2140)>>32
	s_setpc_b64 s[14:15]
.LBB1_22901:
	s_movk_i32 s4, 0x80
	v_cmp_eq_u16_e32 vcc, s4, v3
	s_mov_b64 s[4:5], -1
                                        ; implicit-def: $sgpr10
	s_and_saveexec_b64 s[8:9], vcc
; %bb.22902:
	s_mov_b32 s10, 0x7f800001
	s_xor_b64 s[4:5], exec, -1
; %bb.22903:
	s_or_b64 exec, exec, s[8:9]
	s_and_b64 s[4:5], s[4:5], exec
                                        ; implicit-def: $vgpr3
	s_or_saveexec_b64 s[6:7], s[6:7]
	v_mov_b32_e32 v4, s10
	s_xor_b64 exec, exec, s[6:7]
	s_cbranch_execnz .LBB1_22904
; %bb.58741:
	s_getpc_b64 s[14:15]
.Lpost_getpc15034:
	s_add_u32 s14, s14, (.LBB1_8566-.Lpost_getpc15034)&4294967295
	s_addc_u32 s15, s15, (.LBB1_8566-.Lpost_getpc15034)>>32
	s_setpc_b64 s[14:15]
.LBB1_22904:
	v_cmp_ne_u16_e32 vcc, 0, v3
	s_andn2_b64 s[4:5], s[4:5], exec
	s_and_b64 s[8:9], vcc, exec
	v_mov_b32_e32 v4, 0
	s_or_b64 s[4:5], s[4:5], s[8:9]
	s_or_b64 exec, exec, s[6:7]
	s_and_saveexec_b64 s[6:7], s[4:5]
	s_cbranch_execz .LBB1_32955
; %bb.58743:
	s_getpc_b64 s[14:15]
.Lpost_getpc15035:
	s_add_u32 s14, s14, (.LBB1_8567-.Lpost_getpc15035)&4294967295
	s_addc_u32 s15, s15, (.LBB1_8567-.Lpost_getpc15035)>>32
	s_setpc_b64 s[14:15]
.LBB1_32955:
	s_getpc_b64 s[14:15]
.Lpost_getpc2141:
	s_add_u32 s14, s14, (.LBB1_8568-.Lpost_getpc2141)&4294967295
	s_addc_u32 s15, s15, (.LBB1_8568-.Lpost_getpc2141)>>32
	s_setpc_b64 s[14:15]
.LBB1_22905:
	s_movk_i32 s4, 0x80
	v_cmp_eq_u16_sdwa s[12:13], v9, s4 src0_sel:BYTE_3 src1_sel:DWORD
	s_mov_b64 s[4:5], -1
                                        ; implicit-def: $sgpr10
	s_and_saveexec_b64 s[8:9], s[12:13]
; %bb.22906:
	s_mov_b32 s10, 0x7f800001
	s_xor_b64 s[4:5], exec, -1
; %bb.22907:
	s_or_b64 exec, exec, s[8:9]
	s_and_b64 s[4:5], s[4:5], exec
	s_or_saveexec_b64 s[6:7], s[6:7]
	v_mov_b32_e32 v2, s10
	s_xor_b64 exec, exec, s[6:7]
	s_cbranch_execnz .LBB1_22908
; %bb.58745:
	s_getpc_b64 s[14:15]
.Lpost_getpc15036:
	s_add_u32 s14, s14, (.LBB1_8570-.Lpost_getpc15036)&4294967295
	s_addc_u32 s15, s15, (.LBB1_8570-.Lpost_getpc15036)>>32
	s_setpc_b64 s[14:15]
.LBB1_22908:
	v_mov_b32_e32 v2, 0
	v_cmp_ne_u16_sdwa s[8:9], v9, v2 src0_sel:BYTE_3 src1_sel:DWORD
	s_andn2_b64 s[4:5], s[4:5], exec
	s_and_b64 s[8:9], s[8:9], exec
	s_or_b64 s[4:5], s[4:5], s[8:9]
	s_or_b64 exec, exec, s[6:7]
	s_and_saveexec_b64 s[6:7], s[4:5]
	s_cbranch_execz .LBB1_32957
; %bb.58747:
	s_getpc_b64 s[14:15]
.Lpost_getpc15037:
	s_add_u32 s14, s14, (.LBB1_8571-.Lpost_getpc15037)&4294967295
	s_addc_u32 s15, s15, (.LBB1_8571-.Lpost_getpc15037)>>32
	s_setpc_b64 s[14:15]
.LBB1_32957:
	s_getpc_b64 s[14:15]
.Lpost_getpc2142:
	s_add_u32 s14, s14, (.LBB1_8572-.Lpost_getpc2142)&4294967295
	s_addc_u32 s15, s15, (.LBB1_8572-.Lpost_getpc2142)>>32
	s_setpc_b64 s[14:15]
.LBB1_22909:
	s_movk_i32 s4, 0x80
	v_cmp_eq_u16_sdwa s[12:13], v5, s4 src0_sel:BYTE_3 src1_sel:DWORD
	s_mov_b64 s[4:5], -1
                                        ; implicit-def: $sgpr10
	s_and_saveexec_b64 s[8:9], s[12:13]
; %bb.22910:
	s_mov_b32 s10, 0x7f800001
	s_xor_b64 s[4:5], exec, -1
; %bb.22911:
	s_or_b64 exec, exec, s[8:9]
	s_and_b64 s[4:5], s[4:5], exec
	s_or_saveexec_b64 s[6:7], s[6:7]
	v_mov_b32_e32 v3, s10
	s_xor_b64 exec, exec, s[6:7]
	s_cbranch_execnz .LBB1_22912
; %bb.58749:
	s_getpc_b64 s[14:15]
.Lpost_getpc15038:
	s_add_u32 s14, s14, (.LBB1_8574-.Lpost_getpc15038)&4294967295
	s_addc_u32 s15, s15, (.LBB1_8574-.Lpost_getpc15038)>>32
	s_setpc_b64 s[14:15]
.LBB1_22912:
	v_mov_b32_e32 v3, 0
	v_cmp_ne_u16_sdwa s[8:9], v5, v3 src0_sel:BYTE_3 src1_sel:DWORD
	s_andn2_b64 s[4:5], s[4:5], exec
	s_and_b64 s[8:9], s[8:9], exec
	s_or_b64 s[4:5], s[4:5], s[8:9]
	s_or_b64 exec, exec, s[6:7]
	s_and_saveexec_b64 s[6:7], s[4:5]
	s_cbranch_execz .LBB1_32959
; %bb.58751:
	s_getpc_b64 s[14:15]
.Lpost_getpc15039:
	s_add_u32 s14, s14, (.LBB1_8575-.Lpost_getpc15039)&4294967295
	s_addc_u32 s15, s15, (.LBB1_8575-.Lpost_getpc15039)>>32
	s_setpc_b64 s[14:15]
.LBB1_32959:
	s_getpc_b64 s[14:15]
.Lpost_getpc2143:
	s_add_u32 s14, s14, (.LBB1_8576-.Lpost_getpc2143)&4294967295
	s_addc_u32 s15, s15, (.LBB1_8576-.Lpost_getpc2143)>>32
	s_setpc_b64 s[14:15]
.LBB1_22913:
	s_movk_i32 s4, 0x80
	v_cmp_eq_u16_sdwa s[12:13], v6, s4 src0_sel:BYTE_0 src1_sel:DWORD
	s_mov_b64 s[4:5], -1
                                        ; implicit-def: $sgpr10
	s_and_saveexec_b64 s[8:9], s[12:13]
; %bb.22914:
	s_mov_b32 s10, 0x7f800001
	s_xor_b64 s[4:5], exec, -1
; %bb.22915:
	s_or_b64 exec, exec, s[8:9]
	s_and_b64 s[4:5], s[4:5], exec
	s_or_saveexec_b64 s[6:7], s[6:7]
	v_mov_b32_e32 v12, s10
	s_xor_b64 exec, exec, s[6:7]
	s_cbranch_execnz .LBB1_22916
; %bb.58753:
	s_getpc_b64 s[14:15]
.Lpost_getpc15040:
	s_add_u32 s14, s14, (.LBB1_8578-.Lpost_getpc15040)&4294967295
	s_addc_u32 s15, s15, (.LBB1_8578-.Lpost_getpc15040)>>32
	s_setpc_b64 s[14:15]
.LBB1_22916:
	v_mov_b32_e32 v12, 0
	v_cmp_ne_u16_sdwa s[8:9], v6, v12 src0_sel:BYTE_0 src1_sel:DWORD
	s_andn2_b64 s[4:5], s[4:5], exec
	s_and_b64 s[8:9], s[8:9], exec
	s_or_b64 s[4:5], s[4:5], s[8:9]
	s_or_b64 exec, exec, s[6:7]
	s_and_saveexec_b64 s[6:7], s[4:5]
	s_cbranch_execz .LBB1_32961
; %bb.58755:
	s_getpc_b64 s[14:15]
.Lpost_getpc15041:
	s_add_u32 s14, s14, (.LBB1_8579-.Lpost_getpc15041)&4294967295
	s_addc_u32 s15, s15, (.LBB1_8579-.Lpost_getpc15041)>>32
	s_setpc_b64 s[14:15]
.LBB1_32961:
	s_getpc_b64 s[14:15]
.Lpost_getpc2144:
	s_add_u32 s14, s14, (.LBB1_8580-.Lpost_getpc2144)&4294967295
	s_addc_u32 s15, s15, (.LBB1_8580-.Lpost_getpc2144)>>32
	s_setpc_b64 s[14:15]
.LBB1_22917:
	s_movk_i32 s4, 0x80
	v_cmp_eq_u16_sdwa s[12:13], v2, s4 src0_sel:BYTE_0 src1_sel:DWORD
	s_mov_b64 s[4:5], -1
                                        ; implicit-def: $sgpr10
	s_and_saveexec_b64 s[8:9], s[12:13]
; %bb.22918:
	s_mov_b32 s10, 0x7f800001
	s_xor_b64 s[4:5], exec, -1
; %bb.22919:
	s_or_b64 exec, exec, s[8:9]
	s_and_b64 s[4:5], s[4:5], exec
	s_or_saveexec_b64 s[6:7], s[6:7]
	v_mov_b32_e32 v13, s10
	s_xor_b64 exec, exec, s[6:7]
	s_cbranch_execnz .LBB1_22920
; %bb.58757:
	s_getpc_b64 s[14:15]
.Lpost_getpc15042:
	s_add_u32 s14, s14, (.LBB1_8582-.Lpost_getpc15042)&4294967295
	s_addc_u32 s15, s15, (.LBB1_8582-.Lpost_getpc15042)>>32
	s_setpc_b64 s[14:15]
.LBB1_22920:
	v_mov_b32_e32 v13, 0
	v_cmp_ne_u16_sdwa s[8:9], v2, v13 src0_sel:BYTE_0 src1_sel:DWORD
	s_andn2_b64 s[4:5], s[4:5], exec
	s_and_b64 s[8:9], s[8:9], exec
	s_or_b64 s[4:5], s[4:5], s[8:9]
	s_or_b64 exec, exec, s[6:7]
	s_and_saveexec_b64 s[6:7], s[4:5]
	s_cbranch_execz .LBB1_32963
; %bb.58759:
	s_getpc_b64 s[14:15]
.Lpost_getpc15043:
	s_add_u32 s14, s14, (.LBB1_8583-.Lpost_getpc15043)&4294967295
	s_addc_u32 s15, s15, (.LBB1_8583-.Lpost_getpc15043)>>32
	s_setpc_b64 s[14:15]
.LBB1_32963:
	s_getpc_b64 s[14:15]
.Lpost_getpc2145:
	s_add_u32 s14, s14, (.LBB1_8584-.Lpost_getpc2145)&4294967295
	s_addc_u32 s15, s15, (.LBB1_8584-.Lpost_getpc2145)>>32
	s_setpc_b64 s[14:15]
.LBB1_22921:
	s_movk_i32 s4, 0x80
	v_cmp_eq_u16_sdwa s[12:13], v13, s4 src0_sel:BYTE_0 src1_sel:DWORD
	s_mov_b64 s[4:5], -1
                                        ; implicit-def: $sgpr10
	s_and_saveexec_b64 s[8:9], s[12:13]
; %bb.22922:
	s_mov_b32 s10, 0x7f800001
	s_xor_b64 s[4:5], exec, -1
; %bb.22923:
	s_or_b64 exec, exec, s[8:9]
	s_and_b64 s[4:5], s[4:5], exec
	s_or_saveexec_b64 s[6:7], s[6:7]
	v_mov_b32_e32 v12, s10
	s_xor_b64 exec, exec, s[6:7]
	s_cbranch_execnz .LBB1_22924
; %bb.58761:
	s_getpc_b64 s[14:15]
.Lpost_getpc15044:
	s_add_u32 s14, s14, (.LBB1_8586-.Lpost_getpc15044)&4294967295
	s_addc_u32 s15, s15, (.LBB1_8586-.Lpost_getpc15044)>>32
	s_setpc_b64 s[14:15]
.LBB1_22924:
	v_mov_b32_e32 v12, 0
	v_cmp_ne_u16_sdwa s[8:9], v13, v12 src0_sel:BYTE_0 src1_sel:DWORD
	s_andn2_b64 s[4:5], s[4:5], exec
	s_and_b64 s[8:9], s[8:9], exec
	s_or_b64 s[4:5], s[4:5], s[8:9]
	s_or_b64 exec, exec, s[6:7]
	s_and_saveexec_b64 s[6:7], s[4:5]
	s_cbranch_execz .LBB1_32965
; %bb.58763:
	s_getpc_b64 s[14:15]
.Lpost_getpc15045:
	s_add_u32 s14, s14, (.LBB1_8587-.Lpost_getpc15045)&4294967295
	s_addc_u32 s15, s15, (.LBB1_8587-.Lpost_getpc15045)>>32
	s_setpc_b64 s[14:15]
.LBB1_32965:
	s_getpc_b64 s[14:15]
.Lpost_getpc2146:
	s_add_u32 s14, s14, (.LBB1_8588-.Lpost_getpc2146)&4294967295
	s_addc_u32 s15, s15, (.LBB1_8588-.Lpost_getpc2146)>>32
	s_setpc_b64 s[14:15]
.LBB1_22925:
	s_movk_i32 s4, 0x80
	v_cmp_eq_u16_sdwa s[12:13], v13, s4 src0_sel:BYTE_0 src1_sel:DWORD
	s_mov_b64 s[4:5], -1
                                        ; implicit-def: $sgpr10
	s_and_saveexec_b64 s[8:9], s[12:13]
; %bb.22926:
	s_mov_b32 s10, 0x7f800001
	s_xor_b64 s[4:5], exec, -1
; %bb.22927:
	s_or_b64 exec, exec, s[8:9]
	s_and_b64 s[4:5], s[4:5], exec
	s_or_saveexec_b64 s[6:7], s[6:7]
	v_mov_b32_e32 v14, s10
	s_xor_b64 exec, exec, s[6:7]
	s_cbranch_execnz .LBB1_22928
; %bb.58765:
	s_getpc_b64 s[14:15]
.Lpost_getpc15046:
	s_add_u32 s14, s14, (.LBB1_8590-.Lpost_getpc15046)&4294967295
	s_addc_u32 s15, s15, (.LBB1_8590-.Lpost_getpc15046)>>32
	s_setpc_b64 s[14:15]
.LBB1_22928:
	v_mov_b32_e32 v14, 0
	v_cmp_ne_u16_sdwa s[8:9], v13, v14 src0_sel:BYTE_0 src1_sel:DWORD
	s_andn2_b64 s[4:5], s[4:5], exec
	s_and_b64 s[8:9], s[8:9], exec
	s_or_b64 s[4:5], s[4:5], s[8:9]
	s_or_b64 exec, exec, s[6:7]
	s_and_saveexec_b64 s[6:7], s[4:5]
	s_cbranch_execz .LBB1_32967
; %bb.58767:
	s_getpc_b64 s[14:15]
.Lpost_getpc15047:
	s_add_u32 s14, s14, (.LBB1_8591-.Lpost_getpc15047)&4294967295
	s_addc_u32 s15, s15, (.LBB1_8591-.Lpost_getpc15047)>>32
	s_setpc_b64 s[14:15]
.LBB1_32967:
	s_getpc_b64 s[14:15]
.Lpost_getpc2147:
	s_add_u32 s14, s14, (.LBB1_8592-.Lpost_getpc2147)&4294967295
	s_addc_u32 s15, s15, (.LBB1_8592-.Lpost_getpc2147)>>32
	s_setpc_b64 s[14:15]
.LBB1_22929:
	s_movk_i32 s4, 0x80
	v_cmp_eq_u16_e32 vcc, s4, v13
	s_mov_b64 s[4:5], -1
                                        ; implicit-def: $sgpr10
	s_and_saveexec_b64 s[8:9], vcc
; %bb.22930:
	s_mov_b32 s10, 0x7f800001
	s_xor_b64 s[4:5], exec, -1
; %bb.22931:
	s_or_b64 exec, exec, s[8:9]
	s_and_b64 s[4:5], s[4:5], exec
                                        ; implicit-def: $vgpr13
	s_or_saveexec_b64 s[6:7], s[6:7]
	v_mov_b32_e32 v12, s10
	s_xor_b64 exec, exec, s[6:7]
	s_cbranch_execnz .LBB1_22932
; %bb.58769:
	s_getpc_b64 s[14:15]
.Lpost_getpc15048:
	s_add_u32 s14, s14, (.LBB1_8594-.Lpost_getpc15048)&4294967295
	s_addc_u32 s15, s15, (.LBB1_8594-.Lpost_getpc15048)>>32
	s_setpc_b64 s[14:15]
.LBB1_22932:
	v_cmp_ne_u16_e32 vcc, 0, v13
	s_andn2_b64 s[4:5], s[4:5], exec
	s_and_b64 s[8:9], vcc, exec
	v_mov_b32_e32 v12, 0
	s_or_b64 s[4:5], s[4:5], s[8:9]
	s_or_b64 exec, exec, s[6:7]
	s_and_saveexec_b64 s[6:7], s[4:5]
	s_cbranch_execz .LBB1_32969
; %bb.58771:
	s_getpc_b64 s[14:15]
.Lpost_getpc15049:
	s_add_u32 s14, s14, (.LBB1_8595-.Lpost_getpc15049)&4294967295
	s_addc_u32 s15, s15, (.LBB1_8595-.Lpost_getpc15049)>>32
	s_setpc_b64 s[14:15]
.LBB1_32969:
	s_getpc_b64 s[14:15]
.Lpost_getpc2148:
	s_add_u32 s14, s14, (.LBB1_8596-.Lpost_getpc2148)&4294967295
	s_addc_u32 s15, s15, (.LBB1_8596-.Lpost_getpc2148)>>32
	s_setpc_b64 s[14:15]
.LBB1_22933:
	s_movk_i32 s4, 0x80
	v_cmp_eq_u16_e32 vcc, s4, v13
	s_mov_b64 s[4:5], -1
                                        ; implicit-def: $sgpr10
	s_and_saveexec_b64 s[8:9], vcc
; %bb.22934:
	s_mov_b32 s10, 0x7f800001
	s_xor_b64 s[4:5], exec, -1
; %bb.22935:
	s_or_b64 exec, exec, s[8:9]
	s_and_b64 s[4:5], s[4:5], exec
                                        ; implicit-def: $vgpr13
	s_or_saveexec_b64 s[6:7], s[6:7]
	v_mov_b32_e32 v14, s10
	s_xor_b64 exec, exec, s[6:7]
	s_cbranch_execnz .LBB1_22936
; %bb.58773:
	s_getpc_b64 s[14:15]
.Lpost_getpc15050:
	s_add_u32 s14, s14, (.LBB1_8598-.Lpost_getpc15050)&4294967295
	s_addc_u32 s15, s15, (.LBB1_8598-.Lpost_getpc15050)>>32
	s_setpc_b64 s[14:15]
.LBB1_22936:
	v_cmp_ne_u16_e32 vcc, 0, v13
	s_andn2_b64 s[4:5], s[4:5], exec
	s_and_b64 s[8:9], vcc, exec
	v_mov_b32_e32 v14, 0
	s_or_b64 s[4:5], s[4:5], s[8:9]
	s_or_b64 exec, exec, s[6:7]
	s_and_saveexec_b64 s[6:7], s[4:5]
	s_cbranch_execz .LBB1_32971
; %bb.58775:
	s_getpc_b64 s[14:15]
.Lpost_getpc15051:
	s_add_u32 s14, s14, (.LBB1_8599-.Lpost_getpc15051)&4294967295
	s_addc_u32 s15, s15, (.LBB1_8599-.Lpost_getpc15051)>>32
	s_setpc_b64 s[14:15]
.LBB1_32971:
	s_getpc_b64 s[14:15]
.Lpost_getpc2149:
	s_add_u32 s14, s14, (.LBB1_8600-.Lpost_getpc2149)&4294967295
	s_addc_u32 s15, s15, (.LBB1_8600-.Lpost_getpc2149)>>32
	s_setpc_b64 s[14:15]
.LBB1_22937:
	s_movk_i32 s4, 0x80
	v_cmp_eq_u16_sdwa s[12:13], v6, s4 src0_sel:BYTE_3 src1_sel:DWORD
	s_mov_b64 s[4:5], -1
                                        ; implicit-def: $sgpr10
	s_and_saveexec_b64 s[8:9], s[12:13]
; %bb.22938:
	s_mov_b32 s10, 0x7f800001
	s_xor_b64 s[4:5], exec, -1
; %bb.22939:
	s_or_b64 exec, exec, s[8:9]
	s_and_b64 s[4:5], s[4:5], exec
	s_or_saveexec_b64 s[6:7], s[6:7]
	v_mov_b32_e32 v12, s10
	s_xor_b64 exec, exec, s[6:7]
	s_cbranch_execnz .LBB1_22940
; %bb.58777:
	s_getpc_b64 s[14:15]
.Lpost_getpc15052:
	s_add_u32 s14, s14, (.LBB1_8602-.Lpost_getpc15052)&4294967295
	s_addc_u32 s15, s15, (.LBB1_8602-.Lpost_getpc15052)>>32
	s_setpc_b64 s[14:15]
.LBB1_22940:
	v_mov_b32_e32 v12, 0
	v_cmp_ne_u16_sdwa s[8:9], v6, v12 src0_sel:BYTE_3 src1_sel:DWORD
	s_andn2_b64 s[4:5], s[4:5], exec
	s_and_b64 s[8:9], s[8:9], exec
	s_or_b64 s[4:5], s[4:5], s[8:9]
	s_or_b64 exec, exec, s[6:7]
	s_and_saveexec_b64 s[6:7], s[4:5]
	s_cbranch_execz .LBB1_32973
; %bb.58779:
	s_getpc_b64 s[14:15]
.Lpost_getpc15053:
	s_add_u32 s14, s14, (.LBB1_8603-.Lpost_getpc15053)&4294967295
	s_addc_u32 s15, s15, (.LBB1_8603-.Lpost_getpc15053)>>32
	s_setpc_b64 s[14:15]
.LBB1_32973:
	s_getpc_b64 s[14:15]
.Lpost_getpc2150:
	s_add_u32 s14, s14, (.LBB1_8604-.Lpost_getpc2150)&4294967295
	s_addc_u32 s15, s15, (.LBB1_8604-.Lpost_getpc2150)>>32
	s_setpc_b64 s[14:15]
.LBB1_22941:
	s_movk_i32 s4, 0x80
	v_cmp_eq_u16_sdwa s[12:13], v2, s4 src0_sel:BYTE_3 src1_sel:DWORD
	s_mov_b64 s[4:5], -1
                                        ; implicit-def: $sgpr10
	s_and_saveexec_b64 s[8:9], s[12:13]
; %bb.22942:
	s_mov_b32 s10, 0x7f800001
	s_xor_b64 s[4:5], exec, -1
; %bb.22943:
	s_or_b64 exec, exec, s[8:9]
	s_and_b64 s[4:5], s[4:5], exec
	s_or_saveexec_b64 s[6:7], s[6:7]
	v_mov_b32_e32 v6, s10
	s_xor_b64 exec, exec, s[6:7]
	s_cbranch_execnz .LBB1_22944
; %bb.58781:
	s_getpc_b64 s[14:15]
.Lpost_getpc15054:
	s_add_u32 s14, s14, (.LBB1_8606-.Lpost_getpc15054)&4294967295
	s_addc_u32 s15, s15, (.LBB1_8606-.Lpost_getpc15054)>>32
	s_setpc_b64 s[14:15]
.LBB1_22944:
	v_mov_b32_e32 v6, 0
	v_cmp_ne_u16_sdwa s[8:9], v2, v6 src0_sel:BYTE_3 src1_sel:DWORD
	s_andn2_b64 s[4:5], s[4:5], exec
	s_and_b64 s[8:9], s[8:9], exec
	s_or_b64 s[4:5], s[4:5], s[8:9]
	s_or_b64 exec, exec, s[6:7]
	s_and_saveexec_b64 s[6:7], s[4:5]
	s_cbranch_execz .LBB1_32975
; %bb.58783:
	s_getpc_b64 s[14:15]
.Lpost_getpc15055:
	s_add_u32 s14, s14, (.LBB1_8607-.Lpost_getpc15055)&4294967295
	s_addc_u32 s15, s15, (.LBB1_8607-.Lpost_getpc15055)>>32
	s_setpc_b64 s[14:15]
.LBB1_32975:
	s_getpc_b64 s[14:15]
.Lpost_getpc2151:
	s_add_u32 s14, s14, (.LBB1_8608-.Lpost_getpc2151)&4294967295
	s_addc_u32 s15, s15, (.LBB1_8608-.Lpost_getpc2151)>>32
	s_setpc_b64 s[14:15]
.LBB1_22945:
	s_movk_i32 s4, 0x80
	v_cmp_eq_u16_sdwa s[12:13], v7, s4 src0_sel:BYTE_0 src1_sel:DWORD
	s_mov_b64 s[4:5], -1
                                        ; implicit-def: $sgpr10
	s_and_saveexec_b64 s[8:9], s[12:13]
; %bb.22946:
	s_mov_b32 s10, 0x7f800001
	s_xor_b64 s[4:5], exec, -1
; %bb.22947:
	s_or_b64 exec, exec, s[8:9]
	s_and_b64 s[4:5], s[4:5], exec
	s_or_saveexec_b64 s[6:7], s[6:7]
	v_mov_b32_e32 v2, s10
	s_xor_b64 exec, exec, s[6:7]
	s_cbranch_execnz .LBB1_22948
; %bb.58785:
	s_getpc_b64 s[14:15]
.Lpost_getpc15056:
	s_add_u32 s14, s14, (.LBB1_8610-.Lpost_getpc15056)&4294967295
	s_addc_u32 s15, s15, (.LBB1_8610-.Lpost_getpc15056)>>32
	s_setpc_b64 s[14:15]
.LBB1_22948:
	v_mov_b32_e32 v2, 0
	v_cmp_ne_u16_sdwa s[8:9], v7, v2 src0_sel:BYTE_0 src1_sel:DWORD
	s_andn2_b64 s[4:5], s[4:5], exec
	s_and_b64 s[8:9], s[8:9], exec
	s_or_b64 s[4:5], s[4:5], s[8:9]
	s_or_b64 exec, exec, s[6:7]
	s_and_saveexec_b64 s[6:7], s[4:5]
	s_cbranch_execz .LBB1_32977
; %bb.58787:
	s_getpc_b64 s[14:15]
.Lpost_getpc15057:
	s_add_u32 s14, s14, (.LBB1_8611-.Lpost_getpc15057)&4294967295
	s_addc_u32 s15, s15, (.LBB1_8611-.Lpost_getpc15057)>>32
	s_setpc_b64 s[14:15]
.LBB1_32977:
	s_getpc_b64 s[14:15]
.Lpost_getpc2152:
	s_add_u32 s14, s14, (.LBB1_8612-.Lpost_getpc2152)&4294967295
	s_addc_u32 s15, s15, (.LBB1_8612-.Lpost_getpc2152)>>32
	s_setpc_b64 s[14:15]
.LBB1_22949:
	s_movk_i32 s4, 0x80
	v_cmp_eq_u16_sdwa s[12:13], v3, s4 src0_sel:BYTE_0 src1_sel:DWORD
	s_mov_b64 s[4:5], -1
                                        ; implicit-def: $sgpr10
	s_and_saveexec_b64 s[8:9], s[12:13]
; %bb.22950:
	s_mov_b32 s10, 0x7f800001
	s_xor_b64 s[4:5], exec, -1
; %bb.22951:
	s_or_b64 exec, exec, s[8:9]
	s_and_b64 s[4:5], s[4:5], exec
	s_or_saveexec_b64 s[6:7], s[6:7]
	v_mov_b32_e32 v6, s10
	s_xor_b64 exec, exec, s[6:7]
	s_cbranch_execnz .LBB1_22952
; %bb.58789:
	s_getpc_b64 s[14:15]
.Lpost_getpc15058:
	s_add_u32 s14, s14, (.LBB1_8614-.Lpost_getpc15058)&4294967295
	s_addc_u32 s15, s15, (.LBB1_8614-.Lpost_getpc15058)>>32
	s_setpc_b64 s[14:15]
.LBB1_22952:
	v_mov_b32_e32 v6, 0
	v_cmp_ne_u16_sdwa s[8:9], v3, v6 src0_sel:BYTE_0 src1_sel:DWORD
	s_andn2_b64 s[4:5], s[4:5], exec
	s_and_b64 s[8:9], s[8:9], exec
	s_or_b64 s[4:5], s[4:5], s[8:9]
	s_or_b64 exec, exec, s[6:7]
	s_and_saveexec_b64 s[6:7], s[4:5]
	s_cbranch_execz .LBB1_32979
; %bb.58791:
	s_getpc_b64 s[14:15]
.Lpost_getpc15059:
	s_add_u32 s14, s14, (.LBB1_8615-.Lpost_getpc15059)&4294967295
	s_addc_u32 s15, s15, (.LBB1_8615-.Lpost_getpc15059)>>32
	s_setpc_b64 s[14:15]
.LBB1_32979:
	s_getpc_b64 s[14:15]
.Lpost_getpc2153:
	s_add_u32 s14, s14, (.LBB1_8616-.Lpost_getpc2153)&4294967295
	s_addc_u32 s15, s15, (.LBB1_8616-.Lpost_getpc2153)>>32
	s_setpc_b64 s[14:15]
.LBB1_22953:
	s_movk_i32 s4, 0x80
	v_cmp_eq_u16_sdwa s[12:13], v6, s4 src0_sel:BYTE_0 src1_sel:DWORD
	s_mov_b64 s[4:5], -1
                                        ; implicit-def: $sgpr10
	s_and_saveexec_b64 s[8:9], s[12:13]
; %bb.22954:
	s_mov_b32 s10, 0x7f800001
	s_xor_b64 s[4:5], exec, -1
; %bb.22955:
	s_or_b64 exec, exec, s[8:9]
	s_and_b64 s[4:5], s[4:5], exec
	s_or_saveexec_b64 s[6:7], s[6:7]
	v_mov_b32_e32 v2, s10
	s_xor_b64 exec, exec, s[6:7]
	s_cbranch_execnz .LBB1_22956
; %bb.58793:
	s_getpc_b64 s[14:15]
.Lpost_getpc15060:
	s_add_u32 s14, s14, (.LBB1_8618-.Lpost_getpc15060)&4294967295
	s_addc_u32 s15, s15, (.LBB1_8618-.Lpost_getpc15060)>>32
	s_setpc_b64 s[14:15]
.LBB1_22956:
	v_mov_b32_e32 v2, 0
	v_cmp_ne_u16_sdwa s[8:9], v6, v2 src0_sel:BYTE_0 src1_sel:DWORD
	s_andn2_b64 s[4:5], s[4:5], exec
	s_and_b64 s[8:9], s[8:9], exec
	s_or_b64 s[4:5], s[4:5], s[8:9]
	s_or_b64 exec, exec, s[6:7]
	s_and_saveexec_b64 s[6:7], s[4:5]
	s_cbranch_execz .LBB1_32981
; %bb.58795:
	s_getpc_b64 s[14:15]
.Lpost_getpc15061:
	s_add_u32 s14, s14, (.LBB1_8619-.Lpost_getpc15061)&4294967295
	s_addc_u32 s15, s15, (.LBB1_8619-.Lpost_getpc15061)>>32
	s_setpc_b64 s[14:15]
.LBB1_32981:
	s_getpc_b64 s[14:15]
.Lpost_getpc2154:
	s_add_u32 s14, s14, (.LBB1_8620-.Lpost_getpc2154)&4294967295
	s_addc_u32 s15, s15, (.LBB1_8620-.Lpost_getpc2154)>>32
	s_setpc_b64 s[14:15]
.LBB1_22957:
	s_movk_i32 s4, 0x80
	v_cmp_eq_u16_sdwa s[12:13], v6, s4 src0_sel:BYTE_0 src1_sel:DWORD
	s_mov_b64 s[4:5], -1
                                        ; implicit-def: $sgpr10
	s_and_saveexec_b64 s[8:9], s[12:13]
; %bb.22958:
	s_mov_b32 s10, 0x7f800001
	s_xor_b64 s[4:5], exec, -1
; %bb.22959:
	s_or_b64 exec, exec, s[8:9]
	s_and_b64 s[4:5], s[4:5], exec
	s_or_saveexec_b64 s[6:7], s[6:7]
	v_mov_b32_e32 v12, s10
	s_xor_b64 exec, exec, s[6:7]
	s_cbranch_execnz .LBB1_22960
; %bb.58797:
	s_getpc_b64 s[14:15]
.Lpost_getpc15062:
	s_add_u32 s14, s14, (.LBB1_8622-.Lpost_getpc15062)&4294967295
	s_addc_u32 s15, s15, (.LBB1_8622-.Lpost_getpc15062)>>32
	s_setpc_b64 s[14:15]
.LBB1_22960:
	v_mov_b32_e32 v12, 0
	v_cmp_ne_u16_sdwa s[8:9], v6, v12 src0_sel:BYTE_0 src1_sel:DWORD
	s_andn2_b64 s[4:5], s[4:5], exec
	s_and_b64 s[8:9], s[8:9], exec
	s_or_b64 s[4:5], s[4:5], s[8:9]
	s_or_b64 exec, exec, s[6:7]
	s_and_saveexec_b64 s[6:7], s[4:5]
	s_cbranch_execz .LBB1_32983
; %bb.58799:
	s_getpc_b64 s[14:15]
.Lpost_getpc15063:
	s_add_u32 s14, s14, (.LBB1_8623-.Lpost_getpc15063)&4294967295
	s_addc_u32 s15, s15, (.LBB1_8623-.Lpost_getpc15063)>>32
	s_setpc_b64 s[14:15]
.LBB1_32983:
	s_getpc_b64 s[14:15]
.Lpost_getpc2155:
	s_add_u32 s14, s14, (.LBB1_8624-.Lpost_getpc2155)&4294967295
	s_addc_u32 s15, s15, (.LBB1_8624-.Lpost_getpc2155)>>32
	s_setpc_b64 s[14:15]
.LBB1_22961:
	s_movk_i32 s4, 0x80
	v_cmp_eq_u16_e32 vcc, s4, v6
	s_mov_b64 s[4:5], -1
                                        ; implicit-def: $sgpr10
	s_and_saveexec_b64 s[8:9], vcc
; %bb.22962:
	s_mov_b32 s10, 0x7f800001
	s_xor_b64 s[4:5], exec, -1
; %bb.22963:
	s_or_b64 exec, exec, s[8:9]
	s_and_b64 s[4:5], s[4:5], exec
                                        ; implicit-def: $vgpr6
	s_or_saveexec_b64 s[6:7], s[6:7]
	v_mov_b32_e32 v2, s10
	s_xor_b64 exec, exec, s[6:7]
	s_cbranch_execnz .LBB1_22964
; %bb.58801:
	s_getpc_b64 s[14:15]
.Lpost_getpc15064:
	s_add_u32 s14, s14, (.LBB1_8626-.Lpost_getpc15064)&4294967295
	s_addc_u32 s15, s15, (.LBB1_8626-.Lpost_getpc15064)>>32
	s_setpc_b64 s[14:15]
.LBB1_22964:
	v_cmp_ne_u16_e32 vcc, 0, v6
	s_andn2_b64 s[4:5], s[4:5], exec
	s_and_b64 s[8:9], vcc, exec
	v_mov_b32_e32 v2, 0
	s_or_b64 s[4:5], s[4:5], s[8:9]
	s_or_b64 exec, exec, s[6:7]
	s_and_saveexec_b64 s[6:7], s[4:5]
	s_cbranch_execz .LBB1_32985
; %bb.58803:
	s_getpc_b64 s[14:15]
.Lpost_getpc15065:
	s_add_u32 s14, s14, (.LBB1_8627-.Lpost_getpc15065)&4294967295
	s_addc_u32 s15, s15, (.LBB1_8627-.Lpost_getpc15065)>>32
	s_setpc_b64 s[14:15]
.LBB1_32985:
	s_getpc_b64 s[14:15]
.Lpost_getpc2156:
	s_add_u32 s14, s14, (.LBB1_8628-.Lpost_getpc2156)&4294967295
	s_addc_u32 s15, s15, (.LBB1_8628-.Lpost_getpc2156)>>32
	s_setpc_b64 s[14:15]
.LBB1_22965:
	s_movk_i32 s4, 0x80
	v_cmp_eq_u16_e32 vcc, s4, v6
	s_mov_b64 s[4:5], -1
                                        ; implicit-def: $sgpr10
	s_and_saveexec_b64 s[8:9], vcc
; %bb.22966:
	s_mov_b32 s10, 0x7f800001
	s_xor_b64 s[4:5], exec, -1
; %bb.22967:
	s_or_b64 exec, exec, s[8:9]
	s_and_b64 s[4:5], s[4:5], exec
                                        ; implicit-def: $vgpr6
	s_or_saveexec_b64 s[6:7], s[6:7]
	v_mov_b32_e32 v12, s10
	s_xor_b64 exec, exec, s[6:7]
	s_cbranch_execnz .LBB1_22968
; %bb.58805:
	s_getpc_b64 s[14:15]
.Lpost_getpc15066:
	s_add_u32 s14, s14, (.LBB1_8630-.Lpost_getpc15066)&4294967295
	s_addc_u32 s15, s15, (.LBB1_8630-.Lpost_getpc15066)>>32
	s_setpc_b64 s[14:15]
.LBB1_22968:
	v_cmp_ne_u16_e32 vcc, 0, v6
	s_andn2_b64 s[4:5], s[4:5], exec
	s_and_b64 s[8:9], vcc, exec
	v_mov_b32_e32 v12, 0
	s_or_b64 s[4:5], s[4:5], s[8:9]
	s_or_b64 exec, exec, s[6:7]
	s_and_saveexec_b64 s[6:7], s[4:5]
	s_cbranch_execz .LBB1_32987
; %bb.58807:
	s_getpc_b64 s[14:15]
.Lpost_getpc15067:
	s_add_u32 s14, s14, (.LBB1_8631-.Lpost_getpc15067)&4294967295
	s_addc_u32 s15, s15, (.LBB1_8631-.Lpost_getpc15067)>>32
	s_setpc_b64 s[14:15]
.LBB1_32987:
	s_getpc_b64 s[14:15]
.Lpost_getpc2157:
	s_add_u32 s14, s14, (.LBB1_8632-.Lpost_getpc2157)&4294967295
	s_addc_u32 s15, s15, (.LBB1_8632-.Lpost_getpc2157)>>32
	s_setpc_b64 s[14:15]
.LBB1_22969:
	s_movk_i32 s4, 0x80
	v_cmp_eq_u16_sdwa s[12:13], v7, s4 src0_sel:BYTE_3 src1_sel:DWORD
	s_mov_b64 s[4:5], -1
                                        ; implicit-def: $sgpr10
	s_and_saveexec_b64 s[8:9], s[12:13]
; %bb.22970:
	s_mov_b32 s10, 0x7f800001
	s_xor_b64 s[4:5], exec, -1
; %bb.22971:
	s_or_b64 exec, exec, s[8:9]
	s_and_b64 s[4:5], s[4:5], exec
	s_or_saveexec_b64 s[6:7], s[6:7]
	v_mov_b32_e32 v2, s10
	s_xor_b64 exec, exec, s[6:7]
	s_cbranch_execnz .LBB1_22972
; %bb.58809:
	s_getpc_b64 s[14:15]
.Lpost_getpc15068:
	s_add_u32 s14, s14, (.LBB1_8634-.Lpost_getpc15068)&4294967295
	s_addc_u32 s15, s15, (.LBB1_8634-.Lpost_getpc15068)>>32
	s_setpc_b64 s[14:15]
.LBB1_22972:
	v_mov_b32_e32 v2, 0
	v_cmp_ne_u16_sdwa s[8:9], v7, v2 src0_sel:BYTE_3 src1_sel:DWORD
	s_andn2_b64 s[4:5], s[4:5], exec
	s_and_b64 s[8:9], s[8:9], exec
	s_or_b64 s[4:5], s[4:5], s[8:9]
	s_or_b64 exec, exec, s[6:7]
	s_and_saveexec_b64 s[6:7], s[4:5]
	s_cbranch_execz .LBB1_32989
; %bb.58811:
	s_getpc_b64 s[14:15]
.Lpost_getpc15069:
	s_add_u32 s14, s14, (.LBB1_8635-.Lpost_getpc15069)&4294967295
	s_addc_u32 s15, s15, (.LBB1_8635-.Lpost_getpc15069)>>32
	s_setpc_b64 s[14:15]
.LBB1_32989:
	s_getpc_b64 s[14:15]
.Lpost_getpc2158:
	s_add_u32 s14, s14, (.LBB1_8636-.Lpost_getpc2158)&4294967295
	s_addc_u32 s15, s15, (.LBB1_8636-.Lpost_getpc2158)>>32
	s_setpc_b64 s[14:15]
.LBB1_22973:
	s_movk_i32 s4, 0x80
	v_cmp_eq_u16_sdwa s[12:13], v3, s4 src0_sel:BYTE_3 src1_sel:DWORD
	s_mov_b64 s[4:5], -1
                                        ; implicit-def: $sgpr10
	s_and_saveexec_b64 s[8:9], s[12:13]
; %bb.22974:
	s_mov_b32 s10, 0x7f800001
	s_xor_b64 s[4:5], exec, -1
; %bb.22975:
	s_or_b64 exec, exec, s[8:9]
	s_and_b64 s[4:5], s[4:5], exec
	s_or_saveexec_b64 s[6:7], s[6:7]
	v_mov_b32_e32 v6, s10
	s_xor_b64 exec, exec, s[6:7]
	s_cbranch_execnz .LBB1_22976
; %bb.58813:
	s_getpc_b64 s[14:15]
.Lpost_getpc15070:
	s_add_u32 s14, s14, (.LBB1_8638-.Lpost_getpc15070)&4294967295
	s_addc_u32 s15, s15, (.LBB1_8638-.Lpost_getpc15070)>>32
	s_setpc_b64 s[14:15]
.LBB1_22976:
	v_mov_b32_e32 v6, 0
	v_cmp_ne_u16_sdwa s[8:9], v3, v6 src0_sel:BYTE_3 src1_sel:DWORD
	s_andn2_b64 s[4:5], s[4:5], exec
	s_and_b64 s[8:9], s[8:9], exec
	s_or_b64 s[4:5], s[4:5], s[8:9]
	s_or_b64 exec, exec, s[6:7]
	s_and_saveexec_b64 s[6:7], s[4:5]
	s_cbranch_execz .LBB1_32991
; %bb.58815:
	s_getpc_b64 s[14:15]
.Lpost_getpc15071:
	s_add_u32 s14, s14, (.LBB1_8639-.Lpost_getpc15071)&4294967295
	s_addc_u32 s15, s15, (.LBB1_8639-.Lpost_getpc15071)>>32
	s_setpc_b64 s[14:15]
.LBB1_32991:
	s_getpc_b64 s[14:15]
.Lpost_getpc2159:
	s_add_u32 s14, s14, (.LBB1_8640-.Lpost_getpc2159)&4294967295
	s_addc_u32 s15, s15, (.LBB1_8640-.Lpost_getpc2159)>>32
	s_setpc_b64 s[14:15]
.LBB1_22977:
	s_movk_i32 s4, 0x80
	v_cmp_eq_u16_sdwa s[12:13], v8, s4 src0_sel:BYTE_0 src1_sel:DWORD
	s_mov_b64 s[4:5], -1
                                        ; implicit-def: $sgpr10
	s_and_saveexec_b64 s[8:9], s[12:13]
; %bb.22978:
	s_mov_b32 s10, 0x7f800001
	s_xor_b64 s[4:5], exec, -1
; %bb.22979:
	s_or_b64 exec, exec, s[8:9]
	s_and_b64 s[4:5], s[4:5], exec
	s_or_saveexec_b64 s[6:7], s[6:7]
	v_mov_b32_e32 v2, s10
	s_xor_b64 exec, exec, s[6:7]
	s_cbranch_execnz .LBB1_22980
; %bb.58817:
	s_getpc_b64 s[14:15]
.Lpost_getpc15072:
	s_add_u32 s14, s14, (.LBB1_8642-.Lpost_getpc15072)&4294967295
	s_addc_u32 s15, s15, (.LBB1_8642-.Lpost_getpc15072)>>32
	s_setpc_b64 s[14:15]
.LBB1_22980:
	v_mov_b32_e32 v2, 0
	v_cmp_ne_u16_sdwa s[8:9], v8, v2 src0_sel:BYTE_0 src1_sel:DWORD
	s_andn2_b64 s[4:5], s[4:5], exec
	s_and_b64 s[8:9], s[8:9], exec
	s_or_b64 s[4:5], s[4:5], s[8:9]
	s_or_b64 exec, exec, s[6:7]
	s_and_saveexec_b64 s[6:7], s[4:5]
	s_cbranch_execz .LBB1_32993
; %bb.58819:
	s_getpc_b64 s[14:15]
.Lpost_getpc15073:
	s_add_u32 s14, s14, (.LBB1_8643-.Lpost_getpc15073)&4294967295
	s_addc_u32 s15, s15, (.LBB1_8643-.Lpost_getpc15073)>>32
	s_setpc_b64 s[14:15]
.LBB1_32993:
	s_getpc_b64 s[14:15]
.Lpost_getpc2160:
	s_add_u32 s14, s14, (.LBB1_8644-.Lpost_getpc2160)&4294967295
	s_addc_u32 s15, s15, (.LBB1_8644-.Lpost_getpc2160)>>32
	s_setpc_b64 s[14:15]
.LBB1_22981:
	s_movk_i32 s4, 0x80
	v_cmp_eq_u16_sdwa s[12:13], v4, s4 src0_sel:BYTE_0 src1_sel:DWORD
	s_mov_b64 s[4:5], -1
                                        ; implicit-def: $sgpr10
	s_and_saveexec_b64 s[8:9], s[12:13]
; %bb.22982:
	s_mov_b32 s10, 0x7f800001
	s_xor_b64 s[4:5], exec, -1
; %bb.22983:
	s_or_b64 exec, exec, s[8:9]
	s_and_b64 s[4:5], s[4:5], exec
	s_or_saveexec_b64 s[6:7], s[6:7]
	v_mov_b32_e32 v3, s10
	s_xor_b64 exec, exec, s[6:7]
	s_cbranch_execnz .LBB1_22984
; %bb.58821:
	s_getpc_b64 s[14:15]
.Lpost_getpc15074:
	s_add_u32 s14, s14, (.LBB1_8646-.Lpost_getpc15074)&4294967295
	s_addc_u32 s15, s15, (.LBB1_8646-.Lpost_getpc15074)>>32
	s_setpc_b64 s[14:15]
.LBB1_22984:
	v_mov_b32_e32 v3, 0
	v_cmp_ne_u16_sdwa s[8:9], v4, v3 src0_sel:BYTE_0 src1_sel:DWORD
	s_andn2_b64 s[4:5], s[4:5], exec
	s_and_b64 s[8:9], s[8:9], exec
	s_or_b64 s[4:5], s[4:5], s[8:9]
	s_or_b64 exec, exec, s[6:7]
	s_and_saveexec_b64 s[6:7], s[4:5]
	s_cbranch_execz .LBB1_32995
; %bb.58823:
	s_getpc_b64 s[14:15]
.Lpost_getpc15075:
	s_add_u32 s14, s14, (.LBB1_8647-.Lpost_getpc15075)&4294967295
	s_addc_u32 s15, s15, (.LBB1_8647-.Lpost_getpc15075)>>32
	s_setpc_b64 s[14:15]
.LBB1_32995:
	s_getpc_b64 s[14:15]
.Lpost_getpc2161:
	s_add_u32 s14, s14, (.LBB1_8648-.Lpost_getpc2161)&4294967295
	s_addc_u32 s15, s15, (.LBB1_8648-.Lpost_getpc2161)>>32
	s_setpc_b64 s[14:15]
.LBB1_22985:
	s_movk_i32 s4, 0x80
	v_cmp_eq_u16_sdwa s[12:13], v3, s4 src0_sel:BYTE_0 src1_sel:DWORD
	s_mov_b64 s[4:5], -1
                                        ; implicit-def: $sgpr10
	s_and_saveexec_b64 s[8:9], s[12:13]
; %bb.22986:
	s_mov_b32 s10, 0x7f800001
	s_xor_b64 s[4:5], exec, -1
; %bb.22987:
	s_or_b64 exec, exec, s[8:9]
	s_and_b64 s[4:5], s[4:5], exec
	s_or_saveexec_b64 s[6:7], s[6:7]
	v_mov_b32_e32 v2, s10
	s_xor_b64 exec, exec, s[6:7]
	s_cbranch_execnz .LBB1_22988
; %bb.58825:
	s_getpc_b64 s[14:15]
.Lpost_getpc15076:
	s_add_u32 s14, s14, (.LBB1_8650-.Lpost_getpc15076)&4294967295
	s_addc_u32 s15, s15, (.LBB1_8650-.Lpost_getpc15076)>>32
	s_setpc_b64 s[14:15]
.LBB1_22988:
	v_mov_b32_e32 v2, 0
	v_cmp_ne_u16_sdwa s[8:9], v3, v2 src0_sel:BYTE_0 src1_sel:DWORD
	s_andn2_b64 s[4:5], s[4:5], exec
	s_and_b64 s[8:9], s[8:9], exec
	s_or_b64 s[4:5], s[4:5], s[8:9]
	s_or_b64 exec, exec, s[6:7]
	s_and_saveexec_b64 s[6:7], s[4:5]
	s_cbranch_execz .LBB1_32997
; %bb.58827:
	s_getpc_b64 s[14:15]
.Lpost_getpc15077:
	s_add_u32 s14, s14, (.LBB1_8651-.Lpost_getpc15077)&4294967295
	s_addc_u32 s15, s15, (.LBB1_8651-.Lpost_getpc15077)>>32
	s_setpc_b64 s[14:15]
.LBB1_32997:
	s_getpc_b64 s[14:15]
.Lpost_getpc2162:
	s_add_u32 s14, s14, (.LBB1_8652-.Lpost_getpc2162)&4294967295
	s_addc_u32 s15, s15, (.LBB1_8652-.Lpost_getpc2162)>>32
	s_setpc_b64 s[14:15]
.LBB1_22989:
	s_movk_i32 s4, 0x80
	v_cmp_eq_u16_sdwa s[12:13], v3, s4 src0_sel:BYTE_0 src1_sel:DWORD
	s_mov_b64 s[4:5], -1
                                        ; implicit-def: $sgpr10
	s_and_saveexec_b64 s[8:9], s[12:13]
; %bb.22990:
	s_mov_b32 s10, 0x7f800001
	s_xor_b64 s[4:5], exec, -1
; %bb.22991:
	s_or_b64 exec, exec, s[8:9]
	s_and_b64 s[4:5], s[4:5], exec
	s_or_saveexec_b64 s[6:7], s[6:7]
	v_mov_b32_e32 v6, s10
	s_xor_b64 exec, exec, s[6:7]
	s_cbranch_execnz .LBB1_22992
; %bb.58829:
	s_getpc_b64 s[14:15]
.Lpost_getpc15078:
	s_add_u32 s14, s14, (.LBB1_8654-.Lpost_getpc15078)&4294967295
	s_addc_u32 s15, s15, (.LBB1_8654-.Lpost_getpc15078)>>32
	s_setpc_b64 s[14:15]
.LBB1_22992:
	v_mov_b32_e32 v6, 0
	v_cmp_ne_u16_sdwa s[8:9], v3, v6 src0_sel:BYTE_0 src1_sel:DWORD
	s_andn2_b64 s[4:5], s[4:5], exec
	s_and_b64 s[8:9], s[8:9], exec
	s_or_b64 s[4:5], s[4:5], s[8:9]
	s_or_b64 exec, exec, s[6:7]
	s_and_saveexec_b64 s[6:7], s[4:5]
	s_cbranch_execz .LBB1_32999
; %bb.58831:
	s_getpc_b64 s[14:15]
.Lpost_getpc15079:
	s_add_u32 s14, s14, (.LBB1_8655-.Lpost_getpc15079)&4294967295
	s_addc_u32 s15, s15, (.LBB1_8655-.Lpost_getpc15079)>>32
	s_setpc_b64 s[14:15]
.LBB1_32999:
	s_getpc_b64 s[14:15]
.Lpost_getpc2163:
	s_add_u32 s14, s14, (.LBB1_8656-.Lpost_getpc2163)&4294967295
	s_addc_u32 s15, s15, (.LBB1_8656-.Lpost_getpc2163)>>32
	s_setpc_b64 s[14:15]
.LBB1_22993:
	s_movk_i32 s4, 0x80
	v_cmp_eq_u16_e32 vcc, s4, v3
	s_mov_b64 s[4:5], -1
                                        ; implicit-def: $sgpr10
	s_and_saveexec_b64 s[8:9], vcc
; %bb.22994:
	s_mov_b32 s10, 0x7f800001
	s_xor_b64 s[4:5], exec, -1
; %bb.22995:
	s_or_b64 exec, exec, s[8:9]
	s_and_b64 s[4:5], s[4:5], exec
                                        ; implicit-def: $vgpr3
	s_or_saveexec_b64 s[6:7], s[6:7]
	v_mov_b32_e32 v2, s10
	s_xor_b64 exec, exec, s[6:7]
	s_cbranch_execnz .LBB1_22996
; %bb.58833:
	s_getpc_b64 s[14:15]
.Lpost_getpc15080:
	s_add_u32 s14, s14, (.LBB1_8658-.Lpost_getpc15080)&4294967295
	s_addc_u32 s15, s15, (.LBB1_8658-.Lpost_getpc15080)>>32
	s_setpc_b64 s[14:15]
.LBB1_22996:
	v_cmp_ne_u16_e32 vcc, 0, v3
	s_andn2_b64 s[4:5], s[4:5], exec
	s_and_b64 s[8:9], vcc, exec
	v_mov_b32_e32 v2, 0
	s_or_b64 s[4:5], s[4:5], s[8:9]
	s_or_b64 exec, exec, s[6:7]
	s_and_saveexec_b64 s[6:7], s[4:5]
	s_cbranch_execz .LBB1_33001
; %bb.58835:
	s_getpc_b64 s[14:15]
.Lpost_getpc15081:
	s_add_u32 s14, s14, (.LBB1_8659-.Lpost_getpc15081)&4294967295
	s_addc_u32 s15, s15, (.LBB1_8659-.Lpost_getpc15081)>>32
	s_setpc_b64 s[14:15]
.LBB1_33001:
	s_getpc_b64 s[14:15]
.Lpost_getpc2164:
	s_add_u32 s14, s14, (.LBB1_8660-.Lpost_getpc2164)&4294967295
	s_addc_u32 s15, s15, (.LBB1_8660-.Lpost_getpc2164)>>32
	s_setpc_b64 s[14:15]
.LBB1_22997:
	s_movk_i32 s4, 0x80
	v_cmp_eq_u16_e32 vcc, s4, v3
	s_mov_b64 s[4:5], -1
                                        ; implicit-def: $sgpr10
	s_and_saveexec_b64 s[8:9], vcc
; %bb.22998:
	s_mov_b32 s10, 0x7f800001
	s_xor_b64 s[4:5], exec, -1
; %bb.22999:
	s_or_b64 exec, exec, s[8:9]
	s_and_b64 s[4:5], s[4:5], exec
                                        ; implicit-def: $vgpr3
	s_or_saveexec_b64 s[6:7], s[6:7]
	v_mov_b32_e32 v6, s10
	s_xor_b64 exec, exec, s[6:7]
	s_cbranch_execnz .LBB1_23000
; %bb.58837:
	s_getpc_b64 s[14:15]
.Lpost_getpc15082:
	s_add_u32 s14, s14, (.LBB1_8662-.Lpost_getpc15082)&4294967295
	s_addc_u32 s15, s15, (.LBB1_8662-.Lpost_getpc15082)>>32
	s_setpc_b64 s[14:15]
.LBB1_23000:
	v_cmp_ne_u16_e32 vcc, 0, v3
	s_andn2_b64 s[4:5], s[4:5], exec
	s_and_b64 s[8:9], vcc, exec
	v_mov_b32_e32 v6, 0
	s_or_b64 s[4:5], s[4:5], s[8:9]
	s_or_b64 exec, exec, s[6:7]
	s_and_saveexec_b64 s[6:7], s[4:5]
	s_cbranch_execz .LBB1_33003
; %bb.58839:
	s_getpc_b64 s[14:15]
.Lpost_getpc15083:
	s_add_u32 s14, s14, (.LBB1_8663-.Lpost_getpc15083)&4294967295
	s_addc_u32 s15, s15, (.LBB1_8663-.Lpost_getpc15083)>>32
	s_setpc_b64 s[14:15]
.LBB1_33003:
	s_getpc_b64 s[14:15]
.Lpost_getpc2165:
	s_add_u32 s14, s14, (.LBB1_8664-.Lpost_getpc2165)&4294967295
	s_addc_u32 s15, s15, (.LBB1_8664-.Lpost_getpc2165)>>32
	s_setpc_b64 s[14:15]
.LBB1_23001:
	s_movk_i32 s4, 0x80
	v_cmp_eq_u16_sdwa s[12:13], v8, s4 src0_sel:BYTE_3 src1_sel:DWORD
	s_mov_b64 s[4:5], -1
                                        ; implicit-def: $sgpr10
	s_and_saveexec_b64 s[8:9], s[12:13]
; %bb.23002:
	s_mov_b32 s10, 0x7f800001
	s_xor_b64 s[4:5], exec, -1
; %bb.23003:
	s_or_b64 exec, exec, s[8:9]
	s_and_b64 s[4:5], s[4:5], exec
	s_or_saveexec_b64 s[6:7], s[6:7]
	v_mov_b32_e32 v2, s10
	s_xor_b64 exec, exec, s[6:7]
	s_cbranch_execnz .LBB1_23004
; %bb.58841:
	s_getpc_b64 s[14:15]
.Lpost_getpc15084:
	s_add_u32 s14, s14, (.LBB1_8666-.Lpost_getpc15084)&4294967295
	s_addc_u32 s15, s15, (.LBB1_8666-.Lpost_getpc15084)>>32
	s_setpc_b64 s[14:15]
.LBB1_23004:
	v_mov_b32_e32 v2, 0
	v_cmp_ne_u16_sdwa s[8:9], v8, v2 src0_sel:BYTE_3 src1_sel:DWORD
	s_andn2_b64 s[4:5], s[4:5], exec
	s_and_b64 s[8:9], s[8:9], exec
	s_or_b64 s[4:5], s[4:5], s[8:9]
	s_or_b64 exec, exec, s[6:7]
	s_and_saveexec_b64 s[6:7], s[4:5]
	s_cbranch_execz .LBB1_33005
; %bb.58843:
	s_getpc_b64 s[14:15]
.Lpost_getpc15085:
	s_add_u32 s14, s14, (.LBB1_8667-.Lpost_getpc15085)&4294967295
	s_addc_u32 s15, s15, (.LBB1_8667-.Lpost_getpc15085)>>32
	s_setpc_b64 s[14:15]
.LBB1_33005:
	s_getpc_b64 s[14:15]
.Lpost_getpc2166:
	s_add_u32 s14, s14, (.LBB1_8668-.Lpost_getpc2166)&4294967295
	s_addc_u32 s15, s15, (.LBB1_8668-.Lpost_getpc2166)>>32
	s_setpc_b64 s[14:15]
.LBB1_23005:
	s_movk_i32 s4, 0x80
	v_cmp_eq_u16_sdwa s[12:13], v4, s4 src0_sel:BYTE_3 src1_sel:DWORD
	s_mov_b64 s[4:5], -1
                                        ; implicit-def: $sgpr10
	s_and_saveexec_b64 s[8:9], s[12:13]
; %bb.23006:
	s_mov_b32 s10, 0x7f800001
	s_xor_b64 s[4:5], exec, -1
; %bb.23007:
	s_or_b64 exec, exec, s[8:9]
	s_and_b64 s[4:5], s[4:5], exec
	s_or_saveexec_b64 s[6:7], s[6:7]
	v_mov_b32_e32 v3, s10
	s_xor_b64 exec, exec, s[6:7]
	s_cbranch_execnz .LBB1_23008
; %bb.58845:
	s_getpc_b64 s[14:15]
.Lpost_getpc15086:
	s_add_u32 s14, s14, (.LBB1_8670-.Lpost_getpc15086)&4294967295
	s_addc_u32 s15, s15, (.LBB1_8670-.Lpost_getpc15086)>>32
	s_setpc_b64 s[14:15]
.LBB1_23008:
	v_mov_b32_e32 v3, 0
	v_cmp_ne_u16_sdwa s[8:9], v4, v3 src0_sel:BYTE_3 src1_sel:DWORD
	s_andn2_b64 s[4:5], s[4:5], exec
	s_and_b64 s[8:9], s[8:9], exec
	s_or_b64 s[4:5], s[4:5], s[8:9]
	s_or_b64 exec, exec, s[6:7]
	s_and_saveexec_b64 s[6:7], s[4:5]
	s_cbranch_execz .LBB1_33007
; %bb.58847:
	s_getpc_b64 s[14:15]
.Lpost_getpc15087:
	s_add_u32 s14, s14, (.LBB1_8671-.Lpost_getpc15087)&4294967295
	s_addc_u32 s15, s15, (.LBB1_8671-.Lpost_getpc15087)>>32
	s_setpc_b64 s[14:15]
.LBB1_33007:
	s_getpc_b64 s[14:15]
.Lpost_getpc2167:
	s_add_u32 s14, s14, (.LBB1_8672-.Lpost_getpc2167)&4294967295
	s_addc_u32 s15, s15, (.LBB1_8672-.Lpost_getpc2167)>>32
	s_setpc_b64 s[14:15]
.LBB1_23009:
	s_movk_i32 s4, 0x80
	v_cmp_eq_u16_sdwa s[12:13], v9, s4 src0_sel:BYTE_0 src1_sel:DWORD
	s_mov_b64 s[4:5], -1
                                        ; implicit-def: $sgpr10
	s_and_saveexec_b64 s[8:9], s[12:13]
; %bb.23010:
	s_mov_b32 s10, 0x7f800001
	s_xor_b64 s[4:5], exec, -1
; %bb.23011:
	s_or_b64 exec, exec, s[8:9]
	s_and_b64 s[4:5], s[4:5], exec
	s_or_saveexec_b64 s[6:7], s[6:7]
	v_mov_b32_e32 v2, s10
	s_xor_b64 exec, exec, s[6:7]
	s_cbranch_execnz .LBB1_23012
; %bb.58849:
	s_getpc_b64 s[14:15]
.Lpost_getpc15088:
	s_add_u32 s14, s14, (.LBB1_8674-.Lpost_getpc15088)&4294967295
	s_addc_u32 s15, s15, (.LBB1_8674-.Lpost_getpc15088)>>32
	s_setpc_b64 s[14:15]
.LBB1_23012:
	v_mov_b32_e32 v2, 0
	v_cmp_ne_u16_sdwa s[8:9], v9, v2 src0_sel:BYTE_0 src1_sel:DWORD
	s_andn2_b64 s[4:5], s[4:5], exec
	s_and_b64 s[8:9], s[8:9], exec
	s_or_b64 s[4:5], s[4:5], s[8:9]
	s_or_b64 exec, exec, s[6:7]
	s_and_saveexec_b64 s[6:7], s[4:5]
	s_cbranch_execz .LBB1_33009
; %bb.58851:
	s_getpc_b64 s[14:15]
.Lpost_getpc15089:
	s_add_u32 s14, s14, (.LBB1_8675-.Lpost_getpc15089)&4294967295
	s_addc_u32 s15, s15, (.LBB1_8675-.Lpost_getpc15089)>>32
	s_setpc_b64 s[14:15]
.LBB1_33009:
	s_getpc_b64 s[14:15]
.Lpost_getpc2168:
	s_add_u32 s14, s14, (.LBB1_8676-.Lpost_getpc2168)&4294967295
	s_addc_u32 s15, s15, (.LBB1_8676-.Lpost_getpc2168)>>32
	s_setpc_b64 s[14:15]
.LBB1_23013:
	s_movk_i32 s4, 0x80
	v_cmp_eq_u16_sdwa s[12:13], v5, s4 src0_sel:BYTE_0 src1_sel:DWORD
	s_mov_b64 s[4:5], -1
                                        ; implicit-def: $sgpr10
	s_and_saveexec_b64 s[8:9], s[12:13]
; %bb.23014:
	s_mov_b32 s10, 0x7f800001
	s_xor_b64 s[4:5], exec, -1
; %bb.23015:
	s_or_b64 exec, exec, s[8:9]
	s_and_b64 s[4:5], s[4:5], exec
	s_or_saveexec_b64 s[6:7], s[6:7]
	v_mov_b32_e32 v3, s10
	s_xor_b64 exec, exec, s[6:7]
	s_cbranch_execnz .LBB1_23016
; %bb.58853:
	s_getpc_b64 s[14:15]
.Lpost_getpc15090:
	s_add_u32 s14, s14, (.LBB1_8678-.Lpost_getpc15090)&4294967295
	s_addc_u32 s15, s15, (.LBB1_8678-.Lpost_getpc15090)>>32
	s_setpc_b64 s[14:15]
.LBB1_23016:
	v_mov_b32_e32 v3, 0
	v_cmp_ne_u16_sdwa s[8:9], v5, v3 src0_sel:BYTE_0 src1_sel:DWORD
	s_andn2_b64 s[4:5], s[4:5], exec
	s_and_b64 s[8:9], s[8:9], exec
	s_or_b64 s[4:5], s[4:5], s[8:9]
	s_or_b64 exec, exec, s[6:7]
	s_and_saveexec_b64 s[6:7], s[4:5]
	s_cbranch_execz .LBB1_33011
; %bb.58855:
	s_getpc_b64 s[14:15]
.Lpost_getpc15091:
	s_add_u32 s14, s14, (.LBB1_8679-.Lpost_getpc15091)&4294967295
	s_addc_u32 s15, s15, (.LBB1_8679-.Lpost_getpc15091)>>32
	s_setpc_b64 s[14:15]
.LBB1_33011:
	s_getpc_b64 s[14:15]
.Lpost_getpc2169:
	s_add_u32 s14, s14, (.LBB1_8680-.Lpost_getpc2169)&4294967295
	s_addc_u32 s15, s15, (.LBB1_8680-.Lpost_getpc2169)>>32
	s_setpc_b64 s[14:15]
.LBB1_23017:
	s_movk_i32 s4, 0x80
	v_cmp_eq_u16_sdwa s[12:13], v3, s4 src0_sel:BYTE_0 src1_sel:DWORD
	s_mov_b64 s[4:5], -1
                                        ; implicit-def: $sgpr10
	s_and_saveexec_b64 s[8:9], s[12:13]
; %bb.23018:
	s_mov_b32 s10, 0x7f800001
	s_xor_b64 s[4:5], exec, -1
; %bb.23019:
	s_or_b64 exec, exec, s[8:9]
	s_and_b64 s[4:5], s[4:5], exec
	s_or_saveexec_b64 s[6:7], s[6:7]
	v_mov_b32_e32 v2, s10
	s_xor_b64 exec, exec, s[6:7]
	s_cbranch_execnz .LBB1_23020
; %bb.58857:
	s_getpc_b64 s[14:15]
.Lpost_getpc15092:
	s_add_u32 s14, s14, (.LBB1_8682-.Lpost_getpc15092)&4294967295
	s_addc_u32 s15, s15, (.LBB1_8682-.Lpost_getpc15092)>>32
	s_setpc_b64 s[14:15]
.LBB1_23020:
	v_mov_b32_e32 v2, 0
	v_cmp_ne_u16_sdwa s[8:9], v3, v2 src0_sel:BYTE_0 src1_sel:DWORD
	s_andn2_b64 s[4:5], s[4:5], exec
	s_and_b64 s[8:9], s[8:9], exec
	s_or_b64 s[4:5], s[4:5], s[8:9]
	s_or_b64 exec, exec, s[6:7]
	s_and_saveexec_b64 s[6:7], s[4:5]
	s_cbranch_execz .LBB1_33013
; %bb.58859:
	s_getpc_b64 s[14:15]
.Lpost_getpc15093:
	s_add_u32 s14, s14, (.LBB1_8683-.Lpost_getpc15093)&4294967295
	s_addc_u32 s15, s15, (.LBB1_8683-.Lpost_getpc15093)>>32
	s_setpc_b64 s[14:15]
.LBB1_33013:
	s_getpc_b64 s[14:15]
.Lpost_getpc2170:
	s_add_u32 s14, s14, (.LBB1_8684-.Lpost_getpc2170)&4294967295
	s_addc_u32 s15, s15, (.LBB1_8684-.Lpost_getpc2170)>>32
	s_setpc_b64 s[14:15]
.LBB1_23021:
	s_movk_i32 s4, 0x80
	v_cmp_eq_u16_sdwa s[12:13], v3, s4 src0_sel:BYTE_0 src1_sel:DWORD
	s_mov_b64 s[4:5], -1
                                        ; implicit-def: $sgpr10
	s_and_saveexec_b64 s[8:9], s[12:13]
; %bb.23022:
	s_mov_b32 s10, 0x7f800001
	s_xor_b64 s[4:5], exec, -1
; %bb.23023:
	s_or_b64 exec, exec, s[8:9]
	s_and_b64 s[4:5], s[4:5], exec
	s_or_saveexec_b64 s[6:7], s[6:7]
	v_mov_b32_e32 v4, s10
	s_xor_b64 exec, exec, s[6:7]
	s_cbranch_execnz .LBB1_23024
; %bb.58861:
	s_getpc_b64 s[14:15]
.Lpost_getpc15094:
	s_add_u32 s14, s14, (.LBB1_8686-.Lpost_getpc15094)&4294967295
	s_addc_u32 s15, s15, (.LBB1_8686-.Lpost_getpc15094)>>32
	s_setpc_b64 s[14:15]
.LBB1_23024:
	v_mov_b32_e32 v4, 0
	v_cmp_ne_u16_sdwa s[8:9], v3, v4 src0_sel:BYTE_0 src1_sel:DWORD
	s_andn2_b64 s[4:5], s[4:5], exec
	s_and_b64 s[8:9], s[8:9], exec
	s_or_b64 s[4:5], s[4:5], s[8:9]
	s_or_b64 exec, exec, s[6:7]
	s_and_saveexec_b64 s[6:7], s[4:5]
	s_cbranch_execz .LBB1_33015
; %bb.58863:
	s_getpc_b64 s[14:15]
.Lpost_getpc15095:
	s_add_u32 s14, s14, (.LBB1_8687-.Lpost_getpc15095)&4294967295
	s_addc_u32 s15, s15, (.LBB1_8687-.Lpost_getpc15095)>>32
	s_setpc_b64 s[14:15]
.LBB1_33015:
	s_getpc_b64 s[14:15]
.Lpost_getpc2171:
	s_add_u32 s14, s14, (.LBB1_8688-.Lpost_getpc2171)&4294967295
	s_addc_u32 s15, s15, (.LBB1_8688-.Lpost_getpc2171)>>32
	s_setpc_b64 s[14:15]
.LBB1_23025:
	s_movk_i32 s4, 0x80
	v_cmp_eq_u16_e32 vcc, s4, v3
	s_mov_b64 s[4:5], -1
                                        ; implicit-def: $sgpr10
	s_and_saveexec_b64 s[8:9], vcc
; %bb.23026:
	s_mov_b32 s10, 0x7f800001
	s_xor_b64 s[4:5], exec, -1
; %bb.23027:
	s_or_b64 exec, exec, s[8:9]
	s_and_b64 s[4:5], s[4:5], exec
                                        ; implicit-def: $vgpr3
	s_or_saveexec_b64 s[6:7], s[6:7]
	v_mov_b32_e32 v2, s10
	s_xor_b64 exec, exec, s[6:7]
	s_cbranch_execnz .LBB1_23028
; %bb.58865:
	s_getpc_b64 s[14:15]
.Lpost_getpc15096:
	s_add_u32 s14, s14, (.LBB1_8690-.Lpost_getpc15096)&4294967295
	s_addc_u32 s15, s15, (.LBB1_8690-.Lpost_getpc15096)>>32
	s_setpc_b64 s[14:15]
.LBB1_23028:
	v_cmp_ne_u16_e32 vcc, 0, v3
	s_andn2_b64 s[4:5], s[4:5], exec
	s_and_b64 s[8:9], vcc, exec
	v_mov_b32_e32 v2, 0
	s_or_b64 s[4:5], s[4:5], s[8:9]
	s_or_b64 exec, exec, s[6:7]
	s_and_saveexec_b64 s[6:7], s[4:5]
	s_cbranch_execz .LBB1_33017
; %bb.58867:
	s_getpc_b64 s[14:15]
.Lpost_getpc15097:
	s_add_u32 s14, s14, (.LBB1_8691-.Lpost_getpc15097)&4294967295
	s_addc_u32 s15, s15, (.LBB1_8691-.Lpost_getpc15097)>>32
	s_setpc_b64 s[14:15]
.LBB1_33017:
	s_getpc_b64 s[14:15]
.Lpost_getpc2172:
	s_add_u32 s14, s14, (.LBB1_8692-.Lpost_getpc2172)&4294967295
	s_addc_u32 s15, s15, (.LBB1_8692-.Lpost_getpc2172)>>32
	s_setpc_b64 s[14:15]
.LBB1_23029:
	s_movk_i32 s4, 0x80
	v_cmp_eq_u16_e32 vcc, s4, v3
	s_mov_b64 s[4:5], -1
                                        ; implicit-def: $sgpr10
	s_and_saveexec_b64 s[8:9], vcc
; %bb.23030:
	s_mov_b32 s10, 0x7f800001
	s_xor_b64 s[4:5], exec, -1
; %bb.23031:
	s_or_b64 exec, exec, s[8:9]
	s_and_b64 s[4:5], s[4:5], exec
                                        ; implicit-def: $vgpr3
	s_or_saveexec_b64 s[6:7], s[6:7]
	v_mov_b32_e32 v4, s10
	s_xor_b64 exec, exec, s[6:7]
	s_cbranch_execnz .LBB1_23032
; %bb.58869:
	s_getpc_b64 s[14:15]
.Lpost_getpc15098:
	s_add_u32 s14, s14, (.LBB1_8694-.Lpost_getpc15098)&4294967295
	s_addc_u32 s15, s15, (.LBB1_8694-.Lpost_getpc15098)>>32
	s_setpc_b64 s[14:15]
.LBB1_23032:
	v_cmp_ne_u16_e32 vcc, 0, v3
	s_andn2_b64 s[4:5], s[4:5], exec
	s_and_b64 s[8:9], vcc, exec
	v_mov_b32_e32 v4, 0
	s_or_b64 s[4:5], s[4:5], s[8:9]
	s_or_b64 exec, exec, s[6:7]
	s_and_saveexec_b64 s[6:7], s[4:5]
	s_cbranch_execz .LBB1_33019
; %bb.58871:
	s_getpc_b64 s[14:15]
.Lpost_getpc15099:
	s_add_u32 s14, s14, (.LBB1_8695-.Lpost_getpc15099)&4294967295
	s_addc_u32 s15, s15, (.LBB1_8695-.Lpost_getpc15099)>>32
	s_setpc_b64 s[14:15]
.LBB1_33019:
	s_getpc_b64 s[14:15]
.Lpost_getpc2173:
	s_add_u32 s14, s14, (.LBB1_8696-.Lpost_getpc2173)&4294967295
	s_addc_u32 s15, s15, (.LBB1_8696-.Lpost_getpc2173)>>32
	s_setpc_b64 s[14:15]
.LBB1_23033:
	s_movk_i32 s4, 0x80
	v_cmp_eq_u16_sdwa s[12:13], v9, s4 src0_sel:BYTE_3 src1_sel:DWORD
	s_mov_b64 s[4:5], -1
                                        ; implicit-def: $sgpr10
	s_and_saveexec_b64 s[8:9], s[12:13]
; %bb.23034:
	s_mov_b32 s10, 0x7f800001
	s_xor_b64 s[4:5], exec, -1
; %bb.23035:
	s_or_b64 exec, exec, s[8:9]
	s_and_b64 s[4:5], s[4:5], exec
	s_or_saveexec_b64 s[6:7], s[6:7]
	v_mov_b32_e32 v2, s10
	s_xor_b64 exec, exec, s[6:7]
	s_cbranch_execnz .LBB1_23036
; %bb.58873:
	s_getpc_b64 s[14:15]
.Lpost_getpc15100:
	s_add_u32 s14, s14, (.LBB1_8698-.Lpost_getpc15100)&4294967295
	s_addc_u32 s15, s15, (.LBB1_8698-.Lpost_getpc15100)>>32
	s_setpc_b64 s[14:15]
.LBB1_23036:
	v_mov_b32_e32 v2, 0
	v_cmp_ne_u16_sdwa s[8:9], v9, v2 src0_sel:BYTE_3 src1_sel:DWORD
	s_andn2_b64 s[4:5], s[4:5], exec
	s_and_b64 s[8:9], s[8:9], exec
	s_or_b64 s[4:5], s[4:5], s[8:9]
	s_or_b64 exec, exec, s[6:7]
	s_and_saveexec_b64 s[6:7], s[4:5]
	s_cbranch_execz .LBB1_33021
; %bb.58875:
	s_getpc_b64 s[14:15]
.Lpost_getpc15101:
	s_add_u32 s14, s14, (.LBB1_8699-.Lpost_getpc15101)&4294967295
	s_addc_u32 s15, s15, (.LBB1_8699-.Lpost_getpc15101)>>32
	s_setpc_b64 s[14:15]
.LBB1_33021:
	s_getpc_b64 s[14:15]
.Lpost_getpc2174:
	s_add_u32 s14, s14, (.LBB1_8700-.Lpost_getpc2174)&4294967295
	s_addc_u32 s15, s15, (.LBB1_8700-.Lpost_getpc2174)>>32
	s_setpc_b64 s[14:15]
.LBB1_23037:
	s_movk_i32 s4, 0x80
	v_cmp_eq_u16_sdwa s[12:13], v5, s4 src0_sel:BYTE_3 src1_sel:DWORD
	s_mov_b64 s[4:5], -1
                                        ; implicit-def: $sgpr10
	s_and_saveexec_b64 s[8:9], s[12:13]
; %bb.23038:
	s_mov_b32 s10, 0x7f800001
	s_xor_b64 s[4:5], exec, -1
; %bb.23039:
	s_or_b64 exec, exec, s[8:9]
	s_and_b64 s[4:5], s[4:5], exec
	s_or_saveexec_b64 s[6:7], s[6:7]
	v_mov_b32_e32 v3, s10
	s_xor_b64 exec, exec, s[6:7]
	s_cbranch_execnz .LBB1_23040
; %bb.58877:
	s_getpc_b64 s[14:15]
.Lpost_getpc15102:
	s_add_u32 s14, s14, (.LBB1_8702-.Lpost_getpc15102)&4294967295
	s_addc_u32 s15, s15, (.LBB1_8702-.Lpost_getpc15102)>>32
	s_setpc_b64 s[14:15]
.LBB1_23040:
	v_mov_b32_e32 v3, 0
	v_cmp_ne_u16_sdwa s[8:9], v5, v3 src0_sel:BYTE_3 src1_sel:DWORD
	s_andn2_b64 s[4:5], s[4:5], exec
	s_and_b64 s[8:9], s[8:9], exec
	s_or_b64 s[4:5], s[4:5], s[8:9]
	s_or_b64 exec, exec, s[6:7]
	s_and_saveexec_b64 s[6:7], s[4:5]
	s_cbranch_execz .LBB1_33023
; %bb.58879:
	s_getpc_b64 s[14:15]
.Lpost_getpc15103:
	s_add_u32 s14, s14, (.LBB1_8703-.Lpost_getpc15103)&4294967295
	s_addc_u32 s15, s15, (.LBB1_8703-.Lpost_getpc15103)>>32
	s_setpc_b64 s[14:15]
.LBB1_33023:
	s_getpc_b64 s[14:15]
.Lpost_getpc2175:
	s_add_u32 s14, s14, (.LBB1_8704-.Lpost_getpc2175)&4294967295
	s_addc_u32 s15, s15, (.LBB1_8704-.Lpost_getpc2175)>>32
	s_setpc_b64 s[14:15]
.LBB1_23041:
	s_movk_i32 s4, 0x80
	v_cmp_eq_u16_sdwa s[12:13], v6, s4 src0_sel:BYTE_0 src1_sel:DWORD
	s_mov_b64 s[4:5], -1
                                        ; implicit-def: $sgpr10
	s_and_saveexec_b64 s[8:9], s[12:13]
; %bb.23042:
	s_mov_b32 s10, 0x7f800001
	s_xor_b64 s[4:5], exec, -1
; %bb.23043:
	s_or_b64 exec, exec, s[8:9]
	s_and_b64 s[4:5], s[4:5], exec
	s_or_saveexec_b64 s[6:7], s[6:7]
	v_mov_b32_e32 v12, s10
	s_xor_b64 exec, exec, s[6:7]
	s_cbranch_execnz .LBB1_23044
; %bb.58881:
	s_getpc_b64 s[14:15]
.Lpost_getpc15104:
	s_add_u32 s14, s14, (.LBB1_8706-.Lpost_getpc15104)&4294967295
	s_addc_u32 s15, s15, (.LBB1_8706-.Lpost_getpc15104)>>32
	s_setpc_b64 s[14:15]
.LBB1_23044:
	v_mov_b32_e32 v12, 0
	v_cmp_ne_u16_sdwa s[8:9], v6, v12 src0_sel:BYTE_0 src1_sel:DWORD
	s_andn2_b64 s[4:5], s[4:5], exec
	s_and_b64 s[8:9], s[8:9], exec
	s_or_b64 s[4:5], s[4:5], s[8:9]
	s_or_b64 exec, exec, s[6:7]
	s_and_saveexec_b64 s[6:7], s[4:5]
	s_cbranch_execz .LBB1_33025
; %bb.58883:
	s_getpc_b64 s[14:15]
.Lpost_getpc15105:
	s_add_u32 s14, s14, (.LBB1_8707-.Lpost_getpc15105)&4294967295
	s_addc_u32 s15, s15, (.LBB1_8707-.Lpost_getpc15105)>>32
	s_setpc_b64 s[14:15]
.LBB1_33025:
	s_getpc_b64 s[14:15]
.Lpost_getpc2176:
	s_add_u32 s14, s14, (.LBB1_8708-.Lpost_getpc2176)&4294967295
	s_addc_u32 s15, s15, (.LBB1_8708-.Lpost_getpc2176)>>32
	s_setpc_b64 s[14:15]
.LBB1_23045:
	s_movk_i32 s4, 0x80
	v_cmp_eq_u16_sdwa s[12:13], v2, s4 src0_sel:BYTE_0 src1_sel:DWORD
	s_mov_b64 s[4:5], -1
                                        ; implicit-def: $sgpr10
	s_and_saveexec_b64 s[8:9], s[12:13]
; %bb.23046:
	s_mov_b32 s10, 0x7f800001
	s_xor_b64 s[4:5], exec, -1
; %bb.23047:
	s_or_b64 exec, exec, s[8:9]
	s_and_b64 s[4:5], s[4:5], exec
	s_or_saveexec_b64 s[6:7], s[6:7]
	v_mov_b32_e32 v13, s10
	s_xor_b64 exec, exec, s[6:7]
	s_cbranch_execnz .LBB1_23048
; %bb.58885:
	s_getpc_b64 s[14:15]
.Lpost_getpc15106:
	s_add_u32 s14, s14, (.LBB1_8710-.Lpost_getpc15106)&4294967295
	s_addc_u32 s15, s15, (.LBB1_8710-.Lpost_getpc15106)>>32
	s_setpc_b64 s[14:15]
.LBB1_23048:
	v_mov_b32_e32 v13, 0
	v_cmp_ne_u16_sdwa s[8:9], v2, v13 src0_sel:BYTE_0 src1_sel:DWORD
	s_andn2_b64 s[4:5], s[4:5], exec
	s_and_b64 s[8:9], s[8:9], exec
	s_or_b64 s[4:5], s[4:5], s[8:9]
	s_or_b64 exec, exec, s[6:7]
	s_and_saveexec_b64 s[6:7], s[4:5]
	s_cbranch_execz .LBB1_33027
; %bb.58887:
	s_getpc_b64 s[14:15]
.Lpost_getpc15107:
	s_add_u32 s14, s14, (.LBB1_8711-.Lpost_getpc15107)&4294967295
	s_addc_u32 s15, s15, (.LBB1_8711-.Lpost_getpc15107)>>32
	s_setpc_b64 s[14:15]
.LBB1_33027:
	s_getpc_b64 s[14:15]
.Lpost_getpc2177:
	s_add_u32 s14, s14, (.LBB1_8712-.Lpost_getpc2177)&4294967295
	s_addc_u32 s15, s15, (.LBB1_8712-.Lpost_getpc2177)>>32
	s_setpc_b64 s[14:15]
.LBB1_23049:
	s_movk_i32 s4, 0x80
	v_cmp_eq_u16_sdwa s[12:13], v13, s4 src0_sel:BYTE_0 src1_sel:DWORD
	s_mov_b64 s[4:5], -1
                                        ; implicit-def: $sgpr10
	s_and_saveexec_b64 s[8:9], s[12:13]
; %bb.23050:
	s_mov_b32 s10, 0x7f800001
	s_xor_b64 s[4:5], exec, -1
; %bb.23051:
	s_or_b64 exec, exec, s[8:9]
	s_and_b64 s[4:5], s[4:5], exec
	s_or_saveexec_b64 s[6:7], s[6:7]
	v_mov_b32_e32 v12, s10
	s_xor_b64 exec, exec, s[6:7]
	s_cbranch_execnz .LBB1_23052
; %bb.58889:
	s_getpc_b64 s[14:15]
.Lpost_getpc15108:
	s_add_u32 s14, s14, (.LBB1_8714-.Lpost_getpc15108)&4294967295
	s_addc_u32 s15, s15, (.LBB1_8714-.Lpost_getpc15108)>>32
	s_setpc_b64 s[14:15]
.LBB1_23052:
	v_mov_b32_e32 v12, 0
	v_cmp_ne_u16_sdwa s[8:9], v13, v12 src0_sel:BYTE_0 src1_sel:DWORD
	s_andn2_b64 s[4:5], s[4:5], exec
	s_and_b64 s[8:9], s[8:9], exec
	s_or_b64 s[4:5], s[4:5], s[8:9]
	s_or_b64 exec, exec, s[6:7]
	s_and_saveexec_b64 s[6:7], s[4:5]
	s_cbranch_execz .LBB1_33029
; %bb.58891:
	s_getpc_b64 s[14:15]
.Lpost_getpc15109:
	s_add_u32 s14, s14, (.LBB1_8715-.Lpost_getpc15109)&4294967295
	s_addc_u32 s15, s15, (.LBB1_8715-.Lpost_getpc15109)>>32
	s_setpc_b64 s[14:15]
.LBB1_33029:
	s_getpc_b64 s[14:15]
.Lpost_getpc2178:
	s_add_u32 s14, s14, (.LBB1_8716-.Lpost_getpc2178)&4294967295
	s_addc_u32 s15, s15, (.LBB1_8716-.Lpost_getpc2178)>>32
	s_setpc_b64 s[14:15]
.LBB1_23053:
	s_movk_i32 s4, 0x80
	v_cmp_eq_u16_sdwa s[12:13], v13, s4 src0_sel:BYTE_0 src1_sel:DWORD
	s_mov_b64 s[4:5], -1
                                        ; implicit-def: $sgpr10
	s_and_saveexec_b64 s[8:9], s[12:13]
; %bb.23054:
	s_mov_b32 s10, 0x7f800001
	s_xor_b64 s[4:5], exec, -1
; %bb.23055:
	s_or_b64 exec, exec, s[8:9]
	s_and_b64 s[4:5], s[4:5], exec
	s_or_saveexec_b64 s[6:7], s[6:7]
	v_mov_b32_e32 v14, s10
	s_xor_b64 exec, exec, s[6:7]
	s_cbranch_execnz .LBB1_23056
; %bb.58893:
	s_getpc_b64 s[14:15]
.Lpost_getpc15110:
	s_add_u32 s14, s14, (.LBB1_8718-.Lpost_getpc15110)&4294967295
	s_addc_u32 s15, s15, (.LBB1_8718-.Lpost_getpc15110)>>32
	s_setpc_b64 s[14:15]
.LBB1_23056:
	v_mov_b32_e32 v14, 0
	v_cmp_ne_u16_sdwa s[8:9], v13, v14 src0_sel:BYTE_0 src1_sel:DWORD
	s_andn2_b64 s[4:5], s[4:5], exec
	s_and_b64 s[8:9], s[8:9], exec
	s_or_b64 s[4:5], s[4:5], s[8:9]
	s_or_b64 exec, exec, s[6:7]
	s_and_saveexec_b64 s[6:7], s[4:5]
	s_cbranch_execz .LBB1_33031
; %bb.58895:
	s_getpc_b64 s[14:15]
.Lpost_getpc15111:
	s_add_u32 s14, s14, (.LBB1_8719-.Lpost_getpc15111)&4294967295
	s_addc_u32 s15, s15, (.LBB1_8719-.Lpost_getpc15111)>>32
	s_setpc_b64 s[14:15]
.LBB1_33031:
	s_getpc_b64 s[14:15]
.Lpost_getpc2179:
	s_add_u32 s14, s14, (.LBB1_8720-.Lpost_getpc2179)&4294967295
	s_addc_u32 s15, s15, (.LBB1_8720-.Lpost_getpc2179)>>32
	s_setpc_b64 s[14:15]
.LBB1_23057:
	s_movk_i32 s4, 0x80
	v_cmp_eq_u16_e32 vcc, s4, v13
	s_mov_b64 s[4:5], -1
                                        ; implicit-def: $sgpr10
	s_and_saveexec_b64 s[8:9], vcc
; %bb.23058:
	s_mov_b32 s10, 0x7f800001
	s_xor_b64 s[4:5], exec, -1
; %bb.23059:
	s_or_b64 exec, exec, s[8:9]
	s_and_b64 s[4:5], s[4:5], exec
                                        ; implicit-def: $vgpr13
	s_or_saveexec_b64 s[6:7], s[6:7]
	v_mov_b32_e32 v12, s10
	s_xor_b64 exec, exec, s[6:7]
	s_cbranch_execnz .LBB1_23060
; %bb.58897:
	s_getpc_b64 s[14:15]
.Lpost_getpc15112:
	s_add_u32 s14, s14, (.LBB1_8722-.Lpost_getpc15112)&4294967295
	s_addc_u32 s15, s15, (.LBB1_8722-.Lpost_getpc15112)>>32
	s_setpc_b64 s[14:15]
.LBB1_23060:
	v_cmp_ne_u16_e32 vcc, 0, v13
	s_andn2_b64 s[4:5], s[4:5], exec
	s_and_b64 s[8:9], vcc, exec
	v_mov_b32_e32 v12, 0
	s_or_b64 s[4:5], s[4:5], s[8:9]
	s_or_b64 exec, exec, s[6:7]
	s_and_saveexec_b64 s[6:7], s[4:5]
	s_cbranch_execz .LBB1_33033
; %bb.58899:
	s_getpc_b64 s[14:15]
.Lpost_getpc15113:
	s_add_u32 s14, s14, (.LBB1_8723-.Lpost_getpc15113)&4294967295
	s_addc_u32 s15, s15, (.LBB1_8723-.Lpost_getpc15113)>>32
	s_setpc_b64 s[14:15]
.LBB1_33033:
	s_getpc_b64 s[14:15]
.Lpost_getpc2180:
	s_add_u32 s14, s14, (.LBB1_8724-.Lpost_getpc2180)&4294967295
	s_addc_u32 s15, s15, (.LBB1_8724-.Lpost_getpc2180)>>32
	s_setpc_b64 s[14:15]
.LBB1_23061:
	s_movk_i32 s4, 0x80
	v_cmp_eq_u16_e32 vcc, s4, v13
	s_mov_b64 s[4:5], -1
                                        ; implicit-def: $sgpr10
	s_and_saveexec_b64 s[8:9], vcc
; %bb.23062:
	s_mov_b32 s10, 0x7f800001
	s_xor_b64 s[4:5], exec, -1
; %bb.23063:
	s_or_b64 exec, exec, s[8:9]
	s_and_b64 s[4:5], s[4:5], exec
                                        ; implicit-def: $vgpr13
	s_or_saveexec_b64 s[6:7], s[6:7]
	v_mov_b32_e32 v14, s10
	s_xor_b64 exec, exec, s[6:7]
	s_cbranch_execnz .LBB1_23064
; %bb.58901:
	s_getpc_b64 s[14:15]
.Lpost_getpc15114:
	s_add_u32 s14, s14, (.LBB1_8726-.Lpost_getpc15114)&4294967295
	s_addc_u32 s15, s15, (.LBB1_8726-.Lpost_getpc15114)>>32
	s_setpc_b64 s[14:15]
.LBB1_23064:
	v_cmp_ne_u16_e32 vcc, 0, v13
	s_andn2_b64 s[4:5], s[4:5], exec
	s_and_b64 s[8:9], vcc, exec
	v_mov_b32_e32 v14, 0
	s_or_b64 s[4:5], s[4:5], s[8:9]
	s_or_b64 exec, exec, s[6:7]
	s_and_saveexec_b64 s[6:7], s[4:5]
	s_cbranch_execz .LBB1_33035
; %bb.58903:
	s_getpc_b64 s[14:15]
.Lpost_getpc15115:
	s_add_u32 s14, s14, (.LBB1_8727-.Lpost_getpc15115)&4294967295
	s_addc_u32 s15, s15, (.LBB1_8727-.Lpost_getpc15115)>>32
	s_setpc_b64 s[14:15]
.LBB1_33035:
	s_getpc_b64 s[14:15]
.Lpost_getpc2181:
	s_add_u32 s14, s14, (.LBB1_8728-.Lpost_getpc2181)&4294967295
	s_addc_u32 s15, s15, (.LBB1_8728-.Lpost_getpc2181)>>32
	s_setpc_b64 s[14:15]
.LBB1_23065:
	s_movk_i32 s4, 0x80
	v_cmp_eq_u16_sdwa s[12:13], v6, s4 src0_sel:BYTE_3 src1_sel:DWORD
	s_mov_b64 s[4:5], -1
                                        ; implicit-def: $sgpr10
	s_and_saveexec_b64 s[8:9], s[12:13]
; %bb.23066:
	s_mov_b32 s10, 0x7f800001
	s_xor_b64 s[4:5], exec, -1
; %bb.23067:
	s_or_b64 exec, exec, s[8:9]
	s_and_b64 s[4:5], s[4:5], exec
	s_or_saveexec_b64 s[6:7], s[6:7]
	v_mov_b32_e32 v12, s10
	s_xor_b64 exec, exec, s[6:7]
	s_cbranch_execnz .LBB1_23068
; %bb.58905:
	s_getpc_b64 s[14:15]
.Lpost_getpc15116:
	s_add_u32 s14, s14, (.LBB1_8730-.Lpost_getpc15116)&4294967295
	s_addc_u32 s15, s15, (.LBB1_8730-.Lpost_getpc15116)>>32
	s_setpc_b64 s[14:15]
.LBB1_23068:
	v_mov_b32_e32 v12, 0
	v_cmp_ne_u16_sdwa s[8:9], v6, v12 src0_sel:BYTE_3 src1_sel:DWORD
	s_andn2_b64 s[4:5], s[4:5], exec
	s_and_b64 s[8:9], s[8:9], exec
	s_or_b64 s[4:5], s[4:5], s[8:9]
	s_or_b64 exec, exec, s[6:7]
	s_and_saveexec_b64 s[6:7], s[4:5]
	s_cbranch_execz .LBB1_33037
; %bb.58907:
	s_getpc_b64 s[14:15]
.Lpost_getpc15117:
	s_add_u32 s14, s14, (.LBB1_8731-.Lpost_getpc15117)&4294967295
	s_addc_u32 s15, s15, (.LBB1_8731-.Lpost_getpc15117)>>32
	s_setpc_b64 s[14:15]
.LBB1_33037:
	s_getpc_b64 s[14:15]
.Lpost_getpc2182:
	s_add_u32 s14, s14, (.LBB1_8732-.Lpost_getpc2182)&4294967295
	s_addc_u32 s15, s15, (.LBB1_8732-.Lpost_getpc2182)>>32
	s_setpc_b64 s[14:15]
.LBB1_23069:
	s_movk_i32 s4, 0x80
	v_cmp_eq_u16_sdwa s[12:13], v2, s4 src0_sel:BYTE_3 src1_sel:DWORD
	s_mov_b64 s[4:5], -1
                                        ; implicit-def: $sgpr10
	s_and_saveexec_b64 s[8:9], s[12:13]
; %bb.23070:
	s_mov_b32 s10, 0x7f800001
	s_xor_b64 s[4:5], exec, -1
; %bb.23071:
	s_or_b64 exec, exec, s[8:9]
	s_and_b64 s[4:5], s[4:5], exec
	s_or_saveexec_b64 s[6:7], s[6:7]
	v_mov_b32_e32 v6, s10
	s_xor_b64 exec, exec, s[6:7]
	s_cbranch_execnz .LBB1_23072
; %bb.58909:
	s_getpc_b64 s[14:15]
.Lpost_getpc15118:
	s_add_u32 s14, s14, (.LBB1_8734-.Lpost_getpc15118)&4294967295
	s_addc_u32 s15, s15, (.LBB1_8734-.Lpost_getpc15118)>>32
	s_setpc_b64 s[14:15]
.LBB1_23072:
	v_mov_b32_e32 v6, 0
	v_cmp_ne_u16_sdwa s[8:9], v2, v6 src0_sel:BYTE_3 src1_sel:DWORD
	s_andn2_b64 s[4:5], s[4:5], exec
	s_and_b64 s[8:9], s[8:9], exec
	s_or_b64 s[4:5], s[4:5], s[8:9]
	s_or_b64 exec, exec, s[6:7]
	s_and_saveexec_b64 s[6:7], s[4:5]
	s_cbranch_execz .LBB1_33039
; %bb.58911:
	s_getpc_b64 s[14:15]
.Lpost_getpc15119:
	s_add_u32 s14, s14, (.LBB1_8735-.Lpost_getpc15119)&4294967295
	s_addc_u32 s15, s15, (.LBB1_8735-.Lpost_getpc15119)>>32
	s_setpc_b64 s[14:15]
.LBB1_33039:
	s_getpc_b64 s[14:15]
.Lpost_getpc2183:
	s_add_u32 s14, s14, (.LBB1_8736-.Lpost_getpc2183)&4294967295
	s_addc_u32 s15, s15, (.LBB1_8736-.Lpost_getpc2183)>>32
	s_setpc_b64 s[14:15]
.LBB1_23073:
	s_movk_i32 s4, 0x80
	v_cmp_eq_u16_sdwa s[12:13], v7, s4 src0_sel:BYTE_0 src1_sel:DWORD
	s_mov_b64 s[4:5], -1
                                        ; implicit-def: $sgpr10
	s_and_saveexec_b64 s[8:9], s[12:13]
; %bb.23074:
	s_mov_b32 s10, 0x7f800001
	s_xor_b64 s[4:5], exec, -1
; %bb.23075:
	s_or_b64 exec, exec, s[8:9]
	s_and_b64 s[4:5], s[4:5], exec
	s_or_saveexec_b64 s[6:7], s[6:7]
	v_mov_b32_e32 v2, s10
	s_xor_b64 exec, exec, s[6:7]
	s_cbranch_execnz .LBB1_23076
; %bb.58913:
	s_getpc_b64 s[14:15]
.Lpost_getpc15120:
	s_add_u32 s14, s14, (.LBB1_8738-.Lpost_getpc15120)&4294967295
	s_addc_u32 s15, s15, (.LBB1_8738-.Lpost_getpc15120)>>32
	s_setpc_b64 s[14:15]
.LBB1_23076:
	v_mov_b32_e32 v2, 0
	v_cmp_ne_u16_sdwa s[8:9], v7, v2 src0_sel:BYTE_0 src1_sel:DWORD
	s_andn2_b64 s[4:5], s[4:5], exec
	s_and_b64 s[8:9], s[8:9], exec
	s_or_b64 s[4:5], s[4:5], s[8:9]
	s_or_b64 exec, exec, s[6:7]
	s_and_saveexec_b64 s[6:7], s[4:5]
	s_cbranch_execz .LBB1_33041
; %bb.58915:
	s_getpc_b64 s[14:15]
.Lpost_getpc15121:
	s_add_u32 s14, s14, (.LBB1_8739-.Lpost_getpc15121)&4294967295
	s_addc_u32 s15, s15, (.LBB1_8739-.Lpost_getpc15121)>>32
	s_setpc_b64 s[14:15]
.LBB1_33041:
	s_getpc_b64 s[14:15]
.Lpost_getpc2184:
	s_add_u32 s14, s14, (.LBB1_8740-.Lpost_getpc2184)&4294967295
	s_addc_u32 s15, s15, (.LBB1_8740-.Lpost_getpc2184)>>32
	s_setpc_b64 s[14:15]
.LBB1_23077:
	s_movk_i32 s4, 0x80
	v_cmp_eq_u16_sdwa s[12:13], v3, s4 src0_sel:BYTE_0 src1_sel:DWORD
	s_mov_b64 s[4:5], -1
                                        ; implicit-def: $sgpr10
	s_and_saveexec_b64 s[8:9], s[12:13]
; %bb.23078:
	s_mov_b32 s10, 0x7f800001
	s_xor_b64 s[4:5], exec, -1
; %bb.23079:
	s_or_b64 exec, exec, s[8:9]
	s_and_b64 s[4:5], s[4:5], exec
	s_or_saveexec_b64 s[6:7], s[6:7]
	v_mov_b32_e32 v6, s10
	s_xor_b64 exec, exec, s[6:7]
	s_cbranch_execnz .LBB1_23080
; %bb.58917:
	s_getpc_b64 s[14:15]
.Lpost_getpc15122:
	s_add_u32 s14, s14, (.LBB1_8742-.Lpost_getpc15122)&4294967295
	s_addc_u32 s15, s15, (.LBB1_8742-.Lpost_getpc15122)>>32
	s_setpc_b64 s[14:15]
.LBB1_23080:
	v_mov_b32_e32 v6, 0
	v_cmp_ne_u16_sdwa s[8:9], v3, v6 src0_sel:BYTE_0 src1_sel:DWORD
	s_andn2_b64 s[4:5], s[4:5], exec
	s_and_b64 s[8:9], s[8:9], exec
	s_or_b64 s[4:5], s[4:5], s[8:9]
	s_or_b64 exec, exec, s[6:7]
	s_and_saveexec_b64 s[6:7], s[4:5]
	s_cbranch_execz .LBB1_33043
; %bb.58919:
	s_getpc_b64 s[14:15]
.Lpost_getpc15123:
	s_add_u32 s14, s14, (.LBB1_8743-.Lpost_getpc15123)&4294967295
	s_addc_u32 s15, s15, (.LBB1_8743-.Lpost_getpc15123)>>32
	s_setpc_b64 s[14:15]
.LBB1_33043:
	s_getpc_b64 s[14:15]
.Lpost_getpc2185:
	s_add_u32 s14, s14, (.LBB1_8744-.Lpost_getpc2185)&4294967295
	s_addc_u32 s15, s15, (.LBB1_8744-.Lpost_getpc2185)>>32
	s_setpc_b64 s[14:15]
.LBB1_23081:
	s_movk_i32 s4, 0x80
	v_cmp_eq_u16_sdwa s[12:13], v6, s4 src0_sel:BYTE_0 src1_sel:DWORD
	s_mov_b64 s[4:5], -1
                                        ; implicit-def: $sgpr10
	s_and_saveexec_b64 s[8:9], s[12:13]
; %bb.23082:
	s_mov_b32 s10, 0x7f800001
	s_xor_b64 s[4:5], exec, -1
; %bb.23083:
	s_or_b64 exec, exec, s[8:9]
	s_and_b64 s[4:5], s[4:5], exec
	s_or_saveexec_b64 s[6:7], s[6:7]
	v_mov_b32_e32 v2, s10
	s_xor_b64 exec, exec, s[6:7]
	s_cbranch_execnz .LBB1_23084
; %bb.58921:
	s_getpc_b64 s[14:15]
.Lpost_getpc15124:
	s_add_u32 s14, s14, (.LBB1_8746-.Lpost_getpc15124)&4294967295
	s_addc_u32 s15, s15, (.LBB1_8746-.Lpost_getpc15124)>>32
	s_setpc_b64 s[14:15]
.LBB1_23084:
	v_mov_b32_e32 v2, 0
	v_cmp_ne_u16_sdwa s[8:9], v6, v2 src0_sel:BYTE_0 src1_sel:DWORD
	s_andn2_b64 s[4:5], s[4:5], exec
	s_and_b64 s[8:9], s[8:9], exec
	s_or_b64 s[4:5], s[4:5], s[8:9]
	s_or_b64 exec, exec, s[6:7]
	s_and_saveexec_b64 s[6:7], s[4:5]
	s_cbranch_execz .LBB1_33045
; %bb.58923:
	s_getpc_b64 s[14:15]
.Lpost_getpc15125:
	s_add_u32 s14, s14, (.LBB1_8747-.Lpost_getpc15125)&4294967295
	s_addc_u32 s15, s15, (.LBB1_8747-.Lpost_getpc15125)>>32
	s_setpc_b64 s[14:15]
.LBB1_33045:
	s_getpc_b64 s[14:15]
.Lpost_getpc2186:
	s_add_u32 s14, s14, (.LBB1_8748-.Lpost_getpc2186)&4294967295
	s_addc_u32 s15, s15, (.LBB1_8748-.Lpost_getpc2186)>>32
	s_setpc_b64 s[14:15]
.LBB1_23085:
	s_movk_i32 s4, 0x80
	v_cmp_eq_u16_sdwa s[12:13], v6, s4 src0_sel:BYTE_0 src1_sel:DWORD
	s_mov_b64 s[4:5], -1
                                        ; implicit-def: $sgpr10
	s_and_saveexec_b64 s[8:9], s[12:13]
; %bb.23086:
	s_mov_b32 s10, 0x7f800001
	s_xor_b64 s[4:5], exec, -1
; %bb.23087:
	s_or_b64 exec, exec, s[8:9]
	s_and_b64 s[4:5], s[4:5], exec
	s_or_saveexec_b64 s[6:7], s[6:7]
	v_mov_b32_e32 v12, s10
	s_xor_b64 exec, exec, s[6:7]
	s_cbranch_execnz .LBB1_23088
; %bb.58925:
	s_getpc_b64 s[14:15]
.Lpost_getpc15126:
	s_add_u32 s14, s14, (.LBB1_8750-.Lpost_getpc15126)&4294967295
	s_addc_u32 s15, s15, (.LBB1_8750-.Lpost_getpc15126)>>32
	s_setpc_b64 s[14:15]
.LBB1_23088:
	v_mov_b32_e32 v12, 0
	v_cmp_ne_u16_sdwa s[8:9], v6, v12 src0_sel:BYTE_0 src1_sel:DWORD
	s_andn2_b64 s[4:5], s[4:5], exec
	s_and_b64 s[8:9], s[8:9], exec
	s_or_b64 s[4:5], s[4:5], s[8:9]
	s_or_b64 exec, exec, s[6:7]
	s_and_saveexec_b64 s[6:7], s[4:5]
	s_cbranch_execz .LBB1_33047
; %bb.58927:
	s_getpc_b64 s[14:15]
.Lpost_getpc15127:
	s_add_u32 s14, s14, (.LBB1_8751-.Lpost_getpc15127)&4294967295
	s_addc_u32 s15, s15, (.LBB1_8751-.Lpost_getpc15127)>>32
	s_setpc_b64 s[14:15]
.LBB1_33047:
	s_getpc_b64 s[14:15]
.Lpost_getpc2187:
	s_add_u32 s14, s14, (.LBB1_8752-.Lpost_getpc2187)&4294967295
	s_addc_u32 s15, s15, (.LBB1_8752-.Lpost_getpc2187)>>32
	s_setpc_b64 s[14:15]
.LBB1_23089:
	s_movk_i32 s4, 0x80
	v_cmp_eq_u16_e32 vcc, s4, v6
	s_mov_b64 s[4:5], -1
                                        ; implicit-def: $sgpr10
	s_and_saveexec_b64 s[8:9], vcc
; %bb.23090:
	s_mov_b32 s10, 0x7f800001
	s_xor_b64 s[4:5], exec, -1
; %bb.23091:
	s_or_b64 exec, exec, s[8:9]
	s_and_b64 s[4:5], s[4:5], exec
                                        ; implicit-def: $vgpr6
	s_or_saveexec_b64 s[6:7], s[6:7]
	v_mov_b32_e32 v2, s10
	s_xor_b64 exec, exec, s[6:7]
	s_cbranch_execnz .LBB1_23092
; %bb.58929:
	s_getpc_b64 s[14:15]
.Lpost_getpc15128:
	s_add_u32 s14, s14, (.LBB1_8754-.Lpost_getpc15128)&4294967295
	s_addc_u32 s15, s15, (.LBB1_8754-.Lpost_getpc15128)>>32
	s_setpc_b64 s[14:15]
.LBB1_23092:
	v_cmp_ne_u16_e32 vcc, 0, v6
	s_andn2_b64 s[4:5], s[4:5], exec
	s_and_b64 s[8:9], vcc, exec
	v_mov_b32_e32 v2, 0
	s_or_b64 s[4:5], s[4:5], s[8:9]
	s_or_b64 exec, exec, s[6:7]
	s_and_saveexec_b64 s[6:7], s[4:5]
	s_cbranch_execz .LBB1_33049
; %bb.58931:
	s_getpc_b64 s[14:15]
.Lpost_getpc15129:
	s_add_u32 s14, s14, (.LBB1_8755-.Lpost_getpc15129)&4294967295
	s_addc_u32 s15, s15, (.LBB1_8755-.Lpost_getpc15129)>>32
	s_setpc_b64 s[14:15]
.LBB1_33049:
	s_getpc_b64 s[14:15]
.Lpost_getpc2188:
	s_add_u32 s14, s14, (.LBB1_8756-.Lpost_getpc2188)&4294967295
	s_addc_u32 s15, s15, (.LBB1_8756-.Lpost_getpc2188)>>32
	s_setpc_b64 s[14:15]
.LBB1_23093:
	s_movk_i32 s4, 0x80
	v_cmp_eq_u16_e32 vcc, s4, v6
	s_mov_b64 s[4:5], -1
                                        ; implicit-def: $sgpr10
	s_and_saveexec_b64 s[8:9], vcc
; %bb.23094:
	s_mov_b32 s10, 0x7f800001
	s_xor_b64 s[4:5], exec, -1
; %bb.23095:
	s_or_b64 exec, exec, s[8:9]
	s_and_b64 s[4:5], s[4:5], exec
                                        ; implicit-def: $vgpr6
	s_or_saveexec_b64 s[6:7], s[6:7]
	v_mov_b32_e32 v12, s10
	s_xor_b64 exec, exec, s[6:7]
	s_cbranch_execnz .LBB1_23096
; %bb.58933:
	s_getpc_b64 s[14:15]
.Lpost_getpc15130:
	s_add_u32 s14, s14, (.LBB1_8758-.Lpost_getpc15130)&4294967295
	s_addc_u32 s15, s15, (.LBB1_8758-.Lpost_getpc15130)>>32
	s_setpc_b64 s[14:15]
.LBB1_23096:
	v_cmp_ne_u16_e32 vcc, 0, v6
	s_andn2_b64 s[4:5], s[4:5], exec
	s_and_b64 s[8:9], vcc, exec
	v_mov_b32_e32 v12, 0
	s_or_b64 s[4:5], s[4:5], s[8:9]
	s_or_b64 exec, exec, s[6:7]
	s_and_saveexec_b64 s[6:7], s[4:5]
	s_cbranch_execz .LBB1_33051
; %bb.58935:
	s_getpc_b64 s[14:15]
.Lpost_getpc15131:
	s_add_u32 s14, s14, (.LBB1_8759-.Lpost_getpc15131)&4294967295
	s_addc_u32 s15, s15, (.LBB1_8759-.Lpost_getpc15131)>>32
	s_setpc_b64 s[14:15]
.LBB1_33051:
	s_getpc_b64 s[14:15]
.Lpost_getpc2189:
	s_add_u32 s14, s14, (.LBB1_8760-.Lpost_getpc2189)&4294967295
	s_addc_u32 s15, s15, (.LBB1_8760-.Lpost_getpc2189)>>32
	s_setpc_b64 s[14:15]
.LBB1_23097:
	s_movk_i32 s4, 0x80
	v_cmp_eq_u16_sdwa s[12:13], v7, s4 src0_sel:BYTE_3 src1_sel:DWORD
	s_mov_b64 s[4:5], -1
                                        ; implicit-def: $sgpr10
	s_and_saveexec_b64 s[8:9], s[12:13]
; %bb.23098:
	s_mov_b32 s10, 0x7f800001
	s_xor_b64 s[4:5], exec, -1
; %bb.23099:
	s_or_b64 exec, exec, s[8:9]
	s_and_b64 s[4:5], s[4:5], exec
	s_or_saveexec_b64 s[6:7], s[6:7]
	v_mov_b32_e32 v2, s10
	s_xor_b64 exec, exec, s[6:7]
	s_cbranch_execnz .LBB1_23100
; %bb.58937:
	s_getpc_b64 s[14:15]
.Lpost_getpc15132:
	s_add_u32 s14, s14, (.LBB1_8762-.Lpost_getpc15132)&4294967295
	s_addc_u32 s15, s15, (.LBB1_8762-.Lpost_getpc15132)>>32
	s_setpc_b64 s[14:15]
.LBB1_23100:
	v_mov_b32_e32 v2, 0
	v_cmp_ne_u16_sdwa s[8:9], v7, v2 src0_sel:BYTE_3 src1_sel:DWORD
	s_andn2_b64 s[4:5], s[4:5], exec
	s_and_b64 s[8:9], s[8:9], exec
	s_or_b64 s[4:5], s[4:5], s[8:9]
	s_or_b64 exec, exec, s[6:7]
	s_and_saveexec_b64 s[6:7], s[4:5]
	s_cbranch_execz .LBB1_33053
; %bb.58939:
	s_getpc_b64 s[14:15]
.Lpost_getpc15133:
	s_add_u32 s14, s14, (.LBB1_8763-.Lpost_getpc15133)&4294967295
	s_addc_u32 s15, s15, (.LBB1_8763-.Lpost_getpc15133)>>32
	s_setpc_b64 s[14:15]
.LBB1_33053:
	s_getpc_b64 s[14:15]
.Lpost_getpc2190:
	s_add_u32 s14, s14, (.LBB1_8764-.Lpost_getpc2190)&4294967295
	s_addc_u32 s15, s15, (.LBB1_8764-.Lpost_getpc2190)>>32
	s_setpc_b64 s[14:15]
.LBB1_23101:
	s_movk_i32 s4, 0x80
	v_cmp_eq_u16_sdwa s[12:13], v3, s4 src0_sel:BYTE_3 src1_sel:DWORD
	s_mov_b64 s[4:5], -1
                                        ; implicit-def: $sgpr10
	s_and_saveexec_b64 s[8:9], s[12:13]
; %bb.23102:
	s_mov_b32 s10, 0x7f800001
	s_xor_b64 s[4:5], exec, -1
; %bb.23103:
	s_or_b64 exec, exec, s[8:9]
	s_and_b64 s[4:5], s[4:5], exec
	s_or_saveexec_b64 s[6:7], s[6:7]
	v_mov_b32_e32 v6, s10
	s_xor_b64 exec, exec, s[6:7]
	s_cbranch_execnz .LBB1_23104
; %bb.58941:
	s_getpc_b64 s[14:15]
.Lpost_getpc15134:
	s_add_u32 s14, s14, (.LBB1_8766-.Lpost_getpc15134)&4294967295
	s_addc_u32 s15, s15, (.LBB1_8766-.Lpost_getpc15134)>>32
	s_setpc_b64 s[14:15]
.LBB1_23104:
	v_mov_b32_e32 v6, 0
	v_cmp_ne_u16_sdwa s[8:9], v3, v6 src0_sel:BYTE_3 src1_sel:DWORD
	s_andn2_b64 s[4:5], s[4:5], exec
	s_and_b64 s[8:9], s[8:9], exec
	s_or_b64 s[4:5], s[4:5], s[8:9]
	s_or_b64 exec, exec, s[6:7]
	s_and_saveexec_b64 s[6:7], s[4:5]
	s_cbranch_execz .LBB1_33055
; %bb.58943:
	s_getpc_b64 s[14:15]
.Lpost_getpc15135:
	s_add_u32 s14, s14, (.LBB1_8767-.Lpost_getpc15135)&4294967295
	s_addc_u32 s15, s15, (.LBB1_8767-.Lpost_getpc15135)>>32
	s_setpc_b64 s[14:15]
.LBB1_33055:
	s_getpc_b64 s[14:15]
.Lpost_getpc2191:
	s_add_u32 s14, s14, (.LBB1_8768-.Lpost_getpc2191)&4294967295
	s_addc_u32 s15, s15, (.LBB1_8768-.Lpost_getpc2191)>>32
	s_setpc_b64 s[14:15]
.LBB1_23105:
	s_movk_i32 s4, 0x80
	v_cmp_eq_u16_sdwa s[12:13], v8, s4 src0_sel:BYTE_0 src1_sel:DWORD
	s_mov_b64 s[4:5], -1
                                        ; implicit-def: $sgpr10
	s_and_saveexec_b64 s[8:9], s[12:13]
; %bb.23106:
	s_mov_b32 s10, 0x7f800001
	s_xor_b64 s[4:5], exec, -1
; %bb.23107:
	s_or_b64 exec, exec, s[8:9]
	s_and_b64 s[4:5], s[4:5], exec
	s_or_saveexec_b64 s[6:7], s[6:7]
	v_mov_b32_e32 v2, s10
	s_xor_b64 exec, exec, s[6:7]
	s_cbranch_execnz .LBB1_23108
; %bb.58945:
	s_getpc_b64 s[14:15]
.Lpost_getpc15136:
	s_add_u32 s14, s14, (.LBB1_8770-.Lpost_getpc15136)&4294967295
	s_addc_u32 s15, s15, (.LBB1_8770-.Lpost_getpc15136)>>32
	s_setpc_b64 s[14:15]
.LBB1_23108:
	v_mov_b32_e32 v2, 0
	v_cmp_ne_u16_sdwa s[8:9], v8, v2 src0_sel:BYTE_0 src1_sel:DWORD
	s_andn2_b64 s[4:5], s[4:5], exec
	s_and_b64 s[8:9], s[8:9], exec
	s_or_b64 s[4:5], s[4:5], s[8:9]
	s_or_b64 exec, exec, s[6:7]
	s_and_saveexec_b64 s[6:7], s[4:5]
	s_cbranch_execz .LBB1_33057
; %bb.58947:
	s_getpc_b64 s[14:15]
.Lpost_getpc15137:
	s_add_u32 s14, s14, (.LBB1_8771-.Lpost_getpc15137)&4294967295
	s_addc_u32 s15, s15, (.LBB1_8771-.Lpost_getpc15137)>>32
	s_setpc_b64 s[14:15]
.LBB1_33057:
	s_getpc_b64 s[14:15]
.Lpost_getpc2192:
	s_add_u32 s14, s14, (.LBB1_8772-.Lpost_getpc2192)&4294967295
	s_addc_u32 s15, s15, (.LBB1_8772-.Lpost_getpc2192)>>32
	s_setpc_b64 s[14:15]
.LBB1_23109:
	s_movk_i32 s4, 0x80
	v_cmp_eq_u16_sdwa s[12:13], v4, s4 src0_sel:BYTE_0 src1_sel:DWORD
	s_mov_b64 s[4:5], -1
                                        ; implicit-def: $sgpr10
	s_and_saveexec_b64 s[8:9], s[12:13]
; %bb.23110:
	s_mov_b32 s10, 0x7f800001
	s_xor_b64 s[4:5], exec, -1
; %bb.23111:
	s_or_b64 exec, exec, s[8:9]
	s_and_b64 s[4:5], s[4:5], exec
	s_or_saveexec_b64 s[6:7], s[6:7]
	v_mov_b32_e32 v3, s10
	s_xor_b64 exec, exec, s[6:7]
	s_cbranch_execnz .LBB1_23112
; %bb.58949:
	s_getpc_b64 s[14:15]
.Lpost_getpc15138:
	s_add_u32 s14, s14, (.LBB1_8774-.Lpost_getpc15138)&4294967295
	s_addc_u32 s15, s15, (.LBB1_8774-.Lpost_getpc15138)>>32
	s_setpc_b64 s[14:15]
.LBB1_23112:
	v_mov_b32_e32 v3, 0
	v_cmp_ne_u16_sdwa s[8:9], v4, v3 src0_sel:BYTE_0 src1_sel:DWORD
	s_andn2_b64 s[4:5], s[4:5], exec
	s_and_b64 s[8:9], s[8:9], exec
	s_or_b64 s[4:5], s[4:5], s[8:9]
	s_or_b64 exec, exec, s[6:7]
	s_and_saveexec_b64 s[6:7], s[4:5]
	s_cbranch_execz .LBB1_33059
; %bb.58951:
	s_getpc_b64 s[14:15]
.Lpost_getpc15139:
	s_add_u32 s14, s14, (.LBB1_8775-.Lpost_getpc15139)&4294967295
	s_addc_u32 s15, s15, (.LBB1_8775-.Lpost_getpc15139)>>32
	s_setpc_b64 s[14:15]
.LBB1_33059:
	s_getpc_b64 s[14:15]
.Lpost_getpc2193:
	s_add_u32 s14, s14, (.LBB1_8776-.Lpost_getpc2193)&4294967295
	s_addc_u32 s15, s15, (.LBB1_8776-.Lpost_getpc2193)>>32
	s_setpc_b64 s[14:15]
.LBB1_23113:
	s_movk_i32 s4, 0x80
	v_cmp_eq_u16_sdwa s[12:13], v3, s4 src0_sel:BYTE_0 src1_sel:DWORD
	s_mov_b64 s[4:5], -1
                                        ; implicit-def: $sgpr10
	s_and_saveexec_b64 s[8:9], s[12:13]
; %bb.23114:
	s_mov_b32 s10, 0x7f800001
	s_xor_b64 s[4:5], exec, -1
; %bb.23115:
	s_or_b64 exec, exec, s[8:9]
	s_and_b64 s[4:5], s[4:5], exec
	s_or_saveexec_b64 s[6:7], s[6:7]
	v_mov_b32_e32 v2, s10
	s_xor_b64 exec, exec, s[6:7]
	s_cbranch_execnz .LBB1_23116
; %bb.58953:
	s_getpc_b64 s[14:15]
.Lpost_getpc15140:
	s_add_u32 s14, s14, (.LBB1_8778-.Lpost_getpc15140)&4294967295
	s_addc_u32 s15, s15, (.LBB1_8778-.Lpost_getpc15140)>>32
	s_setpc_b64 s[14:15]
.LBB1_23116:
	v_mov_b32_e32 v2, 0
	v_cmp_ne_u16_sdwa s[8:9], v3, v2 src0_sel:BYTE_0 src1_sel:DWORD
	s_andn2_b64 s[4:5], s[4:5], exec
	s_and_b64 s[8:9], s[8:9], exec
	s_or_b64 s[4:5], s[4:5], s[8:9]
	s_or_b64 exec, exec, s[6:7]
	s_and_saveexec_b64 s[6:7], s[4:5]
	s_cbranch_execz .LBB1_33061
; %bb.58955:
	s_getpc_b64 s[14:15]
.Lpost_getpc15141:
	s_add_u32 s14, s14, (.LBB1_8779-.Lpost_getpc15141)&4294967295
	s_addc_u32 s15, s15, (.LBB1_8779-.Lpost_getpc15141)>>32
	s_setpc_b64 s[14:15]
.LBB1_33061:
	s_getpc_b64 s[14:15]
.Lpost_getpc2194:
	s_add_u32 s14, s14, (.LBB1_8780-.Lpost_getpc2194)&4294967295
	s_addc_u32 s15, s15, (.LBB1_8780-.Lpost_getpc2194)>>32
	s_setpc_b64 s[14:15]
.LBB1_23117:
	s_movk_i32 s4, 0x80
	v_cmp_eq_u16_sdwa s[12:13], v3, s4 src0_sel:BYTE_0 src1_sel:DWORD
	s_mov_b64 s[4:5], -1
                                        ; implicit-def: $sgpr10
	s_and_saveexec_b64 s[8:9], s[12:13]
; %bb.23118:
	s_mov_b32 s10, 0x7f800001
	s_xor_b64 s[4:5], exec, -1
; %bb.23119:
	s_or_b64 exec, exec, s[8:9]
	s_and_b64 s[4:5], s[4:5], exec
	s_or_saveexec_b64 s[6:7], s[6:7]
	v_mov_b32_e32 v6, s10
	s_xor_b64 exec, exec, s[6:7]
	s_cbranch_execnz .LBB1_23120
; %bb.58957:
	s_getpc_b64 s[14:15]
.Lpost_getpc15142:
	s_add_u32 s14, s14, (.LBB1_8782-.Lpost_getpc15142)&4294967295
	s_addc_u32 s15, s15, (.LBB1_8782-.Lpost_getpc15142)>>32
	s_setpc_b64 s[14:15]
.LBB1_23120:
	v_mov_b32_e32 v6, 0
	v_cmp_ne_u16_sdwa s[8:9], v3, v6 src0_sel:BYTE_0 src1_sel:DWORD
	s_andn2_b64 s[4:5], s[4:5], exec
	s_and_b64 s[8:9], s[8:9], exec
	s_or_b64 s[4:5], s[4:5], s[8:9]
	s_or_b64 exec, exec, s[6:7]
	s_and_saveexec_b64 s[6:7], s[4:5]
	s_cbranch_execz .LBB1_33063
; %bb.58959:
	s_getpc_b64 s[14:15]
.Lpost_getpc15143:
	s_add_u32 s14, s14, (.LBB1_8783-.Lpost_getpc15143)&4294967295
	s_addc_u32 s15, s15, (.LBB1_8783-.Lpost_getpc15143)>>32
	s_setpc_b64 s[14:15]
.LBB1_33063:
	s_getpc_b64 s[14:15]
.Lpost_getpc2195:
	s_add_u32 s14, s14, (.LBB1_8784-.Lpost_getpc2195)&4294967295
	s_addc_u32 s15, s15, (.LBB1_8784-.Lpost_getpc2195)>>32
	s_setpc_b64 s[14:15]
.LBB1_23121:
	s_movk_i32 s4, 0x80
	v_cmp_eq_u16_e32 vcc, s4, v3
	s_mov_b64 s[4:5], -1
                                        ; implicit-def: $sgpr10
	s_and_saveexec_b64 s[8:9], vcc
; %bb.23122:
	s_mov_b32 s10, 0x7f800001
	s_xor_b64 s[4:5], exec, -1
; %bb.23123:
	s_or_b64 exec, exec, s[8:9]
	s_and_b64 s[4:5], s[4:5], exec
                                        ; implicit-def: $vgpr3
	s_or_saveexec_b64 s[6:7], s[6:7]
	v_mov_b32_e32 v2, s10
	s_xor_b64 exec, exec, s[6:7]
	s_cbranch_execnz .LBB1_23124
; %bb.58961:
	s_getpc_b64 s[14:15]
.Lpost_getpc15144:
	s_add_u32 s14, s14, (.LBB1_8786-.Lpost_getpc15144)&4294967295
	s_addc_u32 s15, s15, (.LBB1_8786-.Lpost_getpc15144)>>32
	s_setpc_b64 s[14:15]
.LBB1_23124:
	v_cmp_ne_u16_e32 vcc, 0, v3
	s_andn2_b64 s[4:5], s[4:5], exec
	s_and_b64 s[8:9], vcc, exec
	v_mov_b32_e32 v2, 0
	s_or_b64 s[4:5], s[4:5], s[8:9]
	s_or_b64 exec, exec, s[6:7]
	s_and_saveexec_b64 s[6:7], s[4:5]
	s_cbranch_execz .LBB1_33065
; %bb.58963:
	s_getpc_b64 s[14:15]
.Lpost_getpc15145:
	s_add_u32 s14, s14, (.LBB1_8787-.Lpost_getpc15145)&4294967295
	s_addc_u32 s15, s15, (.LBB1_8787-.Lpost_getpc15145)>>32
	s_setpc_b64 s[14:15]
.LBB1_33065:
	s_getpc_b64 s[14:15]
.Lpost_getpc2196:
	s_add_u32 s14, s14, (.LBB1_8788-.Lpost_getpc2196)&4294967295
	s_addc_u32 s15, s15, (.LBB1_8788-.Lpost_getpc2196)>>32
	s_setpc_b64 s[14:15]
.LBB1_23125:
	s_movk_i32 s4, 0x80
	v_cmp_eq_u16_e32 vcc, s4, v3
	s_mov_b64 s[4:5], -1
                                        ; implicit-def: $sgpr10
	s_and_saveexec_b64 s[8:9], vcc
; %bb.23126:
	s_mov_b32 s10, 0x7f800001
	s_xor_b64 s[4:5], exec, -1
; %bb.23127:
	s_or_b64 exec, exec, s[8:9]
	s_and_b64 s[4:5], s[4:5], exec
                                        ; implicit-def: $vgpr3
	s_or_saveexec_b64 s[6:7], s[6:7]
	v_mov_b32_e32 v6, s10
	s_xor_b64 exec, exec, s[6:7]
	s_cbranch_execnz .LBB1_23128
; %bb.58965:
	s_getpc_b64 s[14:15]
.Lpost_getpc15146:
	s_add_u32 s14, s14, (.LBB1_8790-.Lpost_getpc15146)&4294967295
	s_addc_u32 s15, s15, (.LBB1_8790-.Lpost_getpc15146)>>32
	s_setpc_b64 s[14:15]
.LBB1_23128:
	v_cmp_ne_u16_e32 vcc, 0, v3
	s_andn2_b64 s[4:5], s[4:5], exec
	s_and_b64 s[8:9], vcc, exec
	v_mov_b32_e32 v6, 0
	s_or_b64 s[4:5], s[4:5], s[8:9]
	s_or_b64 exec, exec, s[6:7]
	s_and_saveexec_b64 s[6:7], s[4:5]
	s_cbranch_execz .LBB1_33067
; %bb.58967:
	s_getpc_b64 s[14:15]
.Lpost_getpc15147:
	s_add_u32 s14, s14, (.LBB1_8791-.Lpost_getpc15147)&4294967295
	s_addc_u32 s15, s15, (.LBB1_8791-.Lpost_getpc15147)>>32
	s_setpc_b64 s[14:15]
.LBB1_33067:
	s_getpc_b64 s[14:15]
.Lpost_getpc2197:
	s_add_u32 s14, s14, (.LBB1_8792-.Lpost_getpc2197)&4294967295
	s_addc_u32 s15, s15, (.LBB1_8792-.Lpost_getpc2197)>>32
	s_setpc_b64 s[14:15]
.LBB1_23129:
	s_movk_i32 s4, 0x80
	v_cmp_eq_u16_sdwa s[12:13], v8, s4 src0_sel:BYTE_3 src1_sel:DWORD
	s_mov_b64 s[4:5], -1
                                        ; implicit-def: $sgpr10
	s_and_saveexec_b64 s[8:9], s[12:13]
; %bb.23130:
	s_mov_b32 s10, 0x7f800001
	s_xor_b64 s[4:5], exec, -1
; %bb.23131:
	s_or_b64 exec, exec, s[8:9]
	s_and_b64 s[4:5], s[4:5], exec
	s_or_saveexec_b64 s[6:7], s[6:7]
	v_mov_b32_e32 v2, s10
	s_xor_b64 exec, exec, s[6:7]
	s_cbranch_execnz .LBB1_23132
; %bb.58969:
	s_getpc_b64 s[14:15]
.Lpost_getpc15148:
	s_add_u32 s14, s14, (.LBB1_8794-.Lpost_getpc15148)&4294967295
	s_addc_u32 s15, s15, (.LBB1_8794-.Lpost_getpc15148)>>32
	s_setpc_b64 s[14:15]
.LBB1_23132:
	v_mov_b32_e32 v2, 0
	v_cmp_ne_u16_sdwa s[8:9], v8, v2 src0_sel:BYTE_3 src1_sel:DWORD
	s_andn2_b64 s[4:5], s[4:5], exec
	s_and_b64 s[8:9], s[8:9], exec
	s_or_b64 s[4:5], s[4:5], s[8:9]
	s_or_b64 exec, exec, s[6:7]
	s_and_saveexec_b64 s[6:7], s[4:5]
	s_cbranch_execz .LBB1_33069
; %bb.58971:
	s_getpc_b64 s[14:15]
.Lpost_getpc15149:
	s_add_u32 s14, s14, (.LBB1_8795-.Lpost_getpc15149)&4294967295
	s_addc_u32 s15, s15, (.LBB1_8795-.Lpost_getpc15149)>>32
	s_setpc_b64 s[14:15]
.LBB1_33069:
	s_getpc_b64 s[14:15]
.Lpost_getpc2198:
	s_add_u32 s14, s14, (.LBB1_8796-.Lpost_getpc2198)&4294967295
	s_addc_u32 s15, s15, (.LBB1_8796-.Lpost_getpc2198)>>32
	s_setpc_b64 s[14:15]
.LBB1_23133:
	s_movk_i32 s4, 0x80
	v_cmp_eq_u16_sdwa s[12:13], v4, s4 src0_sel:BYTE_3 src1_sel:DWORD
	s_mov_b64 s[4:5], -1
                                        ; implicit-def: $sgpr10
	s_and_saveexec_b64 s[8:9], s[12:13]
; %bb.23134:
	s_mov_b32 s10, 0x7f800001
	s_xor_b64 s[4:5], exec, -1
; %bb.23135:
	s_or_b64 exec, exec, s[8:9]
	s_and_b64 s[4:5], s[4:5], exec
	s_or_saveexec_b64 s[6:7], s[6:7]
	v_mov_b32_e32 v3, s10
	s_xor_b64 exec, exec, s[6:7]
	s_cbranch_execnz .LBB1_23136
; %bb.58973:
	s_getpc_b64 s[14:15]
.Lpost_getpc15150:
	s_add_u32 s14, s14, (.LBB1_8798-.Lpost_getpc15150)&4294967295
	s_addc_u32 s15, s15, (.LBB1_8798-.Lpost_getpc15150)>>32
	s_setpc_b64 s[14:15]
.LBB1_23136:
	v_mov_b32_e32 v3, 0
	v_cmp_ne_u16_sdwa s[8:9], v4, v3 src0_sel:BYTE_3 src1_sel:DWORD
	s_andn2_b64 s[4:5], s[4:5], exec
	s_and_b64 s[8:9], s[8:9], exec
	s_or_b64 s[4:5], s[4:5], s[8:9]
	s_or_b64 exec, exec, s[6:7]
	s_and_saveexec_b64 s[6:7], s[4:5]
	s_cbranch_execz .LBB1_33071
; %bb.58975:
	s_getpc_b64 s[14:15]
.Lpost_getpc15151:
	s_add_u32 s14, s14, (.LBB1_8799-.Lpost_getpc15151)&4294967295
	s_addc_u32 s15, s15, (.LBB1_8799-.Lpost_getpc15151)>>32
	s_setpc_b64 s[14:15]
.LBB1_33071:
	s_getpc_b64 s[14:15]
.Lpost_getpc2199:
	s_add_u32 s14, s14, (.LBB1_8800-.Lpost_getpc2199)&4294967295
	s_addc_u32 s15, s15, (.LBB1_8800-.Lpost_getpc2199)>>32
	s_setpc_b64 s[14:15]
.LBB1_23137:
	s_movk_i32 s4, 0x80
	v_cmp_eq_u16_sdwa s[12:13], v9, s4 src0_sel:BYTE_0 src1_sel:DWORD
	s_mov_b64 s[4:5], -1
                                        ; implicit-def: $sgpr10
	s_and_saveexec_b64 s[8:9], s[12:13]
; %bb.23138:
	s_mov_b32 s10, 0x7f800001
	s_xor_b64 s[4:5], exec, -1
; %bb.23139:
	s_or_b64 exec, exec, s[8:9]
	s_and_b64 s[4:5], s[4:5], exec
	s_or_saveexec_b64 s[6:7], s[6:7]
	v_mov_b32_e32 v2, s10
	s_xor_b64 exec, exec, s[6:7]
	s_cbranch_execnz .LBB1_23140
; %bb.58977:
	s_getpc_b64 s[14:15]
.Lpost_getpc15152:
	s_add_u32 s14, s14, (.LBB1_8802-.Lpost_getpc15152)&4294967295
	s_addc_u32 s15, s15, (.LBB1_8802-.Lpost_getpc15152)>>32
	s_setpc_b64 s[14:15]
.LBB1_23140:
	v_mov_b32_e32 v2, 0
	v_cmp_ne_u16_sdwa s[8:9], v9, v2 src0_sel:BYTE_0 src1_sel:DWORD
	s_andn2_b64 s[4:5], s[4:5], exec
	s_and_b64 s[8:9], s[8:9], exec
	s_or_b64 s[4:5], s[4:5], s[8:9]
	s_or_b64 exec, exec, s[6:7]
	s_and_saveexec_b64 s[6:7], s[4:5]
	s_cbranch_execz .LBB1_33073
; %bb.58979:
	s_getpc_b64 s[14:15]
.Lpost_getpc15153:
	s_add_u32 s14, s14, (.LBB1_8803-.Lpost_getpc15153)&4294967295
	s_addc_u32 s15, s15, (.LBB1_8803-.Lpost_getpc15153)>>32
	s_setpc_b64 s[14:15]
.LBB1_33073:
	s_getpc_b64 s[14:15]
.Lpost_getpc2200:
	s_add_u32 s14, s14, (.LBB1_8804-.Lpost_getpc2200)&4294967295
	s_addc_u32 s15, s15, (.LBB1_8804-.Lpost_getpc2200)>>32
	s_setpc_b64 s[14:15]
.LBB1_23141:
	s_movk_i32 s4, 0x80
	v_cmp_eq_u16_sdwa s[12:13], v5, s4 src0_sel:BYTE_0 src1_sel:DWORD
	s_mov_b64 s[4:5], -1
                                        ; implicit-def: $sgpr10
	s_and_saveexec_b64 s[8:9], s[12:13]
; %bb.23142:
	s_mov_b32 s10, 0x7f800001
	s_xor_b64 s[4:5], exec, -1
; %bb.23143:
	s_or_b64 exec, exec, s[8:9]
	s_and_b64 s[4:5], s[4:5], exec
	s_or_saveexec_b64 s[6:7], s[6:7]
	v_mov_b32_e32 v3, s10
	s_xor_b64 exec, exec, s[6:7]
	s_cbranch_execnz .LBB1_23144
; %bb.58981:
	s_getpc_b64 s[14:15]
.Lpost_getpc15154:
	s_add_u32 s14, s14, (.LBB1_8806-.Lpost_getpc15154)&4294967295
	s_addc_u32 s15, s15, (.LBB1_8806-.Lpost_getpc15154)>>32
	s_setpc_b64 s[14:15]
.LBB1_23144:
	v_mov_b32_e32 v3, 0
	v_cmp_ne_u16_sdwa s[8:9], v5, v3 src0_sel:BYTE_0 src1_sel:DWORD
	s_andn2_b64 s[4:5], s[4:5], exec
	s_and_b64 s[8:9], s[8:9], exec
	s_or_b64 s[4:5], s[4:5], s[8:9]
	s_or_b64 exec, exec, s[6:7]
	s_and_saveexec_b64 s[6:7], s[4:5]
	s_cbranch_execz .LBB1_33075
; %bb.58983:
	s_getpc_b64 s[14:15]
.Lpost_getpc15155:
	s_add_u32 s14, s14, (.LBB1_8807-.Lpost_getpc15155)&4294967295
	s_addc_u32 s15, s15, (.LBB1_8807-.Lpost_getpc15155)>>32
	s_setpc_b64 s[14:15]
.LBB1_33075:
	s_getpc_b64 s[14:15]
.Lpost_getpc2201:
	s_add_u32 s14, s14, (.LBB1_8808-.Lpost_getpc2201)&4294967295
	s_addc_u32 s15, s15, (.LBB1_8808-.Lpost_getpc2201)>>32
	s_setpc_b64 s[14:15]
.LBB1_23145:
	s_movk_i32 s4, 0x80
	v_cmp_eq_u16_sdwa s[12:13], v3, s4 src0_sel:BYTE_0 src1_sel:DWORD
	s_mov_b64 s[4:5], -1
                                        ; implicit-def: $sgpr10
	s_and_saveexec_b64 s[8:9], s[12:13]
; %bb.23146:
	s_mov_b32 s10, 0x7f800001
	s_xor_b64 s[4:5], exec, -1
; %bb.23147:
	s_or_b64 exec, exec, s[8:9]
	s_and_b64 s[4:5], s[4:5], exec
	s_or_saveexec_b64 s[6:7], s[6:7]
	v_mov_b32_e32 v2, s10
	s_xor_b64 exec, exec, s[6:7]
	s_cbranch_execnz .LBB1_23148
; %bb.58985:
	s_getpc_b64 s[14:15]
.Lpost_getpc15156:
	s_add_u32 s14, s14, (.LBB1_8810-.Lpost_getpc15156)&4294967295
	s_addc_u32 s15, s15, (.LBB1_8810-.Lpost_getpc15156)>>32
	s_setpc_b64 s[14:15]
.LBB1_23148:
	v_mov_b32_e32 v2, 0
	v_cmp_ne_u16_sdwa s[8:9], v3, v2 src0_sel:BYTE_0 src1_sel:DWORD
	s_andn2_b64 s[4:5], s[4:5], exec
	s_and_b64 s[8:9], s[8:9], exec
	s_or_b64 s[4:5], s[4:5], s[8:9]
	s_or_b64 exec, exec, s[6:7]
	s_and_saveexec_b64 s[6:7], s[4:5]
	s_cbranch_execz .LBB1_33077
; %bb.58987:
	s_getpc_b64 s[14:15]
.Lpost_getpc15157:
	s_add_u32 s14, s14, (.LBB1_8811-.Lpost_getpc15157)&4294967295
	s_addc_u32 s15, s15, (.LBB1_8811-.Lpost_getpc15157)>>32
	s_setpc_b64 s[14:15]
.LBB1_33077:
	s_getpc_b64 s[14:15]
.Lpost_getpc2202:
	s_add_u32 s14, s14, (.LBB1_8812-.Lpost_getpc2202)&4294967295
	s_addc_u32 s15, s15, (.LBB1_8812-.Lpost_getpc2202)>>32
	s_setpc_b64 s[14:15]
.LBB1_23149:
	s_movk_i32 s4, 0x80
	v_cmp_eq_u16_sdwa s[12:13], v3, s4 src0_sel:BYTE_0 src1_sel:DWORD
	s_mov_b64 s[4:5], -1
                                        ; implicit-def: $sgpr10
	s_and_saveexec_b64 s[8:9], s[12:13]
; %bb.23150:
	s_mov_b32 s10, 0x7f800001
	s_xor_b64 s[4:5], exec, -1
; %bb.23151:
	s_or_b64 exec, exec, s[8:9]
	s_and_b64 s[4:5], s[4:5], exec
	s_or_saveexec_b64 s[6:7], s[6:7]
	v_mov_b32_e32 v4, s10
	s_xor_b64 exec, exec, s[6:7]
	s_cbranch_execnz .LBB1_23152
; %bb.58989:
	s_getpc_b64 s[14:15]
.Lpost_getpc15158:
	s_add_u32 s14, s14, (.LBB1_8814-.Lpost_getpc15158)&4294967295
	s_addc_u32 s15, s15, (.LBB1_8814-.Lpost_getpc15158)>>32
	s_setpc_b64 s[14:15]
.LBB1_23152:
	v_mov_b32_e32 v4, 0
	v_cmp_ne_u16_sdwa s[8:9], v3, v4 src0_sel:BYTE_0 src1_sel:DWORD
	s_andn2_b64 s[4:5], s[4:5], exec
	s_and_b64 s[8:9], s[8:9], exec
	s_or_b64 s[4:5], s[4:5], s[8:9]
	s_or_b64 exec, exec, s[6:7]
	s_and_saveexec_b64 s[6:7], s[4:5]
	s_cbranch_execz .LBB1_33079
; %bb.58991:
	s_getpc_b64 s[14:15]
.Lpost_getpc15159:
	s_add_u32 s14, s14, (.LBB1_8815-.Lpost_getpc15159)&4294967295
	s_addc_u32 s15, s15, (.LBB1_8815-.Lpost_getpc15159)>>32
	s_setpc_b64 s[14:15]
.LBB1_33079:
	s_getpc_b64 s[14:15]
.Lpost_getpc2203:
	s_add_u32 s14, s14, (.LBB1_8816-.Lpost_getpc2203)&4294967295
	s_addc_u32 s15, s15, (.LBB1_8816-.Lpost_getpc2203)>>32
	s_setpc_b64 s[14:15]
.LBB1_23153:
	s_movk_i32 s4, 0x80
	v_cmp_eq_u16_e32 vcc, s4, v3
	s_mov_b64 s[4:5], -1
                                        ; implicit-def: $sgpr10
	s_and_saveexec_b64 s[8:9], vcc
; %bb.23154:
	s_mov_b32 s10, 0x7f800001
	s_xor_b64 s[4:5], exec, -1
; %bb.23155:
	s_or_b64 exec, exec, s[8:9]
	s_and_b64 s[4:5], s[4:5], exec
                                        ; implicit-def: $vgpr3
	s_or_saveexec_b64 s[6:7], s[6:7]
	v_mov_b32_e32 v2, s10
	s_xor_b64 exec, exec, s[6:7]
	s_cbranch_execnz .LBB1_23156
; %bb.58993:
	s_getpc_b64 s[14:15]
.Lpost_getpc15160:
	s_add_u32 s14, s14, (.LBB1_8818-.Lpost_getpc15160)&4294967295
	s_addc_u32 s15, s15, (.LBB1_8818-.Lpost_getpc15160)>>32
	s_setpc_b64 s[14:15]
.LBB1_23156:
	v_cmp_ne_u16_e32 vcc, 0, v3
	s_andn2_b64 s[4:5], s[4:5], exec
	s_and_b64 s[8:9], vcc, exec
	v_mov_b32_e32 v2, 0
	s_or_b64 s[4:5], s[4:5], s[8:9]
	s_or_b64 exec, exec, s[6:7]
	s_and_saveexec_b64 s[6:7], s[4:5]
	s_cbranch_execz .LBB1_33081
; %bb.58995:
	s_getpc_b64 s[14:15]
.Lpost_getpc15161:
	s_add_u32 s14, s14, (.LBB1_8819-.Lpost_getpc15161)&4294967295
	s_addc_u32 s15, s15, (.LBB1_8819-.Lpost_getpc15161)>>32
	s_setpc_b64 s[14:15]
.LBB1_33081:
	s_getpc_b64 s[14:15]
.Lpost_getpc2204:
	s_add_u32 s14, s14, (.LBB1_8820-.Lpost_getpc2204)&4294967295
	s_addc_u32 s15, s15, (.LBB1_8820-.Lpost_getpc2204)>>32
	s_setpc_b64 s[14:15]
.LBB1_23157:
	s_movk_i32 s4, 0x80
	v_cmp_eq_u16_e32 vcc, s4, v3
	s_mov_b64 s[4:5], -1
                                        ; implicit-def: $sgpr10
	s_and_saveexec_b64 s[8:9], vcc
; %bb.23158:
	s_mov_b32 s10, 0x7f800001
	s_xor_b64 s[4:5], exec, -1
; %bb.23159:
	s_or_b64 exec, exec, s[8:9]
	s_and_b64 s[4:5], s[4:5], exec
                                        ; implicit-def: $vgpr3
	s_or_saveexec_b64 s[6:7], s[6:7]
	v_mov_b32_e32 v4, s10
	s_xor_b64 exec, exec, s[6:7]
	s_cbranch_execnz .LBB1_23160
; %bb.58997:
	s_getpc_b64 s[14:15]
.Lpost_getpc15162:
	s_add_u32 s14, s14, (.LBB1_8822-.Lpost_getpc15162)&4294967295
	s_addc_u32 s15, s15, (.LBB1_8822-.Lpost_getpc15162)>>32
	s_setpc_b64 s[14:15]
.LBB1_23160:
	v_cmp_ne_u16_e32 vcc, 0, v3
	s_andn2_b64 s[4:5], s[4:5], exec
	s_and_b64 s[8:9], vcc, exec
	v_mov_b32_e32 v4, 0
	s_or_b64 s[4:5], s[4:5], s[8:9]
	s_or_b64 exec, exec, s[6:7]
	s_and_saveexec_b64 s[6:7], s[4:5]
	s_cbranch_execz .LBB1_33083
; %bb.58999:
	s_getpc_b64 s[14:15]
.Lpost_getpc15163:
	s_add_u32 s14, s14, (.LBB1_8823-.Lpost_getpc15163)&4294967295
	s_addc_u32 s15, s15, (.LBB1_8823-.Lpost_getpc15163)>>32
	s_setpc_b64 s[14:15]
.LBB1_33083:
	s_getpc_b64 s[14:15]
.Lpost_getpc2205:
	s_add_u32 s14, s14, (.LBB1_8824-.Lpost_getpc2205)&4294967295
	s_addc_u32 s15, s15, (.LBB1_8824-.Lpost_getpc2205)>>32
	s_setpc_b64 s[14:15]
.LBB1_23161:
	s_movk_i32 s4, 0x80
	v_cmp_eq_u16_sdwa s[12:13], v9, s4 src0_sel:BYTE_3 src1_sel:DWORD
	s_mov_b64 s[4:5], -1
                                        ; implicit-def: $sgpr10
	s_and_saveexec_b64 s[8:9], s[12:13]
; %bb.23162:
	s_mov_b32 s10, 0x7f800001
	s_xor_b64 s[4:5], exec, -1
; %bb.23163:
	s_or_b64 exec, exec, s[8:9]
	s_and_b64 s[4:5], s[4:5], exec
	s_or_saveexec_b64 s[6:7], s[6:7]
	v_mov_b32_e32 v2, s10
	s_xor_b64 exec, exec, s[6:7]
	s_cbranch_execnz .LBB1_23164
; %bb.59001:
	s_getpc_b64 s[14:15]
.Lpost_getpc15164:
	s_add_u32 s14, s14, (.LBB1_8826-.Lpost_getpc15164)&4294967295
	s_addc_u32 s15, s15, (.LBB1_8826-.Lpost_getpc15164)>>32
	s_setpc_b64 s[14:15]
.LBB1_23164:
	v_mov_b32_e32 v2, 0
	v_cmp_ne_u16_sdwa s[8:9], v9, v2 src0_sel:BYTE_3 src1_sel:DWORD
	s_andn2_b64 s[4:5], s[4:5], exec
	s_and_b64 s[8:9], s[8:9], exec
	s_or_b64 s[4:5], s[4:5], s[8:9]
	s_or_b64 exec, exec, s[6:7]
	s_and_saveexec_b64 s[6:7], s[4:5]
	s_cbranch_execz .LBB1_33085
; %bb.59003:
	s_getpc_b64 s[14:15]
.Lpost_getpc15165:
	s_add_u32 s14, s14, (.LBB1_8827-.Lpost_getpc15165)&4294967295
	s_addc_u32 s15, s15, (.LBB1_8827-.Lpost_getpc15165)>>32
	s_setpc_b64 s[14:15]
.LBB1_33085:
	s_getpc_b64 s[14:15]
.Lpost_getpc2206:
	s_add_u32 s14, s14, (.LBB1_8828-.Lpost_getpc2206)&4294967295
	s_addc_u32 s15, s15, (.LBB1_8828-.Lpost_getpc2206)>>32
	s_setpc_b64 s[14:15]
.LBB1_23165:
	s_movk_i32 s4, 0x80
	v_cmp_eq_u16_sdwa s[12:13], v5, s4 src0_sel:BYTE_3 src1_sel:DWORD
	s_mov_b64 s[4:5], -1
                                        ; implicit-def: $sgpr10
	s_and_saveexec_b64 s[8:9], s[12:13]
; %bb.23166:
	s_mov_b32 s10, 0x7f800001
	s_xor_b64 s[4:5], exec, -1
; %bb.23167:
	s_or_b64 exec, exec, s[8:9]
	s_and_b64 s[4:5], s[4:5], exec
	s_or_saveexec_b64 s[6:7], s[6:7]
	v_mov_b32_e32 v3, s10
	s_xor_b64 exec, exec, s[6:7]
	s_cbranch_execnz .LBB1_23168
; %bb.59005:
	s_getpc_b64 s[14:15]
.Lpost_getpc15166:
	s_add_u32 s14, s14, (.LBB1_8830-.Lpost_getpc15166)&4294967295
	s_addc_u32 s15, s15, (.LBB1_8830-.Lpost_getpc15166)>>32
	s_setpc_b64 s[14:15]
.LBB1_23168:
	v_mov_b32_e32 v3, 0
	v_cmp_ne_u16_sdwa s[8:9], v5, v3 src0_sel:BYTE_3 src1_sel:DWORD
	s_andn2_b64 s[4:5], s[4:5], exec
	s_and_b64 s[8:9], s[8:9], exec
	s_or_b64 s[4:5], s[4:5], s[8:9]
	s_or_b64 exec, exec, s[6:7]
	s_and_saveexec_b64 s[6:7], s[4:5]
	s_cbranch_execz .LBB1_33087
; %bb.59007:
	s_getpc_b64 s[14:15]
.Lpost_getpc15167:
	s_add_u32 s14, s14, (.LBB1_8831-.Lpost_getpc15167)&4294967295
	s_addc_u32 s15, s15, (.LBB1_8831-.Lpost_getpc15167)>>32
	s_setpc_b64 s[14:15]
.LBB1_33087:
	s_getpc_b64 s[14:15]
.Lpost_getpc2207:
	s_add_u32 s14, s14, (.LBB1_8832-.Lpost_getpc2207)&4294967295
	s_addc_u32 s15, s15, (.LBB1_8832-.Lpost_getpc2207)>>32
	s_setpc_b64 s[14:15]
.LBB1_23169:
	s_movk_i32 s4, 0x80
	v_cmp_eq_u16_sdwa s[12:13], v6, s4 src0_sel:BYTE_0 src1_sel:DWORD
	s_mov_b64 s[4:5], -1
                                        ; implicit-def: $sgpr10
	s_and_saveexec_b64 s[8:9], s[12:13]
; %bb.23170:
	s_mov_b32 s10, 0x7f800001
	s_xor_b64 s[4:5], exec, -1
; %bb.23171:
	s_or_b64 exec, exec, s[8:9]
	s_and_b64 s[4:5], s[4:5], exec
	s_or_saveexec_b64 s[6:7], s[6:7]
	v_mov_b32_e32 v12, s10
	s_xor_b64 exec, exec, s[6:7]
	s_cbranch_execnz .LBB1_23172
; %bb.59009:
	s_getpc_b64 s[14:15]
.Lpost_getpc15168:
	s_add_u32 s14, s14, (.LBB1_8834-.Lpost_getpc15168)&4294967295
	s_addc_u32 s15, s15, (.LBB1_8834-.Lpost_getpc15168)>>32
	s_setpc_b64 s[14:15]
.LBB1_23172:
	v_mov_b32_e32 v12, 0
	v_cmp_ne_u16_sdwa s[8:9], v6, v12 src0_sel:BYTE_0 src1_sel:DWORD
	s_andn2_b64 s[4:5], s[4:5], exec
	s_and_b64 s[8:9], s[8:9], exec
	s_or_b64 s[4:5], s[4:5], s[8:9]
	s_or_b64 exec, exec, s[6:7]
	s_and_saveexec_b64 s[6:7], s[4:5]
	s_cbranch_execz .LBB1_33089
; %bb.59011:
	s_getpc_b64 s[14:15]
.Lpost_getpc15169:
	s_add_u32 s14, s14, (.LBB1_8835-.Lpost_getpc15169)&4294967295
	s_addc_u32 s15, s15, (.LBB1_8835-.Lpost_getpc15169)>>32
	s_setpc_b64 s[14:15]
.LBB1_33089:
	s_getpc_b64 s[14:15]
.Lpost_getpc2208:
	s_add_u32 s14, s14, (.LBB1_8836-.Lpost_getpc2208)&4294967295
	s_addc_u32 s15, s15, (.LBB1_8836-.Lpost_getpc2208)>>32
	s_setpc_b64 s[14:15]
.LBB1_23173:
	s_movk_i32 s4, 0x80
	v_cmp_eq_u16_sdwa s[12:13], v2, s4 src0_sel:BYTE_0 src1_sel:DWORD
	s_mov_b64 s[4:5], -1
                                        ; implicit-def: $sgpr10
	s_and_saveexec_b64 s[8:9], s[12:13]
; %bb.23174:
	s_mov_b32 s10, 0x7f800001
	s_xor_b64 s[4:5], exec, -1
; %bb.23175:
	s_or_b64 exec, exec, s[8:9]
	s_and_b64 s[4:5], s[4:5], exec
	s_or_saveexec_b64 s[6:7], s[6:7]
	v_mov_b32_e32 v13, s10
	s_xor_b64 exec, exec, s[6:7]
	s_cbranch_execnz .LBB1_23176
; %bb.59013:
	s_getpc_b64 s[14:15]
.Lpost_getpc15170:
	s_add_u32 s14, s14, (.LBB1_8838-.Lpost_getpc15170)&4294967295
	s_addc_u32 s15, s15, (.LBB1_8838-.Lpost_getpc15170)>>32
	s_setpc_b64 s[14:15]
.LBB1_23176:
	v_mov_b32_e32 v13, 0
	v_cmp_ne_u16_sdwa s[8:9], v2, v13 src0_sel:BYTE_0 src1_sel:DWORD
	s_andn2_b64 s[4:5], s[4:5], exec
	s_and_b64 s[8:9], s[8:9], exec
	s_or_b64 s[4:5], s[4:5], s[8:9]
	s_or_b64 exec, exec, s[6:7]
	s_and_saveexec_b64 s[6:7], s[4:5]
	s_cbranch_execz .LBB1_33091
; %bb.59015:
	s_getpc_b64 s[14:15]
.Lpost_getpc15171:
	s_add_u32 s14, s14, (.LBB1_8839-.Lpost_getpc15171)&4294967295
	s_addc_u32 s15, s15, (.LBB1_8839-.Lpost_getpc15171)>>32
	s_setpc_b64 s[14:15]
.LBB1_33091:
	s_getpc_b64 s[14:15]
.Lpost_getpc2209:
	s_add_u32 s14, s14, (.LBB1_8840-.Lpost_getpc2209)&4294967295
	s_addc_u32 s15, s15, (.LBB1_8840-.Lpost_getpc2209)>>32
	s_setpc_b64 s[14:15]
.LBB1_23177:
	s_movk_i32 s4, 0x80
	v_cmp_eq_u16_sdwa s[12:13], v13, s4 src0_sel:BYTE_0 src1_sel:DWORD
	s_mov_b64 s[4:5], -1
                                        ; implicit-def: $sgpr10
	s_and_saveexec_b64 s[8:9], s[12:13]
; %bb.23178:
	s_mov_b32 s10, 0x7f800001
	s_xor_b64 s[4:5], exec, -1
; %bb.23179:
	s_or_b64 exec, exec, s[8:9]
	s_and_b64 s[4:5], s[4:5], exec
	s_or_saveexec_b64 s[6:7], s[6:7]
	v_mov_b32_e32 v12, s10
	s_xor_b64 exec, exec, s[6:7]
	s_cbranch_execnz .LBB1_23180
; %bb.59017:
	s_getpc_b64 s[14:15]
.Lpost_getpc15172:
	s_add_u32 s14, s14, (.LBB1_8842-.Lpost_getpc15172)&4294967295
	s_addc_u32 s15, s15, (.LBB1_8842-.Lpost_getpc15172)>>32
	s_setpc_b64 s[14:15]
.LBB1_23180:
	v_mov_b32_e32 v12, 0
	v_cmp_ne_u16_sdwa s[8:9], v13, v12 src0_sel:BYTE_0 src1_sel:DWORD
	s_andn2_b64 s[4:5], s[4:5], exec
	s_and_b64 s[8:9], s[8:9], exec
	s_or_b64 s[4:5], s[4:5], s[8:9]
	s_or_b64 exec, exec, s[6:7]
	s_and_saveexec_b64 s[6:7], s[4:5]
	s_cbranch_execz .LBB1_33093
; %bb.59019:
	s_getpc_b64 s[14:15]
.Lpost_getpc15173:
	s_add_u32 s14, s14, (.LBB1_8843-.Lpost_getpc15173)&4294967295
	s_addc_u32 s15, s15, (.LBB1_8843-.Lpost_getpc15173)>>32
	s_setpc_b64 s[14:15]
.LBB1_33093:
	s_getpc_b64 s[14:15]
.Lpost_getpc2210:
	s_add_u32 s14, s14, (.LBB1_8844-.Lpost_getpc2210)&4294967295
	s_addc_u32 s15, s15, (.LBB1_8844-.Lpost_getpc2210)>>32
	s_setpc_b64 s[14:15]
.LBB1_23181:
	s_movk_i32 s4, 0x80
	v_cmp_eq_u16_sdwa s[12:13], v13, s4 src0_sel:BYTE_0 src1_sel:DWORD
	s_mov_b64 s[4:5], -1
                                        ; implicit-def: $sgpr10
	s_and_saveexec_b64 s[8:9], s[12:13]
; %bb.23182:
	s_mov_b32 s10, 0x7f800001
	s_xor_b64 s[4:5], exec, -1
; %bb.23183:
	s_or_b64 exec, exec, s[8:9]
	s_and_b64 s[4:5], s[4:5], exec
	s_or_saveexec_b64 s[6:7], s[6:7]
	v_mov_b32_e32 v14, s10
	s_xor_b64 exec, exec, s[6:7]
	s_cbranch_execnz .LBB1_23184
; %bb.59021:
	s_getpc_b64 s[14:15]
.Lpost_getpc15174:
	s_add_u32 s14, s14, (.LBB1_8846-.Lpost_getpc15174)&4294967295
	s_addc_u32 s15, s15, (.LBB1_8846-.Lpost_getpc15174)>>32
	s_setpc_b64 s[14:15]
.LBB1_23184:
	v_mov_b32_e32 v14, 0
	v_cmp_ne_u16_sdwa s[8:9], v13, v14 src0_sel:BYTE_0 src1_sel:DWORD
	s_andn2_b64 s[4:5], s[4:5], exec
	s_and_b64 s[8:9], s[8:9], exec
	s_or_b64 s[4:5], s[4:5], s[8:9]
	s_or_b64 exec, exec, s[6:7]
	s_and_saveexec_b64 s[6:7], s[4:5]
	s_cbranch_execz .LBB1_33095
; %bb.59023:
	s_getpc_b64 s[14:15]
.Lpost_getpc15175:
	s_add_u32 s14, s14, (.LBB1_8847-.Lpost_getpc15175)&4294967295
	s_addc_u32 s15, s15, (.LBB1_8847-.Lpost_getpc15175)>>32
	s_setpc_b64 s[14:15]
.LBB1_33095:
	s_getpc_b64 s[14:15]
.Lpost_getpc2211:
	s_add_u32 s14, s14, (.LBB1_8848-.Lpost_getpc2211)&4294967295
	s_addc_u32 s15, s15, (.LBB1_8848-.Lpost_getpc2211)>>32
	s_setpc_b64 s[14:15]
.LBB1_23185:
	s_movk_i32 s4, 0x80
	v_cmp_eq_u16_e32 vcc, s4, v13
	s_mov_b64 s[4:5], -1
                                        ; implicit-def: $sgpr10
	s_and_saveexec_b64 s[8:9], vcc
; %bb.23186:
	s_mov_b32 s10, 0x7f800001
	s_xor_b64 s[4:5], exec, -1
; %bb.23187:
	s_or_b64 exec, exec, s[8:9]
	s_and_b64 s[4:5], s[4:5], exec
                                        ; implicit-def: $vgpr13
	s_or_saveexec_b64 s[6:7], s[6:7]
	v_mov_b32_e32 v12, s10
	s_xor_b64 exec, exec, s[6:7]
	s_cbranch_execnz .LBB1_23188
; %bb.59025:
	s_getpc_b64 s[14:15]
.Lpost_getpc15176:
	s_add_u32 s14, s14, (.LBB1_8850-.Lpost_getpc15176)&4294967295
	s_addc_u32 s15, s15, (.LBB1_8850-.Lpost_getpc15176)>>32
	s_setpc_b64 s[14:15]
.LBB1_23188:
	v_cmp_ne_u16_e32 vcc, 0, v13
	s_andn2_b64 s[4:5], s[4:5], exec
	s_and_b64 s[8:9], vcc, exec
	v_mov_b32_e32 v12, 0
	s_or_b64 s[4:5], s[4:5], s[8:9]
	s_or_b64 exec, exec, s[6:7]
	s_and_saveexec_b64 s[6:7], s[4:5]
	s_cbranch_execz .LBB1_33097
; %bb.59027:
	s_getpc_b64 s[14:15]
.Lpost_getpc15177:
	s_add_u32 s14, s14, (.LBB1_8851-.Lpost_getpc15177)&4294967295
	s_addc_u32 s15, s15, (.LBB1_8851-.Lpost_getpc15177)>>32
	s_setpc_b64 s[14:15]
.LBB1_33097:
	s_getpc_b64 s[14:15]
.Lpost_getpc2212:
	s_add_u32 s14, s14, (.LBB1_8852-.Lpost_getpc2212)&4294967295
	s_addc_u32 s15, s15, (.LBB1_8852-.Lpost_getpc2212)>>32
	s_setpc_b64 s[14:15]
.LBB1_23189:
	s_movk_i32 s4, 0x80
	v_cmp_eq_u16_e32 vcc, s4, v13
	s_mov_b64 s[4:5], -1
                                        ; implicit-def: $sgpr10
	s_and_saveexec_b64 s[8:9], vcc
; %bb.23190:
	s_mov_b32 s10, 0x7f800001
	s_xor_b64 s[4:5], exec, -1
; %bb.23191:
	s_or_b64 exec, exec, s[8:9]
	s_and_b64 s[4:5], s[4:5], exec
                                        ; implicit-def: $vgpr13
	s_or_saveexec_b64 s[6:7], s[6:7]
	v_mov_b32_e32 v14, s10
	s_xor_b64 exec, exec, s[6:7]
	s_cbranch_execnz .LBB1_23192
; %bb.59029:
	s_getpc_b64 s[14:15]
.Lpost_getpc15178:
	s_add_u32 s14, s14, (.LBB1_8854-.Lpost_getpc15178)&4294967295
	s_addc_u32 s15, s15, (.LBB1_8854-.Lpost_getpc15178)>>32
	s_setpc_b64 s[14:15]
.LBB1_23192:
	v_cmp_ne_u16_e32 vcc, 0, v13
	s_andn2_b64 s[4:5], s[4:5], exec
	s_and_b64 s[8:9], vcc, exec
	v_mov_b32_e32 v14, 0
	s_or_b64 s[4:5], s[4:5], s[8:9]
	s_or_b64 exec, exec, s[6:7]
	s_and_saveexec_b64 s[6:7], s[4:5]
	s_cbranch_execz .LBB1_33099
; %bb.59031:
	s_getpc_b64 s[14:15]
.Lpost_getpc15179:
	s_add_u32 s14, s14, (.LBB1_8855-.Lpost_getpc15179)&4294967295
	s_addc_u32 s15, s15, (.LBB1_8855-.Lpost_getpc15179)>>32
	s_setpc_b64 s[14:15]
.LBB1_33099:
	s_getpc_b64 s[14:15]
.Lpost_getpc2213:
	s_add_u32 s14, s14, (.LBB1_8856-.Lpost_getpc2213)&4294967295
	s_addc_u32 s15, s15, (.LBB1_8856-.Lpost_getpc2213)>>32
	s_setpc_b64 s[14:15]
.LBB1_23193:
	s_movk_i32 s4, 0x80
	v_cmp_eq_u16_sdwa s[12:13], v6, s4 src0_sel:BYTE_3 src1_sel:DWORD
	s_mov_b64 s[4:5], -1
                                        ; implicit-def: $sgpr10
	s_and_saveexec_b64 s[8:9], s[12:13]
; %bb.23194:
	s_mov_b32 s10, 0x7f800001
	s_xor_b64 s[4:5], exec, -1
; %bb.23195:
	s_or_b64 exec, exec, s[8:9]
	s_and_b64 s[4:5], s[4:5], exec
	s_or_saveexec_b64 s[6:7], s[6:7]
	v_mov_b32_e32 v12, s10
	s_xor_b64 exec, exec, s[6:7]
	s_cbranch_execnz .LBB1_23196
; %bb.59033:
	s_getpc_b64 s[14:15]
.Lpost_getpc15180:
	s_add_u32 s14, s14, (.LBB1_8858-.Lpost_getpc15180)&4294967295
	s_addc_u32 s15, s15, (.LBB1_8858-.Lpost_getpc15180)>>32
	s_setpc_b64 s[14:15]
.LBB1_23196:
	v_mov_b32_e32 v12, 0
	v_cmp_ne_u16_sdwa s[8:9], v6, v12 src0_sel:BYTE_3 src1_sel:DWORD
	s_andn2_b64 s[4:5], s[4:5], exec
	s_and_b64 s[8:9], s[8:9], exec
	s_or_b64 s[4:5], s[4:5], s[8:9]
	s_or_b64 exec, exec, s[6:7]
	s_and_saveexec_b64 s[6:7], s[4:5]
	s_cbranch_execz .LBB1_33101
; %bb.59035:
	s_getpc_b64 s[14:15]
.Lpost_getpc15181:
	s_add_u32 s14, s14, (.LBB1_8859-.Lpost_getpc15181)&4294967295
	s_addc_u32 s15, s15, (.LBB1_8859-.Lpost_getpc15181)>>32
	s_setpc_b64 s[14:15]
.LBB1_33101:
	s_getpc_b64 s[14:15]
.Lpost_getpc2214:
	s_add_u32 s14, s14, (.LBB1_8860-.Lpost_getpc2214)&4294967295
	s_addc_u32 s15, s15, (.LBB1_8860-.Lpost_getpc2214)>>32
	s_setpc_b64 s[14:15]
.LBB1_23197:
	s_movk_i32 s4, 0x80
	v_cmp_eq_u16_sdwa s[12:13], v2, s4 src0_sel:BYTE_3 src1_sel:DWORD
	s_mov_b64 s[4:5], -1
                                        ; implicit-def: $sgpr10
	s_and_saveexec_b64 s[8:9], s[12:13]
; %bb.23198:
	s_mov_b32 s10, 0x7f800001
	s_xor_b64 s[4:5], exec, -1
; %bb.23199:
	s_or_b64 exec, exec, s[8:9]
	s_and_b64 s[4:5], s[4:5], exec
	s_or_saveexec_b64 s[6:7], s[6:7]
	v_mov_b32_e32 v6, s10
	s_xor_b64 exec, exec, s[6:7]
	s_cbranch_execnz .LBB1_23200
; %bb.59037:
	s_getpc_b64 s[14:15]
.Lpost_getpc15182:
	s_add_u32 s14, s14, (.LBB1_8862-.Lpost_getpc15182)&4294967295
	s_addc_u32 s15, s15, (.LBB1_8862-.Lpost_getpc15182)>>32
	s_setpc_b64 s[14:15]
.LBB1_23200:
	v_mov_b32_e32 v6, 0
	v_cmp_ne_u16_sdwa s[8:9], v2, v6 src0_sel:BYTE_3 src1_sel:DWORD
	s_andn2_b64 s[4:5], s[4:5], exec
	s_and_b64 s[8:9], s[8:9], exec
	s_or_b64 s[4:5], s[4:5], s[8:9]
	s_or_b64 exec, exec, s[6:7]
	s_and_saveexec_b64 s[6:7], s[4:5]
	s_cbranch_execz .LBB1_33103
; %bb.59039:
	s_getpc_b64 s[14:15]
.Lpost_getpc15183:
	s_add_u32 s14, s14, (.LBB1_8863-.Lpost_getpc15183)&4294967295
	s_addc_u32 s15, s15, (.LBB1_8863-.Lpost_getpc15183)>>32
	s_setpc_b64 s[14:15]
.LBB1_33103:
	s_getpc_b64 s[14:15]
.Lpost_getpc2215:
	s_add_u32 s14, s14, (.LBB1_8864-.Lpost_getpc2215)&4294967295
	s_addc_u32 s15, s15, (.LBB1_8864-.Lpost_getpc2215)>>32
	s_setpc_b64 s[14:15]
.LBB1_23201:
	s_movk_i32 s4, 0x80
	v_cmp_eq_u16_sdwa s[12:13], v7, s4 src0_sel:BYTE_0 src1_sel:DWORD
	s_mov_b64 s[4:5], -1
                                        ; implicit-def: $sgpr10
	s_and_saveexec_b64 s[8:9], s[12:13]
; %bb.23202:
	s_mov_b32 s10, 0x7f800001
	s_xor_b64 s[4:5], exec, -1
; %bb.23203:
	s_or_b64 exec, exec, s[8:9]
	s_and_b64 s[4:5], s[4:5], exec
	s_or_saveexec_b64 s[6:7], s[6:7]
	v_mov_b32_e32 v2, s10
	s_xor_b64 exec, exec, s[6:7]
	s_cbranch_execnz .LBB1_23204
; %bb.59041:
	s_getpc_b64 s[14:15]
.Lpost_getpc15184:
	s_add_u32 s14, s14, (.LBB1_8866-.Lpost_getpc15184)&4294967295
	s_addc_u32 s15, s15, (.LBB1_8866-.Lpost_getpc15184)>>32
	s_setpc_b64 s[14:15]
.LBB1_23204:
	v_mov_b32_e32 v2, 0
	v_cmp_ne_u16_sdwa s[8:9], v7, v2 src0_sel:BYTE_0 src1_sel:DWORD
	s_andn2_b64 s[4:5], s[4:5], exec
	s_and_b64 s[8:9], s[8:9], exec
	s_or_b64 s[4:5], s[4:5], s[8:9]
	s_or_b64 exec, exec, s[6:7]
	s_and_saveexec_b64 s[6:7], s[4:5]
	s_cbranch_execz .LBB1_33105
; %bb.59043:
	s_getpc_b64 s[14:15]
.Lpost_getpc15185:
	s_add_u32 s14, s14, (.LBB1_8867-.Lpost_getpc15185)&4294967295
	s_addc_u32 s15, s15, (.LBB1_8867-.Lpost_getpc15185)>>32
	s_setpc_b64 s[14:15]
.LBB1_33105:
	s_getpc_b64 s[14:15]
.Lpost_getpc2216:
	s_add_u32 s14, s14, (.LBB1_8868-.Lpost_getpc2216)&4294967295
	s_addc_u32 s15, s15, (.LBB1_8868-.Lpost_getpc2216)>>32
	s_setpc_b64 s[14:15]
.LBB1_23205:
	s_movk_i32 s4, 0x80
	v_cmp_eq_u16_sdwa s[12:13], v3, s4 src0_sel:BYTE_0 src1_sel:DWORD
	s_mov_b64 s[4:5], -1
                                        ; implicit-def: $sgpr10
	s_and_saveexec_b64 s[8:9], s[12:13]
; %bb.23206:
	s_mov_b32 s10, 0x7f800001
	s_xor_b64 s[4:5], exec, -1
; %bb.23207:
	s_or_b64 exec, exec, s[8:9]
	s_and_b64 s[4:5], s[4:5], exec
	s_or_saveexec_b64 s[6:7], s[6:7]
	v_mov_b32_e32 v6, s10
	s_xor_b64 exec, exec, s[6:7]
	s_cbranch_execnz .LBB1_23208
; %bb.59045:
	s_getpc_b64 s[14:15]
.Lpost_getpc15186:
	s_add_u32 s14, s14, (.LBB1_8870-.Lpost_getpc15186)&4294967295
	s_addc_u32 s15, s15, (.LBB1_8870-.Lpost_getpc15186)>>32
	s_setpc_b64 s[14:15]
.LBB1_23208:
	v_mov_b32_e32 v6, 0
	v_cmp_ne_u16_sdwa s[8:9], v3, v6 src0_sel:BYTE_0 src1_sel:DWORD
	s_andn2_b64 s[4:5], s[4:5], exec
	s_and_b64 s[8:9], s[8:9], exec
	s_or_b64 s[4:5], s[4:5], s[8:9]
	s_or_b64 exec, exec, s[6:7]
	s_and_saveexec_b64 s[6:7], s[4:5]
	s_cbranch_execz .LBB1_33107
; %bb.59047:
	s_getpc_b64 s[14:15]
.Lpost_getpc15187:
	s_add_u32 s14, s14, (.LBB1_8871-.Lpost_getpc15187)&4294967295
	s_addc_u32 s15, s15, (.LBB1_8871-.Lpost_getpc15187)>>32
	s_setpc_b64 s[14:15]
.LBB1_33107:
	s_getpc_b64 s[14:15]
.Lpost_getpc2217:
	s_add_u32 s14, s14, (.LBB1_8872-.Lpost_getpc2217)&4294967295
	s_addc_u32 s15, s15, (.LBB1_8872-.Lpost_getpc2217)>>32
	s_setpc_b64 s[14:15]
.LBB1_23209:
	s_movk_i32 s4, 0x80
	v_cmp_eq_u16_sdwa s[12:13], v6, s4 src0_sel:BYTE_0 src1_sel:DWORD
	s_mov_b64 s[4:5], -1
                                        ; implicit-def: $sgpr10
	s_and_saveexec_b64 s[8:9], s[12:13]
; %bb.23210:
	s_mov_b32 s10, 0x7f800001
	s_xor_b64 s[4:5], exec, -1
; %bb.23211:
	s_or_b64 exec, exec, s[8:9]
	s_and_b64 s[4:5], s[4:5], exec
	s_or_saveexec_b64 s[6:7], s[6:7]
	v_mov_b32_e32 v2, s10
	s_xor_b64 exec, exec, s[6:7]
	s_cbranch_execnz .LBB1_23212
; %bb.59049:
	s_getpc_b64 s[14:15]
.Lpost_getpc15188:
	s_add_u32 s14, s14, (.LBB1_8874-.Lpost_getpc15188)&4294967295
	s_addc_u32 s15, s15, (.LBB1_8874-.Lpost_getpc15188)>>32
	s_setpc_b64 s[14:15]
.LBB1_23212:
	v_mov_b32_e32 v2, 0
	v_cmp_ne_u16_sdwa s[8:9], v6, v2 src0_sel:BYTE_0 src1_sel:DWORD
	s_andn2_b64 s[4:5], s[4:5], exec
	s_and_b64 s[8:9], s[8:9], exec
	s_or_b64 s[4:5], s[4:5], s[8:9]
	s_or_b64 exec, exec, s[6:7]
	s_and_saveexec_b64 s[6:7], s[4:5]
	s_cbranch_execz .LBB1_33109
; %bb.59051:
	s_getpc_b64 s[14:15]
.Lpost_getpc15189:
	s_add_u32 s14, s14, (.LBB1_8875-.Lpost_getpc15189)&4294967295
	s_addc_u32 s15, s15, (.LBB1_8875-.Lpost_getpc15189)>>32
	s_setpc_b64 s[14:15]
.LBB1_33109:
	s_getpc_b64 s[14:15]
.Lpost_getpc2218:
	s_add_u32 s14, s14, (.LBB1_8876-.Lpost_getpc2218)&4294967295
	s_addc_u32 s15, s15, (.LBB1_8876-.Lpost_getpc2218)>>32
	s_setpc_b64 s[14:15]
.LBB1_23213:
	s_movk_i32 s4, 0x80
	v_cmp_eq_u16_sdwa s[12:13], v6, s4 src0_sel:BYTE_0 src1_sel:DWORD
	s_mov_b64 s[4:5], -1
                                        ; implicit-def: $sgpr10
	s_and_saveexec_b64 s[8:9], s[12:13]
; %bb.23214:
	s_mov_b32 s10, 0x7f800001
	s_xor_b64 s[4:5], exec, -1
; %bb.23215:
	s_or_b64 exec, exec, s[8:9]
	s_and_b64 s[4:5], s[4:5], exec
	s_or_saveexec_b64 s[6:7], s[6:7]
	v_mov_b32_e32 v12, s10
	s_xor_b64 exec, exec, s[6:7]
	s_cbranch_execnz .LBB1_23216
; %bb.59053:
	s_getpc_b64 s[14:15]
.Lpost_getpc15190:
	s_add_u32 s14, s14, (.LBB1_8878-.Lpost_getpc15190)&4294967295
	s_addc_u32 s15, s15, (.LBB1_8878-.Lpost_getpc15190)>>32
	s_setpc_b64 s[14:15]
.LBB1_23216:
	v_mov_b32_e32 v12, 0
	v_cmp_ne_u16_sdwa s[8:9], v6, v12 src0_sel:BYTE_0 src1_sel:DWORD
	s_andn2_b64 s[4:5], s[4:5], exec
	s_and_b64 s[8:9], s[8:9], exec
	s_or_b64 s[4:5], s[4:5], s[8:9]
	s_or_b64 exec, exec, s[6:7]
	s_and_saveexec_b64 s[6:7], s[4:5]
	s_cbranch_execz .LBB1_33111
; %bb.59055:
	s_getpc_b64 s[14:15]
.Lpost_getpc15191:
	s_add_u32 s14, s14, (.LBB1_8879-.Lpost_getpc15191)&4294967295
	s_addc_u32 s15, s15, (.LBB1_8879-.Lpost_getpc15191)>>32
	s_setpc_b64 s[14:15]
.LBB1_33111:
	s_getpc_b64 s[14:15]
.Lpost_getpc2219:
	s_add_u32 s14, s14, (.LBB1_8880-.Lpost_getpc2219)&4294967295
	s_addc_u32 s15, s15, (.LBB1_8880-.Lpost_getpc2219)>>32
	s_setpc_b64 s[14:15]
.LBB1_23217:
	s_movk_i32 s4, 0x80
	v_cmp_eq_u16_e32 vcc, s4, v6
	s_mov_b64 s[4:5], -1
                                        ; implicit-def: $sgpr10
	s_and_saveexec_b64 s[8:9], vcc
; %bb.23218:
	s_mov_b32 s10, 0x7f800001
	s_xor_b64 s[4:5], exec, -1
; %bb.23219:
	s_or_b64 exec, exec, s[8:9]
	s_and_b64 s[4:5], s[4:5], exec
                                        ; implicit-def: $vgpr6
	s_or_saveexec_b64 s[6:7], s[6:7]
	v_mov_b32_e32 v2, s10
	s_xor_b64 exec, exec, s[6:7]
	s_cbranch_execnz .LBB1_23220
; %bb.59057:
	s_getpc_b64 s[14:15]
.Lpost_getpc15192:
	s_add_u32 s14, s14, (.LBB1_8882-.Lpost_getpc15192)&4294967295
	s_addc_u32 s15, s15, (.LBB1_8882-.Lpost_getpc15192)>>32
	s_setpc_b64 s[14:15]
.LBB1_23220:
	v_cmp_ne_u16_e32 vcc, 0, v6
	s_andn2_b64 s[4:5], s[4:5], exec
	s_and_b64 s[8:9], vcc, exec
	v_mov_b32_e32 v2, 0
	s_or_b64 s[4:5], s[4:5], s[8:9]
	s_or_b64 exec, exec, s[6:7]
	s_and_saveexec_b64 s[6:7], s[4:5]
	s_cbranch_execz .LBB1_33113
; %bb.59059:
	s_getpc_b64 s[14:15]
.Lpost_getpc15193:
	s_add_u32 s14, s14, (.LBB1_8883-.Lpost_getpc15193)&4294967295
	s_addc_u32 s15, s15, (.LBB1_8883-.Lpost_getpc15193)>>32
	s_setpc_b64 s[14:15]
.LBB1_33113:
	s_getpc_b64 s[14:15]
.Lpost_getpc2220:
	s_add_u32 s14, s14, (.LBB1_8884-.Lpost_getpc2220)&4294967295
	s_addc_u32 s15, s15, (.LBB1_8884-.Lpost_getpc2220)>>32
	s_setpc_b64 s[14:15]
.LBB1_23221:
	s_movk_i32 s4, 0x80
	v_cmp_eq_u16_e32 vcc, s4, v6
	s_mov_b64 s[4:5], -1
                                        ; implicit-def: $sgpr10
	s_and_saveexec_b64 s[8:9], vcc
; %bb.23222:
	s_mov_b32 s10, 0x7f800001
	s_xor_b64 s[4:5], exec, -1
; %bb.23223:
	s_or_b64 exec, exec, s[8:9]
	s_and_b64 s[4:5], s[4:5], exec
                                        ; implicit-def: $vgpr6
	s_or_saveexec_b64 s[6:7], s[6:7]
	v_mov_b32_e32 v12, s10
	s_xor_b64 exec, exec, s[6:7]
	s_cbranch_execnz .LBB1_23224
; %bb.59061:
	s_getpc_b64 s[14:15]
.Lpost_getpc15194:
	s_add_u32 s14, s14, (.LBB1_8886-.Lpost_getpc15194)&4294967295
	s_addc_u32 s15, s15, (.LBB1_8886-.Lpost_getpc15194)>>32
	s_setpc_b64 s[14:15]
.LBB1_23224:
	v_cmp_ne_u16_e32 vcc, 0, v6
	s_andn2_b64 s[4:5], s[4:5], exec
	s_and_b64 s[8:9], vcc, exec
	v_mov_b32_e32 v12, 0
	s_or_b64 s[4:5], s[4:5], s[8:9]
	s_or_b64 exec, exec, s[6:7]
	s_and_saveexec_b64 s[6:7], s[4:5]
	s_cbranch_execz .LBB1_33115
; %bb.59063:
	s_getpc_b64 s[14:15]
.Lpost_getpc15195:
	s_add_u32 s14, s14, (.LBB1_8887-.Lpost_getpc15195)&4294967295
	s_addc_u32 s15, s15, (.LBB1_8887-.Lpost_getpc15195)>>32
	s_setpc_b64 s[14:15]
.LBB1_33115:
	s_getpc_b64 s[14:15]
.Lpost_getpc2221:
	s_add_u32 s14, s14, (.LBB1_8888-.Lpost_getpc2221)&4294967295
	s_addc_u32 s15, s15, (.LBB1_8888-.Lpost_getpc2221)>>32
	s_setpc_b64 s[14:15]
.LBB1_23225:
	s_movk_i32 s4, 0x80
	v_cmp_eq_u16_sdwa s[12:13], v7, s4 src0_sel:BYTE_3 src1_sel:DWORD
	s_mov_b64 s[4:5], -1
                                        ; implicit-def: $sgpr10
	s_and_saveexec_b64 s[8:9], s[12:13]
; %bb.23226:
	s_mov_b32 s10, 0x7f800001
	s_xor_b64 s[4:5], exec, -1
; %bb.23227:
	s_or_b64 exec, exec, s[8:9]
	s_and_b64 s[4:5], s[4:5], exec
	s_or_saveexec_b64 s[6:7], s[6:7]
	v_mov_b32_e32 v2, s10
	s_xor_b64 exec, exec, s[6:7]
	s_cbranch_execnz .LBB1_23228
; %bb.59065:
	s_getpc_b64 s[14:15]
.Lpost_getpc15196:
	s_add_u32 s14, s14, (.LBB1_8890-.Lpost_getpc15196)&4294967295
	s_addc_u32 s15, s15, (.LBB1_8890-.Lpost_getpc15196)>>32
	s_setpc_b64 s[14:15]
.LBB1_23228:
	v_mov_b32_e32 v2, 0
	v_cmp_ne_u16_sdwa s[8:9], v7, v2 src0_sel:BYTE_3 src1_sel:DWORD
	s_andn2_b64 s[4:5], s[4:5], exec
	s_and_b64 s[8:9], s[8:9], exec
	s_or_b64 s[4:5], s[4:5], s[8:9]
	s_or_b64 exec, exec, s[6:7]
	s_and_saveexec_b64 s[6:7], s[4:5]
	s_cbranch_execz .LBB1_33117
; %bb.59067:
	s_getpc_b64 s[14:15]
.Lpost_getpc15197:
	s_add_u32 s14, s14, (.LBB1_8891-.Lpost_getpc15197)&4294967295
	s_addc_u32 s15, s15, (.LBB1_8891-.Lpost_getpc15197)>>32
	s_setpc_b64 s[14:15]
.LBB1_33117:
	s_getpc_b64 s[14:15]
.Lpost_getpc2222:
	s_add_u32 s14, s14, (.LBB1_8892-.Lpost_getpc2222)&4294967295
	s_addc_u32 s15, s15, (.LBB1_8892-.Lpost_getpc2222)>>32
	s_setpc_b64 s[14:15]
.LBB1_23229:
	s_movk_i32 s4, 0x80
	v_cmp_eq_u16_sdwa s[12:13], v3, s4 src0_sel:BYTE_3 src1_sel:DWORD
	s_mov_b64 s[4:5], -1
                                        ; implicit-def: $sgpr10
	s_and_saveexec_b64 s[8:9], s[12:13]
; %bb.23230:
	s_mov_b32 s10, 0x7f800001
	s_xor_b64 s[4:5], exec, -1
; %bb.23231:
	s_or_b64 exec, exec, s[8:9]
	s_and_b64 s[4:5], s[4:5], exec
	s_or_saveexec_b64 s[6:7], s[6:7]
	v_mov_b32_e32 v6, s10
	s_xor_b64 exec, exec, s[6:7]
	s_cbranch_execnz .LBB1_23232
; %bb.59069:
	s_getpc_b64 s[14:15]
.Lpost_getpc15198:
	s_add_u32 s14, s14, (.LBB1_8894-.Lpost_getpc15198)&4294967295
	s_addc_u32 s15, s15, (.LBB1_8894-.Lpost_getpc15198)>>32
	s_setpc_b64 s[14:15]
.LBB1_23232:
	v_mov_b32_e32 v6, 0
	v_cmp_ne_u16_sdwa s[8:9], v3, v6 src0_sel:BYTE_3 src1_sel:DWORD
	s_andn2_b64 s[4:5], s[4:5], exec
	s_and_b64 s[8:9], s[8:9], exec
	s_or_b64 s[4:5], s[4:5], s[8:9]
	s_or_b64 exec, exec, s[6:7]
	s_and_saveexec_b64 s[6:7], s[4:5]
	s_cbranch_execz .LBB1_33119
; %bb.59071:
	s_getpc_b64 s[14:15]
.Lpost_getpc15199:
	s_add_u32 s14, s14, (.LBB1_8895-.Lpost_getpc15199)&4294967295
	s_addc_u32 s15, s15, (.LBB1_8895-.Lpost_getpc15199)>>32
	s_setpc_b64 s[14:15]
.LBB1_33119:
	s_getpc_b64 s[14:15]
.Lpost_getpc2223:
	s_add_u32 s14, s14, (.LBB1_8896-.Lpost_getpc2223)&4294967295
	s_addc_u32 s15, s15, (.LBB1_8896-.Lpost_getpc2223)>>32
	s_setpc_b64 s[14:15]
.LBB1_23233:
	s_movk_i32 s4, 0x80
	v_cmp_eq_u16_sdwa s[12:13], v8, s4 src0_sel:BYTE_0 src1_sel:DWORD
	s_mov_b64 s[4:5], -1
                                        ; implicit-def: $sgpr10
	s_and_saveexec_b64 s[8:9], s[12:13]
; %bb.23234:
	s_mov_b32 s10, 0x7f800001
	s_xor_b64 s[4:5], exec, -1
; %bb.23235:
	s_or_b64 exec, exec, s[8:9]
	s_and_b64 s[4:5], s[4:5], exec
	s_or_saveexec_b64 s[6:7], s[6:7]
	v_mov_b32_e32 v2, s10
	s_xor_b64 exec, exec, s[6:7]
	s_cbranch_execnz .LBB1_23236
; %bb.59073:
	s_getpc_b64 s[14:15]
.Lpost_getpc15200:
	s_add_u32 s14, s14, (.LBB1_8898-.Lpost_getpc15200)&4294967295
	s_addc_u32 s15, s15, (.LBB1_8898-.Lpost_getpc15200)>>32
	s_setpc_b64 s[14:15]
.LBB1_23236:
	v_mov_b32_e32 v2, 0
	v_cmp_ne_u16_sdwa s[8:9], v8, v2 src0_sel:BYTE_0 src1_sel:DWORD
	s_andn2_b64 s[4:5], s[4:5], exec
	s_and_b64 s[8:9], s[8:9], exec
	s_or_b64 s[4:5], s[4:5], s[8:9]
	s_or_b64 exec, exec, s[6:7]
	s_and_saveexec_b64 s[6:7], s[4:5]
	s_cbranch_execz .LBB1_33121
; %bb.59075:
	s_getpc_b64 s[14:15]
.Lpost_getpc15201:
	s_add_u32 s14, s14, (.LBB1_8899-.Lpost_getpc15201)&4294967295
	s_addc_u32 s15, s15, (.LBB1_8899-.Lpost_getpc15201)>>32
	s_setpc_b64 s[14:15]
.LBB1_33121:
	s_getpc_b64 s[14:15]
.Lpost_getpc2224:
	s_add_u32 s14, s14, (.LBB1_8900-.Lpost_getpc2224)&4294967295
	s_addc_u32 s15, s15, (.LBB1_8900-.Lpost_getpc2224)>>32
	s_setpc_b64 s[14:15]
.LBB1_23237:
	s_movk_i32 s4, 0x80
	v_cmp_eq_u16_sdwa s[12:13], v4, s4 src0_sel:BYTE_0 src1_sel:DWORD
	s_mov_b64 s[4:5], -1
                                        ; implicit-def: $sgpr10
	s_and_saveexec_b64 s[8:9], s[12:13]
; %bb.23238:
	s_mov_b32 s10, 0x7f800001
	s_xor_b64 s[4:5], exec, -1
; %bb.23239:
	s_or_b64 exec, exec, s[8:9]
	s_and_b64 s[4:5], s[4:5], exec
	s_or_saveexec_b64 s[6:7], s[6:7]
	v_mov_b32_e32 v3, s10
	s_xor_b64 exec, exec, s[6:7]
	s_cbranch_execnz .LBB1_23240
; %bb.59077:
	s_getpc_b64 s[14:15]
.Lpost_getpc15202:
	s_add_u32 s14, s14, (.LBB1_8902-.Lpost_getpc15202)&4294967295
	s_addc_u32 s15, s15, (.LBB1_8902-.Lpost_getpc15202)>>32
	s_setpc_b64 s[14:15]
.LBB1_23240:
	v_mov_b32_e32 v3, 0
	v_cmp_ne_u16_sdwa s[8:9], v4, v3 src0_sel:BYTE_0 src1_sel:DWORD
	s_andn2_b64 s[4:5], s[4:5], exec
	s_and_b64 s[8:9], s[8:9], exec
	s_or_b64 s[4:5], s[4:5], s[8:9]
	s_or_b64 exec, exec, s[6:7]
	s_and_saveexec_b64 s[6:7], s[4:5]
	s_cbranch_execz .LBB1_33123
; %bb.59079:
	s_getpc_b64 s[14:15]
.Lpost_getpc15203:
	s_add_u32 s14, s14, (.LBB1_8903-.Lpost_getpc15203)&4294967295
	s_addc_u32 s15, s15, (.LBB1_8903-.Lpost_getpc15203)>>32
	s_setpc_b64 s[14:15]
.LBB1_33123:
	s_getpc_b64 s[14:15]
.Lpost_getpc2225:
	s_add_u32 s14, s14, (.LBB1_8904-.Lpost_getpc2225)&4294967295
	s_addc_u32 s15, s15, (.LBB1_8904-.Lpost_getpc2225)>>32
	s_setpc_b64 s[14:15]
.LBB1_23241:
	s_movk_i32 s4, 0x80
	v_cmp_eq_u16_sdwa s[12:13], v3, s4 src0_sel:BYTE_0 src1_sel:DWORD
	s_mov_b64 s[4:5], -1
                                        ; implicit-def: $sgpr10
	s_and_saveexec_b64 s[8:9], s[12:13]
; %bb.23242:
	s_mov_b32 s10, 0x7f800001
	s_xor_b64 s[4:5], exec, -1
; %bb.23243:
	s_or_b64 exec, exec, s[8:9]
	s_and_b64 s[4:5], s[4:5], exec
	s_or_saveexec_b64 s[6:7], s[6:7]
	v_mov_b32_e32 v2, s10
	s_xor_b64 exec, exec, s[6:7]
	s_cbranch_execnz .LBB1_23244
; %bb.59081:
	s_getpc_b64 s[14:15]
.Lpost_getpc15204:
	s_add_u32 s14, s14, (.LBB1_8906-.Lpost_getpc15204)&4294967295
	s_addc_u32 s15, s15, (.LBB1_8906-.Lpost_getpc15204)>>32
	s_setpc_b64 s[14:15]
.LBB1_23244:
	v_mov_b32_e32 v2, 0
	v_cmp_ne_u16_sdwa s[8:9], v3, v2 src0_sel:BYTE_0 src1_sel:DWORD
	s_andn2_b64 s[4:5], s[4:5], exec
	s_and_b64 s[8:9], s[8:9], exec
	s_or_b64 s[4:5], s[4:5], s[8:9]
	s_or_b64 exec, exec, s[6:7]
	s_and_saveexec_b64 s[6:7], s[4:5]
	s_cbranch_execz .LBB1_33125
; %bb.59083:
	s_getpc_b64 s[14:15]
.Lpost_getpc15205:
	s_add_u32 s14, s14, (.LBB1_8907-.Lpost_getpc15205)&4294967295
	s_addc_u32 s15, s15, (.LBB1_8907-.Lpost_getpc15205)>>32
	s_setpc_b64 s[14:15]
.LBB1_33125:
	s_getpc_b64 s[14:15]
.Lpost_getpc2226:
	s_add_u32 s14, s14, (.LBB1_8908-.Lpost_getpc2226)&4294967295
	s_addc_u32 s15, s15, (.LBB1_8908-.Lpost_getpc2226)>>32
	s_setpc_b64 s[14:15]
.LBB1_23245:
	s_movk_i32 s4, 0x80
	v_cmp_eq_u16_sdwa s[12:13], v3, s4 src0_sel:BYTE_0 src1_sel:DWORD
	s_mov_b64 s[4:5], -1
                                        ; implicit-def: $sgpr10
	s_and_saveexec_b64 s[8:9], s[12:13]
; %bb.23246:
	s_mov_b32 s10, 0x7f800001
	s_xor_b64 s[4:5], exec, -1
; %bb.23247:
	s_or_b64 exec, exec, s[8:9]
	s_and_b64 s[4:5], s[4:5], exec
	s_or_saveexec_b64 s[6:7], s[6:7]
	v_mov_b32_e32 v6, s10
	s_xor_b64 exec, exec, s[6:7]
	s_cbranch_execnz .LBB1_23248
; %bb.59085:
	s_getpc_b64 s[14:15]
.Lpost_getpc15206:
	s_add_u32 s14, s14, (.LBB1_8910-.Lpost_getpc15206)&4294967295
	s_addc_u32 s15, s15, (.LBB1_8910-.Lpost_getpc15206)>>32
	s_setpc_b64 s[14:15]
.LBB1_23248:
	v_mov_b32_e32 v6, 0
	v_cmp_ne_u16_sdwa s[8:9], v3, v6 src0_sel:BYTE_0 src1_sel:DWORD
	s_andn2_b64 s[4:5], s[4:5], exec
	s_and_b64 s[8:9], s[8:9], exec
	s_or_b64 s[4:5], s[4:5], s[8:9]
	s_or_b64 exec, exec, s[6:7]
	s_and_saveexec_b64 s[6:7], s[4:5]
	s_cbranch_execz .LBB1_33127
; %bb.59087:
	s_getpc_b64 s[14:15]
.Lpost_getpc15207:
	s_add_u32 s14, s14, (.LBB1_8911-.Lpost_getpc15207)&4294967295
	s_addc_u32 s15, s15, (.LBB1_8911-.Lpost_getpc15207)>>32
	s_setpc_b64 s[14:15]
.LBB1_33127:
	s_getpc_b64 s[14:15]
.Lpost_getpc2227:
	s_add_u32 s14, s14, (.LBB1_8912-.Lpost_getpc2227)&4294967295
	s_addc_u32 s15, s15, (.LBB1_8912-.Lpost_getpc2227)>>32
	s_setpc_b64 s[14:15]
.LBB1_23249:
	s_movk_i32 s4, 0x80
	v_cmp_eq_u16_e32 vcc, s4, v3
	s_mov_b64 s[4:5], -1
                                        ; implicit-def: $sgpr10
	s_and_saveexec_b64 s[8:9], vcc
; %bb.23250:
	s_mov_b32 s10, 0x7f800001
	s_xor_b64 s[4:5], exec, -1
; %bb.23251:
	s_or_b64 exec, exec, s[8:9]
	s_and_b64 s[4:5], s[4:5], exec
                                        ; implicit-def: $vgpr3
	s_or_saveexec_b64 s[6:7], s[6:7]
	v_mov_b32_e32 v2, s10
	s_xor_b64 exec, exec, s[6:7]
	s_cbranch_execnz .LBB1_23252
; %bb.59089:
	s_getpc_b64 s[14:15]
.Lpost_getpc15208:
	s_add_u32 s14, s14, (.LBB1_8914-.Lpost_getpc15208)&4294967295
	s_addc_u32 s15, s15, (.LBB1_8914-.Lpost_getpc15208)>>32
	s_setpc_b64 s[14:15]
.LBB1_23252:
	v_cmp_ne_u16_e32 vcc, 0, v3
	s_andn2_b64 s[4:5], s[4:5], exec
	s_and_b64 s[8:9], vcc, exec
	v_mov_b32_e32 v2, 0
	s_or_b64 s[4:5], s[4:5], s[8:9]
	s_or_b64 exec, exec, s[6:7]
	s_and_saveexec_b64 s[6:7], s[4:5]
	s_cbranch_execz .LBB1_33129
; %bb.59091:
	s_getpc_b64 s[14:15]
.Lpost_getpc15209:
	s_add_u32 s14, s14, (.LBB1_8915-.Lpost_getpc15209)&4294967295
	s_addc_u32 s15, s15, (.LBB1_8915-.Lpost_getpc15209)>>32
	s_setpc_b64 s[14:15]
.LBB1_33129:
	s_getpc_b64 s[14:15]
.Lpost_getpc2228:
	s_add_u32 s14, s14, (.LBB1_8916-.Lpost_getpc2228)&4294967295
	s_addc_u32 s15, s15, (.LBB1_8916-.Lpost_getpc2228)>>32
	s_setpc_b64 s[14:15]
.LBB1_23253:
	s_movk_i32 s4, 0x80
	v_cmp_eq_u16_e32 vcc, s4, v3
	s_mov_b64 s[4:5], -1
                                        ; implicit-def: $sgpr10
	s_and_saveexec_b64 s[8:9], vcc
; %bb.23254:
	s_mov_b32 s10, 0x7f800001
	s_xor_b64 s[4:5], exec, -1
; %bb.23255:
	s_or_b64 exec, exec, s[8:9]
	s_and_b64 s[4:5], s[4:5], exec
                                        ; implicit-def: $vgpr3
	s_or_saveexec_b64 s[6:7], s[6:7]
	v_mov_b32_e32 v6, s10
	s_xor_b64 exec, exec, s[6:7]
	s_cbranch_execnz .LBB1_23256
; %bb.59093:
	s_getpc_b64 s[14:15]
.Lpost_getpc15210:
	s_add_u32 s14, s14, (.LBB1_8918-.Lpost_getpc15210)&4294967295
	s_addc_u32 s15, s15, (.LBB1_8918-.Lpost_getpc15210)>>32
	s_setpc_b64 s[14:15]
.LBB1_23256:
	v_cmp_ne_u16_e32 vcc, 0, v3
	s_andn2_b64 s[4:5], s[4:5], exec
	s_and_b64 s[8:9], vcc, exec
	v_mov_b32_e32 v6, 0
	s_or_b64 s[4:5], s[4:5], s[8:9]
	s_or_b64 exec, exec, s[6:7]
	s_and_saveexec_b64 s[6:7], s[4:5]
	s_cbranch_execz .LBB1_33131
; %bb.59095:
	s_getpc_b64 s[14:15]
.Lpost_getpc15211:
	s_add_u32 s14, s14, (.LBB1_8919-.Lpost_getpc15211)&4294967295
	s_addc_u32 s15, s15, (.LBB1_8919-.Lpost_getpc15211)>>32
	s_setpc_b64 s[14:15]
.LBB1_33131:
	s_getpc_b64 s[14:15]
.Lpost_getpc2229:
	s_add_u32 s14, s14, (.LBB1_8920-.Lpost_getpc2229)&4294967295
	s_addc_u32 s15, s15, (.LBB1_8920-.Lpost_getpc2229)>>32
	s_setpc_b64 s[14:15]
.LBB1_23257:
	s_movk_i32 s4, 0x80
	v_cmp_eq_u16_sdwa s[12:13], v8, s4 src0_sel:BYTE_3 src1_sel:DWORD
	s_mov_b64 s[4:5], -1
                                        ; implicit-def: $sgpr10
	s_and_saveexec_b64 s[8:9], s[12:13]
; %bb.23258:
	s_mov_b32 s10, 0x7f800001
	s_xor_b64 s[4:5], exec, -1
; %bb.23259:
	s_or_b64 exec, exec, s[8:9]
	s_and_b64 s[4:5], s[4:5], exec
	s_or_saveexec_b64 s[6:7], s[6:7]
	v_mov_b32_e32 v2, s10
	s_xor_b64 exec, exec, s[6:7]
	s_cbranch_execnz .LBB1_23260
; %bb.59097:
	s_getpc_b64 s[14:15]
.Lpost_getpc15212:
	s_add_u32 s14, s14, (.LBB1_8922-.Lpost_getpc15212)&4294967295
	s_addc_u32 s15, s15, (.LBB1_8922-.Lpost_getpc15212)>>32
	s_setpc_b64 s[14:15]
.LBB1_23260:
	v_mov_b32_e32 v2, 0
	v_cmp_ne_u16_sdwa s[8:9], v8, v2 src0_sel:BYTE_3 src1_sel:DWORD
	s_andn2_b64 s[4:5], s[4:5], exec
	s_and_b64 s[8:9], s[8:9], exec
	s_or_b64 s[4:5], s[4:5], s[8:9]
	s_or_b64 exec, exec, s[6:7]
	s_and_saveexec_b64 s[6:7], s[4:5]
	s_cbranch_execz .LBB1_33133
; %bb.59099:
	s_getpc_b64 s[14:15]
.Lpost_getpc15213:
	s_add_u32 s14, s14, (.LBB1_8923-.Lpost_getpc15213)&4294967295
	s_addc_u32 s15, s15, (.LBB1_8923-.Lpost_getpc15213)>>32
	s_setpc_b64 s[14:15]
.LBB1_33133:
	s_getpc_b64 s[14:15]
.Lpost_getpc2230:
	s_add_u32 s14, s14, (.LBB1_8924-.Lpost_getpc2230)&4294967295
	s_addc_u32 s15, s15, (.LBB1_8924-.Lpost_getpc2230)>>32
	s_setpc_b64 s[14:15]
.LBB1_23261:
	s_movk_i32 s4, 0x80
	v_cmp_eq_u16_sdwa s[12:13], v4, s4 src0_sel:BYTE_3 src1_sel:DWORD
	s_mov_b64 s[4:5], -1
                                        ; implicit-def: $sgpr10
	s_and_saveexec_b64 s[8:9], s[12:13]
; %bb.23262:
	s_mov_b32 s10, 0x7f800001
	s_xor_b64 s[4:5], exec, -1
; %bb.23263:
	s_or_b64 exec, exec, s[8:9]
	s_and_b64 s[4:5], s[4:5], exec
	s_or_saveexec_b64 s[6:7], s[6:7]
	v_mov_b32_e32 v3, s10
	s_xor_b64 exec, exec, s[6:7]
	s_cbranch_execnz .LBB1_23264
; %bb.59101:
	s_getpc_b64 s[14:15]
.Lpost_getpc15214:
	s_add_u32 s14, s14, (.LBB1_8926-.Lpost_getpc15214)&4294967295
	s_addc_u32 s15, s15, (.LBB1_8926-.Lpost_getpc15214)>>32
	s_setpc_b64 s[14:15]
.LBB1_23264:
	v_mov_b32_e32 v3, 0
	v_cmp_ne_u16_sdwa s[8:9], v4, v3 src0_sel:BYTE_3 src1_sel:DWORD
	s_andn2_b64 s[4:5], s[4:5], exec
	s_and_b64 s[8:9], s[8:9], exec
	s_or_b64 s[4:5], s[4:5], s[8:9]
	s_or_b64 exec, exec, s[6:7]
	s_and_saveexec_b64 s[6:7], s[4:5]
	s_cbranch_execz .LBB1_33135
; %bb.59103:
	s_getpc_b64 s[14:15]
.Lpost_getpc15215:
	s_add_u32 s14, s14, (.LBB1_8927-.Lpost_getpc15215)&4294967295
	s_addc_u32 s15, s15, (.LBB1_8927-.Lpost_getpc15215)>>32
	s_setpc_b64 s[14:15]
.LBB1_33135:
	s_getpc_b64 s[14:15]
.Lpost_getpc2231:
	s_add_u32 s14, s14, (.LBB1_8928-.Lpost_getpc2231)&4294967295
	s_addc_u32 s15, s15, (.LBB1_8928-.Lpost_getpc2231)>>32
	s_setpc_b64 s[14:15]
.LBB1_23265:
	s_movk_i32 s4, 0x80
	v_cmp_eq_u16_sdwa s[12:13], v9, s4 src0_sel:BYTE_0 src1_sel:DWORD
	s_mov_b64 s[4:5], -1
                                        ; implicit-def: $sgpr10
	s_and_saveexec_b64 s[8:9], s[12:13]
; %bb.23266:
	s_mov_b32 s10, 0x7f800001
	s_xor_b64 s[4:5], exec, -1
; %bb.23267:
	s_or_b64 exec, exec, s[8:9]
	s_and_b64 s[4:5], s[4:5], exec
	s_or_saveexec_b64 s[6:7], s[6:7]
	v_mov_b32_e32 v2, s10
	s_xor_b64 exec, exec, s[6:7]
	s_cbranch_execnz .LBB1_23268
; %bb.59105:
	s_getpc_b64 s[14:15]
.Lpost_getpc15216:
	s_add_u32 s14, s14, (.LBB1_8930-.Lpost_getpc15216)&4294967295
	s_addc_u32 s15, s15, (.LBB1_8930-.Lpost_getpc15216)>>32
	s_setpc_b64 s[14:15]
.LBB1_23268:
	v_mov_b32_e32 v2, 0
	v_cmp_ne_u16_sdwa s[8:9], v9, v2 src0_sel:BYTE_0 src1_sel:DWORD
	s_andn2_b64 s[4:5], s[4:5], exec
	s_and_b64 s[8:9], s[8:9], exec
	s_or_b64 s[4:5], s[4:5], s[8:9]
	s_or_b64 exec, exec, s[6:7]
	s_and_saveexec_b64 s[6:7], s[4:5]
	s_cbranch_execz .LBB1_33137
; %bb.59107:
	s_getpc_b64 s[14:15]
.Lpost_getpc15217:
	s_add_u32 s14, s14, (.LBB1_8931-.Lpost_getpc15217)&4294967295
	s_addc_u32 s15, s15, (.LBB1_8931-.Lpost_getpc15217)>>32
	s_setpc_b64 s[14:15]
.LBB1_33137:
	s_getpc_b64 s[14:15]
.Lpost_getpc2232:
	s_add_u32 s14, s14, (.LBB1_8932-.Lpost_getpc2232)&4294967295
	s_addc_u32 s15, s15, (.LBB1_8932-.Lpost_getpc2232)>>32
	s_setpc_b64 s[14:15]
.LBB1_23269:
	s_movk_i32 s4, 0x80
	v_cmp_eq_u16_sdwa s[12:13], v5, s4 src0_sel:BYTE_0 src1_sel:DWORD
	s_mov_b64 s[4:5], -1
                                        ; implicit-def: $sgpr10
	s_and_saveexec_b64 s[8:9], s[12:13]
; %bb.23270:
	s_mov_b32 s10, 0x7f800001
	s_xor_b64 s[4:5], exec, -1
; %bb.23271:
	s_or_b64 exec, exec, s[8:9]
	s_and_b64 s[4:5], s[4:5], exec
	s_or_saveexec_b64 s[6:7], s[6:7]
	v_mov_b32_e32 v3, s10
	s_xor_b64 exec, exec, s[6:7]
	s_cbranch_execnz .LBB1_23272
; %bb.59109:
	s_getpc_b64 s[14:15]
.Lpost_getpc15218:
	s_add_u32 s14, s14, (.LBB1_8934-.Lpost_getpc15218)&4294967295
	s_addc_u32 s15, s15, (.LBB1_8934-.Lpost_getpc15218)>>32
	s_setpc_b64 s[14:15]
.LBB1_23272:
	v_mov_b32_e32 v3, 0
	v_cmp_ne_u16_sdwa s[8:9], v5, v3 src0_sel:BYTE_0 src1_sel:DWORD
	s_andn2_b64 s[4:5], s[4:5], exec
	s_and_b64 s[8:9], s[8:9], exec
	s_or_b64 s[4:5], s[4:5], s[8:9]
	s_or_b64 exec, exec, s[6:7]
	s_and_saveexec_b64 s[6:7], s[4:5]
	s_cbranch_execz .LBB1_33139
; %bb.59111:
	s_getpc_b64 s[14:15]
.Lpost_getpc15219:
	s_add_u32 s14, s14, (.LBB1_8935-.Lpost_getpc15219)&4294967295
	s_addc_u32 s15, s15, (.LBB1_8935-.Lpost_getpc15219)>>32
	s_setpc_b64 s[14:15]
.LBB1_33139:
	s_getpc_b64 s[14:15]
.Lpost_getpc2233:
	s_add_u32 s14, s14, (.LBB1_8936-.Lpost_getpc2233)&4294967295
	s_addc_u32 s15, s15, (.LBB1_8936-.Lpost_getpc2233)>>32
	s_setpc_b64 s[14:15]
.LBB1_23273:
	s_movk_i32 s4, 0x80
	v_cmp_eq_u16_sdwa s[12:13], v3, s4 src0_sel:BYTE_0 src1_sel:DWORD
	s_mov_b64 s[4:5], -1
                                        ; implicit-def: $sgpr10
	s_and_saveexec_b64 s[8:9], s[12:13]
; %bb.23274:
	s_mov_b32 s10, 0x7f800001
	s_xor_b64 s[4:5], exec, -1
; %bb.23275:
	s_or_b64 exec, exec, s[8:9]
	s_and_b64 s[4:5], s[4:5], exec
	s_or_saveexec_b64 s[6:7], s[6:7]
	v_mov_b32_e32 v2, s10
	s_xor_b64 exec, exec, s[6:7]
	s_cbranch_execnz .LBB1_23276
; %bb.59113:
	s_getpc_b64 s[14:15]
.Lpost_getpc15220:
	s_add_u32 s14, s14, (.LBB1_8938-.Lpost_getpc15220)&4294967295
	s_addc_u32 s15, s15, (.LBB1_8938-.Lpost_getpc15220)>>32
	s_setpc_b64 s[14:15]
.LBB1_23276:
	v_mov_b32_e32 v2, 0
	v_cmp_ne_u16_sdwa s[8:9], v3, v2 src0_sel:BYTE_0 src1_sel:DWORD
	s_andn2_b64 s[4:5], s[4:5], exec
	s_and_b64 s[8:9], s[8:9], exec
	s_or_b64 s[4:5], s[4:5], s[8:9]
	s_or_b64 exec, exec, s[6:7]
	s_and_saveexec_b64 s[6:7], s[4:5]
	s_cbranch_execz .LBB1_33141
; %bb.59115:
	s_getpc_b64 s[14:15]
.Lpost_getpc15221:
	s_add_u32 s14, s14, (.LBB1_8939-.Lpost_getpc15221)&4294967295
	s_addc_u32 s15, s15, (.LBB1_8939-.Lpost_getpc15221)>>32
	s_setpc_b64 s[14:15]
.LBB1_33141:
	s_getpc_b64 s[14:15]
.Lpost_getpc2234:
	s_add_u32 s14, s14, (.LBB1_8940-.Lpost_getpc2234)&4294967295
	s_addc_u32 s15, s15, (.LBB1_8940-.Lpost_getpc2234)>>32
	s_setpc_b64 s[14:15]
.LBB1_23277:
	s_movk_i32 s4, 0x80
	v_cmp_eq_u16_sdwa s[12:13], v3, s4 src0_sel:BYTE_0 src1_sel:DWORD
	s_mov_b64 s[4:5], -1
                                        ; implicit-def: $sgpr10
	s_and_saveexec_b64 s[8:9], s[12:13]
; %bb.23278:
	s_mov_b32 s10, 0x7f800001
	s_xor_b64 s[4:5], exec, -1
; %bb.23279:
	s_or_b64 exec, exec, s[8:9]
	s_and_b64 s[4:5], s[4:5], exec
	s_or_saveexec_b64 s[6:7], s[6:7]
	v_mov_b32_e32 v4, s10
	s_xor_b64 exec, exec, s[6:7]
	s_cbranch_execnz .LBB1_23280
; %bb.59117:
	s_getpc_b64 s[14:15]
.Lpost_getpc15222:
	s_add_u32 s14, s14, (.LBB1_8942-.Lpost_getpc15222)&4294967295
	s_addc_u32 s15, s15, (.LBB1_8942-.Lpost_getpc15222)>>32
	s_setpc_b64 s[14:15]
.LBB1_23280:
	v_mov_b32_e32 v4, 0
	v_cmp_ne_u16_sdwa s[8:9], v3, v4 src0_sel:BYTE_0 src1_sel:DWORD
	s_andn2_b64 s[4:5], s[4:5], exec
	s_and_b64 s[8:9], s[8:9], exec
	s_or_b64 s[4:5], s[4:5], s[8:9]
	s_or_b64 exec, exec, s[6:7]
	s_and_saveexec_b64 s[6:7], s[4:5]
	s_cbranch_execz .LBB1_33143
; %bb.59119:
	s_getpc_b64 s[14:15]
.Lpost_getpc15223:
	s_add_u32 s14, s14, (.LBB1_8943-.Lpost_getpc15223)&4294967295
	s_addc_u32 s15, s15, (.LBB1_8943-.Lpost_getpc15223)>>32
	s_setpc_b64 s[14:15]
.LBB1_33143:
	s_getpc_b64 s[14:15]
.Lpost_getpc2235:
	s_add_u32 s14, s14, (.LBB1_8944-.Lpost_getpc2235)&4294967295
	s_addc_u32 s15, s15, (.LBB1_8944-.Lpost_getpc2235)>>32
	s_setpc_b64 s[14:15]
.LBB1_23281:
	s_movk_i32 s4, 0x80
	v_cmp_eq_u16_e32 vcc, s4, v3
	s_mov_b64 s[4:5], -1
                                        ; implicit-def: $sgpr10
	s_and_saveexec_b64 s[8:9], vcc
; %bb.23282:
	s_mov_b32 s10, 0x7f800001
	s_xor_b64 s[4:5], exec, -1
; %bb.23283:
	s_or_b64 exec, exec, s[8:9]
	s_and_b64 s[4:5], s[4:5], exec
                                        ; implicit-def: $vgpr3
	s_or_saveexec_b64 s[6:7], s[6:7]
	v_mov_b32_e32 v2, s10
	s_xor_b64 exec, exec, s[6:7]
	s_cbranch_execnz .LBB1_23284
; %bb.59121:
	s_getpc_b64 s[14:15]
.Lpost_getpc15224:
	s_add_u32 s14, s14, (.LBB1_8946-.Lpost_getpc15224)&4294967295
	s_addc_u32 s15, s15, (.LBB1_8946-.Lpost_getpc15224)>>32
	s_setpc_b64 s[14:15]
.LBB1_23284:
	v_cmp_ne_u16_e32 vcc, 0, v3
	s_andn2_b64 s[4:5], s[4:5], exec
	s_and_b64 s[8:9], vcc, exec
	v_mov_b32_e32 v2, 0
	s_or_b64 s[4:5], s[4:5], s[8:9]
	s_or_b64 exec, exec, s[6:7]
	s_and_saveexec_b64 s[6:7], s[4:5]
	s_cbranch_execz .LBB1_33145
; %bb.59123:
	s_getpc_b64 s[14:15]
.Lpost_getpc15225:
	s_add_u32 s14, s14, (.LBB1_8947-.Lpost_getpc15225)&4294967295
	s_addc_u32 s15, s15, (.LBB1_8947-.Lpost_getpc15225)>>32
	s_setpc_b64 s[14:15]
.LBB1_33145:
	s_getpc_b64 s[14:15]
.Lpost_getpc2236:
	s_add_u32 s14, s14, (.LBB1_8948-.Lpost_getpc2236)&4294967295
	s_addc_u32 s15, s15, (.LBB1_8948-.Lpost_getpc2236)>>32
	s_setpc_b64 s[14:15]
.LBB1_23285:
	s_movk_i32 s4, 0x80
	v_cmp_eq_u16_e32 vcc, s4, v3
	s_mov_b64 s[4:5], -1
                                        ; implicit-def: $sgpr10
	s_and_saveexec_b64 s[8:9], vcc
; %bb.23286:
	s_mov_b32 s10, 0x7f800001
	s_xor_b64 s[4:5], exec, -1
; %bb.23287:
	s_or_b64 exec, exec, s[8:9]
	s_and_b64 s[4:5], s[4:5], exec
                                        ; implicit-def: $vgpr3
	s_or_saveexec_b64 s[6:7], s[6:7]
	v_mov_b32_e32 v4, s10
	s_xor_b64 exec, exec, s[6:7]
	s_cbranch_execnz .LBB1_23288
; %bb.59125:
	s_getpc_b64 s[14:15]
.Lpost_getpc15226:
	s_add_u32 s14, s14, (.LBB1_8950-.Lpost_getpc15226)&4294967295
	s_addc_u32 s15, s15, (.LBB1_8950-.Lpost_getpc15226)>>32
	s_setpc_b64 s[14:15]
.LBB1_23288:
	v_cmp_ne_u16_e32 vcc, 0, v3
	s_andn2_b64 s[4:5], s[4:5], exec
	s_and_b64 s[8:9], vcc, exec
	v_mov_b32_e32 v4, 0
	s_or_b64 s[4:5], s[4:5], s[8:9]
	s_or_b64 exec, exec, s[6:7]
	s_and_saveexec_b64 s[6:7], s[4:5]
	s_cbranch_execz .LBB1_33147
; %bb.59127:
	s_getpc_b64 s[14:15]
.Lpost_getpc15227:
	s_add_u32 s14, s14, (.LBB1_8951-.Lpost_getpc15227)&4294967295
	s_addc_u32 s15, s15, (.LBB1_8951-.Lpost_getpc15227)>>32
	s_setpc_b64 s[14:15]
.LBB1_33147:
	s_getpc_b64 s[14:15]
.Lpost_getpc2237:
	s_add_u32 s14, s14, (.LBB1_8952-.Lpost_getpc2237)&4294967295
	s_addc_u32 s15, s15, (.LBB1_8952-.Lpost_getpc2237)>>32
	s_setpc_b64 s[14:15]
.LBB1_23289:
	s_movk_i32 s4, 0x80
	v_cmp_eq_u16_sdwa s[12:13], v9, s4 src0_sel:BYTE_3 src1_sel:DWORD
	s_mov_b64 s[4:5], -1
                                        ; implicit-def: $sgpr10
	s_and_saveexec_b64 s[8:9], s[12:13]
; %bb.23290:
	s_mov_b32 s10, 0x7f800001
	s_xor_b64 s[4:5], exec, -1
; %bb.23291:
	s_or_b64 exec, exec, s[8:9]
	s_and_b64 s[4:5], s[4:5], exec
	s_or_saveexec_b64 s[6:7], s[6:7]
	v_mov_b32_e32 v2, s10
	s_xor_b64 exec, exec, s[6:7]
	s_cbranch_execnz .LBB1_23292
; %bb.59129:
	s_getpc_b64 s[14:15]
.Lpost_getpc15228:
	s_add_u32 s14, s14, (.LBB1_8954-.Lpost_getpc15228)&4294967295
	s_addc_u32 s15, s15, (.LBB1_8954-.Lpost_getpc15228)>>32
	s_setpc_b64 s[14:15]
.LBB1_23292:
	v_mov_b32_e32 v2, 0
	v_cmp_ne_u16_sdwa s[8:9], v9, v2 src0_sel:BYTE_3 src1_sel:DWORD
	s_andn2_b64 s[4:5], s[4:5], exec
	s_and_b64 s[8:9], s[8:9], exec
	s_or_b64 s[4:5], s[4:5], s[8:9]
	s_or_b64 exec, exec, s[6:7]
	s_and_saveexec_b64 s[6:7], s[4:5]
	s_cbranch_execz .LBB1_33149
; %bb.59131:
	s_getpc_b64 s[14:15]
.Lpost_getpc15229:
	s_add_u32 s14, s14, (.LBB1_8955-.Lpost_getpc15229)&4294967295
	s_addc_u32 s15, s15, (.LBB1_8955-.Lpost_getpc15229)>>32
	s_setpc_b64 s[14:15]
.LBB1_33149:
	s_getpc_b64 s[14:15]
.Lpost_getpc2238:
	s_add_u32 s14, s14, (.LBB1_8956-.Lpost_getpc2238)&4294967295
	s_addc_u32 s15, s15, (.LBB1_8956-.Lpost_getpc2238)>>32
	s_setpc_b64 s[14:15]
.LBB1_23293:
	s_movk_i32 s4, 0x80
	v_cmp_eq_u16_sdwa s[12:13], v5, s4 src0_sel:BYTE_3 src1_sel:DWORD
	s_mov_b64 s[4:5], -1
                                        ; implicit-def: $sgpr10
	s_and_saveexec_b64 s[8:9], s[12:13]
; %bb.23294:
	s_mov_b32 s10, 0x7f800001
	s_xor_b64 s[4:5], exec, -1
; %bb.23295:
	s_or_b64 exec, exec, s[8:9]
	s_and_b64 s[4:5], s[4:5], exec
	s_or_saveexec_b64 s[6:7], s[6:7]
	v_mov_b32_e32 v3, s10
	s_xor_b64 exec, exec, s[6:7]
	s_cbranch_execnz .LBB1_23296
; %bb.59133:
	s_getpc_b64 s[14:15]
.Lpost_getpc15230:
	s_add_u32 s14, s14, (.LBB1_8958-.Lpost_getpc15230)&4294967295
	s_addc_u32 s15, s15, (.LBB1_8958-.Lpost_getpc15230)>>32
	s_setpc_b64 s[14:15]
.LBB1_23296:
	v_mov_b32_e32 v3, 0
	v_cmp_ne_u16_sdwa s[8:9], v5, v3 src0_sel:BYTE_3 src1_sel:DWORD
	s_andn2_b64 s[4:5], s[4:5], exec
	s_and_b64 s[8:9], s[8:9], exec
	s_or_b64 s[4:5], s[4:5], s[8:9]
	s_or_b64 exec, exec, s[6:7]
	s_and_saveexec_b64 s[6:7], s[4:5]
	s_cbranch_execz .LBB1_33151
; %bb.59135:
	s_getpc_b64 s[14:15]
.Lpost_getpc15231:
	s_add_u32 s14, s14, (.LBB1_8959-.Lpost_getpc15231)&4294967295
	s_addc_u32 s15, s15, (.LBB1_8959-.Lpost_getpc15231)>>32
	s_setpc_b64 s[14:15]
.LBB1_33151:
	s_getpc_b64 s[14:15]
.Lpost_getpc2239:
	s_add_u32 s14, s14, (.LBB1_8960-.Lpost_getpc2239)&4294967295
	s_addc_u32 s15, s15, (.LBB1_8960-.Lpost_getpc2239)>>32
	s_setpc_b64 s[14:15]
.LBB1_23297:
	s_movk_i32 s4, 0x80
	v_cmp_eq_u16_sdwa s[12:13], v6, s4 src0_sel:BYTE_0 src1_sel:DWORD
	s_mov_b64 s[4:5], -1
                                        ; implicit-def: $sgpr10
	s_and_saveexec_b64 s[8:9], s[12:13]
; %bb.23298:
	s_mov_b32 s10, 0x7f800001
	s_xor_b64 s[4:5], exec, -1
; %bb.23299:
	s_or_b64 exec, exec, s[8:9]
	s_and_b64 s[4:5], s[4:5], exec
	s_or_saveexec_b64 s[6:7], s[6:7]
	v_mov_b32_e32 v12, s10
	s_xor_b64 exec, exec, s[6:7]
	s_cbranch_execnz .LBB1_23300
; %bb.59137:
	s_getpc_b64 s[14:15]
.Lpost_getpc15232:
	s_add_u32 s14, s14, (.LBB1_8962-.Lpost_getpc15232)&4294967295
	s_addc_u32 s15, s15, (.LBB1_8962-.Lpost_getpc15232)>>32
	s_setpc_b64 s[14:15]
.LBB1_23300:
	v_mov_b32_e32 v12, 0
	v_cmp_ne_u16_sdwa s[8:9], v6, v12 src0_sel:BYTE_0 src1_sel:DWORD
	s_andn2_b64 s[4:5], s[4:5], exec
	s_and_b64 s[8:9], s[8:9], exec
	s_or_b64 s[4:5], s[4:5], s[8:9]
	s_or_b64 exec, exec, s[6:7]
	s_and_saveexec_b64 s[6:7], s[4:5]
	s_cbranch_execz .LBB1_33153
; %bb.59139:
	s_getpc_b64 s[14:15]
.Lpost_getpc15233:
	s_add_u32 s14, s14, (.LBB1_8963-.Lpost_getpc15233)&4294967295
	s_addc_u32 s15, s15, (.LBB1_8963-.Lpost_getpc15233)>>32
	s_setpc_b64 s[14:15]
.LBB1_33153:
	s_getpc_b64 s[14:15]
.Lpost_getpc2240:
	s_add_u32 s14, s14, (.LBB1_8964-.Lpost_getpc2240)&4294967295
	s_addc_u32 s15, s15, (.LBB1_8964-.Lpost_getpc2240)>>32
	s_setpc_b64 s[14:15]
.LBB1_23301:
	s_movk_i32 s4, 0x80
	v_cmp_eq_u16_sdwa s[12:13], v2, s4 src0_sel:BYTE_0 src1_sel:DWORD
	s_mov_b64 s[4:5], -1
                                        ; implicit-def: $sgpr10
	s_and_saveexec_b64 s[8:9], s[12:13]
; %bb.23302:
	s_mov_b32 s10, 0x7f800001
	s_xor_b64 s[4:5], exec, -1
; %bb.23303:
	s_or_b64 exec, exec, s[8:9]
	s_and_b64 s[4:5], s[4:5], exec
	s_or_saveexec_b64 s[6:7], s[6:7]
	v_mov_b32_e32 v13, s10
	s_xor_b64 exec, exec, s[6:7]
	s_cbranch_execnz .LBB1_23304
; %bb.59141:
	s_getpc_b64 s[14:15]
.Lpost_getpc15234:
	s_add_u32 s14, s14, (.LBB1_8966-.Lpost_getpc15234)&4294967295
	s_addc_u32 s15, s15, (.LBB1_8966-.Lpost_getpc15234)>>32
	s_setpc_b64 s[14:15]
.LBB1_23304:
	v_mov_b32_e32 v13, 0
	v_cmp_ne_u16_sdwa s[8:9], v2, v13 src0_sel:BYTE_0 src1_sel:DWORD
	s_andn2_b64 s[4:5], s[4:5], exec
	s_and_b64 s[8:9], s[8:9], exec
	s_or_b64 s[4:5], s[4:5], s[8:9]
	s_or_b64 exec, exec, s[6:7]
	s_and_saveexec_b64 s[6:7], s[4:5]
	s_cbranch_execz .LBB1_33155
; %bb.59143:
	s_getpc_b64 s[14:15]
.Lpost_getpc15235:
	s_add_u32 s14, s14, (.LBB1_8967-.Lpost_getpc15235)&4294967295
	s_addc_u32 s15, s15, (.LBB1_8967-.Lpost_getpc15235)>>32
	s_setpc_b64 s[14:15]
.LBB1_33155:
	s_getpc_b64 s[14:15]
.Lpost_getpc2241:
	s_add_u32 s14, s14, (.LBB1_8968-.Lpost_getpc2241)&4294967295
	s_addc_u32 s15, s15, (.LBB1_8968-.Lpost_getpc2241)>>32
	s_setpc_b64 s[14:15]
.LBB1_23305:
	s_movk_i32 s4, 0x80
	v_cmp_eq_u16_sdwa s[12:13], v13, s4 src0_sel:BYTE_0 src1_sel:DWORD
	s_mov_b64 s[4:5], -1
                                        ; implicit-def: $sgpr10
	s_and_saveexec_b64 s[8:9], s[12:13]
; %bb.23306:
	s_mov_b32 s10, 0x7f800001
	s_xor_b64 s[4:5], exec, -1
; %bb.23307:
	s_or_b64 exec, exec, s[8:9]
	s_and_b64 s[4:5], s[4:5], exec
	s_or_saveexec_b64 s[6:7], s[6:7]
	v_mov_b32_e32 v12, s10
	s_xor_b64 exec, exec, s[6:7]
	s_cbranch_execnz .LBB1_23308
; %bb.59145:
	s_getpc_b64 s[14:15]
.Lpost_getpc15236:
	s_add_u32 s14, s14, (.LBB1_8970-.Lpost_getpc15236)&4294967295
	s_addc_u32 s15, s15, (.LBB1_8970-.Lpost_getpc15236)>>32
	s_setpc_b64 s[14:15]
.LBB1_23308:
	v_mov_b32_e32 v12, 0
	v_cmp_ne_u16_sdwa s[8:9], v13, v12 src0_sel:BYTE_0 src1_sel:DWORD
	s_andn2_b64 s[4:5], s[4:5], exec
	s_and_b64 s[8:9], s[8:9], exec
	s_or_b64 s[4:5], s[4:5], s[8:9]
	s_or_b64 exec, exec, s[6:7]
	s_and_saveexec_b64 s[6:7], s[4:5]
	s_cbranch_execz .LBB1_33157
; %bb.59147:
	s_getpc_b64 s[14:15]
.Lpost_getpc15237:
	s_add_u32 s14, s14, (.LBB1_8971-.Lpost_getpc15237)&4294967295
	s_addc_u32 s15, s15, (.LBB1_8971-.Lpost_getpc15237)>>32
	s_setpc_b64 s[14:15]
.LBB1_33157:
	s_getpc_b64 s[14:15]
.Lpost_getpc2242:
	s_add_u32 s14, s14, (.LBB1_8972-.Lpost_getpc2242)&4294967295
	s_addc_u32 s15, s15, (.LBB1_8972-.Lpost_getpc2242)>>32
	s_setpc_b64 s[14:15]
.LBB1_23309:
	s_movk_i32 s4, 0x80
	v_cmp_eq_u16_sdwa s[12:13], v13, s4 src0_sel:BYTE_0 src1_sel:DWORD
	s_mov_b64 s[4:5], -1
                                        ; implicit-def: $sgpr10
	s_and_saveexec_b64 s[8:9], s[12:13]
; %bb.23310:
	s_mov_b32 s10, 0x7f800001
	s_xor_b64 s[4:5], exec, -1
; %bb.23311:
	s_or_b64 exec, exec, s[8:9]
	s_and_b64 s[4:5], s[4:5], exec
	s_or_saveexec_b64 s[6:7], s[6:7]
	v_mov_b32_e32 v14, s10
	s_xor_b64 exec, exec, s[6:7]
	s_cbranch_execnz .LBB1_23312
; %bb.59149:
	s_getpc_b64 s[14:15]
.Lpost_getpc15238:
	s_add_u32 s14, s14, (.LBB1_8974-.Lpost_getpc15238)&4294967295
	s_addc_u32 s15, s15, (.LBB1_8974-.Lpost_getpc15238)>>32
	s_setpc_b64 s[14:15]
.LBB1_23312:
	v_mov_b32_e32 v14, 0
	v_cmp_ne_u16_sdwa s[8:9], v13, v14 src0_sel:BYTE_0 src1_sel:DWORD
	s_andn2_b64 s[4:5], s[4:5], exec
	s_and_b64 s[8:9], s[8:9], exec
	s_or_b64 s[4:5], s[4:5], s[8:9]
	s_or_b64 exec, exec, s[6:7]
	s_and_saveexec_b64 s[6:7], s[4:5]
	s_cbranch_execz .LBB1_33159
; %bb.59151:
	s_getpc_b64 s[14:15]
.Lpost_getpc15239:
	s_add_u32 s14, s14, (.LBB1_8975-.Lpost_getpc15239)&4294967295
	s_addc_u32 s15, s15, (.LBB1_8975-.Lpost_getpc15239)>>32
	s_setpc_b64 s[14:15]
.LBB1_33159:
	s_getpc_b64 s[14:15]
.Lpost_getpc2243:
	s_add_u32 s14, s14, (.LBB1_8976-.Lpost_getpc2243)&4294967295
	s_addc_u32 s15, s15, (.LBB1_8976-.Lpost_getpc2243)>>32
	s_setpc_b64 s[14:15]
.LBB1_23313:
	s_movk_i32 s4, 0x80
	v_cmp_eq_u16_e32 vcc, s4, v13
	s_mov_b64 s[4:5], -1
                                        ; implicit-def: $sgpr10
	s_and_saveexec_b64 s[8:9], vcc
; %bb.23314:
	s_mov_b32 s10, 0x7f800001
	s_xor_b64 s[4:5], exec, -1
; %bb.23315:
	s_or_b64 exec, exec, s[8:9]
	s_and_b64 s[4:5], s[4:5], exec
                                        ; implicit-def: $vgpr13
	s_or_saveexec_b64 s[6:7], s[6:7]
	v_mov_b32_e32 v12, s10
	s_xor_b64 exec, exec, s[6:7]
	s_cbranch_execnz .LBB1_23316
; %bb.59153:
	s_getpc_b64 s[14:15]
.Lpost_getpc15240:
	s_add_u32 s14, s14, (.LBB1_8978-.Lpost_getpc15240)&4294967295
	s_addc_u32 s15, s15, (.LBB1_8978-.Lpost_getpc15240)>>32
	s_setpc_b64 s[14:15]
.LBB1_23316:
	v_cmp_ne_u16_e32 vcc, 0, v13
	s_andn2_b64 s[4:5], s[4:5], exec
	s_and_b64 s[8:9], vcc, exec
	v_mov_b32_e32 v12, 0
	s_or_b64 s[4:5], s[4:5], s[8:9]
	s_or_b64 exec, exec, s[6:7]
	s_and_saveexec_b64 s[6:7], s[4:5]
	s_cbranch_execz .LBB1_33161
; %bb.59155:
	s_getpc_b64 s[14:15]
.Lpost_getpc15241:
	s_add_u32 s14, s14, (.LBB1_8979-.Lpost_getpc15241)&4294967295
	s_addc_u32 s15, s15, (.LBB1_8979-.Lpost_getpc15241)>>32
	s_setpc_b64 s[14:15]
.LBB1_33161:
	s_getpc_b64 s[14:15]
.Lpost_getpc2244:
	s_add_u32 s14, s14, (.LBB1_8980-.Lpost_getpc2244)&4294967295
	s_addc_u32 s15, s15, (.LBB1_8980-.Lpost_getpc2244)>>32
	s_setpc_b64 s[14:15]
.LBB1_23317:
	s_movk_i32 s4, 0x80
	v_cmp_eq_u16_e32 vcc, s4, v13
	s_mov_b64 s[4:5], -1
                                        ; implicit-def: $sgpr10
	s_and_saveexec_b64 s[8:9], vcc
; %bb.23318:
	s_mov_b32 s10, 0x7f800001
	s_xor_b64 s[4:5], exec, -1
; %bb.23319:
	s_or_b64 exec, exec, s[8:9]
	s_and_b64 s[4:5], s[4:5], exec
                                        ; implicit-def: $vgpr13
	s_or_saveexec_b64 s[6:7], s[6:7]
	v_mov_b32_e32 v14, s10
	s_xor_b64 exec, exec, s[6:7]
	s_cbranch_execnz .LBB1_23320
; %bb.59157:
	s_getpc_b64 s[14:15]
.Lpost_getpc15242:
	s_add_u32 s14, s14, (.LBB1_8982-.Lpost_getpc15242)&4294967295
	s_addc_u32 s15, s15, (.LBB1_8982-.Lpost_getpc15242)>>32
	s_setpc_b64 s[14:15]
.LBB1_23320:
	v_cmp_ne_u16_e32 vcc, 0, v13
	s_andn2_b64 s[4:5], s[4:5], exec
	s_and_b64 s[8:9], vcc, exec
	v_mov_b32_e32 v14, 0
	s_or_b64 s[4:5], s[4:5], s[8:9]
	s_or_b64 exec, exec, s[6:7]
	s_and_saveexec_b64 s[6:7], s[4:5]
	s_cbranch_execz .LBB1_33163
; %bb.59159:
	s_getpc_b64 s[14:15]
.Lpost_getpc15243:
	s_add_u32 s14, s14, (.LBB1_8983-.Lpost_getpc15243)&4294967295
	s_addc_u32 s15, s15, (.LBB1_8983-.Lpost_getpc15243)>>32
	s_setpc_b64 s[14:15]
.LBB1_33163:
	s_getpc_b64 s[14:15]
.Lpost_getpc2245:
	s_add_u32 s14, s14, (.LBB1_8984-.Lpost_getpc2245)&4294967295
	s_addc_u32 s15, s15, (.LBB1_8984-.Lpost_getpc2245)>>32
	s_setpc_b64 s[14:15]
.LBB1_23321:
	s_movk_i32 s4, 0x80
	v_cmp_eq_u16_sdwa s[12:13], v6, s4 src0_sel:BYTE_3 src1_sel:DWORD
	s_mov_b64 s[4:5], -1
                                        ; implicit-def: $sgpr10
	s_and_saveexec_b64 s[8:9], s[12:13]
; %bb.23322:
	s_mov_b32 s10, 0x7f800001
	s_xor_b64 s[4:5], exec, -1
; %bb.23323:
	s_or_b64 exec, exec, s[8:9]
	s_and_b64 s[4:5], s[4:5], exec
	s_or_saveexec_b64 s[6:7], s[6:7]
	v_mov_b32_e32 v12, s10
	s_xor_b64 exec, exec, s[6:7]
	s_cbranch_execnz .LBB1_23324
; %bb.59161:
	s_getpc_b64 s[14:15]
.Lpost_getpc15244:
	s_add_u32 s14, s14, (.LBB1_8986-.Lpost_getpc15244)&4294967295
	s_addc_u32 s15, s15, (.LBB1_8986-.Lpost_getpc15244)>>32
	s_setpc_b64 s[14:15]
.LBB1_23324:
	v_mov_b32_e32 v12, 0
	v_cmp_ne_u16_sdwa s[8:9], v6, v12 src0_sel:BYTE_3 src1_sel:DWORD
	s_andn2_b64 s[4:5], s[4:5], exec
	s_and_b64 s[8:9], s[8:9], exec
	s_or_b64 s[4:5], s[4:5], s[8:9]
	s_or_b64 exec, exec, s[6:7]
	s_and_saveexec_b64 s[6:7], s[4:5]
	s_cbranch_execz .LBB1_33165
; %bb.59163:
	s_getpc_b64 s[14:15]
.Lpost_getpc15245:
	s_add_u32 s14, s14, (.LBB1_8987-.Lpost_getpc15245)&4294967295
	s_addc_u32 s15, s15, (.LBB1_8987-.Lpost_getpc15245)>>32
	s_setpc_b64 s[14:15]
.LBB1_33165:
	s_getpc_b64 s[14:15]
.Lpost_getpc2246:
	s_add_u32 s14, s14, (.LBB1_8988-.Lpost_getpc2246)&4294967295
	s_addc_u32 s15, s15, (.LBB1_8988-.Lpost_getpc2246)>>32
	s_setpc_b64 s[14:15]
.LBB1_23325:
	s_movk_i32 s4, 0x80
	v_cmp_eq_u16_sdwa s[12:13], v2, s4 src0_sel:BYTE_3 src1_sel:DWORD
	s_mov_b64 s[4:5], -1
                                        ; implicit-def: $sgpr10
	s_and_saveexec_b64 s[8:9], s[12:13]
; %bb.23326:
	s_mov_b32 s10, 0x7f800001
	s_xor_b64 s[4:5], exec, -1
; %bb.23327:
	s_or_b64 exec, exec, s[8:9]
	s_and_b64 s[4:5], s[4:5], exec
	s_or_saveexec_b64 s[6:7], s[6:7]
	v_mov_b32_e32 v6, s10
	s_xor_b64 exec, exec, s[6:7]
	s_cbranch_execnz .LBB1_23328
; %bb.59165:
	s_getpc_b64 s[14:15]
.Lpost_getpc15246:
	s_add_u32 s14, s14, (.LBB1_8990-.Lpost_getpc15246)&4294967295
	s_addc_u32 s15, s15, (.LBB1_8990-.Lpost_getpc15246)>>32
	s_setpc_b64 s[14:15]
.LBB1_23328:
	v_mov_b32_e32 v6, 0
	v_cmp_ne_u16_sdwa s[8:9], v2, v6 src0_sel:BYTE_3 src1_sel:DWORD
	s_andn2_b64 s[4:5], s[4:5], exec
	s_and_b64 s[8:9], s[8:9], exec
	s_or_b64 s[4:5], s[4:5], s[8:9]
	s_or_b64 exec, exec, s[6:7]
	s_and_saveexec_b64 s[6:7], s[4:5]
	s_cbranch_execz .LBB1_33167
; %bb.59167:
	s_getpc_b64 s[14:15]
.Lpost_getpc15247:
	s_add_u32 s14, s14, (.LBB1_8991-.Lpost_getpc15247)&4294967295
	s_addc_u32 s15, s15, (.LBB1_8991-.Lpost_getpc15247)>>32
	s_setpc_b64 s[14:15]
.LBB1_33167:
	s_getpc_b64 s[14:15]
.Lpost_getpc2247:
	s_add_u32 s14, s14, (.LBB1_8992-.Lpost_getpc2247)&4294967295
	s_addc_u32 s15, s15, (.LBB1_8992-.Lpost_getpc2247)>>32
	s_setpc_b64 s[14:15]
.LBB1_23329:
	s_movk_i32 s4, 0x80
	v_cmp_eq_u16_sdwa s[12:13], v7, s4 src0_sel:BYTE_0 src1_sel:DWORD
	s_mov_b64 s[4:5], -1
                                        ; implicit-def: $sgpr10
	s_and_saveexec_b64 s[8:9], s[12:13]
; %bb.23330:
	s_mov_b32 s10, 0x7f800001
	s_xor_b64 s[4:5], exec, -1
; %bb.23331:
	s_or_b64 exec, exec, s[8:9]
	s_and_b64 s[4:5], s[4:5], exec
	s_or_saveexec_b64 s[6:7], s[6:7]
	v_mov_b32_e32 v2, s10
	s_xor_b64 exec, exec, s[6:7]
	s_cbranch_execnz .LBB1_23332
; %bb.59169:
	s_getpc_b64 s[14:15]
.Lpost_getpc15248:
	s_add_u32 s14, s14, (.LBB1_8994-.Lpost_getpc15248)&4294967295
	s_addc_u32 s15, s15, (.LBB1_8994-.Lpost_getpc15248)>>32
	s_setpc_b64 s[14:15]
.LBB1_23332:
	v_mov_b32_e32 v2, 0
	v_cmp_ne_u16_sdwa s[8:9], v7, v2 src0_sel:BYTE_0 src1_sel:DWORD
	s_andn2_b64 s[4:5], s[4:5], exec
	s_and_b64 s[8:9], s[8:9], exec
	s_or_b64 s[4:5], s[4:5], s[8:9]
	s_or_b64 exec, exec, s[6:7]
	s_and_saveexec_b64 s[6:7], s[4:5]
	s_cbranch_execz .LBB1_33169
; %bb.59171:
	s_getpc_b64 s[14:15]
.Lpost_getpc15249:
	s_add_u32 s14, s14, (.LBB1_8995-.Lpost_getpc15249)&4294967295
	s_addc_u32 s15, s15, (.LBB1_8995-.Lpost_getpc15249)>>32
	s_setpc_b64 s[14:15]
.LBB1_33169:
	s_getpc_b64 s[14:15]
.Lpost_getpc2248:
	s_add_u32 s14, s14, (.LBB1_8996-.Lpost_getpc2248)&4294967295
	s_addc_u32 s15, s15, (.LBB1_8996-.Lpost_getpc2248)>>32
	s_setpc_b64 s[14:15]
.LBB1_23333:
	s_movk_i32 s4, 0x80
	v_cmp_eq_u16_sdwa s[12:13], v3, s4 src0_sel:BYTE_0 src1_sel:DWORD
	s_mov_b64 s[4:5], -1
                                        ; implicit-def: $sgpr10
	s_and_saveexec_b64 s[8:9], s[12:13]
; %bb.23334:
	s_mov_b32 s10, 0x7f800001
	s_xor_b64 s[4:5], exec, -1
; %bb.23335:
	s_or_b64 exec, exec, s[8:9]
	s_and_b64 s[4:5], s[4:5], exec
	s_or_saveexec_b64 s[6:7], s[6:7]
	v_mov_b32_e32 v6, s10
	s_xor_b64 exec, exec, s[6:7]
	s_cbranch_execnz .LBB1_23336
; %bb.59173:
	s_getpc_b64 s[14:15]
.Lpost_getpc15250:
	s_add_u32 s14, s14, (.LBB1_8998-.Lpost_getpc15250)&4294967295
	s_addc_u32 s15, s15, (.LBB1_8998-.Lpost_getpc15250)>>32
	s_setpc_b64 s[14:15]
.LBB1_23336:
	v_mov_b32_e32 v6, 0
	v_cmp_ne_u16_sdwa s[8:9], v3, v6 src0_sel:BYTE_0 src1_sel:DWORD
	s_andn2_b64 s[4:5], s[4:5], exec
	s_and_b64 s[8:9], s[8:9], exec
	s_or_b64 s[4:5], s[4:5], s[8:9]
	s_or_b64 exec, exec, s[6:7]
	s_and_saveexec_b64 s[6:7], s[4:5]
	s_cbranch_execz .LBB1_33171
; %bb.59175:
	s_getpc_b64 s[14:15]
.Lpost_getpc15251:
	s_add_u32 s14, s14, (.LBB1_8999-.Lpost_getpc15251)&4294967295
	s_addc_u32 s15, s15, (.LBB1_8999-.Lpost_getpc15251)>>32
	s_setpc_b64 s[14:15]
.LBB1_33171:
	s_getpc_b64 s[14:15]
.Lpost_getpc2249:
	s_add_u32 s14, s14, (.LBB1_9000-.Lpost_getpc2249)&4294967295
	s_addc_u32 s15, s15, (.LBB1_9000-.Lpost_getpc2249)>>32
	s_setpc_b64 s[14:15]
.LBB1_23337:
	s_movk_i32 s4, 0x80
	v_cmp_eq_u16_sdwa s[12:13], v6, s4 src0_sel:BYTE_0 src1_sel:DWORD
	s_mov_b64 s[4:5], -1
                                        ; implicit-def: $sgpr10
	s_and_saveexec_b64 s[8:9], s[12:13]
; %bb.23338:
	s_mov_b32 s10, 0x7f800001
	s_xor_b64 s[4:5], exec, -1
; %bb.23339:
	s_or_b64 exec, exec, s[8:9]
	s_and_b64 s[4:5], s[4:5], exec
	s_or_saveexec_b64 s[6:7], s[6:7]
	v_mov_b32_e32 v2, s10
	s_xor_b64 exec, exec, s[6:7]
	s_cbranch_execnz .LBB1_23340
; %bb.59177:
	s_getpc_b64 s[14:15]
.Lpost_getpc15252:
	s_add_u32 s14, s14, (.LBB1_9002-.Lpost_getpc15252)&4294967295
	s_addc_u32 s15, s15, (.LBB1_9002-.Lpost_getpc15252)>>32
	s_setpc_b64 s[14:15]
.LBB1_23340:
	v_mov_b32_e32 v2, 0
	v_cmp_ne_u16_sdwa s[8:9], v6, v2 src0_sel:BYTE_0 src1_sel:DWORD
	s_andn2_b64 s[4:5], s[4:5], exec
	s_and_b64 s[8:9], s[8:9], exec
	s_or_b64 s[4:5], s[4:5], s[8:9]
	s_or_b64 exec, exec, s[6:7]
	s_and_saveexec_b64 s[6:7], s[4:5]
	s_cbranch_execz .LBB1_33173
; %bb.59179:
	s_getpc_b64 s[14:15]
.Lpost_getpc15253:
	s_add_u32 s14, s14, (.LBB1_9003-.Lpost_getpc15253)&4294967295
	s_addc_u32 s15, s15, (.LBB1_9003-.Lpost_getpc15253)>>32
	s_setpc_b64 s[14:15]
.LBB1_33173:
	s_getpc_b64 s[14:15]
.Lpost_getpc2250:
	s_add_u32 s14, s14, (.LBB1_9004-.Lpost_getpc2250)&4294967295
	s_addc_u32 s15, s15, (.LBB1_9004-.Lpost_getpc2250)>>32
	s_setpc_b64 s[14:15]
.LBB1_23341:
	s_movk_i32 s4, 0x80
	v_cmp_eq_u16_sdwa s[12:13], v6, s4 src0_sel:BYTE_0 src1_sel:DWORD
	s_mov_b64 s[4:5], -1
                                        ; implicit-def: $sgpr10
	s_and_saveexec_b64 s[8:9], s[12:13]
; %bb.23342:
	s_mov_b32 s10, 0x7f800001
	s_xor_b64 s[4:5], exec, -1
; %bb.23343:
	s_or_b64 exec, exec, s[8:9]
	s_and_b64 s[4:5], s[4:5], exec
	s_or_saveexec_b64 s[6:7], s[6:7]
	v_mov_b32_e32 v12, s10
	s_xor_b64 exec, exec, s[6:7]
	s_cbranch_execnz .LBB1_23344
; %bb.59181:
	s_getpc_b64 s[14:15]
.Lpost_getpc15254:
	s_add_u32 s14, s14, (.LBB1_9006-.Lpost_getpc15254)&4294967295
	s_addc_u32 s15, s15, (.LBB1_9006-.Lpost_getpc15254)>>32
	s_setpc_b64 s[14:15]
.LBB1_23344:
	v_mov_b32_e32 v12, 0
	v_cmp_ne_u16_sdwa s[8:9], v6, v12 src0_sel:BYTE_0 src1_sel:DWORD
	s_andn2_b64 s[4:5], s[4:5], exec
	s_and_b64 s[8:9], s[8:9], exec
	s_or_b64 s[4:5], s[4:5], s[8:9]
	s_or_b64 exec, exec, s[6:7]
	s_and_saveexec_b64 s[6:7], s[4:5]
	s_cbranch_execz .LBB1_33175
; %bb.59183:
	s_getpc_b64 s[14:15]
.Lpost_getpc15255:
	s_add_u32 s14, s14, (.LBB1_9007-.Lpost_getpc15255)&4294967295
	s_addc_u32 s15, s15, (.LBB1_9007-.Lpost_getpc15255)>>32
	s_setpc_b64 s[14:15]
.LBB1_33175:
	s_getpc_b64 s[14:15]
.Lpost_getpc2251:
	s_add_u32 s14, s14, (.LBB1_9008-.Lpost_getpc2251)&4294967295
	s_addc_u32 s15, s15, (.LBB1_9008-.Lpost_getpc2251)>>32
	s_setpc_b64 s[14:15]
.LBB1_23345:
	s_movk_i32 s4, 0x80
	v_cmp_eq_u16_e32 vcc, s4, v6
	s_mov_b64 s[4:5], -1
                                        ; implicit-def: $sgpr10
	s_and_saveexec_b64 s[8:9], vcc
; %bb.23346:
	s_mov_b32 s10, 0x7f800001
	s_xor_b64 s[4:5], exec, -1
; %bb.23347:
	s_or_b64 exec, exec, s[8:9]
	s_and_b64 s[4:5], s[4:5], exec
                                        ; implicit-def: $vgpr6
	s_or_saveexec_b64 s[6:7], s[6:7]
	v_mov_b32_e32 v2, s10
	s_xor_b64 exec, exec, s[6:7]
	s_cbranch_execnz .LBB1_23348
; %bb.59185:
	s_getpc_b64 s[14:15]
.Lpost_getpc15256:
	s_add_u32 s14, s14, (.LBB1_9010-.Lpost_getpc15256)&4294967295
	s_addc_u32 s15, s15, (.LBB1_9010-.Lpost_getpc15256)>>32
	s_setpc_b64 s[14:15]
.LBB1_23348:
	v_cmp_ne_u16_e32 vcc, 0, v6
	s_andn2_b64 s[4:5], s[4:5], exec
	s_and_b64 s[8:9], vcc, exec
	v_mov_b32_e32 v2, 0
	s_or_b64 s[4:5], s[4:5], s[8:9]
	s_or_b64 exec, exec, s[6:7]
	s_and_saveexec_b64 s[6:7], s[4:5]
	s_cbranch_execz .LBB1_33177
; %bb.59187:
	s_getpc_b64 s[14:15]
.Lpost_getpc15257:
	s_add_u32 s14, s14, (.LBB1_9011-.Lpost_getpc15257)&4294967295
	s_addc_u32 s15, s15, (.LBB1_9011-.Lpost_getpc15257)>>32
	s_setpc_b64 s[14:15]
.LBB1_33177:
	s_getpc_b64 s[14:15]
.Lpost_getpc2252:
	s_add_u32 s14, s14, (.LBB1_9012-.Lpost_getpc2252)&4294967295
	s_addc_u32 s15, s15, (.LBB1_9012-.Lpost_getpc2252)>>32
	s_setpc_b64 s[14:15]
.LBB1_23349:
	s_movk_i32 s4, 0x80
	v_cmp_eq_u16_e32 vcc, s4, v6
	s_mov_b64 s[4:5], -1
                                        ; implicit-def: $sgpr10
	s_and_saveexec_b64 s[8:9], vcc
; %bb.23350:
	s_mov_b32 s10, 0x7f800001
	s_xor_b64 s[4:5], exec, -1
; %bb.23351:
	s_or_b64 exec, exec, s[8:9]
	s_and_b64 s[4:5], s[4:5], exec
                                        ; implicit-def: $vgpr6
	s_or_saveexec_b64 s[6:7], s[6:7]
	v_mov_b32_e32 v12, s10
	s_xor_b64 exec, exec, s[6:7]
	s_cbranch_execnz .LBB1_23352
; %bb.59189:
	s_getpc_b64 s[14:15]
.Lpost_getpc15258:
	s_add_u32 s14, s14, (.LBB1_9014-.Lpost_getpc15258)&4294967295
	s_addc_u32 s15, s15, (.LBB1_9014-.Lpost_getpc15258)>>32
	s_setpc_b64 s[14:15]
.LBB1_23352:
	v_cmp_ne_u16_e32 vcc, 0, v6
	s_andn2_b64 s[4:5], s[4:5], exec
	s_and_b64 s[8:9], vcc, exec
	v_mov_b32_e32 v12, 0
	s_or_b64 s[4:5], s[4:5], s[8:9]
	s_or_b64 exec, exec, s[6:7]
	s_and_saveexec_b64 s[6:7], s[4:5]
	s_cbranch_execz .LBB1_33179
; %bb.59191:
	s_getpc_b64 s[14:15]
.Lpost_getpc15259:
	s_add_u32 s14, s14, (.LBB1_9015-.Lpost_getpc15259)&4294967295
	s_addc_u32 s15, s15, (.LBB1_9015-.Lpost_getpc15259)>>32
	s_setpc_b64 s[14:15]
.LBB1_33179:
	s_getpc_b64 s[14:15]
.Lpost_getpc2253:
	s_add_u32 s14, s14, (.LBB1_9016-.Lpost_getpc2253)&4294967295
	s_addc_u32 s15, s15, (.LBB1_9016-.Lpost_getpc2253)>>32
	s_setpc_b64 s[14:15]
.LBB1_23353:
	s_movk_i32 s4, 0x80
	v_cmp_eq_u16_sdwa s[12:13], v7, s4 src0_sel:BYTE_3 src1_sel:DWORD
	s_mov_b64 s[4:5], -1
                                        ; implicit-def: $sgpr10
	s_and_saveexec_b64 s[8:9], s[12:13]
; %bb.23354:
	s_mov_b32 s10, 0x7f800001
	s_xor_b64 s[4:5], exec, -1
; %bb.23355:
	s_or_b64 exec, exec, s[8:9]
	s_and_b64 s[4:5], s[4:5], exec
	s_or_saveexec_b64 s[6:7], s[6:7]
	v_mov_b32_e32 v2, s10
	s_xor_b64 exec, exec, s[6:7]
	s_cbranch_execnz .LBB1_23356
; %bb.59193:
	s_getpc_b64 s[14:15]
.Lpost_getpc15260:
	s_add_u32 s14, s14, (.LBB1_9018-.Lpost_getpc15260)&4294967295
	s_addc_u32 s15, s15, (.LBB1_9018-.Lpost_getpc15260)>>32
	s_setpc_b64 s[14:15]
.LBB1_23356:
	v_mov_b32_e32 v2, 0
	v_cmp_ne_u16_sdwa s[8:9], v7, v2 src0_sel:BYTE_3 src1_sel:DWORD
	s_andn2_b64 s[4:5], s[4:5], exec
	s_and_b64 s[8:9], s[8:9], exec
	s_or_b64 s[4:5], s[4:5], s[8:9]
	s_or_b64 exec, exec, s[6:7]
	s_and_saveexec_b64 s[6:7], s[4:5]
	s_cbranch_execz .LBB1_33181
; %bb.59195:
	s_getpc_b64 s[14:15]
.Lpost_getpc15261:
	s_add_u32 s14, s14, (.LBB1_9019-.Lpost_getpc15261)&4294967295
	s_addc_u32 s15, s15, (.LBB1_9019-.Lpost_getpc15261)>>32
	s_setpc_b64 s[14:15]
.LBB1_33181:
	s_getpc_b64 s[14:15]
.Lpost_getpc2254:
	s_add_u32 s14, s14, (.LBB1_9020-.Lpost_getpc2254)&4294967295
	s_addc_u32 s15, s15, (.LBB1_9020-.Lpost_getpc2254)>>32
	s_setpc_b64 s[14:15]
.LBB1_23357:
	s_movk_i32 s4, 0x80
	v_cmp_eq_u16_sdwa s[12:13], v3, s4 src0_sel:BYTE_3 src1_sel:DWORD
	s_mov_b64 s[4:5], -1
                                        ; implicit-def: $sgpr10
	s_and_saveexec_b64 s[8:9], s[12:13]
; %bb.23358:
	s_mov_b32 s10, 0x7f800001
	s_xor_b64 s[4:5], exec, -1
; %bb.23359:
	s_or_b64 exec, exec, s[8:9]
	s_and_b64 s[4:5], s[4:5], exec
	s_or_saveexec_b64 s[6:7], s[6:7]
	v_mov_b32_e32 v6, s10
	s_xor_b64 exec, exec, s[6:7]
	s_cbranch_execnz .LBB1_23360
; %bb.59197:
	s_getpc_b64 s[14:15]
.Lpost_getpc15262:
	s_add_u32 s14, s14, (.LBB1_9022-.Lpost_getpc15262)&4294967295
	s_addc_u32 s15, s15, (.LBB1_9022-.Lpost_getpc15262)>>32
	s_setpc_b64 s[14:15]
.LBB1_23360:
	v_mov_b32_e32 v6, 0
	v_cmp_ne_u16_sdwa s[8:9], v3, v6 src0_sel:BYTE_3 src1_sel:DWORD
	s_andn2_b64 s[4:5], s[4:5], exec
	s_and_b64 s[8:9], s[8:9], exec
	s_or_b64 s[4:5], s[4:5], s[8:9]
	s_or_b64 exec, exec, s[6:7]
	s_and_saveexec_b64 s[6:7], s[4:5]
	s_cbranch_execz .LBB1_33183
; %bb.59199:
	s_getpc_b64 s[14:15]
.Lpost_getpc15263:
	s_add_u32 s14, s14, (.LBB1_9023-.Lpost_getpc15263)&4294967295
	s_addc_u32 s15, s15, (.LBB1_9023-.Lpost_getpc15263)>>32
	s_setpc_b64 s[14:15]
.LBB1_33183:
	s_getpc_b64 s[14:15]
.Lpost_getpc2255:
	s_add_u32 s14, s14, (.LBB1_9024-.Lpost_getpc2255)&4294967295
	s_addc_u32 s15, s15, (.LBB1_9024-.Lpost_getpc2255)>>32
	s_setpc_b64 s[14:15]
.LBB1_23361:
	s_movk_i32 s4, 0x80
	v_cmp_eq_u16_sdwa s[12:13], v8, s4 src0_sel:BYTE_0 src1_sel:DWORD
	s_mov_b64 s[4:5], -1
                                        ; implicit-def: $sgpr10
	s_and_saveexec_b64 s[8:9], s[12:13]
; %bb.23362:
	s_mov_b32 s10, 0x7f800001
	s_xor_b64 s[4:5], exec, -1
; %bb.23363:
	s_or_b64 exec, exec, s[8:9]
	s_and_b64 s[4:5], s[4:5], exec
	s_or_saveexec_b64 s[6:7], s[6:7]
	v_mov_b32_e32 v2, s10
	s_xor_b64 exec, exec, s[6:7]
	s_cbranch_execnz .LBB1_23364
; %bb.59201:
	s_getpc_b64 s[14:15]
.Lpost_getpc15264:
	s_add_u32 s14, s14, (.LBB1_9026-.Lpost_getpc15264)&4294967295
	s_addc_u32 s15, s15, (.LBB1_9026-.Lpost_getpc15264)>>32
	s_setpc_b64 s[14:15]
.LBB1_23364:
	v_mov_b32_e32 v2, 0
	v_cmp_ne_u16_sdwa s[8:9], v8, v2 src0_sel:BYTE_0 src1_sel:DWORD
	s_andn2_b64 s[4:5], s[4:5], exec
	s_and_b64 s[8:9], s[8:9], exec
	s_or_b64 s[4:5], s[4:5], s[8:9]
	s_or_b64 exec, exec, s[6:7]
	s_and_saveexec_b64 s[6:7], s[4:5]
	s_cbranch_execz .LBB1_33185
; %bb.59203:
	s_getpc_b64 s[14:15]
.Lpost_getpc15265:
	s_add_u32 s14, s14, (.LBB1_9027-.Lpost_getpc15265)&4294967295
	s_addc_u32 s15, s15, (.LBB1_9027-.Lpost_getpc15265)>>32
	s_setpc_b64 s[14:15]
.LBB1_33185:
	s_getpc_b64 s[14:15]
.Lpost_getpc2256:
	s_add_u32 s14, s14, (.LBB1_9028-.Lpost_getpc2256)&4294967295
	s_addc_u32 s15, s15, (.LBB1_9028-.Lpost_getpc2256)>>32
	s_setpc_b64 s[14:15]
.LBB1_23365:
	s_movk_i32 s4, 0x80
	v_cmp_eq_u16_sdwa s[12:13], v4, s4 src0_sel:BYTE_0 src1_sel:DWORD
	s_mov_b64 s[4:5], -1
                                        ; implicit-def: $sgpr10
	s_and_saveexec_b64 s[8:9], s[12:13]
; %bb.23366:
	s_mov_b32 s10, 0x7f800001
	s_xor_b64 s[4:5], exec, -1
; %bb.23367:
	s_or_b64 exec, exec, s[8:9]
	s_and_b64 s[4:5], s[4:5], exec
	s_or_saveexec_b64 s[6:7], s[6:7]
	v_mov_b32_e32 v3, s10
	s_xor_b64 exec, exec, s[6:7]
	s_cbranch_execnz .LBB1_23368
; %bb.59205:
	s_getpc_b64 s[14:15]
.Lpost_getpc15266:
	s_add_u32 s14, s14, (.LBB1_9030-.Lpost_getpc15266)&4294967295
	s_addc_u32 s15, s15, (.LBB1_9030-.Lpost_getpc15266)>>32
	s_setpc_b64 s[14:15]
.LBB1_23368:
	v_mov_b32_e32 v3, 0
	v_cmp_ne_u16_sdwa s[8:9], v4, v3 src0_sel:BYTE_0 src1_sel:DWORD
	s_andn2_b64 s[4:5], s[4:5], exec
	s_and_b64 s[8:9], s[8:9], exec
	s_or_b64 s[4:5], s[4:5], s[8:9]
	s_or_b64 exec, exec, s[6:7]
	s_and_saveexec_b64 s[6:7], s[4:5]
	s_cbranch_execz .LBB1_33187
; %bb.59207:
	s_getpc_b64 s[14:15]
.Lpost_getpc15267:
	s_add_u32 s14, s14, (.LBB1_9031-.Lpost_getpc15267)&4294967295
	s_addc_u32 s15, s15, (.LBB1_9031-.Lpost_getpc15267)>>32
	s_setpc_b64 s[14:15]
.LBB1_33187:
	s_getpc_b64 s[14:15]
.Lpost_getpc2257:
	s_add_u32 s14, s14, (.LBB1_9032-.Lpost_getpc2257)&4294967295
	s_addc_u32 s15, s15, (.LBB1_9032-.Lpost_getpc2257)>>32
	s_setpc_b64 s[14:15]
.LBB1_23369:
	s_movk_i32 s4, 0x80
	v_cmp_eq_u16_sdwa s[12:13], v3, s4 src0_sel:BYTE_0 src1_sel:DWORD
	s_mov_b64 s[4:5], -1
                                        ; implicit-def: $sgpr10
	s_and_saveexec_b64 s[8:9], s[12:13]
; %bb.23370:
	s_mov_b32 s10, 0x7f800001
	s_xor_b64 s[4:5], exec, -1
; %bb.23371:
	s_or_b64 exec, exec, s[8:9]
	s_and_b64 s[4:5], s[4:5], exec
	s_or_saveexec_b64 s[6:7], s[6:7]
	v_mov_b32_e32 v2, s10
	s_xor_b64 exec, exec, s[6:7]
	s_cbranch_execnz .LBB1_23372
; %bb.59209:
	s_getpc_b64 s[14:15]
.Lpost_getpc15268:
	s_add_u32 s14, s14, (.LBB1_9034-.Lpost_getpc15268)&4294967295
	s_addc_u32 s15, s15, (.LBB1_9034-.Lpost_getpc15268)>>32
	s_setpc_b64 s[14:15]
.LBB1_23372:
	v_mov_b32_e32 v2, 0
	v_cmp_ne_u16_sdwa s[8:9], v3, v2 src0_sel:BYTE_0 src1_sel:DWORD
	s_andn2_b64 s[4:5], s[4:5], exec
	s_and_b64 s[8:9], s[8:9], exec
	s_or_b64 s[4:5], s[4:5], s[8:9]
	s_or_b64 exec, exec, s[6:7]
	s_and_saveexec_b64 s[6:7], s[4:5]
	s_cbranch_execz .LBB1_33189
; %bb.59211:
	s_getpc_b64 s[14:15]
.Lpost_getpc15269:
	s_add_u32 s14, s14, (.LBB1_9035-.Lpost_getpc15269)&4294967295
	s_addc_u32 s15, s15, (.LBB1_9035-.Lpost_getpc15269)>>32
	s_setpc_b64 s[14:15]
.LBB1_33189:
	s_getpc_b64 s[14:15]
.Lpost_getpc2258:
	s_add_u32 s14, s14, (.LBB1_9036-.Lpost_getpc2258)&4294967295
	s_addc_u32 s15, s15, (.LBB1_9036-.Lpost_getpc2258)>>32
	s_setpc_b64 s[14:15]
.LBB1_23373:
	s_movk_i32 s4, 0x80
	v_cmp_eq_u16_sdwa s[12:13], v3, s4 src0_sel:BYTE_0 src1_sel:DWORD
	s_mov_b64 s[4:5], -1
                                        ; implicit-def: $sgpr10
	s_and_saveexec_b64 s[8:9], s[12:13]
; %bb.23374:
	s_mov_b32 s10, 0x7f800001
	s_xor_b64 s[4:5], exec, -1
; %bb.23375:
	s_or_b64 exec, exec, s[8:9]
	s_and_b64 s[4:5], s[4:5], exec
	s_or_saveexec_b64 s[6:7], s[6:7]
	v_mov_b32_e32 v6, s10
	s_xor_b64 exec, exec, s[6:7]
	s_cbranch_execnz .LBB1_23376
; %bb.59213:
	s_getpc_b64 s[14:15]
.Lpost_getpc15270:
	s_add_u32 s14, s14, (.LBB1_9038-.Lpost_getpc15270)&4294967295
	s_addc_u32 s15, s15, (.LBB1_9038-.Lpost_getpc15270)>>32
	s_setpc_b64 s[14:15]
.LBB1_23376:
	v_mov_b32_e32 v6, 0
	v_cmp_ne_u16_sdwa s[8:9], v3, v6 src0_sel:BYTE_0 src1_sel:DWORD
	s_andn2_b64 s[4:5], s[4:5], exec
	s_and_b64 s[8:9], s[8:9], exec
	s_or_b64 s[4:5], s[4:5], s[8:9]
	s_or_b64 exec, exec, s[6:7]
	s_and_saveexec_b64 s[6:7], s[4:5]
	s_cbranch_execz .LBB1_33191
; %bb.59215:
	s_getpc_b64 s[14:15]
.Lpost_getpc15271:
	s_add_u32 s14, s14, (.LBB1_9039-.Lpost_getpc15271)&4294967295
	s_addc_u32 s15, s15, (.LBB1_9039-.Lpost_getpc15271)>>32
	s_setpc_b64 s[14:15]
.LBB1_33191:
	s_getpc_b64 s[14:15]
.Lpost_getpc2259:
	s_add_u32 s14, s14, (.LBB1_9040-.Lpost_getpc2259)&4294967295
	s_addc_u32 s15, s15, (.LBB1_9040-.Lpost_getpc2259)>>32
	s_setpc_b64 s[14:15]
.LBB1_23377:
	s_movk_i32 s4, 0x80
	v_cmp_eq_u16_e32 vcc, s4, v3
	s_mov_b64 s[4:5], -1
                                        ; implicit-def: $sgpr10
	s_and_saveexec_b64 s[8:9], vcc
; %bb.23378:
	s_mov_b32 s10, 0x7f800001
	s_xor_b64 s[4:5], exec, -1
; %bb.23379:
	s_or_b64 exec, exec, s[8:9]
	s_and_b64 s[4:5], s[4:5], exec
                                        ; implicit-def: $vgpr3
	s_or_saveexec_b64 s[6:7], s[6:7]
	v_mov_b32_e32 v2, s10
	s_xor_b64 exec, exec, s[6:7]
	s_cbranch_execnz .LBB1_23380
; %bb.59217:
	s_getpc_b64 s[14:15]
.Lpost_getpc15272:
	s_add_u32 s14, s14, (.LBB1_9042-.Lpost_getpc15272)&4294967295
	s_addc_u32 s15, s15, (.LBB1_9042-.Lpost_getpc15272)>>32
	s_setpc_b64 s[14:15]
.LBB1_23380:
	v_cmp_ne_u16_e32 vcc, 0, v3
	s_andn2_b64 s[4:5], s[4:5], exec
	s_and_b64 s[8:9], vcc, exec
	v_mov_b32_e32 v2, 0
	s_or_b64 s[4:5], s[4:5], s[8:9]
	s_or_b64 exec, exec, s[6:7]
	s_and_saveexec_b64 s[6:7], s[4:5]
	s_cbranch_execz .LBB1_33193
; %bb.59219:
	s_getpc_b64 s[14:15]
.Lpost_getpc15273:
	s_add_u32 s14, s14, (.LBB1_9043-.Lpost_getpc15273)&4294967295
	s_addc_u32 s15, s15, (.LBB1_9043-.Lpost_getpc15273)>>32
	s_setpc_b64 s[14:15]
.LBB1_33193:
	s_getpc_b64 s[14:15]
.Lpost_getpc2260:
	s_add_u32 s14, s14, (.LBB1_9044-.Lpost_getpc2260)&4294967295
	s_addc_u32 s15, s15, (.LBB1_9044-.Lpost_getpc2260)>>32
	s_setpc_b64 s[14:15]
.LBB1_23381:
	s_movk_i32 s4, 0x80
	v_cmp_eq_u16_e32 vcc, s4, v3
	s_mov_b64 s[4:5], -1
                                        ; implicit-def: $sgpr10
	s_and_saveexec_b64 s[8:9], vcc
; %bb.23382:
	s_mov_b32 s10, 0x7f800001
	s_xor_b64 s[4:5], exec, -1
; %bb.23383:
	s_or_b64 exec, exec, s[8:9]
	s_and_b64 s[4:5], s[4:5], exec
                                        ; implicit-def: $vgpr3
	s_or_saveexec_b64 s[6:7], s[6:7]
	v_mov_b32_e32 v6, s10
	s_xor_b64 exec, exec, s[6:7]
	s_cbranch_execnz .LBB1_23384
; %bb.59221:
	s_getpc_b64 s[14:15]
.Lpost_getpc15274:
	s_add_u32 s14, s14, (.LBB1_9046-.Lpost_getpc15274)&4294967295
	s_addc_u32 s15, s15, (.LBB1_9046-.Lpost_getpc15274)>>32
	s_setpc_b64 s[14:15]
.LBB1_23384:
	v_cmp_ne_u16_e32 vcc, 0, v3
	s_andn2_b64 s[4:5], s[4:5], exec
	s_and_b64 s[8:9], vcc, exec
	v_mov_b32_e32 v6, 0
	s_or_b64 s[4:5], s[4:5], s[8:9]
	s_or_b64 exec, exec, s[6:7]
	s_and_saveexec_b64 s[6:7], s[4:5]
	s_cbranch_execz .LBB1_33195
; %bb.59223:
	s_getpc_b64 s[14:15]
.Lpost_getpc15275:
	s_add_u32 s14, s14, (.LBB1_9047-.Lpost_getpc15275)&4294967295
	s_addc_u32 s15, s15, (.LBB1_9047-.Lpost_getpc15275)>>32
	s_setpc_b64 s[14:15]
.LBB1_33195:
	s_getpc_b64 s[14:15]
.Lpost_getpc2261:
	s_add_u32 s14, s14, (.LBB1_9048-.Lpost_getpc2261)&4294967295
	s_addc_u32 s15, s15, (.LBB1_9048-.Lpost_getpc2261)>>32
	s_setpc_b64 s[14:15]
.LBB1_23385:
	s_movk_i32 s4, 0x80
	v_cmp_eq_u16_sdwa s[12:13], v8, s4 src0_sel:BYTE_3 src1_sel:DWORD
	s_mov_b64 s[4:5], -1
                                        ; implicit-def: $sgpr10
	s_and_saveexec_b64 s[8:9], s[12:13]
; %bb.23386:
	s_mov_b32 s10, 0x7f800001
	s_xor_b64 s[4:5], exec, -1
; %bb.23387:
	s_or_b64 exec, exec, s[8:9]
	s_and_b64 s[4:5], s[4:5], exec
	s_or_saveexec_b64 s[6:7], s[6:7]
	v_mov_b32_e32 v2, s10
	s_xor_b64 exec, exec, s[6:7]
	s_cbranch_execnz .LBB1_23388
; %bb.59225:
	s_getpc_b64 s[14:15]
.Lpost_getpc15276:
	s_add_u32 s14, s14, (.LBB1_9050-.Lpost_getpc15276)&4294967295
	s_addc_u32 s15, s15, (.LBB1_9050-.Lpost_getpc15276)>>32
	s_setpc_b64 s[14:15]
.LBB1_23388:
	v_mov_b32_e32 v2, 0
	v_cmp_ne_u16_sdwa s[8:9], v8, v2 src0_sel:BYTE_3 src1_sel:DWORD
	s_andn2_b64 s[4:5], s[4:5], exec
	s_and_b64 s[8:9], s[8:9], exec
	s_or_b64 s[4:5], s[4:5], s[8:9]
	s_or_b64 exec, exec, s[6:7]
	s_and_saveexec_b64 s[6:7], s[4:5]
	s_cbranch_execz .LBB1_33197
; %bb.59227:
	s_getpc_b64 s[14:15]
.Lpost_getpc15277:
	s_add_u32 s14, s14, (.LBB1_9051-.Lpost_getpc15277)&4294967295
	s_addc_u32 s15, s15, (.LBB1_9051-.Lpost_getpc15277)>>32
	s_setpc_b64 s[14:15]
.LBB1_33197:
	s_getpc_b64 s[14:15]
.Lpost_getpc2262:
	s_add_u32 s14, s14, (.LBB1_9052-.Lpost_getpc2262)&4294967295
	s_addc_u32 s15, s15, (.LBB1_9052-.Lpost_getpc2262)>>32
	s_setpc_b64 s[14:15]
.LBB1_23389:
	s_movk_i32 s4, 0x80
	v_cmp_eq_u16_sdwa s[12:13], v4, s4 src0_sel:BYTE_3 src1_sel:DWORD
	s_mov_b64 s[4:5], -1
                                        ; implicit-def: $sgpr10
	s_and_saveexec_b64 s[8:9], s[12:13]
; %bb.23390:
	s_mov_b32 s10, 0x7f800001
	s_xor_b64 s[4:5], exec, -1
; %bb.23391:
	s_or_b64 exec, exec, s[8:9]
	s_and_b64 s[4:5], s[4:5], exec
	s_or_saveexec_b64 s[6:7], s[6:7]
	v_mov_b32_e32 v3, s10
	s_xor_b64 exec, exec, s[6:7]
	s_cbranch_execnz .LBB1_23392
; %bb.59229:
	s_getpc_b64 s[14:15]
.Lpost_getpc15278:
	s_add_u32 s14, s14, (.LBB1_9054-.Lpost_getpc15278)&4294967295
	s_addc_u32 s15, s15, (.LBB1_9054-.Lpost_getpc15278)>>32
	s_setpc_b64 s[14:15]
.LBB1_23392:
	v_mov_b32_e32 v3, 0
	v_cmp_ne_u16_sdwa s[8:9], v4, v3 src0_sel:BYTE_3 src1_sel:DWORD
	s_andn2_b64 s[4:5], s[4:5], exec
	s_and_b64 s[8:9], s[8:9], exec
	s_or_b64 s[4:5], s[4:5], s[8:9]
	s_or_b64 exec, exec, s[6:7]
	s_and_saveexec_b64 s[6:7], s[4:5]
	s_cbranch_execz .LBB1_33199
; %bb.59231:
	s_getpc_b64 s[14:15]
.Lpost_getpc15279:
	s_add_u32 s14, s14, (.LBB1_9055-.Lpost_getpc15279)&4294967295
	s_addc_u32 s15, s15, (.LBB1_9055-.Lpost_getpc15279)>>32
	s_setpc_b64 s[14:15]
.LBB1_33199:
	s_getpc_b64 s[14:15]
.Lpost_getpc2263:
	s_add_u32 s14, s14, (.LBB1_9056-.Lpost_getpc2263)&4294967295
	s_addc_u32 s15, s15, (.LBB1_9056-.Lpost_getpc2263)>>32
	s_setpc_b64 s[14:15]
.LBB1_23393:
	s_movk_i32 s4, 0x80
	v_cmp_eq_u16_sdwa s[12:13], v9, s4 src0_sel:BYTE_0 src1_sel:DWORD
	s_mov_b64 s[4:5], -1
                                        ; implicit-def: $sgpr10
	s_and_saveexec_b64 s[8:9], s[12:13]
; %bb.23394:
	s_mov_b32 s10, 0x7f800001
	s_xor_b64 s[4:5], exec, -1
; %bb.23395:
	s_or_b64 exec, exec, s[8:9]
	s_and_b64 s[4:5], s[4:5], exec
	s_or_saveexec_b64 s[6:7], s[6:7]
	v_mov_b32_e32 v2, s10
	s_xor_b64 exec, exec, s[6:7]
	s_cbranch_execnz .LBB1_23396
; %bb.59233:
	s_getpc_b64 s[14:15]
.Lpost_getpc15280:
	s_add_u32 s14, s14, (.LBB1_9058-.Lpost_getpc15280)&4294967295
	s_addc_u32 s15, s15, (.LBB1_9058-.Lpost_getpc15280)>>32
	s_setpc_b64 s[14:15]
.LBB1_23396:
	v_mov_b32_e32 v2, 0
	v_cmp_ne_u16_sdwa s[8:9], v9, v2 src0_sel:BYTE_0 src1_sel:DWORD
	s_andn2_b64 s[4:5], s[4:5], exec
	s_and_b64 s[8:9], s[8:9], exec
	s_or_b64 s[4:5], s[4:5], s[8:9]
	s_or_b64 exec, exec, s[6:7]
	s_and_saveexec_b64 s[6:7], s[4:5]
	s_cbranch_execz .LBB1_33201
; %bb.59235:
	s_getpc_b64 s[14:15]
.Lpost_getpc15281:
	s_add_u32 s14, s14, (.LBB1_9059-.Lpost_getpc15281)&4294967295
	s_addc_u32 s15, s15, (.LBB1_9059-.Lpost_getpc15281)>>32
	s_setpc_b64 s[14:15]
.LBB1_33201:
	s_getpc_b64 s[14:15]
.Lpost_getpc2264:
	s_add_u32 s14, s14, (.LBB1_9060-.Lpost_getpc2264)&4294967295
	s_addc_u32 s15, s15, (.LBB1_9060-.Lpost_getpc2264)>>32
	s_setpc_b64 s[14:15]
.LBB1_23397:
	s_movk_i32 s4, 0x80
	v_cmp_eq_u16_sdwa s[12:13], v5, s4 src0_sel:BYTE_0 src1_sel:DWORD
	s_mov_b64 s[4:5], -1
                                        ; implicit-def: $sgpr10
	s_and_saveexec_b64 s[8:9], s[12:13]
; %bb.23398:
	s_mov_b32 s10, 0x7f800001
	s_xor_b64 s[4:5], exec, -1
; %bb.23399:
	s_or_b64 exec, exec, s[8:9]
	s_and_b64 s[4:5], s[4:5], exec
	s_or_saveexec_b64 s[6:7], s[6:7]
	v_mov_b32_e32 v3, s10
	s_xor_b64 exec, exec, s[6:7]
	s_cbranch_execnz .LBB1_23400
; %bb.59237:
	s_getpc_b64 s[14:15]
.Lpost_getpc15282:
	s_add_u32 s14, s14, (.LBB1_9062-.Lpost_getpc15282)&4294967295
	s_addc_u32 s15, s15, (.LBB1_9062-.Lpost_getpc15282)>>32
	s_setpc_b64 s[14:15]
.LBB1_23400:
	v_mov_b32_e32 v3, 0
	v_cmp_ne_u16_sdwa s[8:9], v5, v3 src0_sel:BYTE_0 src1_sel:DWORD
	s_andn2_b64 s[4:5], s[4:5], exec
	s_and_b64 s[8:9], s[8:9], exec
	s_or_b64 s[4:5], s[4:5], s[8:9]
	s_or_b64 exec, exec, s[6:7]
	s_and_saveexec_b64 s[6:7], s[4:5]
	s_cbranch_execz .LBB1_33203
; %bb.59239:
	s_getpc_b64 s[14:15]
.Lpost_getpc15283:
	s_add_u32 s14, s14, (.LBB1_9063-.Lpost_getpc15283)&4294967295
	s_addc_u32 s15, s15, (.LBB1_9063-.Lpost_getpc15283)>>32
	s_setpc_b64 s[14:15]
.LBB1_33203:
	s_getpc_b64 s[14:15]
.Lpost_getpc2265:
	s_add_u32 s14, s14, (.LBB1_9064-.Lpost_getpc2265)&4294967295
	s_addc_u32 s15, s15, (.LBB1_9064-.Lpost_getpc2265)>>32
	s_setpc_b64 s[14:15]
.LBB1_23401:
	s_movk_i32 s4, 0x80
	v_cmp_eq_u16_sdwa s[12:13], v3, s4 src0_sel:BYTE_0 src1_sel:DWORD
	s_mov_b64 s[4:5], -1
                                        ; implicit-def: $sgpr10
	s_and_saveexec_b64 s[8:9], s[12:13]
; %bb.23402:
	s_mov_b32 s10, 0x7f800001
	s_xor_b64 s[4:5], exec, -1
; %bb.23403:
	s_or_b64 exec, exec, s[8:9]
	s_and_b64 s[4:5], s[4:5], exec
	s_or_saveexec_b64 s[6:7], s[6:7]
	v_mov_b32_e32 v2, s10
	s_xor_b64 exec, exec, s[6:7]
	s_cbranch_execnz .LBB1_23404
; %bb.59241:
	s_getpc_b64 s[14:15]
.Lpost_getpc15284:
	s_add_u32 s14, s14, (.LBB1_9066-.Lpost_getpc15284)&4294967295
	s_addc_u32 s15, s15, (.LBB1_9066-.Lpost_getpc15284)>>32
	s_setpc_b64 s[14:15]
.LBB1_23404:
	v_mov_b32_e32 v2, 0
	v_cmp_ne_u16_sdwa s[8:9], v3, v2 src0_sel:BYTE_0 src1_sel:DWORD
	s_andn2_b64 s[4:5], s[4:5], exec
	s_and_b64 s[8:9], s[8:9], exec
	s_or_b64 s[4:5], s[4:5], s[8:9]
	s_or_b64 exec, exec, s[6:7]
	s_and_saveexec_b64 s[6:7], s[4:5]
	s_cbranch_execz .LBB1_33205
; %bb.59243:
	s_getpc_b64 s[14:15]
.Lpost_getpc15285:
	s_add_u32 s14, s14, (.LBB1_9067-.Lpost_getpc15285)&4294967295
	s_addc_u32 s15, s15, (.LBB1_9067-.Lpost_getpc15285)>>32
	s_setpc_b64 s[14:15]
.LBB1_33205:
	s_getpc_b64 s[14:15]
.Lpost_getpc2266:
	s_add_u32 s14, s14, (.LBB1_9068-.Lpost_getpc2266)&4294967295
	s_addc_u32 s15, s15, (.LBB1_9068-.Lpost_getpc2266)>>32
	s_setpc_b64 s[14:15]
.LBB1_23405:
	s_movk_i32 s4, 0x80
	v_cmp_eq_u16_sdwa s[12:13], v3, s4 src0_sel:BYTE_0 src1_sel:DWORD
	s_mov_b64 s[4:5], -1
                                        ; implicit-def: $sgpr10
	s_and_saveexec_b64 s[8:9], s[12:13]
; %bb.23406:
	s_mov_b32 s10, 0x7f800001
	s_xor_b64 s[4:5], exec, -1
; %bb.23407:
	s_or_b64 exec, exec, s[8:9]
	s_and_b64 s[4:5], s[4:5], exec
	s_or_saveexec_b64 s[6:7], s[6:7]
	v_mov_b32_e32 v4, s10
	s_xor_b64 exec, exec, s[6:7]
	s_cbranch_execnz .LBB1_23408
; %bb.59245:
	s_getpc_b64 s[14:15]
.Lpost_getpc15286:
	s_add_u32 s14, s14, (.LBB1_9070-.Lpost_getpc15286)&4294967295
	s_addc_u32 s15, s15, (.LBB1_9070-.Lpost_getpc15286)>>32
	s_setpc_b64 s[14:15]
.LBB1_23408:
	v_mov_b32_e32 v4, 0
	v_cmp_ne_u16_sdwa s[8:9], v3, v4 src0_sel:BYTE_0 src1_sel:DWORD
	s_andn2_b64 s[4:5], s[4:5], exec
	s_and_b64 s[8:9], s[8:9], exec
	s_or_b64 s[4:5], s[4:5], s[8:9]
	s_or_b64 exec, exec, s[6:7]
	s_and_saveexec_b64 s[6:7], s[4:5]
	s_cbranch_execz .LBB1_33207
; %bb.59247:
	s_getpc_b64 s[14:15]
.Lpost_getpc15287:
	s_add_u32 s14, s14, (.LBB1_9071-.Lpost_getpc15287)&4294967295
	s_addc_u32 s15, s15, (.LBB1_9071-.Lpost_getpc15287)>>32
	s_setpc_b64 s[14:15]
.LBB1_33207:
	s_getpc_b64 s[14:15]
.Lpost_getpc2267:
	s_add_u32 s14, s14, (.LBB1_9072-.Lpost_getpc2267)&4294967295
	s_addc_u32 s15, s15, (.LBB1_9072-.Lpost_getpc2267)>>32
	s_setpc_b64 s[14:15]
.LBB1_23409:
	s_movk_i32 s4, 0x80
	v_cmp_eq_u16_e32 vcc, s4, v3
	s_mov_b64 s[4:5], -1
                                        ; implicit-def: $sgpr10
	s_and_saveexec_b64 s[8:9], vcc
; %bb.23410:
	s_mov_b32 s10, 0x7f800001
	s_xor_b64 s[4:5], exec, -1
; %bb.23411:
	s_or_b64 exec, exec, s[8:9]
	s_and_b64 s[4:5], s[4:5], exec
                                        ; implicit-def: $vgpr3
	s_or_saveexec_b64 s[6:7], s[6:7]
	v_mov_b32_e32 v2, s10
	s_xor_b64 exec, exec, s[6:7]
	s_cbranch_execnz .LBB1_23412
; %bb.59249:
	s_getpc_b64 s[14:15]
.Lpost_getpc15288:
	s_add_u32 s14, s14, (.LBB1_9074-.Lpost_getpc15288)&4294967295
	s_addc_u32 s15, s15, (.LBB1_9074-.Lpost_getpc15288)>>32
	s_setpc_b64 s[14:15]
.LBB1_23412:
	v_cmp_ne_u16_e32 vcc, 0, v3
	s_andn2_b64 s[4:5], s[4:5], exec
	s_and_b64 s[8:9], vcc, exec
	v_mov_b32_e32 v2, 0
	s_or_b64 s[4:5], s[4:5], s[8:9]
	s_or_b64 exec, exec, s[6:7]
	s_and_saveexec_b64 s[6:7], s[4:5]
	s_cbranch_execz .LBB1_33209
; %bb.59251:
	s_getpc_b64 s[14:15]
.Lpost_getpc15289:
	s_add_u32 s14, s14, (.LBB1_9075-.Lpost_getpc15289)&4294967295
	s_addc_u32 s15, s15, (.LBB1_9075-.Lpost_getpc15289)>>32
	s_setpc_b64 s[14:15]
.LBB1_33209:
	s_getpc_b64 s[14:15]
.Lpost_getpc2268:
	s_add_u32 s14, s14, (.LBB1_9076-.Lpost_getpc2268)&4294967295
	s_addc_u32 s15, s15, (.LBB1_9076-.Lpost_getpc2268)>>32
	s_setpc_b64 s[14:15]
.LBB1_23413:
	s_movk_i32 s4, 0x80
	v_cmp_eq_u16_e32 vcc, s4, v3
	s_mov_b64 s[4:5], -1
                                        ; implicit-def: $sgpr10
	s_and_saveexec_b64 s[8:9], vcc
; %bb.23414:
	s_mov_b32 s10, 0x7f800001
	s_xor_b64 s[4:5], exec, -1
; %bb.23415:
	s_or_b64 exec, exec, s[8:9]
	s_and_b64 s[4:5], s[4:5], exec
                                        ; implicit-def: $vgpr3
	s_or_saveexec_b64 s[6:7], s[6:7]
	v_mov_b32_e32 v4, s10
	s_xor_b64 exec, exec, s[6:7]
	s_cbranch_execnz .LBB1_23416
; %bb.59253:
	s_getpc_b64 s[14:15]
.Lpost_getpc15290:
	s_add_u32 s14, s14, (.LBB1_9078-.Lpost_getpc15290)&4294967295
	s_addc_u32 s15, s15, (.LBB1_9078-.Lpost_getpc15290)>>32
	s_setpc_b64 s[14:15]
.LBB1_23416:
	v_cmp_ne_u16_e32 vcc, 0, v3
	s_andn2_b64 s[4:5], s[4:5], exec
	s_and_b64 s[8:9], vcc, exec
	v_mov_b32_e32 v4, 0
	s_or_b64 s[4:5], s[4:5], s[8:9]
	s_or_b64 exec, exec, s[6:7]
	s_and_saveexec_b64 s[6:7], s[4:5]
	s_cbranch_execz .LBB1_33211
; %bb.59255:
	s_getpc_b64 s[14:15]
.Lpost_getpc15291:
	s_add_u32 s14, s14, (.LBB1_9079-.Lpost_getpc15291)&4294967295
	s_addc_u32 s15, s15, (.LBB1_9079-.Lpost_getpc15291)>>32
	s_setpc_b64 s[14:15]
.LBB1_33211:
	s_getpc_b64 s[14:15]
.Lpost_getpc2269:
	s_add_u32 s14, s14, (.LBB1_9080-.Lpost_getpc2269)&4294967295
	s_addc_u32 s15, s15, (.LBB1_9080-.Lpost_getpc2269)>>32
	s_setpc_b64 s[14:15]
.LBB1_23417:
	s_movk_i32 s4, 0x80
	v_cmp_eq_u16_sdwa s[12:13], v9, s4 src0_sel:BYTE_3 src1_sel:DWORD
	s_mov_b64 s[4:5], -1
                                        ; implicit-def: $sgpr10
	s_and_saveexec_b64 s[8:9], s[12:13]
; %bb.23418:
	s_mov_b32 s10, 0x7f800001
	s_xor_b64 s[4:5], exec, -1
; %bb.23419:
	s_or_b64 exec, exec, s[8:9]
	s_and_b64 s[4:5], s[4:5], exec
	s_or_saveexec_b64 s[6:7], s[6:7]
	v_mov_b32_e32 v2, s10
	s_xor_b64 exec, exec, s[6:7]
	s_cbranch_execnz .LBB1_23420
; %bb.59257:
	s_getpc_b64 s[14:15]
.Lpost_getpc15292:
	s_add_u32 s14, s14, (.LBB1_9082-.Lpost_getpc15292)&4294967295
	s_addc_u32 s15, s15, (.LBB1_9082-.Lpost_getpc15292)>>32
	s_setpc_b64 s[14:15]
.LBB1_23420:
	v_mov_b32_e32 v2, 0
	v_cmp_ne_u16_sdwa s[8:9], v9, v2 src0_sel:BYTE_3 src1_sel:DWORD
	s_andn2_b64 s[4:5], s[4:5], exec
	s_and_b64 s[8:9], s[8:9], exec
	s_or_b64 s[4:5], s[4:5], s[8:9]
	s_or_b64 exec, exec, s[6:7]
	s_and_saveexec_b64 s[6:7], s[4:5]
	s_cbranch_execz .LBB1_33213
; %bb.59259:
	s_getpc_b64 s[14:15]
.Lpost_getpc15293:
	s_add_u32 s14, s14, (.LBB1_9083-.Lpost_getpc15293)&4294967295
	s_addc_u32 s15, s15, (.LBB1_9083-.Lpost_getpc15293)>>32
	s_setpc_b64 s[14:15]
.LBB1_33213:
	s_getpc_b64 s[14:15]
.Lpost_getpc2270:
	s_add_u32 s14, s14, (.LBB1_9084-.Lpost_getpc2270)&4294967295
	s_addc_u32 s15, s15, (.LBB1_9084-.Lpost_getpc2270)>>32
	s_setpc_b64 s[14:15]
.LBB1_23421:
	s_movk_i32 s4, 0x80
	v_cmp_eq_u16_sdwa s[12:13], v5, s4 src0_sel:BYTE_3 src1_sel:DWORD
	s_mov_b64 s[4:5], -1
                                        ; implicit-def: $sgpr10
	s_and_saveexec_b64 s[8:9], s[12:13]
; %bb.23422:
	s_mov_b32 s10, 0x7f800001
	s_xor_b64 s[4:5], exec, -1
; %bb.23423:
	s_or_b64 exec, exec, s[8:9]
	s_and_b64 s[4:5], s[4:5], exec
	s_or_saveexec_b64 s[6:7], s[6:7]
	v_mov_b32_e32 v3, s10
	s_xor_b64 exec, exec, s[6:7]
	s_cbranch_execnz .LBB1_23424
; %bb.59261:
	s_getpc_b64 s[14:15]
.Lpost_getpc15294:
	s_add_u32 s14, s14, (.LBB1_9086-.Lpost_getpc15294)&4294967295
	s_addc_u32 s15, s15, (.LBB1_9086-.Lpost_getpc15294)>>32
	s_setpc_b64 s[14:15]
.LBB1_23424:
	v_mov_b32_e32 v3, 0
	v_cmp_ne_u16_sdwa s[8:9], v5, v3 src0_sel:BYTE_3 src1_sel:DWORD
	s_andn2_b64 s[4:5], s[4:5], exec
	s_and_b64 s[8:9], s[8:9], exec
	s_or_b64 s[4:5], s[4:5], s[8:9]
	s_or_b64 exec, exec, s[6:7]
	s_and_saveexec_b64 s[6:7], s[4:5]
	s_cbranch_execz .LBB1_33215
; %bb.59263:
	s_getpc_b64 s[14:15]
.Lpost_getpc15295:
	s_add_u32 s14, s14, (.LBB1_9087-.Lpost_getpc15295)&4294967295
	s_addc_u32 s15, s15, (.LBB1_9087-.Lpost_getpc15295)>>32
	s_setpc_b64 s[14:15]
.LBB1_33215:
	s_getpc_b64 s[14:15]
.Lpost_getpc2271:
	s_add_u32 s14, s14, (.LBB1_9088-.Lpost_getpc2271)&4294967295
	s_addc_u32 s15, s15, (.LBB1_9088-.Lpost_getpc2271)>>32
	s_setpc_b64 s[14:15]
.LBB1_23425:
	s_movk_i32 s4, 0x80
	v_cmp_eq_u16_sdwa s[12:13], v6, s4 src0_sel:BYTE_0 src1_sel:DWORD
	s_mov_b64 s[4:5], -1
                                        ; implicit-def: $sgpr10
	s_and_saveexec_b64 s[8:9], s[12:13]
; %bb.23426:
	s_mov_b32 s10, 0x7f800001
	s_xor_b64 s[4:5], exec, -1
; %bb.23427:
	s_or_b64 exec, exec, s[8:9]
	s_and_b64 s[4:5], s[4:5], exec
	s_or_saveexec_b64 s[6:7], s[6:7]
	v_mov_b32_e32 v12, s10
	s_xor_b64 exec, exec, s[6:7]
	s_cbranch_execnz .LBB1_23428
; %bb.59265:
	s_getpc_b64 s[14:15]
.Lpost_getpc15296:
	s_add_u32 s14, s14, (.LBB1_9090-.Lpost_getpc15296)&4294967295
	s_addc_u32 s15, s15, (.LBB1_9090-.Lpost_getpc15296)>>32
	s_setpc_b64 s[14:15]
.LBB1_23428:
	v_mov_b32_e32 v12, 0
	v_cmp_ne_u16_sdwa s[8:9], v6, v12 src0_sel:BYTE_0 src1_sel:DWORD
	s_andn2_b64 s[4:5], s[4:5], exec
	s_and_b64 s[8:9], s[8:9], exec
	s_or_b64 s[4:5], s[4:5], s[8:9]
	s_or_b64 exec, exec, s[6:7]
	s_and_saveexec_b64 s[6:7], s[4:5]
	s_cbranch_execz .LBB1_33217
; %bb.59267:
	s_getpc_b64 s[14:15]
.Lpost_getpc15297:
	s_add_u32 s14, s14, (.LBB1_9091-.Lpost_getpc15297)&4294967295
	s_addc_u32 s15, s15, (.LBB1_9091-.Lpost_getpc15297)>>32
	s_setpc_b64 s[14:15]
.LBB1_33217:
	s_getpc_b64 s[14:15]
.Lpost_getpc2272:
	s_add_u32 s14, s14, (.LBB1_9092-.Lpost_getpc2272)&4294967295
	s_addc_u32 s15, s15, (.LBB1_9092-.Lpost_getpc2272)>>32
	s_setpc_b64 s[14:15]
.LBB1_23429:
	s_movk_i32 s4, 0x80
	v_cmp_eq_u16_sdwa s[12:13], v2, s4 src0_sel:BYTE_0 src1_sel:DWORD
	s_mov_b64 s[4:5], -1
                                        ; implicit-def: $sgpr10
	s_and_saveexec_b64 s[8:9], s[12:13]
; %bb.23430:
	s_mov_b32 s10, 0x7f800001
	s_xor_b64 s[4:5], exec, -1
; %bb.23431:
	s_or_b64 exec, exec, s[8:9]
	s_and_b64 s[4:5], s[4:5], exec
	s_or_saveexec_b64 s[6:7], s[6:7]
	v_mov_b32_e32 v13, s10
	s_xor_b64 exec, exec, s[6:7]
	s_cbranch_execnz .LBB1_23432
; %bb.59269:
	s_getpc_b64 s[14:15]
.Lpost_getpc15298:
	s_add_u32 s14, s14, (.LBB1_9094-.Lpost_getpc15298)&4294967295
	s_addc_u32 s15, s15, (.LBB1_9094-.Lpost_getpc15298)>>32
	s_setpc_b64 s[14:15]
.LBB1_23432:
	v_mov_b32_e32 v13, 0
	v_cmp_ne_u16_sdwa s[8:9], v2, v13 src0_sel:BYTE_0 src1_sel:DWORD
	s_andn2_b64 s[4:5], s[4:5], exec
	s_and_b64 s[8:9], s[8:9], exec
	s_or_b64 s[4:5], s[4:5], s[8:9]
	s_or_b64 exec, exec, s[6:7]
	s_and_saveexec_b64 s[6:7], s[4:5]
	s_cbranch_execz .LBB1_33219
; %bb.59271:
	s_getpc_b64 s[14:15]
.Lpost_getpc15299:
	s_add_u32 s14, s14, (.LBB1_9095-.Lpost_getpc15299)&4294967295
	s_addc_u32 s15, s15, (.LBB1_9095-.Lpost_getpc15299)>>32
	s_setpc_b64 s[14:15]
.LBB1_33219:
	s_getpc_b64 s[14:15]
.Lpost_getpc2273:
	s_add_u32 s14, s14, (.LBB1_9096-.Lpost_getpc2273)&4294967295
	s_addc_u32 s15, s15, (.LBB1_9096-.Lpost_getpc2273)>>32
	s_setpc_b64 s[14:15]
.LBB1_23433:
	s_movk_i32 s4, 0x80
	v_cmp_eq_u16_sdwa s[12:13], v13, s4 src0_sel:BYTE_0 src1_sel:DWORD
	s_mov_b64 s[4:5], -1
                                        ; implicit-def: $sgpr10
	s_and_saveexec_b64 s[8:9], s[12:13]
; %bb.23434:
	s_mov_b32 s10, 0x7f800001
	s_xor_b64 s[4:5], exec, -1
; %bb.23435:
	s_or_b64 exec, exec, s[8:9]
	s_and_b64 s[4:5], s[4:5], exec
	s_or_saveexec_b64 s[6:7], s[6:7]
	v_mov_b32_e32 v12, s10
	s_xor_b64 exec, exec, s[6:7]
	s_cbranch_execnz .LBB1_23436
; %bb.59273:
	s_getpc_b64 s[14:15]
.Lpost_getpc15300:
	s_add_u32 s14, s14, (.LBB1_9098-.Lpost_getpc15300)&4294967295
	s_addc_u32 s15, s15, (.LBB1_9098-.Lpost_getpc15300)>>32
	s_setpc_b64 s[14:15]
.LBB1_23436:
	v_mov_b32_e32 v12, 0
	v_cmp_ne_u16_sdwa s[8:9], v13, v12 src0_sel:BYTE_0 src1_sel:DWORD
	s_andn2_b64 s[4:5], s[4:5], exec
	s_and_b64 s[8:9], s[8:9], exec
	s_or_b64 s[4:5], s[4:5], s[8:9]
	s_or_b64 exec, exec, s[6:7]
	s_and_saveexec_b64 s[6:7], s[4:5]
	s_cbranch_execz .LBB1_33221
; %bb.59275:
	s_getpc_b64 s[14:15]
.Lpost_getpc15301:
	s_add_u32 s14, s14, (.LBB1_9099-.Lpost_getpc15301)&4294967295
	s_addc_u32 s15, s15, (.LBB1_9099-.Lpost_getpc15301)>>32
	s_setpc_b64 s[14:15]
.LBB1_33221:
	s_getpc_b64 s[14:15]
.Lpost_getpc2274:
	s_add_u32 s14, s14, (.LBB1_9100-.Lpost_getpc2274)&4294967295
	s_addc_u32 s15, s15, (.LBB1_9100-.Lpost_getpc2274)>>32
	s_setpc_b64 s[14:15]
.LBB1_23437:
	s_movk_i32 s4, 0x80
	v_cmp_eq_u16_sdwa s[12:13], v13, s4 src0_sel:BYTE_0 src1_sel:DWORD
	s_mov_b64 s[4:5], -1
                                        ; implicit-def: $sgpr10
	s_and_saveexec_b64 s[8:9], s[12:13]
; %bb.23438:
	s_mov_b32 s10, 0x7f800001
	s_xor_b64 s[4:5], exec, -1
; %bb.23439:
	s_or_b64 exec, exec, s[8:9]
	s_and_b64 s[4:5], s[4:5], exec
	s_or_saveexec_b64 s[6:7], s[6:7]
	v_mov_b32_e32 v14, s10
	s_xor_b64 exec, exec, s[6:7]
	s_cbranch_execnz .LBB1_23440
; %bb.59277:
	s_getpc_b64 s[14:15]
.Lpost_getpc15302:
	s_add_u32 s14, s14, (.LBB1_9102-.Lpost_getpc15302)&4294967295
	s_addc_u32 s15, s15, (.LBB1_9102-.Lpost_getpc15302)>>32
	s_setpc_b64 s[14:15]
.LBB1_23440:
	v_mov_b32_e32 v14, 0
	v_cmp_ne_u16_sdwa s[8:9], v13, v14 src0_sel:BYTE_0 src1_sel:DWORD
	s_andn2_b64 s[4:5], s[4:5], exec
	s_and_b64 s[8:9], s[8:9], exec
	s_or_b64 s[4:5], s[4:5], s[8:9]
	s_or_b64 exec, exec, s[6:7]
	s_and_saveexec_b64 s[6:7], s[4:5]
	s_cbranch_execz .LBB1_33223
; %bb.59279:
	s_getpc_b64 s[14:15]
.Lpost_getpc15303:
	s_add_u32 s14, s14, (.LBB1_9103-.Lpost_getpc15303)&4294967295
	s_addc_u32 s15, s15, (.LBB1_9103-.Lpost_getpc15303)>>32
	s_setpc_b64 s[14:15]
.LBB1_33223:
	s_getpc_b64 s[14:15]
.Lpost_getpc2275:
	s_add_u32 s14, s14, (.LBB1_9104-.Lpost_getpc2275)&4294967295
	s_addc_u32 s15, s15, (.LBB1_9104-.Lpost_getpc2275)>>32
	s_setpc_b64 s[14:15]
.LBB1_23441:
	s_movk_i32 s4, 0x80
	v_cmp_eq_u16_e32 vcc, s4, v13
	s_mov_b64 s[4:5], -1
                                        ; implicit-def: $sgpr10
	s_and_saveexec_b64 s[8:9], vcc
; %bb.23442:
	s_mov_b32 s10, 0x7f800001
	s_xor_b64 s[4:5], exec, -1
; %bb.23443:
	s_or_b64 exec, exec, s[8:9]
	s_and_b64 s[4:5], s[4:5], exec
                                        ; implicit-def: $vgpr13
	s_or_saveexec_b64 s[6:7], s[6:7]
	v_mov_b32_e32 v12, s10
	s_xor_b64 exec, exec, s[6:7]
	s_cbranch_execnz .LBB1_23444
; %bb.59281:
	s_getpc_b64 s[14:15]
.Lpost_getpc15304:
	s_add_u32 s14, s14, (.LBB1_9106-.Lpost_getpc15304)&4294967295
	s_addc_u32 s15, s15, (.LBB1_9106-.Lpost_getpc15304)>>32
	s_setpc_b64 s[14:15]
.LBB1_23444:
	v_cmp_ne_u16_e32 vcc, 0, v13
	s_andn2_b64 s[4:5], s[4:5], exec
	s_and_b64 s[8:9], vcc, exec
	v_mov_b32_e32 v12, 0
	s_or_b64 s[4:5], s[4:5], s[8:9]
	s_or_b64 exec, exec, s[6:7]
	s_and_saveexec_b64 s[6:7], s[4:5]
	s_cbranch_execz .LBB1_33225
; %bb.59283:
	s_getpc_b64 s[14:15]
.Lpost_getpc15305:
	s_add_u32 s14, s14, (.LBB1_9107-.Lpost_getpc15305)&4294967295
	s_addc_u32 s15, s15, (.LBB1_9107-.Lpost_getpc15305)>>32
	s_setpc_b64 s[14:15]
.LBB1_33225:
	s_getpc_b64 s[14:15]
.Lpost_getpc2276:
	s_add_u32 s14, s14, (.LBB1_9108-.Lpost_getpc2276)&4294967295
	s_addc_u32 s15, s15, (.LBB1_9108-.Lpost_getpc2276)>>32
	s_setpc_b64 s[14:15]
.LBB1_23445:
	s_movk_i32 s4, 0x80
	v_cmp_eq_u16_e32 vcc, s4, v13
	s_mov_b64 s[4:5], -1
                                        ; implicit-def: $sgpr10
	s_and_saveexec_b64 s[8:9], vcc
; %bb.23446:
	s_mov_b32 s10, 0x7f800001
	s_xor_b64 s[4:5], exec, -1
; %bb.23447:
	s_or_b64 exec, exec, s[8:9]
	s_and_b64 s[4:5], s[4:5], exec
                                        ; implicit-def: $vgpr13
	s_or_saveexec_b64 s[6:7], s[6:7]
	v_mov_b32_e32 v14, s10
	s_xor_b64 exec, exec, s[6:7]
	s_cbranch_execnz .LBB1_23448
; %bb.59285:
	s_getpc_b64 s[14:15]
.Lpost_getpc15306:
	s_add_u32 s14, s14, (.LBB1_9110-.Lpost_getpc15306)&4294967295
	s_addc_u32 s15, s15, (.LBB1_9110-.Lpost_getpc15306)>>32
	s_setpc_b64 s[14:15]
.LBB1_23448:
	v_cmp_ne_u16_e32 vcc, 0, v13
	s_andn2_b64 s[4:5], s[4:5], exec
	s_and_b64 s[8:9], vcc, exec
	v_mov_b32_e32 v14, 0
	s_or_b64 s[4:5], s[4:5], s[8:9]
	s_or_b64 exec, exec, s[6:7]
	s_and_saveexec_b64 s[6:7], s[4:5]
	s_cbranch_execz .LBB1_33227
; %bb.59287:
	s_getpc_b64 s[14:15]
.Lpost_getpc15307:
	s_add_u32 s14, s14, (.LBB1_9111-.Lpost_getpc15307)&4294967295
	s_addc_u32 s15, s15, (.LBB1_9111-.Lpost_getpc15307)>>32
	s_setpc_b64 s[14:15]
.LBB1_33227:
	s_getpc_b64 s[14:15]
.Lpost_getpc2277:
	s_add_u32 s14, s14, (.LBB1_9112-.Lpost_getpc2277)&4294967295
	s_addc_u32 s15, s15, (.LBB1_9112-.Lpost_getpc2277)>>32
	s_setpc_b64 s[14:15]
.LBB1_23449:
	s_movk_i32 s4, 0x80
	v_cmp_eq_u16_sdwa s[12:13], v6, s4 src0_sel:BYTE_3 src1_sel:DWORD
	s_mov_b64 s[4:5], -1
                                        ; implicit-def: $sgpr10
	s_and_saveexec_b64 s[8:9], s[12:13]
; %bb.23450:
	s_mov_b32 s10, 0x7f800001
	s_xor_b64 s[4:5], exec, -1
; %bb.23451:
	s_or_b64 exec, exec, s[8:9]
	s_and_b64 s[4:5], s[4:5], exec
	s_or_saveexec_b64 s[6:7], s[6:7]
	v_mov_b32_e32 v12, s10
	s_xor_b64 exec, exec, s[6:7]
	s_cbranch_execnz .LBB1_23452
; %bb.59289:
	s_getpc_b64 s[14:15]
.Lpost_getpc15308:
	s_add_u32 s14, s14, (.LBB1_9114-.Lpost_getpc15308)&4294967295
	s_addc_u32 s15, s15, (.LBB1_9114-.Lpost_getpc15308)>>32
	s_setpc_b64 s[14:15]
.LBB1_23452:
	v_mov_b32_e32 v12, 0
	v_cmp_ne_u16_sdwa s[8:9], v6, v12 src0_sel:BYTE_3 src1_sel:DWORD
	s_andn2_b64 s[4:5], s[4:5], exec
	s_and_b64 s[8:9], s[8:9], exec
	s_or_b64 s[4:5], s[4:5], s[8:9]
	s_or_b64 exec, exec, s[6:7]
	s_and_saveexec_b64 s[6:7], s[4:5]
	s_cbranch_execz .LBB1_33229
; %bb.59291:
	s_getpc_b64 s[14:15]
.Lpost_getpc15309:
	s_add_u32 s14, s14, (.LBB1_9115-.Lpost_getpc15309)&4294967295
	s_addc_u32 s15, s15, (.LBB1_9115-.Lpost_getpc15309)>>32
	s_setpc_b64 s[14:15]
.LBB1_33229:
	s_getpc_b64 s[14:15]
.Lpost_getpc2278:
	s_add_u32 s14, s14, (.LBB1_9116-.Lpost_getpc2278)&4294967295
	s_addc_u32 s15, s15, (.LBB1_9116-.Lpost_getpc2278)>>32
	s_setpc_b64 s[14:15]
.LBB1_23453:
	s_movk_i32 s4, 0x80
	v_cmp_eq_u16_sdwa s[12:13], v2, s4 src0_sel:BYTE_3 src1_sel:DWORD
	s_mov_b64 s[4:5], -1
                                        ; implicit-def: $sgpr10
	s_and_saveexec_b64 s[8:9], s[12:13]
; %bb.23454:
	s_mov_b32 s10, 0x7f800001
	s_xor_b64 s[4:5], exec, -1
; %bb.23455:
	s_or_b64 exec, exec, s[8:9]
	s_and_b64 s[4:5], s[4:5], exec
	s_or_saveexec_b64 s[6:7], s[6:7]
	v_mov_b32_e32 v6, s10
	s_xor_b64 exec, exec, s[6:7]
	s_cbranch_execnz .LBB1_23456
; %bb.59293:
	s_getpc_b64 s[14:15]
.Lpost_getpc15310:
	s_add_u32 s14, s14, (.LBB1_9118-.Lpost_getpc15310)&4294967295
	s_addc_u32 s15, s15, (.LBB1_9118-.Lpost_getpc15310)>>32
	s_setpc_b64 s[14:15]
.LBB1_23456:
	v_mov_b32_e32 v6, 0
	v_cmp_ne_u16_sdwa s[8:9], v2, v6 src0_sel:BYTE_3 src1_sel:DWORD
	s_andn2_b64 s[4:5], s[4:5], exec
	s_and_b64 s[8:9], s[8:9], exec
	s_or_b64 s[4:5], s[4:5], s[8:9]
	s_or_b64 exec, exec, s[6:7]
	s_and_saveexec_b64 s[6:7], s[4:5]
	s_cbranch_execz .LBB1_33231
; %bb.59295:
	s_getpc_b64 s[14:15]
.Lpost_getpc15311:
	s_add_u32 s14, s14, (.LBB1_9119-.Lpost_getpc15311)&4294967295
	s_addc_u32 s15, s15, (.LBB1_9119-.Lpost_getpc15311)>>32
	s_setpc_b64 s[14:15]
.LBB1_33231:
	s_getpc_b64 s[14:15]
.Lpost_getpc2279:
	s_add_u32 s14, s14, (.LBB1_9120-.Lpost_getpc2279)&4294967295
	s_addc_u32 s15, s15, (.LBB1_9120-.Lpost_getpc2279)>>32
	s_setpc_b64 s[14:15]
.LBB1_23457:
	s_movk_i32 s4, 0x80
	v_cmp_eq_u16_sdwa s[12:13], v7, s4 src0_sel:BYTE_0 src1_sel:DWORD
	s_mov_b64 s[4:5], -1
                                        ; implicit-def: $sgpr10
	s_and_saveexec_b64 s[8:9], s[12:13]
; %bb.23458:
	s_mov_b32 s10, 0x7f800001
	s_xor_b64 s[4:5], exec, -1
; %bb.23459:
	s_or_b64 exec, exec, s[8:9]
	s_and_b64 s[4:5], s[4:5], exec
	s_or_saveexec_b64 s[6:7], s[6:7]
	v_mov_b32_e32 v2, s10
	s_xor_b64 exec, exec, s[6:7]
	s_cbranch_execnz .LBB1_23460
; %bb.59297:
	s_getpc_b64 s[14:15]
.Lpost_getpc15312:
	s_add_u32 s14, s14, (.LBB1_9122-.Lpost_getpc15312)&4294967295
	s_addc_u32 s15, s15, (.LBB1_9122-.Lpost_getpc15312)>>32
	s_setpc_b64 s[14:15]
.LBB1_23460:
	v_mov_b32_e32 v2, 0
	v_cmp_ne_u16_sdwa s[8:9], v7, v2 src0_sel:BYTE_0 src1_sel:DWORD
	s_andn2_b64 s[4:5], s[4:5], exec
	s_and_b64 s[8:9], s[8:9], exec
	s_or_b64 s[4:5], s[4:5], s[8:9]
	s_or_b64 exec, exec, s[6:7]
	s_and_saveexec_b64 s[6:7], s[4:5]
	s_cbranch_execz .LBB1_33233
; %bb.59299:
	s_getpc_b64 s[14:15]
.Lpost_getpc15313:
	s_add_u32 s14, s14, (.LBB1_9123-.Lpost_getpc15313)&4294967295
	s_addc_u32 s15, s15, (.LBB1_9123-.Lpost_getpc15313)>>32
	s_setpc_b64 s[14:15]
.LBB1_33233:
	s_getpc_b64 s[14:15]
.Lpost_getpc2280:
	s_add_u32 s14, s14, (.LBB1_9124-.Lpost_getpc2280)&4294967295
	s_addc_u32 s15, s15, (.LBB1_9124-.Lpost_getpc2280)>>32
	s_setpc_b64 s[14:15]
.LBB1_23461:
	s_movk_i32 s4, 0x80
	v_cmp_eq_u16_sdwa s[12:13], v3, s4 src0_sel:BYTE_0 src1_sel:DWORD
	s_mov_b64 s[4:5], -1
                                        ; implicit-def: $sgpr10
	s_and_saveexec_b64 s[8:9], s[12:13]
; %bb.23462:
	s_mov_b32 s10, 0x7f800001
	s_xor_b64 s[4:5], exec, -1
; %bb.23463:
	s_or_b64 exec, exec, s[8:9]
	s_and_b64 s[4:5], s[4:5], exec
	s_or_saveexec_b64 s[6:7], s[6:7]
	v_mov_b32_e32 v6, s10
	s_xor_b64 exec, exec, s[6:7]
	s_cbranch_execnz .LBB1_23464
; %bb.59301:
	s_getpc_b64 s[14:15]
.Lpost_getpc15314:
	s_add_u32 s14, s14, (.LBB1_9126-.Lpost_getpc15314)&4294967295
	s_addc_u32 s15, s15, (.LBB1_9126-.Lpost_getpc15314)>>32
	s_setpc_b64 s[14:15]
.LBB1_23464:
	v_mov_b32_e32 v6, 0
	v_cmp_ne_u16_sdwa s[8:9], v3, v6 src0_sel:BYTE_0 src1_sel:DWORD
	s_andn2_b64 s[4:5], s[4:5], exec
	s_and_b64 s[8:9], s[8:9], exec
	s_or_b64 s[4:5], s[4:5], s[8:9]
	s_or_b64 exec, exec, s[6:7]
	s_and_saveexec_b64 s[6:7], s[4:5]
	s_cbranch_execz .LBB1_33235
; %bb.59303:
	s_getpc_b64 s[14:15]
.Lpost_getpc15315:
	s_add_u32 s14, s14, (.LBB1_9127-.Lpost_getpc15315)&4294967295
	s_addc_u32 s15, s15, (.LBB1_9127-.Lpost_getpc15315)>>32
	s_setpc_b64 s[14:15]
.LBB1_33235:
	s_getpc_b64 s[14:15]
.Lpost_getpc2281:
	s_add_u32 s14, s14, (.LBB1_9128-.Lpost_getpc2281)&4294967295
	s_addc_u32 s15, s15, (.LBB1_9128-.Lpost_getpc2281)>>32
	s_setpc_b64 s[14:15]
.LBB1_23465:
	s_movk_i32 s4, 0x80
	v_cmp_eq_u16_sdwa s[12:13], v6, s4 src0_sel:BYTE_0 src1_sel:DWORD
	s_mov_b64 s[4:5], -1
                                        ; implicit-def: $sgpr10
	s_and_saveexec_b64 s[8:9], s[12:13]
; %bb.23466:
	s_mov_b32 s10, 0x7f800001
	s_xor_b64 s[4:5], exec, -1
; %bb.23467:
	s_or_b64 exec, exec, s[8:9]
	s_and_b64 s[4:5], s[4:5], exec
	s_or_saveexec_b64 s[6:7], s[6:7]
	v_mov_b32_e32 v2, s10
	s_xor_b64 exec, exec, s[6:7]
	s_cbranch_execnz .LBB1_23468
; %bb.59305:
	s_getpc_b64 s[14:15]
.Lpost_getpc15316:
	s_add_u32 s14, s14, (.LBB1_9130-.Lpost_getpc15316)&4294967295
	s_addc_u32 s15, s15, (.LBB1_9130-.Lpost_getpc15316)>>32
	s_setpc_b64 s[14:15]
.LBB1_23468:
	v_mov_b32_e32 v2, 0
	v_cmp_ne_u16_sdwa s[8:9], v6, v2 src0_sel:BYTE_0 src1_sel:DWORD
	s_andn2_b64 s[4:5], s[4:5], exec
	s_and_b64 s[8:9], s[8:9], exec
	s_or_b64 s[4:5], s[4:5], s[8:9]
	s_or_b64 exec, exec, s[6:7]
	s_and_saveexec_b64 s[6:7], s[4:5]
	s_cbranch_execz .LBB1_33237
; %bb.59307:
	s_getpc_b64 s[14:15]
.Lpost_getpc15317:
	s_add_u32 s14, s14, (.LBB1_9131-.Lpost_getpc15317)&4294967295
	s_addc_u32 s15, s15, (.LBB1_9131-.Lpost_getpc15317)>>32
	s_setpc_b64 s[14:15]
.LBB1_33237:
	s_getpc_b64 s[14:15]
.Lpost_getpc2282:
	s_add_u32 s14, s14, (.LBB1_9132-.Lpost_getpc2282)&4294967295
	s_addc_u32 s15, s15, (.LBB1_9132-.Lpost_getpc2282)>>32
	s_setpc_b64 s[14:15]
.LBB1_23469:
	s_movk_i32 s4, 0x80
	v_cmp_eq_u16_sdwa s[12:13], v6, s4 src0_sel:BYTE_0 src1_sel:DWORD
	s_mov_b64 s[4:5], -1
                                        ; implicit-def: $sgpr10
	s_and_saveexec_b64 s[8:9], s[12:13]
; %bb.23470:
	s_mov_b32 s10, 0x7f800001
	s_xor_b64 s[4:5], exec, -1
; %bb.23471:
	s_or_b64 exec, exec, s[8:9]
	s_and_b64 s[4:5], s[4:5], exec
	s_or_saveexec_b64 s[6:7], s[6:7]
	v_mov_b32_e32 v12, s10
	s_xor_b64 exec, exec, s[6:7]
	s_cbranch_execnz .LBB1_23472
; %bb.59309:
	s_getpc_b64 s[14:15]
.Lpost_getpc15318:
	s_add_u32 s14, s14, (.LBB1_9134-.Lpost_getpc15318)&4294967295
	s_addc_u32 s15, s15, (.LBB1_9134-.Lpost_getpc15318)>>32
	s_setpc_b64 s[14:15]
.LBB1_23472:
	v_mov_b32_e32 v12, 0
	v_cmp_ne_u16_sdwa s[8:9], v6, v12 src0_sel:BYTE_0 src1_sel:DWORD
	s_andn2_b64 s[4:5], s[4:5], exec
	s_and_b64 s[8:9], s[8:9], exec
	s_or_b64 s[4:5], s[4:5], s[8:9]
	s_or_b64 exec, exec, s[6:7]
	s_and_saveexec_b64 s[6:7], s[4:5]
	s_cbranch_execz .LBB1_33239
; %bb.59311:
	s_getpc_b64 s[14:15]
.Lpost_getpc15319:
	s_add_u32 s14, s14, (.LBB1_9135-.Lpost_getpc15319)&4294967295
	s_addc_u32 s15, s15, (.LBB1_9135-.Lpost_getpc15319)>>32
	s_setpc_b64 s[14:15]
.LBB1_33239:
	s_getpc_b64 s[14:15]
.Lpost_getpc2283:
	s_add_u32 s14, s14, (.LBB1_9136-.Lpost_getpc2283)&4294967295
	s_addc_u32 s15, s15, (.LBB1_9136-.Lpost_getpc2283)>>32
	s_setpc_b64 s[14:15]
.LBB1_23473:
	s_movk_i32 s4, 0x80
	v_cmp_eq_u16_e32 vcc, s4, v6
	s_mov_b64 s[4:5], -1
                                        ; implicit-def: $sgpr10
	s_and_saveexec_b64 s[8:9], vcc
; %bb.23474:
	s_mov_b32 s10, 0x7f800001
	s_xor_b64 s[4:5], exec, -1
; %bb.23475:
	s_or_b64 exec, exec, s[8:9]
	s_and_b64 s[4:5], s[4:5], exec
                                        ; implicit-def: $vgpr6
	s_or_saveexec_b64 s[6:7], s[6:7]
	v_mov_b32_e32 v2, s10
	s_xor_b64 exec, exec, s[6:7]
	s_cbranch_execnz .LBB1_23476
; %bb.59313:
	s_getpc_b64 s[14:15]
.Lpost_getpc15320:
	s_add_u32 s14, s14, (.LBB1_9138-.Lpost_getpc15320)&4294967295
	s_addc_u32 s15, s15, (.LBB1_9138-.Lpost_getpc15320)>>32
	s_setpc_b64 s[14:15]
.LBB1_23476:
	v_cmp_ne_u16_e32 vcc, 0, v6
	s_andn2_b64 s[4:5], s[4:5], exec
	s_and_b64 s[8:9], vcc, exec
	v_mov_b32_e32 v2, 0
	s_or_b64 s[4:5], s[4:5], s[8:9]
	s_or_b64 exec, exec, s[6:7]
	s_and_saveexec_b64 s[6:7], s[4:5]
	s_cbranch_execz .LBB1_33241
; %bb.59315:
	s_getpc_b64 s[14:15]
.Lpost_getpc15321:
	s_add_u32 s14, s14, (.LBB1_9139-.Lpost_getpc15321)&4294967295
	s_addc_u32 s15, s15, (.LBB1_9139-.Lpost_getpc15321)>>32
	s_setpc_b64 s[14:15]
.LBB1_33241:
	s_getpc_b64 s[14:15]
.Lpost_getpc2284:
	s_add_u32 s14, s14, (.LBB1_9140-.Lpost_getpc2284)&4294967295
	s_addc_u32 s15, s15, (.LBB1_9140-.Lpost_getpc2284)>>32
	s_setpc_b64 s[14:15]
.LBB1_23477:
	s_movk_i32 s4, 0x80
	v_cmp_eq_u16_e32 vcc, s4, v6
	s_mov_b64 s[4:5], -1
                                        ; implicit-def: $sgpr10
	s_and_saveexec_b64 s[8:9], vcc
; %bb.23478:
	s_mov_b32 s10, 0x7f800001
	s_xor_b64 s[4:5], exec, -1
; %bb.23479:
	s_or_b64 exec, exec, s[8:9]
	s_and_b64 s[4:5], s[4:5], exec
                                        ; implicit-def: $vgpr6
	s_or_saveexec_b64 s[6:7], s[6:7]
	v_mov_b32_e32 v12, s10
	s_xor_b64 exec, exec, s[6:7]
	s_cbranch_execnz .LBB1_23480
; %bb.59317:
	s_getpc_b64 s[14:15]
.Lpost_getpc15322:
	s_add_u32 s14, s14, (.LBB1_9142-.Lpost_getpc15322)&4294967295
	s_addc_u32 s15, s15, (.LBB1_9142-.Lpost_getpc15322)>>32
	s_setpc_b64 s[14:15]
.LBB1_23480:
	v_cmp_ne_u16_e32 vcc, 0, v6
	s_andn2_b64 s[4:5], s[4:5], exec
	s_and_b64 s[8:9], vcc, exec
	v_mov_b32_e32 v12, 0
	s_or_b64 s[4:5], s[4:5], s[8:9]
	s_or_b64 exec, exec, s[6:7]
	s_and_saveexec_b64 s[6:7], s[4:5]
	s_cbranch_execz .LBB1_33243
; %bb.59319:
	s_getpc_b64 s[14:15]
.Lpost_getpc15323:
	s_add_u32 s14, s14, (.LBB1_9143-.Lpost_getpc15323)&4294967295
	s_addc_u32 s15, s15, (.LBB1_9143-.Lpost_getpc15323)>>32
	s_setpc_b64 s[14:15]
.LBB1_33243:
	s_getpc_b64 s[14:15]
.Lpost_getpc2285:
	s_add_u32 s14, s14, (.LBB1_9144-.Lpost_getpc2285)&4294967295
	s_addc_u32 s15, s15, (.LBB1_9144-.Lpost_getpc2285)>>32
	s_setpc_b64 s[14:15]
.LBB1_23481:
	s_movk_i32 s4, 0x80
	v_cmp_eq_u16_sdwa s[12:13], v7, s4 src0_sel:BYTE_3 src1_sel:DWORD
	s_mov_b64 s[4:5], -1
                                        ; implicit-def: $sgpr10
	s_and_saveexec_b64 s[8:9], s[12:13]
; %bb.23482:
	s_mov_b32 s10, 0x7f800001
	s_xor_b64 s[4:5], exec, -1
; %bb.23483:
	s_or_b64 exec, exec, s[8:9]
	s_and_b64 s[4:5], s[4:5], exec
	s_or_saveexec_b64 s[6:7], s[6:7]
	v_mov_b32_e32 v2, s10
	s_xor_b64 exec, exec, s[6:7]
	s_cbranch_execnz .LBB1_23484
; %bb.59321:
	s_getpc_b64 s[14:15]
.Lpost_getpc15324:
	s_add_u32 s14, s14, (.LBB1_9146-.Lpost_getpc15324)&4294967295
	s_addc_u32 s15, s15, (.LBB1_9146-.Lpost_getpc15324)>>32
	s_setpc_b64 s[14:15]
.LBB1_23484:
	v_mov_b32_e32 v2, 0
	v_cmp_ne_u16_sdwa s[8:9], v7, v2 src0_sel:BYTE_3 src1_sel:DWORD
	s_andn2_b64 s[4:5], s[4:5], exec
	s_and_b64 s[8:9], s[8:9], exec
	s_or_b64 s[4:5], s[4:5], s[8:9]
	s_or_b64 exec, exec, s[6:7]
	s_and_saveexec_b64 s[6:7], s[4:5]
	s_cbranch_execz .LBB1_33245
; %bb.59323:
	s_getpc_b64 s[14:15]
.Lpost_getpc15325:
	s_add_u32 s14, s14, (.LBB1_9147-.Lpost_getpc15325)&4294967295
	s_addc_u32 s15, s15, (.LBB1_9147-.Lpost_getpc15325)>>32
	s_setpc_b64 s[14:15]
.LBB1_33245:
	s_getpc_b64 s[14:15]
.Lpost_getpc2286:
	s_add_u32 s14, s14, (.LBB1_9148-.Lpost_getpc2286)&4294967295
	s_addc_u32 s15, s15, (.LBB1_9148-.Lpost_getpc2286)>>32
	s_setpc_b64 s[14:15]
.LBB1_23485:
	s_movk_i32 s4, 0x80
	v_cmp_eq_u16_sdwa s[12:13], v3, s4 src0_sel:BYTE_3 src1_sel:DWORD
	s_mov_b64 s[4:5], -1
                                        ; implicit-def: $sgpr10
	s_and_saveexec_b64 s[8:9], s[12:13]
; %bb.23486:
	s_mov_b32 s10, 0x7f800001
	s_xor_b64 s[4:5], exec, -1
; %bb.23487:
	s_or_b64 exec, exec, s[8:9]
	s_and_b64 s[4:5], s[4:5], exec
	s_or_saveexec_b64 s[6:7], s[6:7]
	v_mov_b32_e32 v6, s10
	s_xor_b64 exec, exec, s[6:7]
	s_cbranch_execnz .LBB1_23488
; %bb.59325:
	s_getpc_b64 s[14:15]
.Lpost_getpc15326:
	s_add_u32 s14, s14, (.LBB1_9150-.Lpost_getpc15326)&4294967295
	s_addc_u32 s15, s15, (.LBB1_9150-.Lpost_getpc15326)>>32
	s_setpc_b64 s[14:15]
.LBB1_23488:
	v_mov_b32_e32 v6, 0
	v_cmp_ne_u16_sdwa s[8:9], v3, v6 src0_sel:BYTE_3 src1_sel:DWORD
	s_andn2_b64 s[4:5], s[4:5], exec
	s_and_b64 s[8:9], s[8:9], exec
	s_or_b64 s[4:5], s[4:5], s[8:9]
	s_or_b64 exec, exec, s[6:7]
	s_and_saveexec_b64 s[6:7], s[4:5]
	s_cbranch_execz .LBB1_33247
; %bb.59327:
	s_getpc_b64 s[14:15]
.Lpost_getpc15327:
	s_add_u32 s14, s14, (.LBB1_9151-.Lpost_getpc15327)&4294967295
	s_addc_u32 s15, s15, (.LBB1_9151-.Lpost_getpc15327)>>32
	s_setpc_b64 s[14:15]
.LBB1_33247:
	s_getpc_b64 s[14:15]
.Lpost_getpc2287:
	s_add_u32 s14, s14, (.LBB1_9152-.Lpost_getpc2287)&4294967295
	s_addc_u32 s15, s15, (.LBB1_9152-.Lpost_getpc2287)>>32
	s_setpc_b64 s[14:15]
.LBB1_23489:
	s_movk_i32 s4, 0x80
	v_cmp_eq_u16_sdwa s[12:13], v8, s4 src0_sel:BYTE_0 src1_sel:DWORD
	s_mov_b64 s[4:5], -1
                                        ; implicit-def: $sgpr10
	s_and_saveexec_b64 s[8:9], s[12:13]
; %bb.23490:
	s_mov_b32 s10, 0x7f800001
	s_xor_b64 s[4:5], exec, -1
; %bb.23491:
	s_or_b64 exec, exec, s[8:9]
	s_and_b64 s[4:5], s[4:5], exec
	s_or_saveexec_b64 s[6:7], s[6:7]
	v_mov_b32_e32 v2, s10
	s_xor_b64 exec, exec, s[6:7]
	s_cbranch_execnz .LBB1_23492
; %bb.59329:
	s_getpc_b64 s[14:15]
.Lpost_getpc15328:
	s_add_u32 s14, s14, (.LBB1_9154-.Lpost_getpc15328)&4294967295
	s_addc_u32 s15, s15, (.LBB1_9154-.Lpost_getpc15328)>>32
	s_setpc_b64 s[14:15]
.LBB1_23492:
	v_mov_b32_e32 v2, 0
	v_cmp_ne_u16_sdwa s[8:9], v8, v2 src0_sel:BYTE_0 src1_sel:DWORD
	s_andn2_b64 s[4:5], s[4:5], exec
	s_and_b64 s[8:9], s[8:9], exec
	s_or_b64 s[4:5], s[4:5], s[8:9]
	s_or_b64 exec, exec, s[6:7]
	s_and_saveexec_b64 s[6:7], s[4:5]
	s_cbranch_execz .LBB1_33249
; %bb.59331:
	s_getpc_b64 s[14:15]
.Lpost_getpc15329:
	s_add_u32 s14, s14, (.LBB1_9155-.Lpost_getpc15329)&4294967295
	s_addc_u32 s15, s15, (.LBB1_9155-.Lpost_getpc15329)>>32
	s_setpc_b64 s[14:15]
.LBB1_33249:
	s_getpc_b64 s[14:15]
.Lpost_getpc2288:
	s_add_u32 s14, s14, (.LBB1_9156-.Lpost_getpc2288)&4294967295
	s_addc_u32 s15, s15, (.LBB1_9156-.Lpost_getpc2288)>>32
	s_setpc_b64 s[14:15]
.LBB1_23493:
	s_movk_i32 s4, 0x80
	v_cmp_eq_u16_sdwa s[12:13], v4, s4 src0_sel:BYTE_0 src1_sel:DWORD
	s_mov_b64 s[4:5], -1
                                        ; implicit-def: $sgpr10
	s_and_saveexec_b64 s[8:9], s[12:13]
; %bb.23494:
	s_mov_b32 s10, 0x7f800001
	s_xor_b64 s[4:5], exec, -1
; %bb.23495:
	s_or_b64 exec, exec, s[8:9]
	s_and_b64 s[4:5], s[4:5], exec
	s_or_saveexec_b64 s[6:7], s[6:7]
	v_mov_b32_e32 v3, s10
	s_xor_b64 exec, exec, s[6:7]
	s_cbranch_execnz .LBB1_23496
; %bb.59333:
	s_getpc_b64 s[14:15]
.Lpost_getpc15330:
	s_add_u32 s14, s14, (.LBB1_9158-.Lpost_getpc15330)&4294967295
	s_addc_u32 s15, s15, (.LBB1_9158-.Lpost_getpc15330)>>32
	s_setpc_b64 s[14:15]
.LBB1_23496:
	v_mov_b32_e32 v3, 0
	v_cmp_ne_u16_sdwa s[8:9], v4, v3 src0_sel:BYTE_0 src1_sel:DWORD
	s_andn2_b64 s[4:5], s[4:5], exec
	s_and_b64 s[8:9], s[8:9], exec
	s_or_b64 s[4:5], s[4:5], s[8:9]
	s_or_b64 exec, exec, s[6:7]
	s_and_saveexec_b64 s[6:7], s[4:5]
	s_cbranch_execz .LBB1_33251
; %bb.59335:
	s_getpc_b64 s[14:15]
.Lpost_getpc15331:
	s_add_u32 s14, s14, (.LBB1_9159-.Lpost_getpc15331)&4294967295
	s_addc_u32 s15, s15, (.LBB1_9159-.Lpost_getpc15331)>>32
	s_setpc_b64 s[14:15]
.LBB1_33251:
	s_getpc_b64 s[14:15]
.Lpost_getpc2289:
	s_add_u32 s14, s14, (.LBB1_9160-.Lpost_getpc2289)&4294967295
	s_addc_u32 s15, s15, (.LBB1_9160-.Lpost_getpc2289)>>32
	s_setpc_b64 s[14:15]
.LBB1_23497:
	s_movk_i32 s4, 0x80
	v_cmp_eq_u16_sdwa s[12:13], v3, s4 src0_sel:BYTE_0 src1_sel:DWORD
	s_mov_b64 s[4:5], -1
                                        ; implicit-def: $sgpr10
	s_and_saveexec_b64 s[8:9], s[12:13]
; %bb.23498:
	s_mov_b32 s10, 0x7f800001
	s_xor_b64 s[4:5], exec, -1
; %bb.23499:
	s_or_b64 exec, exec, s[8:9]
	s_and_b64 s[4:5], s[4:5], exec
	s_or_saveexec_b64 s[6:7], s[6:7]
	v_mov_b32_e32 v2, s10
	s_xor_b64 exec, exec, s[6:7]
	s_cbranch_execnz .LBB1_23500
; %bb.59337:
	s_getpc_b64 s[14:15]
.Lpost_getpc15332:
	s_add_u32 s14, s14, (.LBB1_9162-.Lpost_getpc15332)&4294967295
	s_addc_u32 s15, s15, (.LBB1_9162-.Lpost_getpc15332)>>32
	s_setpc_b64 s[14:15]
.LBB1_23500:
	v_mov_b32_e32 v2, 0
	v_cmp_ne_u16_sdwa s[8:9], v3, v2 src0_sel:BYTE_0 src1_sel:DWORD
	s_andn2_b64 s[4:5], s[4:5], exec
	s_and_b64 s[8:9], s[8:9], exec
	s_or_b64 s[4:5], s[4:5], s[8:9]
	s_or_b64 exec, exec, s[6:7]
	s_and_saveexec_b64 s[6:7], s[4:5]
	s_cbranch_execz .LBB1_33253
; %bb.59339:
	s_getpc_b64 s[14:15]
.Lpost_getpc15333:
	s_add_u32 s14, s14, (.LBB1_9163-.Lpost_getpc15333)&4294967295
	s_addc_u32 s15, s15, (.LBB1_9163-.Lpost_getpc15333)>>32
	s_setpc_b64 s[14:15]
.LBB1_33253:
	s_getpc_b64 s[14:15]
.Lpost_getpc2290:
	s_add_u32 s14, s14, (.LBB1_9164-.Lpost_getpc2290)&4294967295
	s_addc_u32 s15, s15, (.LBB1_9164-.Lpost_getpc2290)>>32
	s_setpc_b64 s[14:15]
.LBB1_23501:
	s_movk_i32 s4, 0x80
	v_cmp_eq_u16_sdwa s[12:13], v3, s4 src0_sel:BYTE_0 src1_sel:DWORD
	s_mov_b64 s[4:5], -1
                                        ; implicit-def: $sgpr10
	s_and_saveexec_b64 s[8:9], s[12:13]
; %bb.23502:
	s_mov_b32 s10, 0x7f800001
	s_xor_b64 s[4:5], exec, -1
; %bb.23503:
	s_or_b64 exec, exec, s[8:9]
	s_and_b64 s[4:5], s[4:5], exec
	s_or_saveexec_b64 s[6:7], s[6:7]
	v_mov_b32_e32 v6, s10
	s_xor_b64 exec, exec, s[6:7]
	s_cbranch_execnz .LBB1_23504
; %bb.59341:
	s_getpc_b64 s[14:15]
.Lpost_getpc15334:
	s_add_u32 s14, s14, (.LBB1_9166-.Lpost_getpc15334)&4294967295
	s_addc_u32 s15, s15, (.LBB1_9166-.Lpost_getpc15334)>>32
	s_setpc_b64 s[14:15]
.LBB1_23504:
	v_mov_b32_e32 v6, 0
	v_cmp_ne_u16_sdwa s[8:9], v3, v6 src0_sel:BYTE_0 src1_sel:DWORD
	s_andn2_b64 s[4:5], s[4:5], exec
	s_and_b64 s[8:9], s[8:9], exec
	s_or_b64 s[4:5], s[4:5], s[8:9]
	s_or_b64 exec, exec, s[6:7]
	s_and_saveexec_b64 s[6:7], s[4:5]
	s_cbranch_execz .LBB1_33255
; %bb.59343:
	s_getpc_b64 s[14:15]
.Lpost_getpc15335:
	s_add_u32 s14, s14, (.LBB1_9167-.Lpost_getpc15335)&4294967295
	s_addc_u32 s15, s15, (.LBB1_9167-.Lpost_getpc15335)>>32
	s_setpc_b64 s[14:15]
.LBB1_33255:
	s_getpc_b64 s[14:15]
.Lpost_getpc2291:
	s_add_u32 s14, s14, (.LBB1_9168-.Lpost_getpc2291)&4294967295
	s_addc_u32 s15, s15, (.LBB1_9168-.Lpost_getpc2291)>>32
	s_setpc_b64 s[14:15]
.LBB1_23505:
	s_movk_i32 s4, 0x80
	v_cmp_eq_u16_e32 vcc, s4, v3
	s_mov_b64 s[4:5], -1
                                        ; implicit-def: $sgpr10
	s_and_saveexec_b64 s[8:9], vcc
; %bb.23506:
	s_mov_b32 s10, 0x7f800001
	s_xor_b64 s[4:5], exec, -1
; %bb.23507:
	s_or_b64 exec, exec, s[8:9]
	s_and_b64 s[4:5], s[4:5], exec
                                        ; implicit-def: $vgpr3
	s_or_saveexec_b64 s[6:7], s[6:7]
	v_mov_b32_e32 v2, s10
	s_xor_b64 exec, exec, s[6:7]
	s_cbranch_execnz .LBB1_23508
; %bb.59345:
	s_getpc_b64 s[14:15]
.Lpost_getpc15336:
	s_add_u32 s14, s14, (.LBB1_9170-.Lpost_getpc15336)&4294967295
	s_addc_u32 s15, s15, (.LBB1_9170-.Lpost_getpc15336)>>32
	s_setpc_b64 s[14:15]
.LBB1_23508:
	v_cmp_ne_u16_e32 vcc, 0, v3
	s_andn2_b64 s[4:5], s[4:5], exec
	s_and_b64 s[8:9], vcc, exec
	v_mov_b32_e32 v2, 0
	s_or_b64 s[4:5], s[4:5], s[8:9]
	s_or_b64 exec, exec, s[6:7]
	s_and_saveexec_b64 s[6:7], s[4:5]
	s_cbranch_execz .LBB1_33257
; %bb.59347:
	s_getpc_b64 s[14:15]
.Lpost_getpc15337:
	s_add_u32 s14, s14, (.LBB1_9171-.Lpost_getpc15337)&4294967295
	s_addc_u32 s15, s15, (.LBB1_9171-.Lpost_getpc15337)>>32
	s_setpc_b64 s[14:15]
.LBB1_33257:
	s_getpc_b64 s[14:15]
.Lpost_getpc2292:
	s_add_u32 s14, s14, (.LBB1_9172-.Lpost_getpc2292)&4294967295
	s_addc_u32 s15, s15, (.LBB1_9172-.Lpost_getpc2292)>>32
	s_setpc_b64 s[14:15]
.LBB1_23509:
	s_movk_i32 s4, 0x80
	v_cmp_eq_u16_e32 vcc, s4, v3
	s_mov_b64 s[4:5], -1
                                        ; implicit-def: $sgpr10
	s_and_saveexec_b64 s[8:9], vcc
; %bb.23510:
	s_mov_b32 s10, 0x7f800001
	s_xor_b64 s[4:5], exec, -1
; %bb.23511:
	s_or_b64 exec, exec, s[8:9]
	s_and_b64 s[4:5], s[4:5], exec
                                        ; implicit-def: $vgpr3
	s_or_saveexec_b64 s[6:7], s[6:7]
	v_mov_b32_e32 v6, s10
	s_xor_b64 exec, exec, s[6:7]
	s_cbranch_execnz .LBB1_23512
; %bb.59349:
	s_getpc_b64 s[14:15]
.Lpost_getpc15338:
	s_add_u32 s14, s14, (.LBB1_9174-.Lpost_getpc15338)&4294967295
	s_addc_u32 s15, s15, (.LBB1_9174-.Lpost_getpc15338)>>32
	s_setpc_b64 s[14:15]
.LBB1_23512:
	v_cmp_ne_u16_e32 vcc, 0, v3
	s_andn2_b64 s[4:5], s[4:5], exec
	s_and_b64 s[8:9], vcc, exec
	v_mov_b32_e32 v6, 0
	s_or_b64 s[4:5], s[4:5], s[8:9]
	s_or_b64 exec, exec, s[6:7]
	s_and_saveexec_b64 s[6:7], s[4:5]
	s_cbranch_execz .LBB1_33259
; %bb.59351:
	s_getpc_b64 s[14:15]
.Lpost_getpc15339:
	s_add_u32 s14, s14, (.LBB1_9175-.Lpost_getpc15339)&4294967295
	s_addc_u32 s15, s15, (.LBB1_9175-.Lpost_getpc15339)>>32
	s_setpc_b64 s[14:15]
.LBB1_33259:
	s_getpc_b64 s[14:15]
.Lpost_getpc2293:
	s_add_u32 s14, s14, (.LBB1_9176-.Lpost_getpc2293)&4294967295
	s_addc_u32 s15, s15, (.LBB1_9176-.Lpost_getpc2293)>>32
	s_setpc_b64 s[14:15]
.LBB1_23513:
	s_movk_i32 s4, 0x80
	v_cmp_eq_u16_sdwa s[12:13], v8, s4 src0_sel:BYTE_3 src1_sel:DWORD
	s_mov_b64 s[4:5], -1
                                        ; implicit-def: $sgpr10
	s_and_saveexec_b64 s[8:9], s[12:13]
; %bb.23514:
	s_mov_b32 s10, 0x7f800001
	s_xor_b64 s[4:5], exec, -1
; %bb.23515:
	s_or_b64 exec, exec, s[8:9]
	s_and_b64 s[4:5], s[4:5], exec
	s_or_saveexec_b64 s[6:7], s[6:7]
	v_mov_b32_e32 v2, s10
	s_xor_b64 exec, exec, s[6:7]
	s_cbranch_execnz .LBB1_23516
; %bb.59353:
	s_getpc_b64 s[14:15]
.Lpost_getpc15340:
	s_add_u32 s14, s14, (.LBB1_9178-.Lpost_getpc15340)&4294967295
	s_addc_u32 s15, s15, (.LBB1_9178-.Lpost_getpc15340)>>32
	s_setpc_b64 s[14:15]
.LBB1_23516:
	v_mov_b32_e32 v2, 0
	v_cmp_ne_u16_sdwa s[8:9], v8, v2 src0_sel:BYTE_3 src1_sel:DWORD
	s_andn2_b64 s[4:5], s[4:5], exec
	s_and_b64 s[8:9], s[8:9], exec
	s_or_b64 s[4:5], s[4:5], s[8:9]
	s_or_b64 exec, exec, s[6:7]
	s_and_saveexec_b64 s[6:7], s[4:5]
	s_cbranch_execz .LBB1_33261
; %bb.59355:
	s_getpc_b64 s[14:15]
.Lpost_getpc15341:
	s_add_u32 s14, s14, (.LBB1_9179-.Lpost_getpc15341)&4294967295
	s_addc_u32 s15, s15, (.LBB1_9179-.Lpost_getpc15341)>>32
	s_setpc_b64 s[14:15]
.LBB1_33261:
	s_getpc_b64 s[14:15]
.Lpost_getpc2294:
	s_add_u32 s14, s14, (.LBB1_9180-.Lpost_getpc2294)&4294967295
	s_addc_u32 s15, s15, (.LBB1_9180-.Lpost_getpc2294)>>32
	s_setpc_b64 s[14:15]
.LBB1_23517:
	s_movk_i32 s4, 0x80
	v_cmp_eq_u16_sdwa s[12:13], v4, s4 src0_sel:BYTE_3 src1_sel:DWORD
	s_mov_b64 s[4:5], -1
                                        ; implicit-def: $sgpr10
	s_and_saveexec_b64 s[8:9], s[12:13]
; %bb.23518:
	s_mov_b32 s10, 0x7f800001
	s_xor_b64 s[4:5], exec, -1
; %bb.23519:
	s_or_b64 exec, exec, s[8:9]
	s_and_b64 s[4:5], s[4:5], exec
	s_or_saveexec_b64 s[6:7], s[6:7]
	v_mov_b32_e32 v3, s10
	s_xor_b64 exec, exec, s[6:7]
	s_cbranch_execnz .LBB1_23520
; %bb.59357:
	s_getpc_b64 s[14:15]
.Lpost_getpc15342:
	s_add_u32 s14, s14, (.LBB1_9182-.Lpost_getpc15342)&4294967295
	s_addc_u32 s15, s15, (.LBB1_9182-.Lpost_getpc15342)>>32
	s_setpc_b64 s[14:15]
.LBB1_23520:
	v_mov_b32_e32 v3, 0
	v_cmp_ne_u16_sdwa s[8:9], v4, v3 src0_sel:BYTE_3 src1_sel:DWORD
	s_andn2_b64 s[4:5], s[4:5], exec
	s_and_b64 s[8:9], s[8:9], exec
	s_or_b64 s[4:5], s[4:5], s[8:9]
	s_or_b64 exec, exec, s[6:7]
	s_and_saveexec_b64 s[6:7], s[4:5]
	s_cbranch_execz .LBB1_33263
; %bb.59359:
	s_getpc_b64 s[14:15]
.Lpost_getpc15343:
	s_add_u32 s14, s14, (.LBB1_9183-.Lpost_getpc15343)&4294967295
	s_addc_u32 s15, s15, (.LBB1_9183-.Lpost_getpc15343)>>32
	s_setpc_b64 s[14:15]
.LBB1_33263:
	s_getpc_b64 s[14:15]
.Lpost_getpc2295:
	s_add_u32 s14, s14, (.LBB1_9184-.Lpost_getpc2295)&4294967295
	s_addc_u32 s15, s15, (.LBB1_9184-.Lpost_getpc2295)>>32
	s_setpc_b64 s[14:15]
.LBB1_23521:
	s_movk_i32 s4, 0x80
	v_cmp_eq_u16_sdwa s[12:13], v9, s4 src0_sel:BYTE_0 src1_sel:DWORD
	s_mov_b64 s[4:5], -1
                                        ; implicit-def: $sgpr10
	s_and_saveexec_b64 s[8:9], s[12:13]
; %bb.23522:
	s_mov_b32 s10, 0x7f800001
	s_xor_b64 s[4:5], exec, -1
; %bb.23523:
	s_or_b64 exec, exec, s[8:9]
	s_and_b64 s[4:5], s[4:5], exec
	s_or_saveexec_b64 s[6:7], s[6:7]
	v_mov_b32_e32 v2, s10
	s_xor_b64 exec, exec, s[6:7]
	s_cbranch_execnz .LBB1_23524
; %bb.59361:
	s_getpc_b64 s[14:15]
.Lpost_getpc15344:
	s_add_u32 s14, s14, (.LBB1_9186-.Lpost_getpc15344)&4294967295
	s_addc_u32 s15, s15, (.LBB1_9186-.Lpost_getpc15344)>>32
	s_setpc_b64 s[14:15]
.LBB1_23524:
	v_mov_b32_e32 v2, 0
	v_cmp_ne_u16_sdwa s[8:9], v9, v2 src0_sel:BYTE_0 src1_sel:DWORD
	s_andn2_b64 s[4:5], s[4:5], exec
	s_and_b64 s[8:9], s[8:9], exec
	s_or_b64 s[4:5], s[4:5], s[8:9]
	s_or_b64 exec, exec, s[6:7]
	s_and_saveexec_b64 s[6:7], s[4:5]
	s_cbranch_execz .LBB1_33265
; %bb.59363:
	s_getpc_b64 s[14:15]
.Lpost_getpc15345:
	s_add_u32 s14, s14, (.LBB1_9187-.Lpost_getpc15345)&4294967295
	s_addc_u32 s15, s15, (.LBB1_9187-.Lpost_getpc15345)>>32
	s_setpc_b64 s[14:15]
.LBB1_33265:
	s_getpc_b64 s[14:15]
.Lpost_getpc2296:
	s_add_u32 s14, s14, (.LBB1_9188-.Lpost_getpc2296)&4294967295
	s_addc_u32 s15, s15, (.LBB1_9188-.Lpost_getpc2296)>>32
	s_setpc_b64 s[14:15]
.LBB1_23525:
	s_movk_i32 s4, 0x80
	v_cmp_eq_u16_sdwa s[12:13], v5, s4 src0_sel:BYTE_0 src1_sel:DWORD
	s_mov_b64 s[4:5], -1
                                        ; implicit-def: $sgpr10
	s_and_saveexec_b64 s[8:9], s[12:13]
; %bb.23526:
	s_mov_b32 s10, 0x7f800001
	s_xor_b64 s[4:5], exec, -1
; %bb.23527:
	s_or_b64 exec, exec, s[8:9]
	s_and_b64 s[4:5], s[4:5], exec
	s_or_saveexec_b64 s[6:7], s[6:7]
	v_mov_b32_e32 v3, s10
	s_xor_b64 exec, exec, s[6:7]
	s_cbranch_execnz .LBB1_23528
; %bb.59365:
	s_getpc_b64 s[14:15]
.Lpost_getpc15346:
	s_add_u32 s14, s14, (.LBB1_9190-.Lpost_getpc15346)&4294967295
	s_addc_u32 s15, s15, (.LBB1_9190-.Lpost_getpc15346)>>32
	s_setpc_b64 s[14:15]
.LBB1_23528:
	v_mov_b32_e32 v3, 0
	v_cmp_ne_u16_sdwa s[8:9], v5, v3 src0_sel:BYTE_0 src1_sel:DWORD
	s_andn2_b64 s[4:5], s[4:5], exec
	s_and_b64 s[8:9], s[8:9], exec
	s_or_b64 s[4:5], s[4:5], s[8:9]
	s_or_b64 exec, exec, s[6:7]
	s_and_saveexec_b64 s[6:7], s[4:5]
	s_cbranch_execz .LBB1_33267
; %bb.59367:
	s_getpc_b64 s[14:15]
.Lpost_getpc15347:
	s_add_u32 s14, s14, (.LBB1_9191-.Lpost_getpc15347)&4294967295
	s_addc_u32 s15, s15, (.LBB1_9191-.Lpost_getpc15347)>>32
	s_setpc_b64 s[14:15]
.LBB1_33267:
	s_getpc_b64 s[14:15]
.Lpost_getpc2297:
	s_add_u32 s14, s14, (.LBB1_9192-.Lpost_getpc2297)&4294967295
	s_addc_u32 s15, s15, (.LBB1_9192-.Lpost_getpc2297)>>32
	s_setpc_b64 s[14:15]
.LBB1_23529:
	s_movk_i32 s4, 0x80
	v_cmp_eq_u16_sdwa s[12:13], v3, s4 src0_sel:BYTE_0 src1_sel:DWORD
	s_mov_b64 s[4:5], -1
                                        ; implicit-def: $sgpr10
	s_and_saveexec_b64 s[8:9], s[12:13]
; %bb.23530:
	s_mov_b32 s10, 0x7f800001
	s_xor_b64 s[4:5], exec, -1
; %bb.23531:
	s_or_b64 exec, exec, s[8:9]
	s_and_b64 s[4:5], s[4:5], exec
	s_or_saveexec_b64 s[6:7], s[6:7]
	v_mov_b32_e32 v2, s10
	s_xor_b64 exec, exec, s[6:7]
	s_cbranch_execnz .LBB1_23532
; %bb.59369:
	s_getpc_b64 s[14:15]
.Lpost_getpc15348:
	s_add_u32 s14, s14, (.LBB1_9194-.Lpost_getpc15348)&4294967295
	s_addc_u32 s15, s15, (.LBB1_9194-.Lpost_getpc15348)>>32
	s_setpc_b64 s[14:15]
.LBB1_23532:
	v_mov_b32_e32 v2, 0
	v_cmp_ne_u16_sdwa s[8:9], v3, v2 src0_sel:BYTE_0 src1_sel:DWORD
	s_andn2_b64 s[4:5], s[4:5], exec
	s_and_b64 s[8:9], s[8:9], exec
	s_or_b64 s[4:5], s[4:5], s[8:9]
	s_or_b64 exec, exec, s[6:7]
	s_and_saveexec_b64 s[6:7], s[4:5]
	s_cbranch_execz .LBB1_33269
; %bb.59371:
	s_getpc_b64 s[14:15]
.Lpost_getpc15349:
	s_add_u32 s14, s14, (.LBB1_9195-.Lpost_getpc15349)&4294967295
	s_addc_u32 s15, s15, (.LBB1_9195-.Lpost_getpc15349)>>32
	s_setpc_b64 s[14:15]
.LBB1_33269:
	s_getpc_b64 s[14:15]
.Lpost_getpc2298:
	s_add_u32 s14, s14, (.LBB1_9196-.Lpost_getpc2298)&4294967295
	s_addc_u32 s15, s15, (.LBB1_9196-.Lpost_getpc2298)>>32
	s_setpc_b64 s[14:15]
.LBB1_23533:
	s_movk_i32 s4, 0x80
	v_cmp_eq_u16_sdwa s[12:13], v3, s4 src0_sel:BYTE_0 src1_sel:DWORD
	s_mov_b64 s[4:5], -1
                                        ; implicit-def: $sgpr10
	s_and_saveexec_b64 s[8:9], s[12:13]
; %bb.23534:
	s_mov_b32 s10, 0x7f800001
	s_xor_b64 s[4:5], exec, -1
; %bb.23535:
	s_or_b64 exec, exec, s[8:9]
	s_and_b64 s[4:5], s[4:5], exec
	s_or_saveexec_b64 s[6:7], s[6:7]
	v_mov_b32_e32 v4, s10
	s_xor_b64 exec, exec, s[6:7]
	s_cbranch_execnz .LBB1_23536
; %bb.59373:
	s_getpc_b64 s[14:15]
.Lpost_getpc15350:
	s_add_u32 s14, s14, (.LBB1_9198-.Lpost_getpc15350)&4294967295
	s_addc_u32 s15, s15, (.LBB1_9198-.Lpost_getpc15350)>>32
	s_setpc_b64 s[14:15]
.LBB1_23536:
	v_mov_b32_e32 v4, 0
	v_cmp_ne_u16_sdwa s[8:9], v3, v4 src0_sel:BYTE_0 src1_sel:DWORD
	s_andn2_b64 s[4:5], s[4:5], exec
	s_and_b64 s[8:9], s[8:9], exec
	s_or_b64 s[4:5], s[4:5], s[8:9]
	s_or_b64 exec, exec, s[6:7]
	s_and_saveexec_b64 s[6:7], s[4:5]
	s_cbranch_execz .LBB1_33271
; %bb.59375:
	s_getpc_b64 s[14:15]
.Lpost_getpc15351:
	s_add_u32 s14, s14, (.LBB1_9199-.Lpost_getpc15351)&4294967295
	s_addc_u32 s15, s15, (.LBB1_9199-.Lpost_getpc15351)>>32
	s_setpc_b64 s[14:15]
.LBB1_33271:
	s_getpc_b64 s[14:15]
.Lpost_getpc2299:
	s_add_u32 s14, s14, (.LBB1_9200-.Lpost_getpc2299)&4294967295
	s_addc_u32 s15, s15, (.LBB1_9200-.Lpost_getpc2299)>>32
	s_setpc_b64 s[14:15]
.LBB1_23537:
	s_movk_i32 s4, 0x80
	v_cmp_eq_u16_e32 vcc, s4, v3
	s_mov_b64 s[4:5], -1
                                        ; implicit-def: $sgpr10
	s_and_saveexec_b64 s[8:9], vcc
; %bb.23538:
	s_mov_b32 s10, 0x7f800001
	s_xor_b64 s[4:5], exec, -1
; %bb.23539:
	s_or_b64 exec, exec, s[8:9]
	s_and_b64 s[4:5], s[4:5], exec
                                        ; implicit-def: $vgpr3
	s_or_saveexec_b64 s[6:7], s[6:7]
	v_mov_b32_e32 v2, s10
	s_xor_b64 exec, exec, s[6:7]
	s_cbranch_execnz .LBB1_23540
; %bb.59377:
	s_getpc_b64 s[14:15]
.Lpost_getpc15352:
	s_add_u32 s14, s14, (.LBB1_9202-.Lpost_getpc15352)&4294967295
	s_addc_u32 s15, s15, (.LBB1_9202-.Lpost_getpc15352)>>32
	s_setpc_b64 s[14:15]
.LBB1_23540:
	v_cmp_ne_u16_e32 vcc, 0, v3
	s_andn2_b64 s[4:5], s[4:5], exec
	s_and_b64 s[8:9], vcc, exec
	v_mov_b32_e32 v2, 0
	s_or_b64 s[4:5], s[4:5], s[8:9]
	s_or_b64 exec, exec, s[6:7]
	s_and_saveexec_b64 s[6:7], s[4:5]
	s_cbranch_execz .LBB1_33273
; %bb.59379:
	s_getpc_b64 s[14:15]
.Lpost_getpc15353:
	s_add_u32 s14, s14, (.LBB1_9203-.Lpost_getpc15353)&4294967295
	s_addc_u32 s15, s15, (.LBB1_9203-.Lpost_getpc15353)>>32
	s_setpc_b64 s[14:15]
.LBB1_33273:
	s_getpc_b64 s[14:15]
.Lpost_getpc2300:
	s_add_u32 s14, s14, (.LBB1_9204-.Lpost_getpc2300)&4294967295
	s_addc_u32 s15, s15, (.LBB1_9204-.Lpost_getpc2300)>>32
	s_setpc_b64 s[14:15]
.LBB1_23541:
	s_movk_i32 s4, 0x80
	v_cmp_eq_u16_e32 vcc, s4, v3
	s_mov_b64 s[4:5], -1
                                        ; implicit-def: $sgpr10
	s_and_saveexec_b64 s[8:9], vcc
; %bb.23542:
	s_mov_b32 s10, 0x7f800001
	s_xor_b64 s[4:5], exec, -1
; %bb.23543:
	s_or_b64 exec, exec, s[8:9]
	s_and_b64 s[4:5], s[4:5], exec
                                        ; implicit-def: $vgpr3
	s_or_saveexec_b64 s[6:7], s[6:7]
	v_mov_b32_e32 v4, s10
	s_xor_b64 exec, exec, s[6:7]
	s_cbranch_execnz .LBB1_23544
; %bb.59381:
	s_getpc_b64 s[14:15]
.Lpost_getpc15354:
	s_add_u32 s14, s14, (.LBB1_9206-.Lpost_getpc15354)&4294967295
	s_addc_u32 s15, s15, (.LBB1_9206-.Lpost_getpc15354)>>32
	s_setpc_b64 s[14:15]
.LBB1_23544:
	v_cmp_ne_u16_e32 vcc, 0, v3
	s_andn2_b64 s[4:5], s[4:5], exec
	s_and_b64 s[8:9], vcc, exec
	v_mov_b32_e32 v4, 0
	s_or_b64 s[4:5], s[4:5], s[8:9]
	s_or_b64 exec, exec, s[6:7]
	s_and_saveexec_b64 s[6:7], s[4:5]
	s_cbranch_execz .LBB1_33275
; %bb.59383:
	s_getpc_b64 s[14:15]
.Lpost_getpc15355:
	s_add_u32 s14, s14, (.LBB1_9207-.Lpost_getpc15355)&4294967295
	s_addc_u32 s15, s15, (.LBB1_9207-.Lpost_getpc15355)>>32
	s_setpc_b64 s[14:15]
.LBB1_33275:
	s_getpc_b64 s[14:15]
.Lpost_getpc2301:
	s_add_u32 s14, s14, (.LBB1_9208-.Lpost_getpc2301)&4294967295
	s_addc_u32 s15, s15, (.LBB1_9208-.Lpost_getpc2301)>>32
	s_setpc_b64 s[14:15]
.LBB1_23545:
	s_movk_i32 s4, 0x80
	v_cmp_eq_u16_sdwa s[12:13], v9, s4 src0_sel:BYTE_3 src1_sel:DWORD
	s_mov_b64 s[4:5], -1
                                        ; implicit-def: $sgpr10
	s_and_saveexec_b64 s[8:9], s[12:13]
; %bb.23546:
	s_mov_b32 s10, 0x7f800001
	s_xor_b64 s[4:5], exec, -1
; %bb.23547:
	s_or_b64 exec, exec, s[8:9]
	s_and_b64 s[4:5], s[4:5], exec
	s_or_saveexec_b64 s[6:7], s[6:7]
	v_mov_b32_e32 v2, s10
	s_xor_b64 exec, exec, s[6:7]
	s_cbranch_execnz .LBB1_23548
; %bb.59385:
	s_getpc_b64 s[14:15]
.Lpost_getpc15356:
	s_add_u32 s14, s14, (.LBB1_9210-.Lpost_getpc15356)&4294967295
	s_addc_u32 s15, s15, (.LBB1_9210-.Lpost_getpc15356)>>32
	s_setpc_b64 s[14:15]
.LBB1_23548:
	v_mov_b32_e32 v2, 0
	v_cmp_ne_u16_sdwa s[8:9], v9, v2 src0_sel:BYTE_3 src1_sel:DWORD
	s_andn2_b64 s[4:5], s[4:5], exec
	s_and_b64 s[8:9], s[8:9], exec
	s_or_b64 s[4:5], s[4:5], s[8:9]
	s_or_b64 exec, exec, s[6:7]
	s_and_saveexec_b64 s[6:7], s[4:5]
	s_cbranch_execz .LBB1_33277
; %bb.59387:
	s_getpc_b64 s[14:15]
.Lpost_getpc15357:
	s_add_u32 s14, s14, (.LBB1_9211-.Lpost_getpc15357)&4294967295
	s_addc_u32 s15, s15, (.LBB1_9211-.Lpost_getpc15357)>>32
	s_setpc_b64 s[14:15]
.LBB1_33277:
	s_getpc_b64 s[14:15]
.Lpost_getpc2302:
	s_add_u32 s14, s14, (.LBB1_9212-.Lpost_getpc2302)&4294967295
	s_addc_u32 s15, s15, (.LBB1_9212-.Lpost_getpc2302)>>32
	s_setpc_b64 s[14:15]
.LBB1_23549:
	s_movk_i32 s4, 0x80
	v_cmp_eq_u16_sdwa s[12:13], v5, s4 src0_sel:BYTE_3 src1_sel:DWORD
	s_mov_b64 s[4:5], -1
                                        ; implicit-def: $sgpr10
	s_and_saveexec_b64 s[8:9], s[12:13]
; %bb.23550:
	s_mov_b32 s10, 0x7f800001
	s_xor_b64 s[4:5], exec, -1
; %bb.23551:
	s_or_b64 exec, exec, s[8:9]
	s_and_b64 s[4:5], s[4:5], exec
	s_or_saveexec_b64 s[6:7], s[6:7]
	v_mov_b32_e32 v3, s10
	s_xor_b64 exec, exec, s[6:7]
	s_cbranch_execnz .LBB1_23552
; %bb.59389:
	s_getpc_b64 s[14:15]
.Lpost_getpc15358:
	s_add_u32 s14, s14, (.LBB1_9214-.Lpost_getpc15358)&4294967295
	s_addc_u32 s15, s15, (.LBB1_9214-.Lpost_getpc15358)>>32
	s_setpc_b64 s[14:15]
.LBB1_23552:
	v_mov_b32_e32 v3, 0
	v_cmp_ne_u16_sdwa s[8:9], v5, v3 src0_sel:BYTE_3 src1_sel:DWORD
	s_andn2_b64 s[4:5], s[4:5], exec
	s_and_b64 s[8:9], s[8:9], exec
	s_or_b64 s[4:5], s[4:5], s[8:9]
	s_or_b64 exec, exec, s[6:7]
	s_and_saveexec_b64 s[6:7], s[4:5]
	s_cbranch_execz .LBB1_33279
; %bb.59391:
	s_getpc_b64 s[14:15]
.Lpost_getpc15359:
	s_add_u32 s14, s14, (.LBB1_9215-.Lpost_getpc15359)&4294967295
	s_addc_u32 s15, s15, (.LBB1_9215-.Lpost_getpc15359)>>32
	s_setpc_b64 s[14:15]
.LBB1_33279:
	s_getpc_b64 s[14:15]
.Lpost_getpc2303:
	s_add_u32 s14, s14, (.LBB1_9216-.Lpost_getpc2303)&4294967295
	s_addc_u32 s15, s15, (.LBB1_9216-.Lpost_getpc2303)>>32
	s_setpc_b64 s[14:15]
.LBB1_23553:
	s_movk_i32 s4, 0x80
	v_cmp_eq_u16_sdwa s[12:13], v6, s4 src0_sel:BYTE_0 src1_sel:DWORD
	s_mov_b64 s[4:5], -1
                                        ; implicit-def: $sgpr10
	s_and_saveexec_b64 s[8:9], s[12:13]
; %bb.23554:
	s_mov_b32 s10, 0x7f800001
	s_xor_b64 s[4:5], exec, -1
; %bb.23555:
	s_or_b64 exec, exec, s[8:9]
	s_and_b64 s[4:5], s[4:5], exec
	s_or_saveexec_b64 s[6:7], s[6:7]
	v_mov_b32_e32 v12, s10
	s_xor_b64 exec, exec, s[6:7]
	s_cbranch_execnz .LBB1_23556
; %bb.59393:
	s_getpc_b64 s[14:15]
.Lpost_getpc15360:
	s_add_u32 s14, s14, (.LBB1_9218-.Lpost_getpc15360)&4294967295
	s_addc_u32 s15, s15, (.LBB1_9218-.Lpost_getpc15360)>>32
	s_setpc_b64 s[14:15]
.LBB1_23556:
	v_mov_b32_e32 v12, 0
	v_cmp_ne_u16_sdwa s[8:9], v6, v12 src0_sel:BYTE_0 src1_sel:DWORD
	s_andn2_b64 s[4:5], s[4:5], exec
	s_and_b64 s[8:9], s[8:9], exec
	s_or_b64 s[4:5], s[4:5], s[8:9]
	s_or_b64 exec, exec, s[6:7]
	s_and_saveexec_b64 s[6:7], s[4:5]
	s_cbranch_execz .LBB1_33281
; %bb.59395:
	s_getpc_b64 s[14:15]
.Lpost_getpc15361:
	s_add_u32 s14, s14, (.LBB1_9219-.Lpost_getpc15361)&4294967295
	s_addc_u32 s15, s15, (.LBB1_9219-.Lpost_getpc15361)>>32
	s_setpc_b64 s[14:15]
.LBB1_33281:
	s_getpc_b64 s[14:15]
.Lpost_getpc2304:
	s_add_u32 s14, s14, (.LBB1_9220-.Lpost_getpc2304)&4294967295
	s_addc_u32 s15, s15, (.LBB1_9220-.Lpost_getpc2304)>>32
	s_setpc_b64 s[14:15]
.LBB1_23557:
	s_movk_i32 s4, 0x80
	v_cmp_eq_u16_sdwa s[12:13], v2, s4 src0_sel:BYTE_0 src1_sel:DWORD
	s_mov_b64 s[4:5], -1
                                        ; implicit-def: $sgpr10
	s_and_saveexec_b64 s[8:9], s[12:13]
; %bb.23558:
	s_mov_b32 s10, 0x7f800001
	s_xor_b64 s[4:5], exec, -1
; %bb.23559:
	s_or_b64 exec, exec, s[8:9]
	s_and_b64 s[4:5], s[4:5], exec
	s_or_saveexec_b64 s[6:7], s[6:7]
	v_mov_b32_e32 v13, s10
	s_xor_b64 exec, exec, s[6:7]
	s_cbranch_execnz .LBB1_23560
; %bb.59397:
	s_getpc_b64 s[14:15]
.Lpost_getpc15362:
	s_add_u32 s14, s14, (.LBB1_9222-.Lpost_getpc15362)&4294967295
	s_addc_u32 s15, s15, (.LBB1_9222-.Lpost_getpc15362)>>32
	s_setpc_b64 s[14:15]
.LBB1_23560:
	v_mov_b32_e32 v13, 0
	v_cmp_ne_u16_sdwa s[8:9], v2, v13 src0_sel:BYTE_0 src1_sel:DWORD
	s_andn2_b64 s[4:5], s[4:5], exec
	s_and_b64 s[8:9], s[8:9], exec
	s_or_b64 s[4:5], s[4:5], s[8:9]
	s_or_b64 exec, exec, s[6:7]
	s_and_saveexec_b64 s[6:7], s[4:5]
	s_cbranch_execz .LBB1_33283
; %bb.59399:
	s_getpc_b64 s[14:15]
.Lpost_getpc15363:
	s_add_u32 s14, s14, (.LBB1_9223-.Lpost_getpc15363)&4294967295
	s_addc_u32 s15, s15, (.LBB1_9223-.Lpost_getpc15363)>>32
	s_setpc_b64 s[14:15]
.LBB1_33283:
	s_getpc_b64 s[14:15]
.Lpost_getpc2305:
	s_add_u32 s14, s14, (.LBB1_9224-.Lpost_getpc2305)&4294967295
	s_addc_u32 s15, s15, (.LBB1_9224-.Lpost_getpc2305)>>32
	s_setpc_b64 s[14:15]
.LBB1_23561:
	s_movk_i32 s4, 0x80
	v_cmp_eq_u16_sdwa s[12:13], v13, s4 src0_sel:BYTE_0 src1_sel:DWORD
	s_mov_b64 s[4:5], -1
                                        ; implicit-def: $sgpr10
	s_and_saveexec_b64 s[8:9], s[12:13]
; %bb.23562:
	s_mov_b32 s10, 0x7f800001
	s_xor_b64 s[4:5], exec, -1
; %bb.23563:
	s_or_b64 exec, exec, s[8:9]
	s_and_b64 s[4:5], s[4:5], exec
	s_or_saveexec_b64 s[6:7], s[6:7]
	v_mov_b32_e32 v12, s10
	s_xor_b64 exec, exec, s[6:7]
	s_cbranch_execnz .LBB1_23564
; %bb.59401:
	s_getpc_b64 s[14:15]
.Lpost_getpc15364:
	s_add_u32 s14, s14, (.LBB1_9226-.Lpost_getpc15364)&4294967295
	s_addc_u32 s15, s15, (.LBB1_9226-.Lpost_getpc15364)>>32
	s_setpc_b64 s[14:15]
.LBB1_23564:
	v_mov_b32_e32 v12, 0
	v_cmp_ne_u16_sdwa s[8:9], v13, v12 src0_sel:BYTE_0 src1_sel:DWORD
	s_andn2_b64 s[4:5], s[4:5], exec
	s_and_b64 s[8:9], s[8:9], exec
	s_or_b64 s[4:5], s[4:5], s[8:9]
	s_or_b64 exec, exec, s[6:7]
	s_and_saveexec_b64 s[6:7], s[4:5]
	s_cbranch_execz .LBB1_33285
; %bb.59403:
	s_getpc_b64 s[14:15]
.Lpost_getpc15365:
	s_add_u32 s14, s14, (.LBB1_9227-.Lpost_getpc15365)&4294967295
	s_addc_u32 s15, s15, (.LBB1_9227-.Lpost_getpc15365)>>32
	s_setpc_b64 s[14:15]
.LBB1_33285:
	s_getpc_b64 s[14:15]
.Lpost_getpc2306:
	s_add_u32 s14, s14, (.LBB1_9228-.Lpost_getpc2306)&4294967295
	s_addc_u32 s15, s15, (.LBB1_9228-.Lpost_getpc2306)>>32
	s_setpc_b64 s[14:15]
.LBB1_23565:
	s_movk_i32 s4, 0x80
	v_cmp_eq_u16_sdwa s[12:13], v13, s4 src0_sel:BYTE_0 src1_sel:DWORD
	s_mov_b64 s[4:5], -1
                                        ; implicit-def: $sgpr10
	s_and_saveexec_b64 s[8:9], s[12:13]
; %bb.23566:
	s_mov_b32 s10, 0x7f800001
	s_xor_b64 s[4:5], exec, -1
; %bb.23567:
	s_or_b64 exec, exec, s[8:9]
	s_and_b64 s[4:5], s[4:5], exec
	s_or_saveexec_b64 s[6:7], s[6:7]
	v_mov_b32_e32 v14, s10
	s_xor_b64 exec, exec, s[6:7]
	s_cbranch_execnz .LBB1_23568
; %bb.59405:
	s_getpc_b64 s[14:15]
.Lpost_getpc15366:
	s_add_u32 s14, s14, (.LBB1_9230-.Lpost_getpc15366)&4294967295
	s_addc_u32 s15, s15, (.LBB1_9230-.Lpost_getpc15366)>>32
	s_setpc_b64 s[14:15]
.LBB1_23568:
	v_mov_b32_e32 v14, 0
	v_cmp_ne_u16_sdwa s[8:9], v13, v14 src0_sel:BYTE_0 src1_sel:DWORD
	s_andn2_b64 s[4:5], s[4:5], exec
	s_and_b64 s[8:9], s[8:9], exec
	s_or_b64 s[4:5], s[4:5], s[8:9]
	s_or_b64 exec, exec, s[6:7]
	s_and_saveexec_b64 s[6:7], s[4:5]
	s_cbranch_execz .LBB1_33287
; %bb.59407:
	s_getpc_b64 s[14:15]
.Lpost_getpc15367:
	s_add_u32 s14, s14, (.LBB1_9231-.Lpost_getpc15367)&4294967295
	s_addc_u32 s15, s15, (.LBB1_9231-.Lpost_getpc15367)>>32
	s_setpc_b64 s[14:15]
.LBB1_33287:
	s_getpc_b64 s[14:15]
.Lpost_getpc2307:
	s_add_u32 s14, s14, (.LBB1_9232-.Lpost_getpc2307)&4294967295
	s_addc_u32 s15, s15, (.LBB1_9232-.Lpost_getpc2307)>>32
	s_setpc_b64 s[14:15]
.LBB1_23569:
	s_movk_i32 s4, 0x80
	v_cmp_eq_u16_e32 vcc, s4, v13
	s_mov_b64 s[4:5], -1
                                        ; implicit-def: $sgpr10
	s_and_saveexec_b64 s[8:9], vcc
; %bb.23570:
	s_mov_b32 s10, 0x7f800001
	s_xor_b64 s[4:5], exec, -1
; %bb.23571:
	s_or_b64 exec, exec, s[8:9]
	s_and_b64 s[4:5], s[4:5], exec
                                        ; implicit-def: $vgpr13
	s_or_saveexec_b64 s[6:7], s[6:7]
	v_mov_b32_e32 v12, s10
	s_xor_b64 exec, exec, s[6:7]
	s_cbranch_execnz .LBB1_23572
; %bb.59409:
	s_getpc_b64 s[14:15]
.Lpost_getpc15368:
	s_add_u32 s14, s14, (.LBB1_9234-.Lpost_getpc15368)&4294967295
	s_addc_u32 s15, s15, (.LBB1_9234-.Lpost_getpc15368)>>32
	s_setpc_b64 s[14:15]
.LBB1_23572:
	v_cmp_ne_u16_e32 vcc, 0, v13
	s_andn2_b64 s[4:5], s[4:5], exec
	s_and_b64 s[8:9], vcc, exec
	v_mov_b32_e32 v12, 0
	s_or_b64 s[4:5], s[4:5], s[8:9]
	s_or_b64 exec, exec, s[6:7]
	s_and_saveexec_b64 s[6:7], s[4:5]
	s_cbranch_execz .LBB1_33289
; %bb.59411:
	s_getpc_b64 s[14:15]
.Lpost_getpc15369:
	s_add_u32 s14, s14, (.LBB1_9235-.Lpost_getpc15369)&4294967295
	s_addc_u32 s15, s15, (.LBB1_9235-.Lpost_getpc15369)>>32
	s_setpc_b64 s[14:15]
.LBB1_33289:
	s_getpc_b64 s[14:15]
.Lpost_getpc2308:
	s_add_u32 s14, s14, (.LBB1_9236-.Lpost_getpc2308)&4294967295
	s_addc_u32 s15, s15, (.LBB1_9236-.Lpost_getpc2308)>>32
	s_setpc_b64 s[14:15]
.LBB1_23573:
	s_movk_i32 s4, 0x80
	v_cmp_eq_u16_e32 vcc, s4, v13
	s_mov_b64 s[4:5], -1
                                        ; implicit-def: $sgpr10
	s_and_saveexec_b64 s[8:9], vcc
; %bb.23574:
	s_mov_b32 s10, 0x7f800001
	s_xor_b64 s[4:5], exec, -1
; %bb.23575:
	s_or_b64 exec, exec, s[8:9]
	s_and_b64 s[4:5], s[4:5], exec
                                        ; implicit-def: $vgpr13
	s_or_saveexec_b64 s[6:7], s[6:7]
	v_mov_b32_e32 v14, s10
	s_xor_b64 exec, exec, s[6:7]
	s_cbranch_execnz .LBB1_23576
; %bb.59413:
	s_getpc_b64 s[14:15]
.Lpost_getpc15370:
	s_add_u32 s14, s14, (.LBB1_9238-.Lpost_getpc15370)&4294967295
	s_addc_u32 s15, s15, (.LBB1_9238-.Lpost_getpc15370)>>32
	s_setpc_b64 s[14:15]
.LBB1_23576:
	v_cmp_ne_u16_e32 vcc, 0, v13
	s_andn2_b64 s[4:5], s[4:5], exec
	s_and_b64 s[8:9], vcc, exec
	v_mov_b32_e32 v14, 0
	s_or_b64 s[4:5], s[4:5], s[8:9]
	s_or_b64 exec, exec, s[6:7]
	s_and_saveexec_b64 s[6:7], s[4:5]
	s_cbranch_execz .LBB1_33291
; %bb.59415:
	s_getpc_b64 s[14:15]
.Lpost_getpc15371:
	s_add_u32 s14, s14, (.LBB1_9239-.Lpost_getpc15371)&4294967295
	s_addc_u32 s15, s15, (.LBB1_9239-.Lpost_getpc15371)>>32
	s_setpc_b64 s[14:15]
.LBB1_33291:
	s_getpc_b64 s[14:15]
.Lpost_getpc2309:
	s_add_u32 s14, s14, (.LBB1_9240-.Lpost_getpc2309)&4294967295
	s_addc_u32 s15, s15, (.LBB1_9240-.Lpost_getpc2309)>>32
	s_setpc_b64 s[14:15]
.LBB1_23577:
	s_movk_i32 s4, 0x80
	v_cmp_eq_u16_sdwa s[12:13], v6, s4 src0_sel:BYTE_3 src1_sel:DWORD
	s_mov_b64 s[4:5], -1
                                        ; implicit-def: $sgpr10
	s_and_saveexec_b64 s[8:9], s[12:13]
; %bb.23578:
	s_mov_b32 s10, 0x7f800001
	s_xor_b64 s[4:5], exec, -1
; %bb.23579:
	s_or_b64 exec, exec, s[8:9]
	s_and_b64 s[4:5], s[4:5], exec
	s_or_saveexec_b64 s[6:7], s[6:7]
	v_mov_b32_e32 v12, s10
	s_xor_b64 exec, exec, s[6:7]
	s_cbranch_execnz .LBB1_23580
; %bb.59417:
	s_getpc_b64 s[14:15]
.Lpost_getpc15372:
	s_add_u32 s14, s14, (.LBB1_9242-.Lpost_getpc15372)&4294967295
	s_addc_u32 s15, s15, (.LBB1_9242-.Lpost_getpc15372)>>32
	s_setpc_b64 s[14:15]
.LBB1_23580:
	v_mov_b32_e32 v12, 0
	v_cmp_ne_u16_sdwa s[8:9], v6, v12 src0_sel:BYTE_3 src1_sel:DWORD
	s_andn2_b64 s[4:5], s[4:5], exec
	s_and_b64 s[8:9], s[8:9], exec
	s_or_b64 s[4:5], s[4:5], s[8:9]
	s_or_b64 exec, exec, s[6:7]
	s_and_saveexec_b64 s[6:7], s[4:5]
	s_cbranch_execz .LBB1_33293
; %bb.59419:
	s_getpc_b64 s[14:15]
.Lpost_getpc15373:
	s_add_u32 s14, s14, (.LBB1_9243-.Lpost_getpc15373)&4294967295
	s_addc_u32 s15, s15, (.LBB1_9243-.Lpost_getpc15373)>>32
	s_setpc_b64 s[14:15]
.LBB1_33293:
	s_getpc_b64 s[14:15]
.Lpost_getpc2310:
	s_add_u32 s14, s14, (.LBB1_9244-.Lpost_getpc2310)&4294967295
	s_addc_u32 s15, s15, (.LBB1_9244-.Lpost_getpc2310)>>32
	s_setpc_b64 s[14:15]
.LBB1_23581:
	s_movk_i32 s4, 0x80
	v_cmp_eq_u16_sdwa s[12:13], v2, s4 src0_sel:BYTE_3 src1_sel:DWORD
	s_mov_b64 s[4:5], -1
                                        ; implicit-def: $sgpr10
	s_and_saveexec_b64 s[8:9], s[12:13]
; %bb.23582:
	s_mov_b32 s10, 0x7f800001
	s_xor_b64 s[4:5], exec, -1
; %bb.23583:
	s_or_b64 exec, exec, s[8:9]
	s_and_b64 s[4:5], s[4:5], exec
	s_or_saveexec_b64 s[6:7], s[6:7]
	v_mov_b32_e32 v6, s10
	s_xor_b64 exec, exec, s[6:7]
	s_cbranch_execnz .LBB1_23584
; %bb.59421:
	s_getpc_b64 s[14:15]
.Lpost_getpc15374:
	s_add_u32 s14, s14, (.LBB1_9246-.Lpost_getpc15374)&4294967295
	s_addc_u32 s15, s15, (.LBB1_9246-.Lpost_getpc15374)>>32
	s_setpc_b64 s[14:15]
.LBB1_23584:
	v_mov_b32_e32 v6, 0
	v_cmp_ne_u16_sdwa s[8:9], v2, v6 src0_sel:BYTE_3 src1_sel:DWORD
	s_andn2_b64 s[4:5], s[4:5], exec
	s_and_b64 s[8:9], s[8:9], exec
	s_or_b64 s[4:5], s[4:5], s[8:9]
	s_or_b64 exec, exec, s[6:7]
	s_and_saveexec_b64 s[6:7], s[4:5]
	s_cbranch_execz .LBB1_33295
; %bb.59423:
	s_getpc_b64 s[14:15]
.Lpost_getpc15375:
	s_add_u32 s14, s14, (.LBB1_9247-.Lpost_getpc15375)&4294967295
	s_addc_u32 s15, s15, (.LBB1_9247-.Lpost_getpc15375)>>32
	s_setpc_b64 s[14:15]
.LBB1_33295:
	s_getpc_b64 s[14:15]
.Lpost_getpc2311:
	s_add_u32 s14, s14, (.LBB1_9248-.Lpost_getpc2311)&4294967295
	s_addc_u32 s15, s15, (.LBB1_9248-.Lpost_getpc2311)>>32
	s_setpc_b64 s[14:15]
.LBB1_23585:
	s_movk_i32 s4, 0x80
	v_cmp_eq_u16_sdwa s[12:13], v7, s4 src0_sel:BYTE_0 src1_sel:DWORD
	s_mov_b64 s[4:5], -1
                                        ; implicit-def: $sgpr10
	s_and_saveexec_b64 s[8:9], s[12:13]
; %bb.23586:
	s_mov_b32 s10, 0x7f800001
	s_xor_b64 s[4:5], exec, -1
; %bb.23587:
	s_or_b64 exec, exec, s[8:9]
	s_and_b64 s[4:5], s[4:5], exec
	s_or_saveexec_b64 s[6:7], s[6:7]
	v_mov_b32_e32 v2, s10
	s_xor_b64 exec, exec, s[6:7]
	s_cbranch_execnz .LBB1_23588
; %bb.59425:
	s_getpc_b64 s[14:15]
.Lpost_getpc15376:
	s_add_u32 s14, s14, (.LBB1_9250-.Lpost_getpc15376)&4294967295
	s_addc_u32 s15, s15, (.LBB1_9250-.Lpost_getpc15376)>>32
	s_setpc_b64 s[14:15]
.LBB1_23588:
	v_mov_b32_e32 v2, 0
	v_cmp_ne_u16_sdwa s[8:9], v7, v2 src0_sel:BYTE_0 src1_sel:DWORD
	s_andn2_b64 s[4:5], s[4:5], exec
	s_and_b64 s[8:9], s[8:9], exec
	s_or_b64 s[4:5], s[4:5], s[8:9]
	s_or_b64 exec, exec, s[6:7]
	s_and_saveexec_b64 s[6:7], s[4:5]
	s_cbranch_execz .LBB1_33297
; %bb.59427:
	s_getpc_b64 s[14:15]
.Lpost_getpc15377:
	s_add_u32 s14, s14, (.LBB1_9251-.Lpost_getpc15377)&4294967295
	s_addc_u32 s15, s15, (.LBB1_9251-.Lpost_getpc15377)>>32
	s_setpc_b64 s[14:15]
.LBB1_33297:
	s_getpc_b64 s[14:15]
.Lpost_getpc2312:
	s_add_u32 s14, s14, (.LBB1_9252-.Lpost_getpc2312)&4294967295
	s_addc_u32 s15, s15, (.LBB1_9252-.Lpost_getpc2312)>>32
	s_setpc_b64 s[14:15]
.LBB1_23589:
	s_movk_i32 s4, 0x80
	v_cmp_eq_u16_sdwa s[12:13], v3, s4 src0_sel:BYTE_0 src1_sel:DWORD
	s_mov_b64 s[4:5], -1
                                        ; implicit-def: $sgpr10
	s_and_saveexec_b64 s[8:9], s[12:13]
; %bb.23590:
	s_mov_b32 s10, 0x7f800001
	s_xor_b64 s[4:5], exec, -1
; %bb.23591:
	s_or_b64 exec, exec, s[8:9]
	s_and_b64 s[4:5], s[4:5], exec
	s_or_saveexec_b64 s[6:7], s[6:7]
	v_mov_b32_e32 v6, s10
	s_xor_b64 exec, exec, s[6:7]
	s_cbranch_execnz .LBB1_23592
; %bb.59429:
	s_getpc_b64 s[14:15]
.Lpost_getpc15378:
	s_add_u32 s14, s14, (.LBB1_9254-.Lpost_getpc15378)&4294967295
	s_addc_u32 s15, s15, (.LBB1_9254-.Lpost_getpc15378)>>32
	s_setpc_b64 s[14:15]
.LBB1_23592:
	v_mov_b32_e32 v6, 0
	v_cmp_ne_u16_sdwa s[8:9], v3, v6 src0_sel:BYTE_0 src1_sel:DWORD
	s_andn2_b64 s[4:5], s[4:5], exec
	s_and_b64 s[8:9], s[8:9], exec
	s_or_b64 s[4:5], s[4:5], s[8:9]
	s_or_b64 exec, exec, s[6:7]
	s_and_saveexec_b64 s[6:7], s[4:5]
	s_cbranch_execz .LBB1_33299
; %bb.59431:
	s_getpc_b64 s[14:15]
.Lpost_getpc15379:
	s_add_u32 s14, s14, (.LBB1_9255-.Lpost_getpc15379)&4294967295
	s_addc_u32 s15, s15, (.LBB1_9255-.Lpost_getpc15379)>>32
	s_setpc_b64 s[14:15]
.LBB1_33299:
	s_getpc_b64 s[14:15]
.Lpost_getpc2313:
	s_add_u32 s14, s14, (.LBB1_9256-.Lpost_getpc2313)&4294967295
	s_addc_u32 s15, s15, (.LBB1_9256-.Lpost_getpc2313)>>32
	s_setpc_b64 s[14:15]
.LBB1_23593:
	s_movk_i32 s4, 0x80
	v_cmp_eq_u16_sdwa s[12:13], v6, s4 src0_sel:BYTE_0 src1_sel:DWORD
	s_mov_b64 s[4:5], -1
                                        ; implicit-def: $sgpr10
	s_and_saveexec_b64 s[8:9], s[12:13]
; %bb.23594:
	s_mov_b32 s10, 0x7f800001
	s_xor_b64 s[4:5], exec, -1
; %bb.23595:
	s_or_b64 exec, exec, s[8:9]
	s_and_b64 s[4:5], s[4:5], exec
	s_or_saveexec_b64 s[6:7], s[6:7]
	v_mov_b32_e32 v2, s10
	s_xor_b64 exec, exec, s[6:7]
	s_cbranch_execnz .LBB1_23596
; %bb.59433:
	s_getpc_b64 s[14:15]
.Lpost_getpc15380:
	s_add_u32 s14, s14, (.LBB1_9258-.Lpost_getpc15380)&4294967295
	s_addc_u32 s15, s15, (.LBB1_9258-.Lpost_getpc15380)>>32
	s_setpc_b64 s[14:15]
.LBB1_23596:
	v_mov_b32_e32 v2, 0
	v_cmp_ne_u16_sdwa s[8:9], v6, v2 src0_sel:BYTE_0 src1_sel:DWORD
	s_andn2_b64 s[4:5], s[4:5], exec
	s_and_b64 s[8:9], s[8:9], exec
	s_or_b64 s[4:5], s[4:5], s[8:9]
	s_or_b64 exec, exec, s[6:7]
	s_and_saveexec_b64 s[6:7], s[4:5]
	s_cbranch_execz .LBB1_33301
; %bb.59435:
	s_getpc_b64 s[14:15]
.Lpost_getpc15381:
	s_add_u32 s14, s14, (.LBB1_9259-.Lpost_getpc15381)&4294967295
	s_addc_u32 s15, s15, (.LBB1_9259-.Lpost_getpc15381)>>32
	s_setpc_b64 s[14:15]
.LBB1_33301:
	s_getpc_b64 s[14:15]
.Lpost_getpc2314:
	s_add_u32 s14, s14, (.LBB1_9260-.Lpost_getpc2314)&4294967295
	s_addc_u32 s15, s15, (.LBB1_9260-.Lpost_getpc2314)>>32
	s_setpc_b64 s[14:15]
.LBB1_23597:
	s_movk_i32 s4, 0x80
	v_cmp_eq_u16_sdwa s[12:13], v6, s4 src0_sel:BYTE_0 src1_sel:DWORD
	s_mov_b64 s[4:5], -1
                                        ; implicit-def: $sgpr10
	s_and_saveexec_b64 s[8:9], s[12:13]
; %bb.23598:
	s_mov_b32 s10, 0x7f800001
	s_xor_b64 s[4:5], exec, -1
; %bb.23599:
	s_or_b64 exec, exec, s[8:9]
	s_and_b64 s[4:5], s[4:5], exec
	s_or_saveexec_b64 s[6:7], s[6:7]
	v_mov_b32_e32 v12, s10
	s_xor_b64 exec, exec, s[6:7]
	s_cbranch_execnz .LBB1_23600
; %bb.59437:
	s_getpc_b64 s[14:15]
.Lpost_getpc15382:
	s_add_u32 s14, s14, (.LBB1_9262-.Lpost_getpc15382)&4294967295
	s_addc_u32 s15, s15, (.LBB1_9262-.Lpost_getpc15382)>>32
	s_setpc_b64 s[14:15]
.LBB1_23600:
	v_mov_b32_e32 v12, 0
	v_cmp_ne_u16_sdwa s[8:9], v6, v12 src0_sel:BYTE_0 src1_sel:DWORD
	s_andn2_b64 s[4:5], s[4:5], exec
	s_and_b64 s[8:9], s[8:9], exec
	s_or_b64 s[4:5], s[4:5], s[8:9]
	s_or_b64 exec, exec, s[6:7]
	s_and_saveexec_b64 s[6:7], s[4:5]
	s_cbranch_execz .LBB1_33303
; %bb.59439:
	s_getpc_b64 s[14:15]
.Lpost_getpc15383:
	s_add_u32 s14, s14, (.LBB1_9263-.Lpost_getpc15383)&4294967295
	s_addc_u32 s15, s15, (.LBB1_9263-.Lpost_getpc15383)>>32
	s_setpc_b64 s[14:15]
.LBB1_33303:
	s_getpc_b64 s[14:15]
.Lpost_getpc2315:
	s_add_u32 s14, s14, (.LBB1_9264-.Lpost_getpc2315)&4294967295
	s_addc_u32 s15, s15, (.LBB1_9264-.Lpost_getpc2315)>>32
	s_setpc_b64 s[14:15]
.LBB1_23601:
	s_movk_i32 s4, 0x80
	v_cmp_eq_u16_e32 vcc, s4, v6
	s_mov_b64 s[4:5], -1
                                        ; implicit-def: $sgpr10
	s_and_saveexec_b64 s[8:9], vcc
; %bb.23602:
	s_mov_b32 s10, 0x7f800001
	s_xor_b64 s[4:5], exec, -1
; %bb.23603:
	s_or_b64 exec, exec, s[8:9]
	s_and_b64 s[4:5], s[4:5], exec
                                        ; implicit-def: $vgpr6
	s_or_saveexec_b64 s[6:7], s[6:7]
	v_mov_b32_e32 v2, s10
	s_xor_b64 exec, exec, s[6:7]
	s_cbranch_execnz .LBB1_23604
; %bb.59441:
	s_getpc_b64 s[14:15]
.Lpost_getpc15384:
	s_add_u32 s14, s14, (.LBB1_9266-.Lpost_getpc15384)&4294967295
	s_addc_u32 s15, s15, (.LBB1_9266-.Lpost_getpc15384)>>32
	s_setpc_b64 s[14:15]
.LBB1_23604:
	v_cmp_ne_u16_e32 vcc, 0, v6
	s_andn2_b64 s[4:5], s[4:5], exec
	s_and_b64 s[8:9], vcc, exec
	v_mov_b32_e32 v2, 0
	s_or_b64 s[4:5], s[4:5], s[8:9]
	s_or_b64 exec, exec, s[6:7]
	s_and_saveexec_b64 s[6:7], s[4:5]
	s_cbranch_execz .LBB1_33305
; %bb.59443:
	s_getpc_b64 s[14:15]
.Lpost_getpc15385:
	s_add_u32 s14, s14, (.LBB1_9267-.Lpost_getpc15385)&4294967295
	s_addc_u32 s15, s15, (.LBB1_9267-.Lpost_getpc15385)>>32
	s_setpc_b64 s[14:15]
.LBB1_33305:
	s_getpc_b64 s[14:15]
.Lpost_getpc2316:
	s_add_u32 s14, s14, (.LBB1_9268-.Lpost_getpc2316)&4294967295
	s_addc_u32 s15, s15, (.LBB1_9268-.Lpost_getpc2316)>>32
	s_setpc_b64 s[14:15]
.LBB1_23605:
	s_movk_i32 s4, 0x80
	v_cmp_eq_u16_e32 vcc, s4, v6
	s_mov_b64 s[4:5], -1
                                        ; implicit-def: $sgpr10
	s_and_saveexec_b64 s[8:9], vcc
; %bb.23606:
	s_mov_b32 s10, 0x7f800001
	s_xor_b64 s[4:5], exec, -1
; %bb.23607:
	s_or_b64 exec, exec, s[8:9]
	s_and_b64 s[4:5], s[4:5], exec
                                        ; implicit-def: $vgpr6
	s_or_saveexec_b64 s[6:7], s[6:7]
	v_mov_b32_e32 v12, s10
	s_xor_b64 exec, exec, s[6:7]
	s_cbranch_execnz .LBB1_23608
; %bb.59445:
	s_getpc_b64 s[14:15]
.Lpost_getpc15386:
	s_add_u32 s14, s14, (.LBB1_9270-.Lpost_getpc15386)&4294967295
	s_addc_u32 s15, s15, (.LBB1_9270-.Lpost_getpc15386)>>32
	s_setpc_b64 s[14:15]
.LBB1_23608:
	v_cmp_ne_u16_e32 vcc, 0, v6
	s_andn2_b64 s[4:5], s[4:5], exec
	s_and_b64 s[8:9], vcc, exec
	v_mov_b32_e32 v12, 0
	s_or_b64 s[4:5], s[4:5], s[8:9]
	s_or_b64 exec, exec, s[6:7]
	s_and_saveexec_b64 s[6:7], s[4:5]
	s_cbranch_execz .LBB1_33307
; %bb.59447:
	s_getpc_b64 s[14:15]
.Lpost_getpc15387:
	s_add_u32 s14, s14, (.LBB1_9271-.Lpost_getpc15387)&4294967295
	s_addc_u32 s15, s15, (.LBB1_9271-.Lpost_getpc15387)>>32
	s_setpc_b64 s[14:15]
.LBB1_33307:
	s_getpc_b64 s[14:15]
.Lpost_getpc2317:
	s_add_u32 s14, s14, (.LBB1_9272-.Lpost_getpc2317)&4294967295
	s_addc_u32 s15, s15, (.LBB1_9272-.Lpost_getpc2317)>>32
	s_setpc_b64 s[14:15]
.LBB1_23609:
	s_movk_i32 s4, 0x80
	v_cmp_eq_u16_sdwa s[12:13], v7, s4 src0_sel:BYTE_3 src1_sel:DWORD
	s_mov_b64 s[4:5], -1
                                        ; implicit-def: $sgpr10
	s_and_saveexec_b64 s[8:9], s[12:13]
; %bb.23610:
	s_mov_b32 s10, 0x7f800001
	s_xor_b64 s[4:5], exec, -1
; %bb.23611:
	s_or_b64 exec, exec, s[8:9]
	s_and_b64 s[4:5], s[4:5], exec
	s_or_saveexec_b64 s[6:7], s[6:7]
	v_mov_b32_e32 v2, s10
	s_xor_b64 exec, exec, s[6:7]
	s_cbranch_execnz .LBB1_23612
; %bb.59449:
	s_getpc_b64 s[14:15]
.Lpost_getpc15388:
	s_add_u32 s14, s14, (.LBB1_9274-.Lpost_getpc15388)&4294967295
	s_addc_u32 s15, s15, (.LBB1_9274-.Lpost_getpc15388)>>32
	s_setpc_b64 s[14:15]
.LBB1_23612:
	v_mov_b32_e32 v2, 0
	v_cmp_ne_u16_sdwa s[8:9], v7, v2 src0_sel:BYTE_3 src1_sel:DWORD
	s_andn2_b64 s[4:5], s[4:5], exec
	s_and_b64 s[8:9], s[8:9], exec
	s_or_b64 s[4:5], s[4:5], s[8:9]
	s_or_b64 exec, exec, s[6:7]
	s_and_saveexec_b64 s[6:7], s[4:5]
	s_cbranch_execz .LBB1_33309
; %bb.59451:
	s_getpc_b64 s[14:15]
.Lpost_getpc15389:
	s_add_u32 s14, s14, (.LBB1_9275-.Lpost_getpc15389)&4294967295
	s_addc_u32 s15, s15, (.LBB1_9275-.Lpost_getpc15389)>>32
	s_setpc_b64 s[14:15]
.LBB1_33309:
	s_getpc_b64 s[14:15]
.Lpost_getpc2318:
	s_add_u32 s14, s14, (.LBB1_9276-.Lpost_getpc2318)&4294967295
	s_addc_u32 s15, s15, (.LBB1_9276-.Lpost_getpc2318)>>32
	s_setpc_b64 s[14:15]
.LBB1_23613:
	s_movk_i32 s4, 0x80
	v_cmp_eq_u16_sdwa s[12:13], v3, s4 src0_sel:BYTE_3 src1_sel:DWORD
	s_mov_b64 s[4:5], -1
                                        ; implicit-def: $sgpr10
	s_and_saveexec_b64 s[8:9], s[12:13]
; %bb.23614:
	s_mov_b32 s10, 0x7f800001
	s_xor_b64 s[4:5], exec, -1
; %bb.23615:
	s_or_b64 exec, exec, s[8:9]
	s_and_b64 s[4:5], s[4:5], exec
	s_or_saveexec_b64 s[6:7], s[6:7]
	v_mov_b32_e32 v6, s10
	s_xor_b64 exec, exec, s[6:7]
	s_cbranch_execnz .LBB1_23616
; %bb.59453:
	s_getpc_b64 s[14:15]
.Lpost_getpc15390:
	s_add_u32 s14, s14, (.LBB1_9278-.Lpost_getpc15390)&4294967295
	s_addc_u32 s15, s15, (.LBB1_9278-.Lpost_getpc15390)>>32
	s_setpc_b64 s[14:15]
.LBB1_23616:
	v_mov_b32_e32 v6, 0
	v_cmp_ne_u16_sdwa s[8:9], v3, v6 src0_sel:BYTE_3 src1_sel:DWORD
	s_andn2_b64 s[4:5], s[4:5], exec
	s_and_b64 s[8:9], s[8:9], exec
	s_or_b64 s[4:5], s[4:5], s[8:9]
	s_or_b64 exec, exec, s[6:7]
	s_and_saveexec_b64 s[6:7], s[4:5]
	s_cbranch_execz .LBB1_33311
; %bb.59455:
	s_getpc_b64 s[14:15]
.Lpost_getpc15391:
	s_add_u32 s14, s14, (.LBB1_9279-.Lpost_getpc15391)&4294967295
	s_addc_u32 s15, s15, (.LBB1_9279-.Lpost_getpc15391)>>32
	s_setpc_b64 s[14:15]
.LBB1_33311:
	s_getpc_b64 s[14:15]
.Lpost_getpc2319:
	s_add_u32 s14, s14, (.LBB1_9280-.Lpost_getpc2319)&4294967295
	s_addc_u32 s15, s15, (.LBB1_9280-.Lpost_getpc2319)>>32
	s_setpc_b64 s[14:15]
.LBB1_23617:
	s_movk_i32 s4, 0x80
	v_cmp_eq_u16_sdwa s[12:13], v8, s4 src0_sel:BYTE_0 src1_sel:DWORD
	s_mov_b64 s[4:5], -1
                                        ; implicit-def: $sgpr10
	s_and_saveexec_b64 s[8:9], s[12:13]
; %bb.23618:
	s_mov_b32 s10, 0x7f800001
	s_xor_b64 s[4:5], exec, -1
; %bb.23619:
	s_or_b64 exec, exec, s[8:9]
	s_and_b64 s[4:5], s[4:5], exec
	s_or_saveexec_b64 s[6:7], s[6:7]
	v_mov_b32_e32 v2, s10
	s_xor_b64 exec, exec, s[6:7]
	s_cbranch_execnz .LBB1_23620
; %bb.59457:
	s_getpc_b64 s[14:15]
.Lpost_getpc15392:
	s_add_u32 s14, s14, (.LBB1_9282-.Lpost_getpc15392)&4294967295
	s_addc_u32 s15, s15, (.LBB1_9282-.Lpost_getpc15392)>>32
	s_setpc_b64 s[14:15]
.LBB1_23620:
	v_mov_b32_e32 v2, 0
	v_cmp_ne_u16_sdwa s[8:9], v8, v2 src0_sel:BYTE_0 src1_sel:DWORD
	s_andn2_b64 s[4:5], s[4:5], exec
	s_and_b64 s[8:9], s[8:9], exec
	s_or_b64 s[4:5], s[4:5], s[8:9]
	s_or_b64 exec, exec, s[6:7]
	s_and_saveexec_b64 s[6:7], s[4:5]
	s_cbranch_execz .LBB1_33313
; %bb.59459:
	s_getpc_b64 s[14:15]
.Lpost_getpc15393:
	s_add_u32 s14, s14, (.LBB1_9283-.Lpost_getpc15393)&4294967295
	s_addc_u32 s15, s15, (.LBB1_9283-.Lpost_getpc15393)>>32
	s_setpc_b64 s[14:15]
.LBB1_33313:
	s_getpc_b64 s[14:15]
.Lpost_getpc2320:
	s_add_u32 s14, s14, (.LBB1_9284-.Lpost_getpc2320)&4294967295
	s_addc_u32 s15, s15, (.LBB1_9284-.Lpost_getpc2320)>>32
	s_setpc_b64 s[14:15]
.LBB1_23621:
	s_movk_i32 s4, 0x80
	v_cmp_eq_u16_sdwa s[12:13], v4, s4 src0_sel:BYTE_0 src1_sel:DWORD
	s_mov_b64 s[4:5], -1
                                        ; implicit-def: $sgpr10
	s_and_saveexec_b64 s[8:9], s[12:13]
; %bb.23622:
	s_mov_b32 s10, 0x7f800001
	s_xor_b64 s[4:5], exec, -1
; %bb.23623:
	s_or_b64 exec, exec, s[8:9]
	s_and_b64 s[4:5], s[4:5], exec
	s_or_saveexec_b64 s[6:7], s[6:7]
	v_mov_b32_e32 v3, s10
	s_xor_b64 exec, exec, s[6:7]
	s_cbranch_execnz .LBB1_23624
; %bb.59461:
	s_getpc_b64 s[14:15]
.Lpost_getpc15394:
	s_add_u32 s14, s14, (.LBB1_9286-.Lpost_getpc15394)&4294967295
	s_addc_u32 s15, s15, (.LBB1_9286-.Lpost_getpc15394)>>32
	s_setpc_b64 s[14:15]
.LBB1_23624:
	v_mov_b32_e32 v3, 0
	v_cmp_ne_u16_sdwa s[8:9], v4, v3 src0_sel:BYTE_0 src1_sel:DWORD
	s_andn2_b64 s[4:5], s[4:5], exec
	s_and_b64 s[8:9], s[8:9], exec
	s_or_b64 s[4:5], s[4:5], s[8:9]
	s_or_b64 exec, exec, s[6:7]
	s_and_saveexec_b64 s[6:7], s[4:5]
	s_cbranch_execz .LBB1_33315
; %bb.59463:
	s_getpc_b64 s[14:15]
.Lpost_getpc15395:
	s_add_u32 s14, s14, (.LBB1_9287-.Lpost_getpc15395)&4294967295
	s_addc_u32 s15, s15, (.LBB1_9287-.Lpost_getpc15395)>>32
	s_setpc_b64 s[14:15]
.LBB1_33315:
	s_getpc_b64 s[14:15]
.Lpost_getpc2321:
	s_add_u32 s14, s14, (.LBB1_9288-.Lpost_getpc2321)&4294967295
	s_addc_u32 s15, s15, (.LBB1_9288-.Lpost_getpc2321)>>32
	s_setpc_b64 s[14:15]
.LBB1_23625:
	s_movk_i32 s4, 0x80
	v_cmp_eq_u16_sdwa s[12:13], v3, s4 src0_sel:BYTE_0 src1_sel:DWORD
	s_mov_b64 s[4:5], -1
                                        ; implicit-def: $sgpr10
	s_and_saveexec_b64 s[8:9], s[12:13]
; %bb.23626:
	s_mov_b32 s10, 0x7f800001
	s_xor_b64 s[4:5], exec, -1
; %bb.23627:
	s_or_b64 exec, exec, s[8:9]
	s_and_b64 s[4:5], s[4:5], exec
	s_or_saveexec_b64 s[6:7], s[6:7]
	v_mov_b32_e32 v2, s10
	s_xor_b64 exec, exec, s[6:7]
	s_cbranch_execnz .LBB1_23628
; %bb.59465:
	s_getpc_b64 s[14:15]
.Lpost_getpc15396:
	s_add_u32 s14, s14, (.LBB1_9290-.Lpost_getpc15396)&4294967295
	s_addc_u32 s15, s15, (.LBB1_9290-.Lpost_getpc15396)>>32
	s_setpc_b64 s[14:15]
.LBB1_23628:
	v_mov_b32_e32 v2, 0
	v_cmp_ne_u16_sdwa s[8:9], v3, v2 src0_sel:BYTE_0 src1_sel:DWORD
	s_andn2_b64 s[4:5], s[4:5], exec
	s_and_b64 s[8:9], s[8:9], exec
	s_or_b64 s[4:5], s[4:5], s[8:9]
	s_or_b64 exec, exec, s[6:7]
	s_and_saveexec_b64 s[6:7], s[4:5]
	s_cbranch_execz .LBB1_33317
; %bb.59467:
	s_getpc_b64 s[14:15]
.Lpost_getpc15397:
	s_add_u32 s14, s14, (.LBB1_9291-.Lpost_getpc15397)&4294967295
	s_addc_u32 s15, s15, (.LBB1_9291-.Lpost_getpc15397)>>32
	s_setpc_b64 s[14:15]
.LBB1_33317:
	s_getpc_b64 s[14:15]
.Lpost_getpc2322:
	s_add_u32 s14, s14, (.LBB1_9292-.Lpost_getpc2322)&4294967295
	s_addc_u32 s15, s15, (.LBB1_9292-.Lpost_getpc2322)>>32
	s_setpc_b64 s[14:15]
.LBB1_23629:
	s_movk_i32 s4, 0x80
	v_cmp_eq_u16_sdwa s[12:13], v3, s4 src0_sel:BYTE_0 src1_sel:DWORD
	s_mov_b64 s[4:5], -1
                                        ; implicit-def: $sgpr10
	s_and_saveexec_b64 s[8:9], s[12:13]
; %bb.23630:
	s_mov_b32 s10, 0x7f800001
	s_xor_b64 s[4:5], exec, -1
; %bb.23631:
	s_or_b64 exec, exec, s[8:9]
	s_and_b64 s[4:5], s[4:5], exec
	s_or_saveexec_b64 s[6:7], s[6:7]
	v_mov_b32_e32 v6, s10
	s_xor_b64 exec, exec, s[6:7]
	s_cbranch_execnz .LBB1_23632
; %bb.59469:
	s_getpc_b64 s[14:15]
.Lpost_getpc15398:
	s_add_u32 s14, s14, (.LBB1_9294-.Lpost_getpc15398)&4294967295
	s_addc_u32 s15, s15, (.LBB1_9294-.Lpost_getpc15398)>>32
	s_setpc_b64 s[14:15]
.LBB1_23632:
	v_mov_b32_e32 v6, 0
	v_cmp_ne_u16_sdwa s[8:9], v3, v6 src0_sel:BYTE_0 src1_sel:DWORD
	s_andn2_b64 s[4:5], s[4:5], exec
	s_and_b64 s[8:9], s[8:9], exec
	s_or_b64 s[4:5], s[4:5], s[8:9]
	s_or_b64 exec, exec, s[6:7]
	s_and_saveexec_b64 s[6:7], s[4:5]
	s_cbranch_execz .LBB1_33319
; %bb.59471:
	s_getpc_b64 s[14:15]
.Lpost_getpc15399:
	s_add_u32 s14, s14, (.LBB1_9295-.Lpost_getpc15399)&4294967295
	s_addc_u32 s15, s15, (.LBB1_9295-.Lpost_getpc15399)>>32
	s_setpc_b64 s[14:15]
.LBB1_33319:
	s_getpc_b64 s[14:15]
.Lpost_getpc2323:
	s_add_u32 s14, s14, (.LBB1_9296-.Lpost_getpc2323)&4294967295
	s_addc_u32 s15, s15, (.LBB1_9296-.Lpost_getpc2323)>>32
	s_setpc_b64 s[14:15]
.LBB1_23633:
	s_movk_i32 s4, 0x80
	v_cmp_eq_u16_e32 vcc, s4, v3
	s_mov_b64 s[4:5], -1
                                        ; implicit-def: $sgpr10
	s_and_saveexec_b64 s[8:9], vcc
; %bb.23634:
	s_mov_b32 s10, 0x7f800001
	s_xor_b64 s[4:5], exec, -1
; %bb.23635:
	s_or_b64 exec, exec, s[8:9]
	s_and_b64 s[4:5], s[4:5], exec
                                        ; implicit-def: $vgpr3
	s_or_saveexec_b64 s[6:7], s[6:7]
	v_mov_b32_e32 v2, s10
	s_xor_b64 exec, exec, s[6:7]
	s_cbranch_execnz .LBB1_23636
; %bb.59473:
	s_getpc_b64 s[14:15]
.Lpost_getpc15400:
	s_add_u32 s14, s14, (.LBB1_9298-.Lpost_getpc15400)&4294967295
	s_addc_u32 s15, s15, (.LBB1_9298-.Lpost_getpc15400)>>32
	s_setpc_b64 s[14:15]
.LBB1_23636:
	v_cmp_ne_u16_e32 vcc, 0, v3
	s_andn2_b64 s[4:5], s[4:5], exec
	s_and_b64 s[8:9], vcc, exec
	v_mov_b32_e32 v2, 0
	s_or_b64 s[4:5], s[4:5], s[8:9]
	s_or_b64 exec, exec, s[6:7]
	s_and_saveexec_b64 s[6:7], s[4:5]
	s_cbranch_execz .LBB1_33321
; %bb.59475:
	s_getpc_b64 s[14:15]
.Lpost_getpc15401:
	s_add_u32 s14, s14, (.LBB1_9299-.Lpost_getpc15401)&4294967295
	s_addc_u32 s15, s15, (.LBB1_9299-.Lpost_getpc15401)>>32
	s_setpc_b64 s[14:15]
.LBB1_33321:
	s_getpc_b64 s[14:15]
.Lpost_getpc2324:
	s_add_u32 s14, s14, (.LBB1_9300-.Lpost_getpc2324)&4294967295
	s_addc_u32 s15, s15, (.LBB1_9300-.Lpost_getpc2324)>>32
	s_setpc_b64 s[14:15]
.LBB1_23637:
	s_movk_i32 s4, 0x80
	v_cmp_eq_u16_e32 vcc, s4, v3
	s_mov_b64 s[4:5], -1
                                        ; implicit-def: $sgpr10
	s_and_saveexec_b64 s[8:9], vcc
; %bb.23638:
	s_mov_b32 s10, 0x7f800001
	s_xor_b64 s[4:5], exec, -1
; %bb.23639:
	s_or_b64 exec, exec, s[8:9]
	s_and_b64 s[4:5], s[4:5], exec
                                        ; implicit-def: $vgpr3
	s_or_saveexec_b64 s[6:7], s[6:7]
	v_mov_b32_e32 v6, s10
	s_xor_b64 exec, exec, s[6:7]
	s_cbranch_execnz .LBB1_23640
; %bb.59477:
	s_getpc_b64 s[14:15]
.Lpost_getpc15402:
	s_add_u32 s14, s14, (.LBB1_9302-.Lpost_getpc15402)&4294967295
	s_addc_u32 s15, s15, (.LBB1_9302-.Lpost_getpc15402)>>32
	s_setpc_b64 s[14:15]
.LBB1_23640:
	v_cmp_ne_u16_e32 vcc, 0, v3
	s_andn2_b64 s[4:5], s[4:5], exec
	s_and_b64 s[8:9], vcc, exec
	v_mov_b32_e32 v6, 0
	s_or_b64 s[4:5], s[4:5], s[8:9]
	s_or_b64 exec, exec, s[6:7]
	s_and_saveexec_b64 s[6:7], s[4:5]
	s_cbranch_execz .LBB1_33323
; %bb.59479:
	s_getpc_b64 s[14:15]
.Lpost_getpc15403:
	s_add_u32 s14, s14, (.LBB1_9303-.Lpost_getpc15403)&4294967295
	s_addc_u32 s15, s15, (.LBB1_9303-.Lpost_getpc15403)>>32
	s_setpc_b64 s[14:15]
.LBB1_33323:
	s_getpc_b64 s[14:15]
.Lpost_getpc2325:
	s_add_u32 s14, s14, (.LBB1_9304-.Lpost_getpc2325)&4294967295
	s_addc_u32 s15, s15, (.LBB1_9304-.Lpost_getpc2325)>>32
	s_setpc_b64 s[14:15]
.LBB1_23641:
	s_movk_i32 s4, 0x80
	v_cmp_eq_u16_sdwa s[12:13], v8, s4 src0_sel:BYTE_3 src1_sel:DWORD
	s_mov_b64 s[4:5], -1
                                        ; implicit-def: $sgpr10
	s_and_saveexec_b64 s[8:9], s[12:13]
; %bb.23642:
	s_mov_b32 s10, 0x7f800001
	s_xor_b64 s[4:5], exec, -1
; %bb.23643:
	s_or_b64 exec, exec, s[8:9]
	s_and_b64 s[4:5], s[4:5], exec
	s_or_saveexec_b64 s[6:7], s[6:7]
	v_mov_b32_e32 v2, s10
	s_xor_b64 exec, exec, s[6:7]
	s_cbranch_execnz .LBB1_23644
; %bb.59481:
	s_getpc_b64 s[14:15]
.Lpost_getpc15404:
	s_add_u32 s14, s14, (.LBB1_9306-.Lpost_getpc15404)&4294967295
	s_addc_u32 s15, s15, (.LBB1_9306-.Lpost_getpc15404)>>32
	s_setpc_b64 s[14:15]
.LBB1_23644:
	v_mov_b32_e32 v2, 0
	v_cmp_ne_u16_sdwa s[8:9], v8, v2 src0_sel:BYTE_3 src1_sel:DWORD
	s_andn2_b64 s[4:5], s[4:5], exec
	s_and_b64 s[8:9], s[8:9], exec
	s_or_b64 s[4:5], s[4:5], s[8:9]
	s_or_b64 exec, exec, s[6:7]
	s_and_saveexec_b64 s[6:7], s[4:5]
	s_cbranch_execz .LBB1_33325
; %bb.59483:
	s_getpc_b64 s[14:15]
.Lpost_getpc15405:
	s_add_u32 s14, s14, (.LBB1_9307-.Lpost_getpc15405)&4294967295
	s_addc_u32 s15, s15, (.LBB1_9307-.Lpost_getpc15405)>>32
	s_setpc_b64 s[14:15]
.LBB1_33325:
	s_getpc_b64 s[14:15]
.Lpost_getpc2326:
	s_add_u32 s14, s14, (.LBB1_9308-.Lpost_getpc2326)&4294967295
	s_addc_u32 s15, s15, (.LBB1_9308-.Lpost_getpc2326)>>32
	s_setpc_b64 s[14:15]
.LBB1_23645:
	s_movk_i32 s4, 0x80
	v_cmp_eq_u16_sdwa s[12:13], v4, s4 src0_sel:BYTE_3 src1_sel:DWORD
	s_mov_b64 s[4:5], -1
                                        ; implicit-def: $sgpr10
	s_and_saveexec_b64 s[8:9], s[12:13]
; %bb.23646:
	s_mov_b32 s10, 0x7f800001
	s_xor_b64 s[4:5], exec, -1
; %bb.23647:
	s_or_b64 exec, exec, s[8:9]
	s_and_b64 s[4:5], s[4:5], exec
	s_or_saveexec_b64 s[6:7], s[6:7]
	v_mov_b32_e32 v3, s10
	s_xor_b64 exec, exec, s[6:7]
	s_cbranch_execnz .LBB1_23648
; %bb.59485:
	s_getpc_b64 s[14:15]
.Lpost_getpc15406:
	s_add_u32 s14, s14, (.LBB1_9310-.Lpost_getpc15406)&4294967295
	s_addc_u32 s15, s15, (.LBB1_9310-.Lpost_getpc15406)>>32
	s_setpc_b64 s[14:15]
.LBB1_23648:
	v_mov_b32_e32 v3, 0
	v_cmp_ne_u16_sdwa s[8:9], v4, v3 src0_sel:BYTE_3 src1_sel:DWORD
	s_andn2_b64 s[4:5], s[4:5], exec
	s_and_b64 s[8:9], s[8:9], exec
	s_or_b64 s[4:5], s[4:5], s[8:9]
	s_or_b64 exec, exec, s[6:7]
	s_and_saveexec_b64 s[6:7], s[4:5]
	s_cbranch_execz .LBB1_33327
; %bb.59487:
	s_getpc_b64 s[14:15]
.Lpost_getpc15407:
	s_add_u32 s14, s14, (.LBB1_9311-.Lpost_getpc15407)&4294967295
	s_addc_u32 s15, s15, (.LBB1_9311-.Lpost_getpc15407)>>32
	s_setpc_b64 s[14:15]
.LBB1_33327:
	s_getpc_b64 s[14:15]
.Lpost_getpc2327:
	s_add_u32 s14, s14, (.LBB1_9312-.Lpost_getpc2327)&4294967295
	s_addc_u32 s15, s15, (.LBB1_9312-.Lpost_getpc2327)>>32
	s_setpc_b64 s[14:15]
.LBB1_23649:
	s_movk_i32 s4, 0x80
	v_cmp_eq_u16_sdwa s[12:13], v9, s4 src0_sel:BYTE_0 src1_sel:DWORD
	s_mov_b64 s[4:5], -1
                                        ; implicit-def: $sgpr10
	s_and_saveexec_b64 s[8:9], s[12:13]
; %bb.23650:
	s_mov_b32 s10, 0x7f800001
	s_xor_b64 s[4:5], exec, -1
; %bb.23651:
	s_or_b64 exec, exec, s[8:9]
	s_and_b64 s[4:5], s[4:5], exec
	s_or_saveexec_b64 s[6:7], s[6:7]
	v_mov_b32_e32 v2, s10
	s_xor_b64 exec, exec, s[6:7]
	s_cbranch_execnz .LBB1_23652
; %bb.59489:
	s_getpc_b64 s[14:15]
.Lpost_getpc15408:
	s_add_u32 s14, s14, (.LBB1_9314-.Lpost_getpc15408)&4294967295
	s_addc_u32 s15, s15, (.LBB1_9314-.Lpost_getpc15408)>>32
	s_setpc_b64 s[14:15]
.LBB1_23652:
	v_mov_b32_e32 v2, 0
	v_cmp_ne_u16_sdwa s[8:9], v9, v2 src0_sel:BYTE_0 src1_sel:DWORD
	s_andn2_b64 s[4:5], s[4:5], exec
	s_and_b64 s[8:9], s[8:9], exec
	s_or_b64 s[4:5], s[4:5], s[8:9]
	s_or_b64 exec, exec, s[6:7]
	s_and_saveexec_b64 s[6:7], s[4:5]
	s_cbranch_execz .LBB1_33329
; %bb.59491:
	s_getpc_b64 s[14:15]
.Lpost_getpc15409:
	s_add_u32 s14, s14, (.LBB1_9315-.Lpost_getpc15409)&4294967295
	s_addc_u32 s15, s15, (.LBB1_9315-.Lpost_getpc15409)>>32
	s_setpc_b64 s[14:15]
.LBB1_33329:
	s_getpc_b64 s[14:15]
.Lpost_getpc2328:
	s_add_u32 s14, s14, (.LBB1_9316-.Lpost_getpc2328)&4294967295
	s_addc_u32 s15, s15, (.LBB1_9316-.Lpost_getpc2328)>>32
	s_setpc_b64 s[14:15]
.LBB1_23653:
	s_movk_i32 s4, 0x80
	v_cmp_eq_u16_sdwa s[12:13], v5, s4 src0_sel:BYTE_0 src1_sel:DWORD
	s_mov_b64 s[4:5], -1
                                        ; implicit-def: $sgpr10
	s_and_saveexec_b64 s[8:9], s[12:13]
; %bb.23654:
	s_mov_b32 s10, 0x7f800001
	s_xor_b64 s[4:5], exec, -1
; %bb.23655:
	s_or_b64 exec, exec, s[8:9]
	s_and_b64 s[4:5], s[4:5], exec
	s_or_saveexec_b64 s[6:7], s[6:7]
	v_mov_b32_e32 v3, s10
	s_xor_b64 exec, exec, s[6:7]
	s_cbranch_execnz .LBB1_23656
; %bb.59493:
	s_getpc_b64 s[14:15]
.Lpost_getpc15410:
	s_add_u32 s14, s14, (.LBB1_9318-.Lpost_getpc15410)&4294967295
	s_addc_u32 s15, s15, (.LBB1_9318-.Lpost_getpc15410)>>32
	s_setpc_b64 s[14:15]
.LBB1_23656:
	v_mov_b32_e32 v3, 0
	v_cmp_ne_u16_sdwa s[8:9], v5, v3 src0_sel:BYTE_0 src1_sel:DWORD
	s_andn2_b64 s[4:5], s[4:5], exec
	s_and_b64 s[8:9], s[8:9], exec
	s_or_b64 s[4:5], s[4:5], s[8:9]
	s_or_b64 exec, exec, s[6:7]
	s_and_saveexec_b64 s[6:7], s[4:5]
	s_cbranch_execz .LBB1_33331
; %bb.59495:
	s_getpc_b64 s[14:15]
.Lpost_getpc15411:
	s_add_u32 s14, s14, (.LBB1_9319-.Lpost_getpc15411)&4294967295
	s_addc_u32 s15, s15, (.LBB1_9319-.Lpost_getpc15411)>>32
	s_setpc_b64 s[14:15]
.LBB1_33331:
	s_getpc_b64 s[14:15]
.Lpost_getpc2329:
	s_add_u32 s14, s14, (.LBB1_9320-.Lpost_getpc2329)&4294967295
	s_addc_u32 s15, s15, (.LBB1_9320-.Lpost_getpc2329)>>32
	s_setpc_b64 s[14:15]
.LBB1_23657:
	s_movk_i32 s4, 0x80
	v_cmp_eq_u16_sdwa s[12:13], v3, s4 src0_sel:BYTE_0 src1_sel:DWORD
	s_mov_b64 s[4:5], -1
                                        ; implicit-def: $sgpr10
	s_and_saveexec_b64 s[8:9], s[12:13]
; %bb.23658:
	s_mov_b32 s10, 0x7f800001
	s_xor_b64 s[4:5], exec, -1
; %bb.23659:
	s_or_b64 exec, exec, s[8:9]
	s_and_b64 s[4:5], s[4:5], exec
	s_or_saveexec_b64 s[6:7], s[6:7]
	v_mov_b32_e32 v2, s10
	s_xor_b64 exec, exec, s[6:7]
	s_cbranch_execnz .LBB1_23660
; %bb.59497:
	s_getpc_b64 s[14:15]
.Lpost_getpc15412:
	s_add_u32 s14, s14, (.LBB1_9322-.Lpost_getpc15412)&4294967295
	s_addc_u32 s15, s15, (.LBB1_9322-.Lpost_getpc15412)>>32
	s_setpc_b64 s[14:15]
.LBB1_23660:
	v_mov_b32_e32 v2, 0
	v_cmp_ne_u16_sdwa s[8:9], v3, v2 src0_sel:BYTE_0 src1_sel:DWORD
	s_andn2_b64 s[4:5], s[4:5], exec
	s_and_b64 s[8:9], s[8:9], exec
	s_or_b64 s[4:5], s[4:5], s[8:9]
	s_or_b64 exec, exec, s[6:7]
	s_and_saveexec_b64 s[6:7], s[4:5]
	s_cbranch_execz .LBB1_33333
; %bb.59499:
	s_getpc_b64 s[14:15]
.Lpost_getpc15413:
	s_add_u32 s14, s14, (.LBB1_9323-.Lpost_getpc15413)&4294967295
	s_addc_u32 s15, s15, (.LBB1_9323-.Lpost_getpc15413)>>32
	s_setpc_b64 s[14:15]
.LBB1_33333:
	s_getpc_b64 s[14:15]
.Lpost_getpc2330:
	s_add_u32 s14, s14, (.LBB1_9324-.Lpost_getpc2330)&4294967295
	s_addc_u32 s15, s15, (.LBB1_9324-.Lpost_getpc2330)>>32
	s_setpc_b64 s[14:15]
.LBB1_23661:
	s_movk_i32 s4, 0x80
	v_cmp_eq_u16_sdwa s[12:13], v3, s4 src0_sel:BYTE_0 src1_sel:DWORD
	s_mov_b64 s[4:5], -1
                                        ; implicit-def: $sgpr10
	s_and_saveexec_b64 s[8:9], s[12:13]
; %bb.23662:
	s_mov_b32 s10, 0x7f800001
	s_xor_b64 s[4:5], exec, -1
; %bb.23663:
	s_or_b64 exec, exec, s[8:9]
	s_and_b64 s[4:5], s[4:5], exec
	s_or_saveexec_b64 s[6:7], s[6:7]
	v_mov_b32_e32 v4, s10
	s_xor_b64 exec, exec, s[6:7]
	s_cbranch_execnz .LBB1_23664
; %bb.59501:
	s_getpc_b64 s[14:15]
.Lpost_getpc15414:
	s_add_u32 s14, s14, (.LBB1_9326-.Lpost_getpc15414)&4294967295
	s_addc_u32 s15, s15, (.LBB1_9326-.Lpost_getpc15414)>>32
	s_setpc_b64 s[14:15]
.LBB1_23664:
	v_mov_b32_e32 v4, 0
	v_cmp_ne_u16_sdwa s[8:9], v3, v4 src0_sel:BYTE_0 src1_sel:DWORD
	s_andn2_b64 s[4:5], s[4:5], exec
	s_and_b64 s[8:9], s[8:9], exec
	s_or_b64 s[4:5], s[4:5], s[8:9]
	s_or_b64 exec, exec, s[6:7]
	s_and_saveexec_b64 s[6:7], s[4:5]
	s_cbranch_execz .LBB1_33335
; %bb.59503:
	s_getpc_b64 s[14:15]
.Lpost_getpc15415:
	s_add_u32 s14, s14, (.LBB1_9327-.Lpost_getpc15415)&4294967295
	s_addc_u32 s15, s15, (.LBB1_9327-.Lpost_getpc15415)>>32
	s_setpc_b64 s[14:15]
.LBB1_33335:
	s_getpc_b64 s[14:15]
.Lpost_getpc2331:
	s_add_u32 s14, s14, (.LBB1_9328-.Lpost_getpc2331)&4294967295
	s_addc_u32 s15, s15, (.LBB1_9328-.Lpost_getpc2331)>>32
	s_setpc_b64 s[14:15]
.LBB1_23665:
	s_movk_i32 s4, 0x80
	v_cmp_eq_u16_e32 vcc, s4, v3
	s_mov_b64 s[4:5], -1
                                        ; implicit-def: $sgpr10
	s_and_saveexec_b64 s[8:9], vcc
; %bb.23666:
	s_mov_b32 s10, 0x7f800001
	s_xor_b64 s[4:5], exec, -1
; %bb.23667:
	s_or_b64 exec, exec, s[8:9]
	s_and_b64 s[4:5], s[4:5], exec
                                        ; implicit-def: $vgpr3
	s_or_saveexec_b64 s[6:7], s[6:7]
	v_mov_b32_e32 v2, s10
	s_xor_b64 exec, exec, s[6:7]
	s_cbranch_execnz .LBB1_23668
; %bb.59505:
	s_getpc_b64 s[14:15]
.Lpost_getpc15416:
	s_add_u32 s14, s14, (.LBB1_9330-.Lpost_getpc15416)&4294967295
	s_addc_u32 s15, s15, (.LBB1_9330-.Lpost_getpc15416)>>32
	s_setpc_b64 s[14:15]
.LBB1_23668:
	v_cmp_ne_u16_e32 vcc, 0, v3
	s_andn2_b64 s[4:5], s[4:5], exec
	s_and_b64 s[8:9], vcc, exec
	v_mov_b32_e32 v2, 0
	s_or_b64 s[4:5], s[4:5], s[8:9]
	s_or_b64 exec, exec, s[6:7]
	s_and_saveexec_b64 s[6:7], s[4:5]
	s_cbranch_execz .LBB1_33337
; %bb.59507:
	s_getpc_b64 s[14:15]
.Lpost_getpc15417:
	s_add_u32 s14, s14, (.LBB1_9331-.Lpost_getpc15417)&4294967295
	s_addc_u32 s15, s15, (.LBB1_9331-.Lpost_getpc15417)>>32
	s_setpc_b64 s[14:15]
.LBB1_33337:
	s_getpc_b64 s[14:15]
.Lpost_getpc2332:
	s_add_u32 s14, s14, (.LBB1_9332-.Lpost_getpc2332)&4294967295
	s_addc_u32 s15, s15, (.LBB1_9332-.Lpost_getpc2332)>>32
	s_setpc_b64 s[14:15]
.LBB1_23669:
	s_movk_i32 s4, 0x80
	v_cmp_eq_u16_e32 vcc, s4, v3
	s_mov_b64 s[4:5], -1
                                        ; implicit-def: $sgpr10
	s_and_saveexec_b64 s[8:9], vcc
; %bb.23670:
	s_mov_b32 s10, 0x7f800001
	s_xor_b64 s[4:5], exec, -1
; %bb.23671:
	s_or_b64 exec, exec, s[8:9]
	s_and_b64 s[4:5], s[4:5], exec
                                        ; implicit-def: $vgpr3
	s_or_saveexec_b64 s[6:7], s[6:7]
	v_mov_b32_e32 v4, s10
	s_xor_b64 exec, exec, s[6:7]
	s_cbranch_execnz .LBB1_23672
; %bb.59509:
	s_getpc_b64 s[14:15]
.Lpost_getpc15418:
	s_add_u32 s14, s14, (.LBB1_9334-.Lpost_getpc15418)&4294967295
	s_addc_u32 s15, s15, (.LBB1_9334-.Lpost_getpc15418)>>32
	s_setpc_b64 s[14:15]
.LBB1_23672:
	v_cmp_ne_u16_e32 vcc, 0, v3
	s_andn2_b64 s[4:5], s[4:5], exec
	s_and_b64 s[8:9], vcc, exec
	v_mov_b32_e32 v4, 0
	s_or_b64 s[4:5], s[4:5], s[8:9]
	s_or_b64 exec, exec, s[6:7]
	s_and_saveexec_b64 s[6:7], s[4:5]
	s_cbranch_execz .LBB1_33339
; %bb.59511:
	s_getpc_b64 s[14:15]
.Lpost_getpc15419:
	s_add_u32 s14, s14, (.LBB1_9335-.Lpost_getpc15419)&4294967295
	s_addc_u32 s15, s15, (.LBB1_9335-.Lpost_getpc15419)>>32
	s_setpc_b64 s[14:15]
.LBB1_33339:
	s_getpc_b64 s[14:15]
.Lpost_getpc2333:
	s_add_u32 s14, s14, (.LBB1_9336-.Lpost_getpc2333)&4294967295
	s_addc_u32 s15, s15, (.LBB1_9336-.Lpost_getpc2333)>>32
	s_setpc_b64 s[14:15]
.LBB1_23673:
	s_movk_i32 s4, 0x80
	v_cmp_eq_u16_sdwa s[12:13], v9, s4 src0_sel:BYTE_3 src1_sel:DWORD
	s_mov_b64 s[4:5], -1
                                        ; implicit-def: $sgpr10
	s_and_saveexec_b64 s[8:9], s[12:13]
; %bb.23674:
	s_mov_b32 s10, 0x7f800001
	s_xor_b64 s[4:5], exec, -1
; %bb.23675:
	s_or_b64 exec, exec, s[8:9]
	s_and_b64 s[4:5], s[4:5], exec
	s_or_saveexec_b64 s[6:7], s[6:7]
	v_mov_b32_e32 v2, s10
	s_xor_b64 exec, exec, s[6:7]
	s_cbranch_execnz .LBB1_23676
; %bb.59513:
	s_getpc_b64 s[14:15]
.Lpost_getpc15420:
	s_add_u32 s14, s14, (.LBB1_9338-.Lpost_getpc15420)&4294967295
	s_addc_u32 s15, s15, (.LBB1_9338-.Lpost_getpc15420)>>32
	s_setpc_b64 s[14:15]
.LBB1_23676:
	v_mov_b32_e32 v2, 0
	v_cmp_ne_u16_sdwa s[8:9], v9, v2 src0_sel:BYTE_3 src1_sel:DWORD
	s_andn2_b64 s[4:5], s[4:5], exec
	s_and_b64 s[8:9], s[8:9], exec
	s_or_b64 s[4:5], s[4:5], s[8:9]
	s_or_b64 exec, exec, s[6:7]
	s_and_saveexec_b64 s[6:7], s[4:5]
	s_cbranch_execz .LBB1_33341
; %bb.59515:
	s_getpc_b64 s[14:15]
.Lpost_getpc15421:
	s_add_u32 s14, s14, (.LBB1_9339-.Lpost_getpc15421)&4294967295
	s_addc_u32 s15, s15, (.LBB1_9339-.Lpost_getpc15421)>>32
	s_setpc_b64 s[14:15]
.LBB1_33341:
	s_getpc_b64 s[14:15]
.Lpost_getpc2334:
	s_add_u32 s14, s14, (.LBB1_9340-.Lpost_getpc2334)&4294967295
	s_addc_u32 s15, s15, (.LBB1_9340-.Lpost_getpc2334)>>32
	s_setpc_b64 s[14:15]
.LBB1_23677:
	s_movk_i32 s4, 0x80
	v_cmp_eq_u16_sdwa s[12:13], v5, s4 src0_sel:BYTE_3 src1_sel:DWORD
	s_mov_b64 s[4:5], -1
                                        ; implicit-def: $sgpr10
	s_and_saveexec_b64 s[8:9], s[12:13]
; %bb.23678:
	s_mov_b32 s10, 0x7f800001
	s_xor_b64 s[4:5], exec, -1
; %bb.23679:
	s_or_b64 exec, exec, s[8:9]
	s_and_b64 s[4:5], s[4:5], exec
	s_or_saveexec_b64 s[6:7], s[6:7]
	v_mov_b32_e32 v3, s10
	s_xor_b64 exec, exec, s[6:7]
	s_cbranch_execnz .LBB1_23680
; %bb.59517:
	s_getpc_b64 s[14:15]
.Lpost_getpc15422:
	s_add_u32 s14, s14, (.LBB1_9342-.Lpost_getpc15422)&4294967295
	s_addc_u32 s15, s15, (.LBB1_9342-.Lpost_getpc15422)>>32
	s_setpc_b64 s[14:15]
.LBB1_23680:
	v_mov_b32_e32 v3, 0
	v_cmp_ne_u16_sdwa s[8:9], v5, v3 src0_sel:BYTE_3 src1_sel:DWORD
	s_andn2_b64 s[4:5], s[4:5], exec
	s_and_b64 s[8:9], s[8:9], exec
	s_or_b64 s[4:5], s[4:5], s[8:9]
	s_or_b64 exec, exec, s[6:7]
	s_and_saveexec_b64 s[6:7], s[4:5]
	s_cbranch_execz .LBB1_33343
; %bb.59519:
	s_getpc_b64 s[14:15]
.Lpost_getpc15423:
	s_add_u32 s14, s14, (.LBB1_9343-.Lpost_getpc15423)&4294967295
	s_addc_u32 s15, s15, (.LBB1_9343-.Lpost_getpc15423)>>32
	s_setpc_b64 s[14:15]
.LBB1_33343:
	s_getpc_b64 s[14:15]
.Lpost_getpc2335:
	s_add_u32 s14, s14, (.LBB1_9344-.Lpost_getpc2335)&4294967295
	s_addc_u32 s15, s15, (.LBB1_9344-.Lpost_getpc2335)>>32
	s_setpc_b64 s[14:15]
.LBB1_23681:
	s_movk_i32 s4, 0x80
	v_cmp_eq_u16_sdwa s[12:13], v6, s4 src0_sel:BYTE_0 src1_sel:DWORD
	s_mov_b64 s[4:5], -1
                                        ; implicit-def: $sgpr10
	s_and_saveexec_b64 s[8:9], s[12:13]
; %bb.23682:
	s_mov_b32 s10, 0x7f800001
	s_xor_b64 s[4:5], exec, -1
; %bb.23683:
	s_or_b64 exec, exec, s[8:9]
	s_and_b64 s[4:5], s[4:5], exec
	s_or_saveexec_b64 s[6:7], s[6:7]
	v_mov_b32_e32 v12, s10
	s_xor_b64 exec, exec, s[6:7]
	s_cbranch_execnz .LBB1_23684
; %bb.59521:
	s_getpc_b64 s[14:15]
.Lpost_getpc15424:
	s_add_u32 s14, s14, (.LBB1_9346-.Lpost_getpc15424)&4294967295
	s_addc_u32 s15, s15, (.LBB1_9346-.Lpost_getpc15424)>>32
	s_setpc_b64 s[14:15]
.LBB1_23684:
	v_mov_b32_e32 v12, 0
	v_cmp_ne_u16_sdwa s[8:9], v6, v12 src0_sel:BYTE_0 src1_sel:DWORD
	s_andn2_b64 s[4:5], s[4:5], exec
	s_and_b64 s[8:9], s[8:9], exec
	s_or_b64 s[4:5], s[4:5], s[8:9]
	s_or_b64 exec, exec, s[6:7]
	s_and_saveexec_b64 s[6:7], s[4:5]
	s_cbranch_execz .LBB1_33345
; %bb.59523:
	s_getpc_b64 s[14:15]
.Lpost_getpc15425:
	s_add_u32 s14, s14, (.LBB1_9347-.Lpost_getpc15425)&4294967295
	s_addc_u32 s15, s15, (.LBB1_9347-.Lpost_getpc15425)>>32
	s_setpc_b64 s[14:15]
.LBB1_33345:
	s_getpc_b64 s[14:15]
.Lpost_getpc2336:
	s_add_u32 s14, s14, (.LBB1_9348-.Lpost_getpc2336)&4294967295
	s_addc_u32 s15, s15, (.LBB1_9348-.Lpost_getpc2336)>>32
	s_setpc_b64 s[14:15]
.LBB1_23685:
	s_movk_i32 s4, 0x80
	v_cmp_eq_u16_sdwa s[12:13], v2, s4 src0_sel:BYTE_0 src1_sel:DWORD
	s_mov_b64 s[4:5], -1
                                        ; implicit-def: $sgpr10
	s_and_saveexec_b64 s[8:9], s[12:13]
; %bb.23686:
	s_mov_b32 s10, 0x7f800001
	s_xor_b64 s[4:5], exec, -1
; %bb.23687:
	s_or_b64 exec, exec, s[8:9]
	s_and_b64 s[4:5], s[4:5], exec
	s_or_saveexec_b64 s[6:7], s[6:7]
	v_mov_b32_e32 v13, s10
	s_xor_b64 exec, exec, s[6:7]
	s_cbranch_execnz .LBB1_23688
; %bb.59525:
	s_getpc_b64 s[14:15]
.Lpost_getpc15426:
	s_add_u32 s14, s14, (.LBB1_9350-.Lpost_getpc15426)&4294967295
	s_addc_u32 s15, s15, (.LBB1_9350-.Lpost_getpc15426)>>32
	s_setpc_b64 s[14:15]
.LBB1_23688:
	v_mov_b32_e32 v13, 0
	v_cmp_ne_u16_sdwa s[8:9], v2, v13 src0_sel:BYTE_0 src1_sel:DWORD
	s_andn2_b64 s[4:5], s[4:5], exec
	s_and_b64 s[8:9], s[8:9], exec
	s_or_b64 s[4:5], s[4:5], s[8:9]
	s_or_b64 exec, exec, s[6:7]
	s_and_saveexec_b64 s[6:7], s[4:5]
	s_cbranch_execz .LBB1_33347
; %bb.59527:
	s_getpc_b64 s[14:15]
.Lpost_getpc15427:
	s_add_u32 s14, s14, (.LBB1_9351-.Lpost_getpc15427)&4294967295
	s_addc_u32 s15, s15, (.LBB1_9351-.Lpost_getpc15427)>>32
	s_setpc_b64 s[14:15]
.LBB1_33347:
	s_getpc_b64 s[14:15]
.Lpost_getpc2337:
	s_add_u32 s14, s14, (.LBB1_9352-.Lpost_getpc2337)&4294967295
	s_addc_u32 s15, s15, (.LBB1_9352-.Lpost_getpc2337)>>32
	s_setpc_b64 s[14:15]
.LBB1_23689:
	s_movk_i32 s4, 0x80
	v_cmp_eq_u16_sdwa s[12:13], v13, s4 src0_sel:BYTE_0 src1_sel:DWORD
	s_mov_b64 s[4:5], -1
                                        ; implicit-def: $sgpr10
	s_and_saveexec_b64 s[8:9], s[12:13]
; %bb.23690:
	s_mov_b32 s10, 0x7f800001
	s_xor_b64 s[4:5], exec, -1
; %bb.23691:
	s_or_b64 exec, exec, s[8:9]
	s_and_b64 s[4:5], s[4:5], exec
	s_or_saveexec_b64 s[6:7], s[6:7]
	v_mov_b32_e32 v12, s10
	s_xor_b64 exec, exec, s[6:7]
	s_cbranch_execnz .LBB1_23692
; %bb.59529:
	s_getpc_b64 s[14:15]
.Lpost_getpc15428:
	s_add_u32 s14, s14, (.LBB1_9354-.Lpost_getpc15428)&4294967295
	s_addc_u32 s15, s15, (.LBB1_9354-.Lpost_getpc15428)>>32
	s_setpc_b64 s[14:15]
.LBB1_23692:
	v_mov_b32_e32 v12, 0
	v_cmp_ne_u16_sdwa s[8:9], v13, v12 src0_sel:BYTE_0 src1_sel:DWORD
	s_andn2_b64 s[4:5], s[4:5], exec
	s_and_b64 s[8:9], s[8:9], exec
	s_or_b64 s[4:5], s[4:5], s[8:9]
	s_or_b64 exec, exec, s[6:7]
	s_and_saveexec_b64 s[6:7], s[4:5]
	s_cbranch_execz .LBB1_33349
; %bb.59531:
	s_getpc_b64 s[14:15]
.Lpost_getpc15429:
	s_add_u32 s14, s14, (.LBB1_9355-.Lpost_getpc15429)&4294967295
	s_addc_u32 s15, s15, (.LBB1_9355-.Lpost_getpc15429)>>32
	s_setpc_b64 s[14:15]
.LBB1_33349:
	s_getpc_b64 s[14:15]
.Lpost_getpc2338:
	s_add_u32 s14, s14, (.LBB1_9356-.Lpost_getpc2338)&4294967295
	s_addc_u32 s15, s15, (.LBB1_9356-.Lpost_getpc2338)>>32
	s_setpc_b64 s[14:15]
.LBB1_23693:
	s_movk_i32 s4, 0x80
	v_cmp_eq_u16_sdwa s[12:13], v13, s4 src0_sel:BYTE_0 src1_sel:DWORD
	s_mov_b64 s[4:5], -1
                                        ; implicit-def: $sgpr10
	s_and_saveexec_b64 s[8:9], s[12:13]
; %bb.23694:
	s_mov_b32 s10, 0x7f800001
	s_xor_b64 s[4:5], exec, -1
; %bb.23695:
	s_or_b64 exec, exec, s[8:9]
	s_and_b64 s[4:5], s[4:5], exec
	s_or_saveexec_b64 s[6:7], s[6:7]
	v_mov_b32_e32 v14, s10
	s_xor_b64 exec, exec, s[6:7]
	s_cbranch_execnz .LBB1_23696
; %bb.59533:
	s_getpc_b64 s[14:15]
.Lpost_getpc15430:
	s_add_u32 s14, s14, (.LBB1_9358-.Lpost_getpc15430)&4294967295
	s_addc_u32 s15, s15, (.LBB1_9358-.Lpost_getpc15430)>>32
	s_setpc_b64 s[14:15]
.LBB1_23696:
	v_mov_b32_e32 v14, 0
	v_cmp_ne_u16_sdwa s[8:9], v13, v14 src0_sel:BYTE_0 src1_sel:DWORD
	s_andn2_b64 s[4:5], s[4:5], exec
	s_and_b64 s[8:9], s[8:9], exec
	s_or_b64 s[4:5], s[4:5], s[8:9]
	s_or_b64 exec, exec, s[6:7]
	s_and_saveexec_b64 s[6:7], s[4:5]
	s_cbranch_execz .LBB1_33351
; %bb.59535:
	s_getpc_b64 s[14:15]
.Lpost_getpc15431:
	s_add_u32 s14, s14, (.LBB1_9359-.Lpost_getpc15431)&4294967295
	s_addc_u32 s15, s15, (.LBB1_9359-.Lpost_getpc15431)>>32
	s_setpc_b64 s[14:15]
.LBB1_33351:
	s_getpc_b64 s[14:15]
.Lpost_getpc2339:
	s_add_u32 s14, s14, (.LBB1_9360-.Lpost_getpc2339)&4294967295
	s_addc_u32 s15, s15, (.LBB1_9360-.Lpost_getpc2339)>>32
	s_setpc_b64 s[14:15]
.LBB1_23697:
	s_movk_i32 s4, 0x80
	v_cmp_eq_u16_e32 vcc, s4, v13
	s_mov_b64 s[4:5], -1
                                        ; implicit-def: $sgpr10
	s_and_saveexec_b64 s[8:9], vcc
; %bb.23698:
	s_mov_b32 s10, 0x7f800001
	s_xor_b64 s[4:5], exec, -1
; %bb.23699:
	s_or_b64 exec, exec, s[8:9]
	s_and_b64 s[4:5], s[4:5], exec
                                        ; implicit-def: $vgpr13
	s_or_saveexec_b64 s[6:7], s[6:7]
	v_mov_b32_e32 v12, s10
	s_xor_b64 exec, exec, s[6:7]
	s_cbranch_execnz .LBB1_23700
; %bb.59537:
	s_getpc_b64 s[14:15]
.Lpost_getpc15432:
	s_add_u32 s14, s14, (.LBB1_9362-.Lpost_getpc15432)&4294967295
	s_addc_u32 s15, s15, (.LBB1_9362-.Lpost_getpc15432)>>32
	s_setpc_b64 s[14:15]
.LBB1_23700:
	v_cmp_ne_u16_e32 vcc, 0, v13
	s_andn2_b64 s[4:5], s[4:5], exec
	s_and_b64 s[8:9], vcc, exec
	v_mov_b32_e32 v12, 0
	s_or_b64 s[4:5], s[4:5], s[8:9]
	s_or_b64 exec, exec, s[6:7]
	s_and_saveexec_b64 s[6:7], s[4:5]
	s_cbranch_execz .LBB1_33353
; %bb.59539:
	s_getpc_b64 s[14:15]
.Lpost_getpc15433:
	s_add_u32 s14, s14, (.LBB1_9363-.Lpost_getpc15433)&4294967295
	s_addc_u32 s15, s15, (.LBB1_9363-.Lpost_getpc15433)>>32
	s_setpc_b64 s[14:15]
.LBB1_33353:
	s_getpc_b64 s[14:15]
.Lpost_getpc2340:
	s_add_u32 s14, s14, (.LBB1_9364-.Lpost_getpc2340)&4294967295
	s_addc_u32 s15, s15, (.LBB1_9364-.Lpost_getpc2340)>>32
	s_setpc_b64 s[14:15]
.LBB1_23701:
	s_movk_i32 s4, 0x80
	v_cmp_eq_u16_e32 vcc, s4, v13
	s_mov_b64 s[4:5], -1
                                        ; implicit-def: $sgpr10
	s_and_saveexec_b64 s[8:9], vcc
; %bb.23702:
	s_mov_b32 s10, 0x7f800001
	s_xor_b64 s[4:5], exec, -1
; %bb.23703:
	s_or_b64 exec, exec, s[8:9]
	s_and_b64 s[4:5], s[4:5], exec
                                        ; implicit-def: $vgpr13
	s_or_saveexec_b64 s[6:7], s[6:7]
	v_mov_b32_e32 v14, s10
	s_xor_b64 exec, exec, s[6:7]
	s_cbranch_execnz .LBB1_23704
; %bb.59541:
	s_getpc_b64 s[14:15]
.Lpost_getpc15434:
	s_add_u32 s14, s14, (.LBB1_9366-.Lpost_getpc15434)&4294967295
	s_addc_u32 s15, s15, (.LBB1_9366-.Lpost_getpc15434)>>32
	s_setpc_b64 s[14:15]
.LBB1_23704:
	v_cmp_ne_u16_e32 vcc, 0, v13
	s_andn2_b64 s[4:5], s[4:5], exec
	s_and_b64 s[8:9], vcc, exec
	v_mov_b32_e32 v14, 0
	s_or_b64 s[4:5], s[4:5], s[8:9]
	s_or_b64 exec, exec, s[6:7]
	s_and_saveexec_b64 s[6:7], s[4:5]
	s_cbranch_execz .LBB1_33355
; %bb.59543:
	s_getpc_b64 s[14:15]
.Lpost_getpc15435:
	s_add_u32 s14, s14, (.LBB1_9367-.Lpost_getpc15435)&4294967295
	s_addc_u32 s15, s15, (.LBB1_9367-.Lpost_getpc15435)>>32
	s_setpc_b64 s[14:15]
.LBB1_33355:
	s_getpc_b64 s[14:15]
.Lpost_getpc2341:
	s_add_u32 s14, s14, (.LBB1_9368-.Lpost_getpc2341)&4294967295
	s_addc_u32 s15, s15, (.LBB1_9368-.Lpost_getpc2341)>>32
	s_setpc_b64 s[14:15]
.LBB1_23705:
	s_movk_i32 s4, 0x80
	v_cmp_eq_u16_sdwa s[12:13], v6, s4 src0_sel:BYTE_3 src1_sel:DWORD
	s_mov_b64 s[4:5], -1
                                        ; implicit-def: $sgpr10
	s_and_saveexec_b64 s[8:9], s[12:13]
; %bb.23706:
	s_mov_b32 s10, 0x7f800001
	s_xor_b64 s[4:5], exec, -1
; %bb.23707:
	s_or_b64 exec, exec, s[8:9]
	s_and_b64 s[4:5], s[4:5], exec
	s_or_saveexec_b64 s[6:7], s[6:7]
	v_mov_b32_e32 v12, s10
	s_xor_b64 exec, exec, s[6:7]
	s_cbranch_execnz .LBB1_23708
; %bb.59545:
	s_getpc_b64 s[14:15]
.Lpost_getpc15436:
	s_add_u32 s14, s14, (.LBB1_9370-.Lpost_getpc15436)&4294967295
	s_addc_u32 s15, s15, (.LBB1_9370-.Lpost_getpc15436)>>32
	s_setpc_b64 s[14:15]
.LBB1_23708:
	v_mov_b32_e32 v12, 0
	v_cmp_ne_u16_sdwa s[8:9], v6, v12 src0_sel:BYTE_3 src1_sel:DWORD
	s_andn2_b64 s[4:5], s[4:5], exec
	s_and_b64 s[8:9], s[8:9], exec
	s_or_b64 s[4:5], s[4:5], s[8:9]
	s_or_b64 exec, exec, s[6:7]
	s_and_saveexec_b64 s[6:7], s[4:5]
	s_cbranch_execz .LBB1_33357
; %bb.59547:
	s_getpc_b64 s[14:15]
.Lpost_getpc15437:
	s_add_u32 s14, s14, (.LBB1_9371-.Lpost_getpc15437)&4294967295
	s_addc_u32 s15, s15, (.LBB1_9371-.Lpost_getpc15437)>>32
	s_setpc_b64 s[14:15]
.LBB1_33357:
	s_getpc_b64 s[14:15]
.Lpost_getpc2342:
	s_add_u32 s14, s14, (.LBB1_9372-.Lpost_getpc2342)&4294967295
	s_addc_u32 s15, s15, (.LBB1_9372-.Lpost_getpc2342)>>32
	s_setpc_b64 s[14:15]
.LBB1_23709:
	s_movk_i32 s4, 0x80
	v_cmp_eq_u16_sdwa s[12:13], v2, s4 src0_sel:BYTE_3 src1_sel:DWORD
	s_mov_b64 s[4:5], -1
                                        ; implicit-def: $sgpr10
	s_and_saveexec_b64 s[8:9], s[12:13]
; %bb.23710:
	s_mov_b32 s10, 0x7f800001
	s_xor_b64 s[4:5], exec, -1
; %bb.23711:
	s_or_b64 exec, exec, s[8:9]
	s_and_b64 s[4:5], s[4:5], exec
	s_or_saveexec_b64 s[6:7], s[6:7]
	v_mov_b32_e32 v6, s10
	s_xor_b64 exec, exec, s[6:7]
	s_cbranch_execnz .LBB1_23712
; %bb.59549:
	s_getpc_b64 s[14:15]
.Lpost_getpc15438:
	s_add_u32 s14, s14, (.LBB1_9374-.Lpost_getpc15438)&4294967295
	s_addc_u32 s15, s15, (.LBB1_9374-.Lpost_getpc15438)>>32
	s_setpc_b64 s[14:15]
.LBB1_23712:
	v_mov_b32_e32 v6, 0
	v_cmp_ne_u16_sdwa s[8:9], v2, v6 src0_sel:BYTE_3 src1_sel:DWORD
	s_andn2_b64 s[4:5], s[4:5], exec
	s_and_b64 s[8:9], s[8:9], exec
	s_or_b64 s[4:5], s[4:5], s[8:9]
	s_or_b64 exec, exec, s[6:7]
	s_and_saveexec_b64 s[6:7], s[4:5]
	s_cbranch_execz .LBB1_33359
; %bb.59551:
	s_getpc_b64 s[14:15]
.Lpost_getpc15439:
	s_add_u32 s14, s14, (.LBB1_9375-.Lpost_getpc15439)&4294967295
	s_addc_u32 s15, s15, (.LBB1_9375-.Lpost_getpc15439)>>32
	s_setpc_b64 s[14:15]
.LBB1_33359:
	s_getpc_b64 s[14:15]
.Lpost_getpc2343:
	s_add_u32 s14, s14, (.LBB1_9376-.Lpost_getpc2343)&4294967295
	s_addc_u32 s15, s15, (.LBB1_9376-.Lpost_getpc2343)>>32
	s_setpc_b64 s[14:15]
.LBB1_23713:
	s_movk_i32 s4, 0x80
	v_cmp_eq_u16_sdwa s[12:13], v7, s4 src0_sel:BYTE_0 src1_sel:DWORD
	s_mov_b64 s[4:5], -1
                                        ; implicit-def: $sgpr10
	s_and_saveexec_b64 s[8:9], s[12:13]
; %bb.23714:
	s_mov_b32 s10, 0x7f800001
	s_xor_b64 s[4:5], exec, -1
; %bb.23715:
	s_or_b64 exec, exec, s[8:9]
	s_and_b64 s[4:5], s[4:5], exec
	s_or_saveexec_b64 s[6:7], s[6:7]
	v_mov_b32_e32 v2, s10
	s_xor_b64 exec, exec, s[6:7]
	s_cbranch_execnz .LBB1_23716
; %bb.59553:
	s_getpc_b64 s[14:15]
.Lpost_getpc15440:
	s_add_u32 s14, s14, (.LBB1_9378-.Lpost_getpc15440)&4294967295
	s_addc_u32 s15, s15, (.LBB1_9378-.Lpost_getpc15440)>>32
	s_setpc_b64 s[14:15]
.LBB1_23716:
	v_mov_b32_e32 v2, 0
	v_cmp_ne_u16_sdwa s[8:9], v7, v2 src0_sel:BYTE_0 src1_sel:DWORD
	s_andn2_b64 s[4:5], s[4:5], exec
	s_and_b64 s[8:9], s[8:9], exec
	s_or_b64 s[4:5], s[4:5], s[8:9]
	s_or_b64 exec, exec, s[6:7]
	s_and_saveexec_b64 s[6:7], s[4:5]
	s_cbranch_execz .LBB1_33361
; %bb.59555:
	s_getpc_b64 s[14:15]
.Lpost_getpc15441:
	s_add_u32 s14, s14, (.LBB1_9379-.Lpost_getpc15441)&4294967295
	s_addc_u32 s15, s15, (.LBB1_9379-.Lpost_getpc15441)>>32
	s_setpc_b64 s[14:15]
.LBB1_33361:
	s_getpc_b64 s[14:15]
.Lpost_getpc2344:
	s_add_u32 s14, s14, (.LBB1_9380-.Lpost_getpc2344)&4294967295
	s_addc_u32 s15, s15, (.LBB1_9380-.Lpost_getpc2344)>>32
	s_setpc_b64 s[14:15]
.LBB1_23717:
	s_movk_i32 s4, 0x80
	v_cmp_eq_u16_sdwa s[12:13], v3, s4 src0_sel:BYTE_0 src1_sel:DWORD
	s_mov_b64 s[4:5], -1
                                        ; implicit-def: $sgpr10
	s_and_saveexec_b64 s[8:9], s[12:13]
; %bb.23718:
	s_mov_b32 s10, 0x7f800001
	s_xor_b64 s[4:5], exec, -1
; %bb.23719:
	s_or_b64 exec, exec, s[8:9]
	s_and_b64 s[4:5], s[4:5], exec
	s_or_saveexec_b64 s[6:7], s[6:7]
	v_mov_b32_e32 v6, s10
	s_xor_b64 exec, exec, s[6:7]
	s_cbranch_execnz .LBB1_23720
; %bb.59557:
	s_getpc_b64 s[14:15]
.Lpost_getpc15442:
	s_add_u32 s14, s14, (.LBB1_9382-.Lpost_getpc15442)&4294967295
	s_addc_u32 s15, s15, (.LBB1_9382-.Lpost_getpc15442)>>32
	s_setpc_b64 s[14:15]
.LBB1_23720:
	v_mov_b32_e32 v6, 0
	v_cmp_ne_u16_sdwa s[8:9], v3, v6 src0_sel:BYTE_0 src1_sel:DWORD
	s_andn2_b64 s[4:5], s[4:5], exec
	s_and_b64 s[8:9], s[8:9], exec
	s_or_b64 s[4:5], s[4:5], s[8:9]
	s_or_b64 exec, exec, s[6:7]
	s_and_saveexec_b64 s[6:7], s[4:5]
	s_cbranch_execz .LBB1_33363
; %bb.59559:
	s_getpc_b64 s[14:15]
.Lpost_getpc15443:
	s_add_u32 s14, s14, (.LBB1_9383-.Lpost_getpc15443)&4294967295
	s_addc_u32 s15, s15, (.LBB1_9383-.Lpost_getpc15443)>>32
	s_setpc_b64 s[14:15]
.LBB1_33363:
	s_getpc_b64 s[14:15]
.Lpost_getpc2345:
	s_add_u32 s14, s14, (.LBB1_9384-.Lpost_getpc2345)&4294967295
	s_addc_u32 s15, s15, (.LBB1_9384-.Lpost_getpc2345)>>32
	s_setpc_b64 s[14:15]
.LBB1_23721:
	s_movk_i32 s4, 0x80
	v_cmp_eq_u16_sdwa s[12:13], v6, s4 src0_sel:BYTE_0 src1_sel:DWORD
	s_mov_b64 s[4:5], -1
                                        ; implicit-def: $sgpr10
	s_and_saveexec_b64 s[8:9], s[12:13]
; %bb.23722:
	s_mov_b32 s10, 0x7f800001
	s_xor_b64 s[4:5], exec, -1
; %bb.23723:
	s_or_b64 exec, exec, s[8:9]
	s_and_b64 s[4:5], s[4:5], exec
	s_or_saveexec_b64 s[6:7], s[6:7]
	v_mov_b32_e32 v2, s10
	s_xor_b64 exec, exec, s[6:7]
	s_cbranch_execnz .LBB1_23724
; %bb.59561:
	s_getpc_b64 s[14:15]
.Lpost_getpc15444:
	s_add_u32 s14, s14, (.LBB1_9386-.Lpost_getpc15444)&4294967295
	s_addc_u32 s15, s15, (.LBB1_9386-.Lpost_getpc15444)>>32
	s_setpc_b64 s[14:15]
.LBB1_23724:
	v_mov_b32_e32 v2, 0
	v_cmp_ne_u16_sdwa s[8:9], v6, v2 src0_sel:BYTE_0 src1_sel:DWORD
	s_andn2_b64 s[4:5], s[4:5], exec
	s_and_b64 s[8:9], s[8:9], exec
	s_or_b64 s[4:5], s[4:5], s[8:9]
	s_or_b64 exec, exec, s[6:7]
	s_and_saveexec_b64 s[6:7], s[4:5]
	s_cbranch_execz .LBB1_33365
; %bb.59563:
	s_getpc_b64 s[14:15]
.Lpost_getpc15445:
	s_add_u32 s14, s14, (.LBB1_9387-.Lpost_getpc15445)&4294967295
	s_addc_u32 s15, s15, (.LBB1_9387-.Lpost_getpc15445)>>32
	s_setpc_b64 s[14:15]
.LBB1_33365:
	s_getpc_b64 s[14:15]
.Lpost_getpc2346:
	s_add_u32 s14, s14, (.LBB1_9388-.Lpost_getpc2346)&4294967295
	s_addc_u32 s15, s15, (.LBB1_9388-.Lpost_getpc2346)>>32
	s_setpc_b64 s[14:15]
.LBB1_23725:
	s_movk_i32 s4, 0x80
	v_cmp_eq_u16_sdwa s[12:13], v6, s4 src0_sel:BYTE_0 src1_sel:DWORD
	s_mov_b64 s[4:5], -1
                                        ; implicit-def: $sgpr10
	s_and_saveexec_b64 s[8:9], s[12:13]
; %bb.23726:
	s_mov_b32 s10, 0x7f800001
	s_xor_b64 s[4:5], exec, -1
; %bb.23727:
	s_or_b64 exec, exec, s[8:9]
	s_and_b64 s[4:5], s[4:5], exec
	s_or_saveexec_b64 s[6:7], s[6:7]
	v_mov_b32_e32 v12, s10
	s_xor_b64 exec, exec, s[6:7]
	s_cbranch_execnz .LBB1_23728
; %bb.59565:
	s_getpc_b64 s[14:15]
.Lpost_getpc15446:
	s_add_u32 s14, s14, (.LBB1_9390-.Lpost_getpc15446)&4294967295
	s_addc_u32 s15, s15, (.LBB1_9390-.Lpost_getpc15446)>>32
	s_setpc_b64 s[14:15]
.LBB1_23728:
	v_mov_b32_e32 v12, 0
	v_cmp_ne_u16_sdwa s[8:9], v6, v12 src0_sel:BYTE_0 src1_sel:DWORD
	s_andn2_b64 s[4:5], s[4:5], exec
	s_and_b64 s[8:9], s[8:9], exec
	s_or_b64 s[4:5], s[4:5], s[8:9]
	s_or_b64 exec, exec, s[6:7]
	s_and_saveexec_b64 s[6:7], s[4:5]
	s_cbranch_execz .LBB1_33367
; %bb.59567:
	s_getpc_b64 s[14:15]
.Lpost_getpc15447:
	s_add_u32 s14, s14, (.LBB1_9391-.Lpost_getpc15447)&4294967295
	s_addc_u32 s15, s15, (.LBB1_9391-.Lpost_getpc15447)>>32
	s_setpc_b64 s[14:15]
.LBB1_33367:
	s_getpc_b64 s[14:15]
.Lpost_getpc2347:
	s_add_u32 s14, s14, (.LBB1_9392-.Lpost_getpc2347)&4294967295
	s_addc_u32 s15, s15, (.LBB1_9392-.Lpost_getpc2347)>>32
	s_setpc_b64 s[14:15]
.LBB1_23729:
	s_movk_i32 s4, 0x80
	v_cmp_eq_u16_e32 vcc, s4, v6
	s_mov_b64 s[4:5], -1
                                        ; implicit-def: $sgpr10
	s_and_saveexec_b64 s[8:9], vcc
; %bb.23730:
	s_mov_b32 s10, 0x7f800001
	s_xor_b64 s[4:5], exec, -1
; %bb.23731:
	s_or_b64 exec, exec, s[8:9]
	s_and_b64 s[4:5], s[4:5], exec
                                        ; implicit-def: $vgpr6
	s_or_saveexec_b64 s[6:7], s[6:7]
	v_mov_b32_e32 v2, s10
	s_xor_b64 exec, exec, s[6:7]
	s_cbranch_execnz .LBB1_23732
; %bb.59569:
	s_getpc_b64 s[14:15]
.Lpost_getpc15448:
	s_add_u32 s14, s14, (.LBB1_9394-.Lpost_getpc15448)&4294967295
	s_addc_u32 s15, s15, (.LBB1_9394-.Lpost_getpc15448)>>32
	s_setpc_b64 s[14:15]
.LBB1_23732:
	v_cmp_ne_u16_e32 vcc, 0, v6
	s_andn2_b64 s[4:5], s[4:5], exec
	s_and_b64 s[8:9], vcc, exec
	v_mov_b32_e32 v2, 0
	s_or_b64 s[4:5], s[4:5], s[8:9]
	s_or_b64 exec, exec, s[6:7]
	s_and_saveexec_b64 s[6:7], s[4:5]
	s_cbranch_execz .LBB1_33369
; %bb.59571:
	s_getpc_b64 s[14:15]
.Lpost_getpc15449:
	s_add_u32 s14, s14, (.LBB1_9395-.Lpost_getpc15449)&4294967295
	s_addc_u32 s15, s15, (.LBB1_9395-.Lpost_getpc15449)>>32
	s_setpc_b64 s[14:15]
.LBB1_33369:
	s_getpc_b64 s[14:15]
.Lpost_getpc2348:
	s_add_u32 s14, s14, (.LBB1_9396-.Lpost_getpc2348)&4294967295
	s_addc_u32 s15, s15, (.LBB1_9396-.Lpost_getpc2348)>>32
	s_setpc_b64 s[14:15]
.LBB1_23733:
	s_movk_i32 s4, 0x80
	v_cmp_eq_u16_e32 vcc, s4, v6
	s_mov_b64 s[4:5], -1
                                        ; implicit-def: $sgpr10
	s_and_saveexec_b64 s[8:9], vcc
; %bb.23734:
	s_mov_b32 s10, 0x7f800001
	s_xor_b64 s[4:5], exec, -1
; %bb.23735:
	s_or_b64 exec, exec, s[8:9]
	s_and_b64 s[4:5], s[4:5], exec
                                        ; implicit-def: $vgpr6
	s_or_saveexec_b64 s[6:7], s[6:7]
	v_mov_b32_e32 v12, s10
	s_xor_b64 exec, exec, s[6:7]
	s_cbranch_execnz .LBB1_23736
; %bb.59573:
	s_getpc_b64 s[14:15]
.Lpost_getpc15450:
	s_add_u32 s14, s14, (.LBB1_9398-.Lpost_getpc15450)&4294967295
	s_addc_u32 s15, s15, (.LBB1_9398-.Lpost_getpc15450)>>32
	s_setpc_b64 s[14:15]
.LBB1_23736:
	v_cmp_ne_u16_e32 vcc, 0, v6
	s_andn2_b64 s[4:5], s[4:5], exec
	s_and_b64 s[8:9], vcc, exec
	v_mov_b32_e32 v12, 0
	s_or_b64 s[4:5], s[4:5], s[8:9]
	s_or_b64 exec, exec, s[6:7]
	s_and_saveexec_b64 s[6:7], s[4:5]
	s_cbranch_execz .LBB1_33371
; %bb.59575:
	s_getpc_b64 s[14:15]
.Lpost_getpc15451:
	s_add_u32 s14, s14, (.LBB1_9399-.Lpost_getpc15451)&4294967295
	s_addc_u32 s15, s15, (.LBB1_9399-.Lpost_getpc15451)>>32
	s_setpc_b64 s[14:15]
.LBB1_33371:
	s_getpc_b64 s[14:15]
.Lpost_getpc2349:
	s_add_u32 s14, s14, (.LBB1_9400-.Lpost_getpc2349)&4294967295
	s_addc_u32 s15, s15, (.LBB1_9400-.Lpost_getpc2349)>>32
	s_setpc_b64 s[14:15]
.LBB1_23737:
	s_movk_i32 s4, 0x80
	v_cmp_eq_u16_sdwa s[12:13], v7, s4 src0_sel:BYTE_3 src1_sel:DWORD
	s_mov_b64 s[4:5], -1
                                        ; implicit-def: $sgpr10
	s_and_saveexec_b64 s[8:9], s[12:13]
; %bb.23738:
	s_mov_b32 s10, 0x7f800001
	s_xor_b64 s[4:5], exec, -1
; %bb.23739:
	s_or_b64 exec, exec, s[8:9]
	s_and_b64 s[4:5], s[4:5], exec
	s_or_saveexec_b64 s[6:7], s[6:7]
	v_mov_b32_e32 v2, s10
	s_xor_b64 exec, exec, s[6:7]
	s_cbranch_execnz .LBB1_23740
; %bb.59577:
	s_getpc_b64 s[14:15]
.Lpost_getpc15452:
	s_add_u32 s14, s14, (.LBB1_9402-.Lpost_getpc15452)&4294967295
	s_addc_u32 s15, s15, (.LBB1_9402-.Lpost_getpc15452)>>32
	s_setpc_b64 s[14:15]
.LBB1_23740:
	v_mov_b32_e32 v2, 0
	v_cmp_ne_u16_sdwa s[8:9], v7, v2 src0_sel:BYTE_3 src1_sel:DWORD
	s_andn2_b64 s[4:5], s[4:5], exec
	s_and_b64 s[8:9], s[8:9], exec
	s_or_b64 s[4:5], s[4:5], s[8:9]
	s_or_b64 exec, exec, s[6:7]
	s_and_saveexec_b64 s[6:7], s[4:5]
	s_cbranch_execz .LBB1_33373
; %bb.59579:
	s_getpc_b64 s[14:15]
.Lpost_getpc15453:
	s_add_u32 s14, s14, (.LBB1_9403-.Lpost_getpc15453)&4294967295
	s_addc_u32 s15, s15, (.LBB1_9403-.Lpost_getpc15453)>>32
	s_setpc_b64 s[14:15]
.LBB1_33373:
	s_getpc_b64 s[14:15]
.Lpost_getpc2350:
	s_add_u32 s14, s14, (.LBB1_9404-.Lpost_getpc2350)&4294967295
	s_addc_u32 s15, s15, (.LBB1_9404-.Lpost_getpc2350)>>32
	s_setpc_b64 s[14:15]
.LBB1_23741:
	s_movk_i32 s4, 0x80
	v_cmp_eq_u16_sdwa s[12:13], v3, s4 src0_sel:BYTE_3 src1_sel:DWORD
	s_mov_b64 s[4:5], -1
                                        ; implicit-def: $sgpr10
	s_and_saveexec_b64 s[8:9], s[12:13]
; %bb.23742:
	s_mov_b32 s10, 0x7f800001
	s_xor_b64 s[4:5], exec, -1
; %bb.23743:
	s_or_b64 exec, exec, s[8:9]
	s_and_b64 s[4:5], s[4:5], exec
	s_or_saveexec_b64 s[6:7], s[6:7]
	v_mov_b32_e32 v6, s10
	s_xor_b64 exec, exec, s[6:7]
	s_cbranch_execnz .LBB1_23744
; %bb.59581:
	s_getpc_b64 s[14:15]
.Lpost_getpc15454:
	s_add_u32 s14, s14, (.LBB1_9406-.Lpost_getpc15454)&4294967295
	s_addc_u32 s15, s15, (.LBB1_9406-.Lpost_getpc15454)>>32
	s_setpc_b64 s[14:15]
.LBB1_23744:
	v_mov_b32_e32 v6, 0
	v_cmp_ne_u16_sdwa s[8:9], v3, v6 src0_sel:BYTE_3 src1_sel:DWORD
	s_andn2_b64 s[4:5], s[4:5], exec
	s_and_b64 s[8:9], s[8:9], exec
	s_or_b64 s[4:5], s[4:5], s[8:9]
	s_or_b64 exec, exec, s[6:7]
	s_and_saveexec_b64 s[6:7], s[4:5]
	s_cbranch_execz .LBB1_33375
; %bb.59583:
	s_getpc_b64 s[14:15]
.Lpost_getpc15455:
	s_add_u32 s14, s14, (.LBB1_9407-.Lpost_getpc15455)&4294967295
	s_addc_u32 s15, s15, (.LBB1_9407-.Lpost_getpc15455)>>32
	s_setpc_b64 s[14:15]
.LBB1_33375:
	s_getpc_b64 s[14:15]
.Lpost_getpc2351:
	s_add_u32 s14, s14, (.LBB1_9408-.Lpost_getpc2351)&4294967295
	s_addc_u32 s15, s15, (.LBB1_9408-.Lpost_getpc2351)>>32
	s_setpc_b64 s[14:15]
.LBB1_23745:
	s_movk_i32 s4, 0x80
	v_cmp_eq_u16_sdwa s[12:13], v8, s4 src0_sel:BYTE_0 src1_sel:DWORD
	s_mov_b64 s[4:5], -1
                                        ; implicit-def: $sgpr10
	s_and_saveexec_b64 s[8:9], s[12:13]
; %bb.23746:
	s_mov_b32 s10, 0x7f800001
	s_xor_b64 s[4:5], exec, -1
; %bb.23747:
	s_or_b64 exec, exec, s[8:9]
	s_and_b64 s[4:5], s[4:5], exec
	s_or_saveexec_b64 s[6:7], s[6:7]
	v_mov_b32_e32 v2, s10
	s_xor_b64 exec, exec, s[6:7]
	s_cbranch_execnz .LBB1_23748
; %bb.59585:
	s_getpc_b64 s[14:15]
.Lpost_getpc15456:
	s_add_u32 s14, s14, (.LBB1_9410-.Lpost_getpc15456)&4294967295
	s_addc_u32 s15, s15, (.LBB1_9410-.Lpost_getpc15456)>>32
	s_setpc_b64 s[14:15]
.LBB1_23748:
	v_mov_b32_e32 v2, 0
	v_cmp_ne_u16_sdwa s[8:9], v8, v2 src0_sel:BYTE_0 src1_sel:DWORD
	s_andn2_b64 s[4:5], s[4:5], exec
	s_and_b64 s[8:9], s[8:9], exec
	s_or_b64 s[4:5], s[4:5], s[8:9]
	s_or_b64 exec, exec, s[6:7]
	s_and_saveexec_b64 s[6:7], s[4:5]
	s_cbranch_execz .LBB1_33377
; %bb.59587:
	s_getpc_b64 s[14:15]
.Lpost_getpc15457:
	s_add_u32 s14, s14, (.LBB1_9411-.Lpost_getpc15457)&4294967295
	s_addc_u32 s15, s15, (.LBB1_9411-.Lpost_getpc15457)>>32
	s_setpc_b64 s[14:15]
.LBB1_33377:
	s_getpc_b64 s[14:15]
.Lpost_getpc2352:
	s_add_u32 s14, s14, (.LBB1_9412-.Lpost_getpc2352)&4294967295
	s_addc_u32 s15, s15, (.LBB1_9412-.Lpost_getpc2352)>>32
	s_setpc_b64 s[14:15]
.LBB1_23749:
	s_movk_i32 s4, 0x80
	v_cmp_eq_u16_sdwa s[12:13], v4, s4 src0_sel:BYTE_0 src1_sel:DWORD
	s_mov_b64 s[4:5], -1
                                        ; implicit-def: $sgpr10
	s_and_saveexec_b64 s[8:9], s[12:13]
; %bb.23750:
	s_mov_b32 s10, 0x7f800001
	s_xor_b64 s[4:5], exec, -1
; %bb.23751:
	s_or_b64 exec, exec, s[8:9]
	s_and_b64 s[4:5], s[4:5], exec
	s_or_saveexec_b64 s[6:7], s[6:7]
	v_mov_b32_e32 v3, s10
	s_xor_b64 exec, exec, s[6:7]
	s_cbranch_execnz .LBB1_23752
; %bb.59589:
	s_getpc_b64 s[14:15]
.Lpost_getpc15458:
	s_add_u32 s14, s14, (.LBB1_9414-.Lpost_getpc15458)&4294967295
	s_addc_u32 s15, s15, (.LBB1_9414-.Lpost_getpc15458)>>32
	s_setpc_b64 s[14:15]
.LBB1_23752:
	v_mov_b32_e32 v3, 0
	v_cmp_ne_u16_sdwa s[8:9], v4, v3 src0_sel:BYTE_0 src1_sel:DWORD
	s_andn2_b64 s[4:5], s[4:5], exec
	s_and_b64 s[8:9], s[8:9], exec
	s_or_b64 s[4:5], s[4:5], s[8:9]
	s_or_b64 exec, exec, s[6:7]
	s_and_saveexec_b64 s[6:7], s[4:5]
	s_cbranch_execz .LBB1_33379
; %bb.59591:
	s_getpc_b64 s[14:15]
.Lpost_getpc15459:
	s_add_u32 s14, s14, (.LBB1_9415-.Lpost_getpc15459)&4294967295
	s_addc_u32 s15, s15, (.LBB1_9415-.Lpost_getpc15459)>>32
	s_setpc_b64 s[14:15]
.LBB1_33379:
	s_getpc_b64 s[14:15]
.Lpost_getpc2353:
	s_add_u32 s14, s14, (.LBB1_9416-.Lpost_getpc2353)&4294967295
	s_addc_u32 s15, s15, (.LBB1_9416-.Lpost_getpc2353)>>32
	s_setpc_b64 s[14:15]
.LBB1_23753:
	s_movk_i32 s4, 0x80
	v_cmp_eq_u16_sdwa s[12:13], v3, s4 src0_sel:BYTE_0 src1_sel:DWORD
	s_mov_b64 s[4:5], -1
                                        ; implicit-def: $sgpr10
	s_and_saveexec_b64 s[8:9], s[12:13]
; %bb.23754:
	s_mov_b32 s10, 0x7f800001
	s_xor_b64 s[4:5], exec, -1
; %bb.23755:
	s_or_b64 exec, exec, s[8:9]
	s_and_b64 s[4:5], s[4:5], exec
	s_or_saveexec_b64 s[6:7], s[6:7]
	v_mov_b32_e32 v2, s10
	s_xor_b64 exec, exec, s[6:7]
	s_cbranch_execnz .LBB1_23756
; %bb.59593:
	s_getpc_b64 s[14:15]
.Lpost_getpc15460:
	s_add_u32 s14, s14, (.LBB1_9418-.Lpost_getpc15460)&4294967295
	s_addc_u32 s15, s15, (.LBB1_9418-.Lpost_getpc15460)>>32
	s_setpc_b64 s[14:15]
.LBB1_23756:
	v_mov_b32_e32 v2, 0
	v_cmp_ne_u16_sdwa s[8:9], v3, v2 src0_sel:BYTE_0 src1_sel:DWORD
	s_andn2_b64 s[4:5], s[4:5], exec
	s_and_b64 s[8:9], s[8:9], exec
	s_or_b64 s[4:5], s[4:5], s[8:9]
	s_or_b64 exec, exec, s[6:7]
	s_and_saveexec_b64 s[6:7], s[4:5]
	s_cbranch_execz .LBB1_33381
; %bb.59595:
	s_getpc_b64 s[14:15]
.Lpost_getpc15461:
	s_add_u32 s14, s14, (.LBB1_9419-.Lpost_getpc15461)&4294967295
	s_addc_u32 s15, s15, (.LBB1_9419-.Lpost_getpc15461)>>32
	s_setpc_b64 s[14:15]
.LBB1_33381:
	s_getpc_b64 s[14:15]
.Lpost_getpc2354:
	s_add_u32 s14, s14, (.LBB1_9420-.Lpost_getpc2354)&4294967295
	s_addc_u32 s15, s15, (.LBB1_9420-.Lpost_getpc2354)>>32
	s_setpc_b64 s[14:15]
.LBB1_23757:
	s_movk_i32 s4, 0x80
	v_cmp_eq_u16_sdwa s[12:13], v3, s4 src0_sel:BYTE_0 src1_sel:DWORD
	s_mov_b64 s[4:5], -1
                                        ; implicit-def: $sgpr10
	s_and_saveexec_b64 s[8:9], s[12:13]
; %bb.23758:
	s_mov_b32 s10, 0x7f800001
	s_xor_b64 s[4:5], exec, -1
; %bb.23759:
	s_or_b64 exec, exec, s[8:9]
	s_and_b64 s[4:5], s[4:5], exec
	s_or_saveexec_b64 s[6:7], s[6:7]
	v_mov_b32_e32 v6, s10
	s_xor_b64 exec, exec, s[6:7]
	s_cbranch_execnz .LBB1_23760
; %bb.59597:
	s_getpc_b64 s[14:15]
.Lpost_getpc15462:
	s_add_u32 s14, s14, (.LBB1_9422-.Lpost_getpc15462)&4294967295
	s_addc_u32 s15, s15, (.LBB1_9422-.Lpost_getpc15462)>>32
	s_setpc_b64 s[14:15]
.LBB1_23760:
	v_mov_b32_e32 v6, 0
	v_cmp_ne_u16_sdwa s[8:9], v3, v6 src0_sel:BYTE_0 src1_sel:DWORD
	s_andn2_b64 s[4:5], s[4:5], exec
	s_and_b64 s[8:9], s[8:9], exec
	s_or_b64 s[4:5], s[4:5], s[8:9]
	s_or_b64 exec, exec, s[6:7]
	s_and_saveexec_b64 s[6:7], s[4:5]
	s_cbranch_execz .LBB1_33383
; %bb.59599:
	s_getpc_b64 s[14:15]
.Lpost_getpc15463:
	s_add_u32 s14, s14, (.LBB1_9423-.Lpost_getpc15463)&4294967295
	s_addc_u32 s15, s15, (.LBB1_9423-.Lpost_getpc15463)>>32
	s_setpc_b64 s[14:15]
.LBB1_33383:
	s_getpc_b64 s[14:15]
.Lpost_getpc2355:
	s_add_u32 s14, s14, (.LBB1_9424-.Lpost_getpc2355)&4294967295
	s_addc_u32 s15, s15, (.LBB1_9424-.Lpost_getpc2355)>>32
	s_setpc_b64 s[14:15]
.LBB1_23761:
	s_movk_i32 s4, 0x80
	v_cmp_eq_u16_e32 vcc, s4, v3
	s_mov_b64 s[4:5], -1
                                        ; implicit-def: $sgpr10
	s_and_saveexec_b64 s[8:9], vcc
; %bb.23762:
	s_mov_b32 s10, 0x7f800001
	s_xor_b64 s[4:5], exec, -1
; %bb.23763:
	s_or_b64 exec, exec, s[8:9]
	s_and_b64 s[4:5], s[4:5], exec
                                        ; implicit-def: $vgpr3
	s_or_saveexec_b64 s[6:7], s[6:7]
	v_mov_b32_e32 v2, s10
	s_xor_b64 exec, exec, s[6:7]
	s_cbranch_execnz .LBB1_23764
; %bb.59601:
	s_getpc_b64 s[14:15]
.Lpost_getpc15464:
	s_add_u32 s14, s14, (.LBB1_9426-.Lpost_getpc15464)&4294967295
	s_addc_u32 s15, s15, (.LBB1_9426-.Lpost_getpc15464)>>32
	s_setpc_b64 s[14:15]
.LBB1_23764:
	v_cmp_ne_u16_e32 vcc, 0, v3
	s_andn2_b64 s[4:5], s[4:5], exec
	s_and_b64 s[8:9], vcc, exec
	v_mov_b32_e32 v2, 0
	s_or_b64 s[4:5], s[4:5], s[8:9]
	s_or_b64 exec, exec, s[6:7]
	s_and_saveexec_b64 s[6:7], s[4:5]
	s_cbranch_execz .LBB1_33385
; %bb.59603:
	s_getpc_b64 s[14:15]
.Lpost_getpc15465:
	s_add_u32 s14, s14, (.LBB1_9427-.Lpost_getpc15465)&4294967295
	s_addc_u32 s15, s15, (.LBB1_9427-.Lpost_getpc15465)>>32
	s_setpc_b64 s[14:15]
.LBB1_33385:
	s_getpc_b64 s[14:15]
.Lpost_getpc2356:
	s_add_u32 s14, s14, (.LBB1_9428-.Lpost_getpc2356)&4294967295
	s_addc_u32 s15, s15, (.LBB1_9428-.Lpost_getpc2356)>>32
	s_setpc_b64 s[14:15]
.LBB1_23765:
	s_movk_i32 s4, 0x80
	v_cmp_eq_u16_e32 vcc, s4, v3
	s_mov_b64 s[4:5], -1
                                        ; implicit-def: $sgpr10
	s_and_saveexec_b64 s[8:9], vcc
; %bb.23766:
	s_mov_b32 s10, 0x7f800001
	s_xor_b64 s[4:5], exec, -1
; %bb.23767:
	s_or_b64 exec, exec, s[8:9]
	s_and_b64 s[4:5], s[4:5], exec
                                        ; implicit-def: $vgpr3
	s_or_saveexec_b64 s[6:7], s[6:7]
	v_mov_b32_e32 v6, s10
	s_xor_b64 exec, exec, s[6:7]
	s_cbranch_execnz .LBB1_23768
; %bb.59605:
	s_getpc_b64 s[14:15]
.Lpost_getpc15466:
	s_add_u32 s14, s14, (.LBB1_9430-.Lpost_getpc15466)&4294967295
	s_addc_u32 s15, s15, (.LBB1_9430-.Lpost_getpc15466)>>32
	s_setpc_b64 s[14:15]
.LBB1_23768:
	v_cmp_ne_u16_e32 vcc, 0, v3
	s_andn2_b64 s[4:5], s[4:5], exec
	s_and_b64 s[8:9], vcc, exec
	v_mov_b32_e32 v6, 0
	s_or_b64 s[4:5], s[4:5], s[8:9]
	s_or_b64 exec, exec, s[6:7]
	s_and_saveexec_b64 s[6:7], s[4:5]
	s_cbranch_execz .LBB1_33387
; %bb.59607:
	s_getpc_b64 s[14:15]
.Lpost_getpc15467:
	s_add_u32 s14, s14, (.LBB1_9431-.Lpost_getpc15467)&4294967295
	s_addc_u32 s15, s15, (.LBB1_9431-.Lpost_getpc15467)>>32
	s_setpc_b64 s[14:15]
.LBB1_33387:
	s_getpc_b64 s[14:15]
.Lpost_getpc2357:
	s_add_u32 s14, s14, (.LBB1_9432-.Lpost_getpc2357)&4294967295
	s_addc_u32 s15, s15, (.LBB1_9432-.Lpost_getpc2357)>>32
	s_setpc_b64 s[14:15]
.LBB1_23769:
	s_movk_i32 s4, 0x80
	v_cmp_eq_u16_sdwa s[12:13], v8, s4 src0_sel:BYTE_3 src1_sel:DWORD
	s_mov_b64 s[4:5], -1
                                        ; implicit-def: $sgpr10
	s_and_saveexec_b64 s[8:9], s[12:13]
; %bb.23770:
	s_mov_b32 s10, 0x7f800001
	s_xor_b64 s[4:5], exec, -1
; %bb.23771:
	s_or_b64 exec, exec, s[8:9]
	s_and_b64 s[4:5], s[4:5], exec
	s_or_saveexec_b64 s[6:7], s[6:7]
	v_mov_b32_e32 v2, s10
	s_xor_b64 exec, exec, s[6:7]
	s_cbranch_execnz .LBB1_23772
; %bb.59609:
	s_getpc_b64 s[14:15]
.Lpost_getpc15468:
	s_add_u32 s14, s14, (.LBB1_9434-.Lpost_getpc15468)&4294967295
	s_addc_u32 s15, s15, (.LBB1_9434-.Lpost_getpc15468)>>32
	s_setpc_b64 s[14:15]
.LBB1_23772:
	v_mov_b32_e32 v2, 0
	v_cmp_ne_u16_sdwa s[8:9], v8, v2 src0_sel:BYTE_3 src1_sel:DWORD
	s_andn2_b64 s[4:5], s[4:5], exec
	s_and_b64 s[8:9], s[8:9], exec
	s_or_b64 s[4:5], s[4:5], s[8:9]
	s_or_b64 exec, exec, s[6:7]
	s_and_saveexec_b64 s[6:7], s[4:5]
	s_cbranch_execz .LBB1_33389
; %bb.59611:
	s_getpc_b64 s[14:15]
.Lpost_getpc15469:
	s_add_u32 s14, s14, (.LBB1_9435-.Lpost_getpc15469)&4294967295
	s_addc_u32 s15, s15, (.LBB1_9435-.Lpost_getpc15469)>>32
	s_setpc_b64 s[14:15]
.LBB1_33389:
	s_getpc_b64 s[14:15]
.Lpost_getpc2358:
	s_add_u32 s14, s14, (.LBB1_9436-.Lpost_getpc2358)&4294967295
	s_addc_u32 s15, s15, (.LBB1_9436-.Lpost_getpc2358)>>32
	s_setpc_b64 s[14:15]
.LBB1_23773:
	s_movk_i32 s4, 0x80
	v_cmp_eq_u16_sdwa s[12:13], v4, s4 src0_sel:BYTE_3 src1_sel:DWORD
	s_mov_b64 s[4:5], -1
                                        ; implicit-def: $sgpr10
	s_and_saveexec_b64 s[8:9], s[12:13]
; %bb.23774:
	s_mov_b32 s10, 0x7f800001
	s_xor_b64 s[4:5], exec, -1
; %bb.23775:
	s_or_b64 exec, exec, s[8:9]
	s_and_b64 s[4:5], s[4:5], exec
	s_or_saveexec_b64 s[6:7], s[6:7]
	v_mov_b32_e32 v3, s10
	s_xor_b64 exec, exec, s[6:7]
	s_cbranch_execnz .LBB1_23776
; %bb.59613:
	s_getpc_b64 s[14:15]
.Lpost_getpc15470:
	s_add_u32 s14, s14, (.LBB1_9438-.Lpost_getpc15470)&4294967295
	s_addc_u32 s15, s15, (.LBB1_9438-.Lpost_getpc15470)>>32
	s_setpc_b64 s[14:15]
.LBB1_23776:
	v_mov_b32_e32 v3, 0
	v_cmp_ne_u16_sdwa s[8:9], v4, v3 src0_sel:BYTE_3 src1_sel:DWORD
	s_andn2_b64 s[4:5], s[4:5], exec
	s_and_b64 s[8:9], s[8:9], exec
	s_or_b64 s[4:5], s[4:5], s[8:9]
	s_or_b64 exec, exec, s[6:7]
	s_and_saveexec_b64 s[6:7], s[4:5]
	s_cbranch_execz .LBB1_33391
; %bb.59615:
	s_getpc_b64 s[14:15]
.Lpost_getpc15471:
	s_add_u32 s14, s14, (.LBB1_9439-.Lpost_getpc15471)&4294967295
	s_addc_u32 s15, s15, (.LBB1_9439-.Lpost_getpc15471)>>32
	s_setpc_b64 s[14:15]
.LBB1_33391:
	s_getpc_b64 s[14:15]
.Lpost_getpc2359:
	s_add_u32 s14, s14, (.LBB1_9440-.Lpost_getpc2359)&4294967295
	s_addc_u32 s15, s15, (.LBB1_9440-.Lpost_getpc2359)>>32
	s_setpc_b64 s[14:15]
.LBB1_23777:
	s_movk_i32 s4, 0x80
	v_cmp_eq_u16_sdwa s[12:13], v9, s4 src0_sel:BYTE_0 src1_sel:DWORD
	s_mov_b64 s[4:5], -1
                                        ; implicit-def: $sgpr10
	s_and_saveexec_b64 s[8:9], s[12:13]
; %bb.23778:
	s_mov_b32 s10, 0x7f800001
	s_xor_b64 s[4:5], exec, -1
; %bb.23779:
	s_or_b64 exec, exec, s[8:9]
	s_and_b64 s[4:5], s[4:5], exec
	s_or_saveexec_b64 s[6:7], s[6:7]
	v_mov_b32_e32 v2, s10
	s_xor_b64 exec, exec, s[6:7]
	s_cbranch_execnz .LBB1_23780
; %bb.59617:
	s_getpc_b64 s[14:15]
.Lpost_getpc15472:
	s_add_u32 s14, s14, (.LBB1_9442-.Lpost_getpc15472)&4294967295
	s_addc_u32 s15, s15, (.LBB1_9442-.Lpost_getpc15472)>>32
	s_setpc_b64 s[14:15]
.LBB1_23780:
	v_mov_b32_e32 v2, 0
	v_cmp_ne_u16_sdwa s[8:9], v9, v2 src0_sel:BYTE_0 src1_sel:DWORD
	s_andn2_b64 s[4:5], s[4:5], exec
	s_and_b64 s[8:9], s[8:9], exec
	s_or_b64 s[4:5], s[4:5], s[8:9]
	s_or_b64 exec, exec, s[6:7]
	s_and_saveexec_b64 s[6:7], s[4:5]
	s_cbranch_execz .LBB1_33393
; %bb.59619:
	s_getpc_b64 s[14:15]
.Lpost_getpc15473:
	s_add_u32 s14, s14, (.LBB1_9443-.Lpost_getpc15473)&4294967295
	s_addc_u32 s15, s15, (.LBB1_9443-.Lpost_getpc15473)>>32
	s_setpc_b64 s[14:15]
.LBB1_33393:
	s_getpc_b64 s[14:15]
.Lpost_getpc2360:
	s_add_u32 s14, s14, (.LBB1_9444-.Lpost_getpc2360)&4294967295
	s_addc_u32 s15, s15, (.LBB1_9444-.Lpost_getpc2360)>>32
	s_setpc_b64 s[14:15]
.LBB1_23781:
	s_movk_i32 s4, 0x80
	v_cmp_eq_u16_sdwa s[12:13], v5, s4 src0_sel:BYTE_0 src1_sel:DWORD
	s_mov_b64 s[4:5], -1
                                        ; implicit-def: $sgpr10
	s_and_saveexec_b64 s[8:9], s[12:13]
; %bb.23782:
	s_mov_b32 s10, 0x7f800001
	s_xor_b64 s[4:5], exec, -1
; %bb.23783:
	s_or_b64 exec, exec, s[8:9]
	s_and_b64 s[4:5], s[4:5], exec
	s_or_saveexec_b64 s[6:7], s[6:7]
	v_mov_b32_e32 v3, s10
	s_xor_b64 exec, exec, s[6:7]
	s_cbranch_execnz .LBB1_23784
; %bb.59621:
	s_getpc_b64 s[14:15]
.Lpost_getpc15474:
	s_add_u32 s14, s14, (.LBB1_9446-.Lpost_getpc15474)&4294967295
	s_addc_u32 s15, s15, (.LBB1_9446-.Lpost_getpc15474)>>32
	s_setpc_b64 s[14:15]
.LBB1_23784:
	v_mov_b32_e32 v3, 0
	v_cmp_ne_u16_sdwa s[8:9], v5, v3 src0_sel:BYTE_0 src1_sel:DWORD
	s_andn2_b64 s[4:5], s[4:5], exec
	s_and_b64 s[8:9], s[8:9], exec
	s_or_b64 s[4:5], s[4:5], s[8:9]
	s_or_b64 exec, exec, s[6:7]
	s_and_saveexec_b64 s[6:7], s[4:5]
	s_cbranch_execz .LBB1_33395
; %bb.59623:
	s_getpc_b64 s[14:15]
.Lpost_getpc15475:
	s_add_u32 s14, s14, (.LBB1_9447-.Lpost_getpc15475)&4294967295
	s_addc_u32 s15, s15, (.LBB1_9447-.Lpost_getpc15475)>>32
	s_setpc_b64 s[14:15]
.LBB1_33395:
	s_getpc_b64 s[14:15]
.Lpost_getpc2361:
	s_add_u32 s14, s14, (.LBB1_9448-.Lpost_getpc2361)&4294967295
	s_addc_u32 s15, s15, (.LBB1_9448-.Lpost_getpc2361)>>32
	s_setpc_b64 s[14:15]
.LBB1_23785:
	s_movk_i32 s4, 0x80
	v_cmp_eq_u16_sdwa s[12:13], v3, s4 src0_sel:BYTE_0 src1_sel:DWORD
	s_mov_b64 s[4:5], -1
                                        ; implicit-def: $sgpr10
	s_and_saveexec_b64 s[8:9], s[12:13]
; %bb.23786:
	s_mov_b32 s10, 0x7f800001
	s_xor_b64 s[4:5], exec, -1
; %bb.23787:
	s_or_b64 exec, exec, s[8:9]
	s_and_b64 s[4:5], s[4:5], exec
	s_or_saveexec_b64 s[6:7], s[6:7]
	v_mov_b32_e32 v2, s10
	s_xor_b64 exec, exec, s[6:7]
	s_cbranch_execnz .LBB1_23788
; %bb.59625:
	s_getpc_b64 s[14:15]
.Lpost_getpc15476:
	s_add_u32 s14, s14, (.LBB1_9450-.Lpost_getpc15476)&4294967295
	s_addc_u32 s15, s15, (.LBB1_9450-.Lpost_getpc15476)>>32
	s_setpc_b64 s[14:15]
.LBB1_23788:
	v_mov_b32_e32 v2, 0
	v_cmp_ne_u16_sdwa s[8:9], v3, v2 src0_sel:BYTE_0 src1_sel:DWORD
	s_andn2_b64 s[4:5], s[4:5], exec
	s_and_b64 s[8:9], s[8:9], exec
	s_or_b64 s[4:5], s[4:5], s[8:9]
	s_or_b64 exec, exec, s[6:7]
	s_and_saveexec_b64 s[6:7], s[4:5]
	s_cbranch_execz .LBB1_33397
; %bb.59627:
	s_getpc_b64 s[14:15]
.Lpost_getpc15477:
	s_add_u32 s14, s14, (.LBB1_9451-.Lpost_getpc15477)&4294967295
	s_addc_u32 s15, s15, (.LBB1_9451-.Lpost_getpc15477)>>32
	s_setpc_b64 s[14:15]
.LBB1_33397:
	s_getpc_b64 s[14:15]
.Lpost_getpc2362:
	s_add_u32 s14, s14, (.LBB1_9452-.Lpost_getpc2362)&4294967295
	s_addc_u32 s15, s15, (.LBB1_9452-.Lpost_getpc2362)>>32
	s_setpc_b64 s[14:15]
.LBB1_23789:
	s_movk_i32 s4, 0x80
	v_cmp_eq_u16_sdwa s[12:13], v3, s4 src0_sel:BYTE_0 src1_sel:DWORD
	s_mov_b64 s[4:5], -1
                                        ; implicit-def: $sgpr10
	s_and_saveexec_b64 s[8:9], s[12:13]
; %bb.23790:
	s_mov_b32 s10, 0x7f800001
	s_xor_b64 s[4:5], exec, -1
; %bb.23791:
	s_or_b64 exec, exec, s[8:9]
	s_and_b64 s[4:5], s[4:5], exec
	s_or_saveexec_b64 s[6:7], s[6:7]
	v_mov_b32_e32 v4, s10
	s_xor_b64 exec, exec, s[6:7]
	s_cbranch_execnz .LBB1_23792
; %bb.59629:
	s_getpc_b64 s[14:15]
.Lpost_getpc15478:
	s_add_u32 s14, s14, (.LBB1_9454-.Lpost_getpc15478)&4294967295
	s_addc_u32 s15, s15, (.LBB1_9454-.Lpost_getpc15478)>>32
	s_setpc_b64 s[14:15]
.LBB1_23792:
	v_mov_b32_e32 v4, 0
	v_cmp_ne_u16_sdwa s[8:9], v3, v4 src0_sel:BYTE_0 src1_sel:DWORD
	s_andn2_b64 s[4:5], s[4:5], exec
	s_and_b64 s[8:9], s[8:9], exec
	s_or_b64 s[4:5], s[4:5], s[8:9]
	s_or_b64 exec, exec, s[6:7]
	s_and_saveexec_b64 s[6:7], s[4:5]
	s_cbranch_execz .LBB1_33399
; %bb.59631:
	s_getpc_b64 s[14:15]
.Lpost_getpc15479:
	s_add_u32 s14, s14, (.LBB1_9455-.Lpost_getpc15479)&4294967295
	s_addc_u32 s15, s15, (.LBB1_9455-.Lpost_getpc15479)>>32
	s_setpc_b64 s[14:15]
.LBB1_33399:
	s_getpc_b64 s[14:15]
.Lpost_getpc2363:
	s_add_u32 s14, s14, (.LBB1_9456-.Lpost_getpc2363)&4294967295
	s_addc_u32 s15, s15, (.LBB1_9456-.Lpost_getpc2363)>>32
	s_setpc_b64 s[14:15]
.LBB1_23793:
	s_movk_i32 s4, 0x80
	v_cmp_eq_u16_e32 vcc, s4, v3
	s_mov_b64 s[4:5], -1
                                        ; implicit-def: $sgpr10
	s_and_saveexec_b64 s[8:9], vcc
; %bb.23794:
	s_mov_b32 s10, 0x7f800001
	s_xor_b64 s[4:5], exec, -1
; %bb.23795:
	s_or_b64 exec, exec, s[8:9]
	s_and_b64 s[4:5], s[4:5], exec
                                        ; implicit-def: $vgpr3
	s_or_saveexec_b64 s[6:7], s[6:7]
	v_mov_b32_e32 v2, s10
	s_xor_b64 exec, exec, s[6:7]
	s_cbranch_execnz .LBB1_23796
; %bb.59633:
	s_getpc_b64 s[14:15]
.Lpost_getpc15480:
	s_add_u32 s14, s14, (.LBB1_9458-.Lpost_getpc15480)&4294967295
	s_addc_u32 s15, s15, (.LBB1_9458-.Lpost_getpc15480)>>32
	s_setpc_b64 s[14:15]
.LBB1_23796:
	v_cmp_ne_u16_e32 vcc, 0, v3
	s_andn2_b64 s[4:5], s[4:5], exec
	s_and_b64 s[8:9], vcc, exec
	v_mov_b32_e32 v2, 0
	s_or_b64 s[4:5], s[4:5], s[8:9]
	s_or_b64 exec, exec, s[6:7]
	s_and_saveexec_b64 s[6:7], s[4:5]
	s_cbranch_execz .LBB1_33401
; %bb.59635:
	s_getpc_b64 s[14:15]
.Lpost_getpc15481:
	s_add_u32 s14, s14, (.LBB1_9459-.Lpost_getpc15481)&4294967295
	s_addc_u32 s15, s15, (.LBB1_9459-.Lpost_getpc15481)>>32
	s_setpc_b64 s[14:15]
.LBB1_33401:
	s_getpc_b64 s[14:15]
.Lpost_getpc2364:
	s_add_u32 s14, s14, (.LBB1_9460-.Lpost_getpc2364)&4294967295
	s_addc_u32 s15, s15, (.LBB1_9460-.Lpost_getpc2364)>>32
	s_setpc_b64 s[14:15]
.LBB1_23797:
	s_movk_i32 s4, 0x80
	v_cmp_eq_u16_e32 vcc, s4, v3
	s_mov_b64 s[4:5], -1
                                        ; implicit-def: $sgpr10
	s_and_saveexec_b64 s[8:9], vcc
; %bb.23798:
	s_mov_b32 s10, 0x7f800001
	s_xor_b64 s[4:5], exec, -1
; %bb.23799:
	s_or_b64 exec, exec, s[8:9]
	s_and_b64 s[4:5], s[4:5], exec
                                        ; implicit-def: $vgpr3
	s_or_saveexec_b64 s[6:7], s[6:7]
	v_mov_b32_e32 v4, s10
	s_xor_b64 exec, exec, s[6:7]
	s_cbranch_execnz .LBB1_23800
; %bb.59637:
	s_getpc_b64 s[14:15]
.Lpost_getpc15482:
	s_add_u32 s14, s14, (.LBB1_9462-.Lpost_getpc15482)&4294967295
	s_addc_u32 s15, s15, (.LBB1_9462-.Lpost_getpc15482)>>32
	s_setpc_b64 s[14:15]
.LBB1_23800:
	v_cmp_ne_u16_e32 vcc, 0, v3
	s_andn2_b64 s[4:5], s[4:5], exec
	s_and_b64 s[8:9], vcc, exec
	v_mov_b32_e32 v4, 0
	s_or_b64 s[4:5], s[4:5], s[8:9]
	s_or_b64 exec, exec, s[6:7]
	s_and_saveexec_b64 s[6:7], s[4:5]
	s_cbranch_execz .LBB1_33403
; %bb.59639:
	s_getpc_b64 s[14:15]
.Lpost_getpc15483:
	s_add_u32 s14, s14, (.LBB1_9463-.Lpost_getpc15483)&4294967295
	s_addc_u32 s15, s15, (.LBB1_9463-.Lpost_getpc15483)>>32
	s_setpc_b64 s[14:15]
.LBB1_33403:
	s_getpc_b64 s[14:15]
.Lpost_getpc2365:
	s_add_u32 s14, s14, (.LBB1_9464-.Lpost_getpc2365)&4294967295
	s_addc_u32 s15, s15, (.LBB1_9464-.Lpost_getpc2365)>>32
	s_setpc_b64 s[14:15]
.LBB1_23801:
	s_movk_i32 s4, 0x80
	v_cmp_eq_u16_sdwa s[12:13], v9, s4 src0_sel:BYTE_3 src1_sel:DWORD
	s_mov_b64 s[4:5], -1
                                        ; implicit-def: $sgpr10
	s_and_saveexec_b64 s[8:9], s[12:13]
; %bb.23802:
	s_mov_b32 s10, 0x7f800001
	s_xor_b64 s[4:5], exec, -1
; %bb.23803:
	s_or_b64 exec, exec, s[8:9]
	s_and_b64 s[4:5], s[4:5], exec
	s_or_saveexec_b64 s[6:7], s[6:7]
	v_mov_b32_e32 v2, s10
	s_xor_b64 exec, exec, s[6:7]
	s_cbranch_execnz .LBB1_23804
; %bb.59641:
	s_getpc_b64 s[14:15]
.Lpost_getpc15484:
	s_add_u32 s14, s14, (.LBB1_9466-.Lpost_getpc15484)&4294967295
	s_addc_u32 s15, s15, (.LBB1_9466-.Lpost_getpc15484)>>32
	s_setpc_b64 s[14:15]
.LBB1_23804:
	v_mov_b32_e32 v2, 0
	v_cmp_ne_u16_sdwa s[8:9], v9, v2 src0_sel:BYTE_3 src1_sel:DWORD
	s_andn2_b64 s[4:5], s[4:5], exec
	s_and_b64 s[8:9], s[8:9], exec
	s_or_b64 s[4:5], s[4:5], s[8:9]
	s_or_b64 exec, exec, s[6:7]
	s_and_saveexec_b64 s[6:7], s[4:5]
	s_cbranch_execz .LBB1_33405
; %bb.59643:
	s_getpc_b64 s[14:15]
.Lpost_getpc15485:
	s_add_u32 s14, s14, (.LBB1_9467-.Lpost_getpc15485)&4294967295
	s_addc_u32 s15, s15, (.LBB1_9467-.Lpost_getpc15485)>>32
	s_setpc_b64 s[14:15]
.LBB1_33405:
	s_getpc_b64 s[14:15]
.Lpost_getpc2366:
	s_add_u32 s14, s14, (.LBB1_9468-.Lpost_getpc2366)&4294967295
	s_addc_u32 s15, s15, (.LBB1_9468-.Lpost_getpc2366)>>32
	s_setpc_b64 s[14:15]
.LBB1_23805:
	s_movk_i32 s4, 0x80
	v_cmp_eq_u16_sdwa s[12:13], v5, s4 src0_sel:BYTE_3 src1_sel:DWORD
	s_mov_b64 s[4:5], -1
                                        ; implicit-def: $sgpr10
	s_and_saveexec_b64 s[8:9], s[12:13]
; %bb.23806:
	s_mov_b32 s10, 0x7f800001
	s_xor_b64 s[4:5], exec, -1
; %bb.23807:
	s_or_b64 exec, exec, s[8:9]
	s_and_b64 s[4:5], s[4:5], exec
	s_or_saveexec_b64 s[6:7], s[6:7]
	v_mov_b32_e32 v3, s10
	s_xor_b64 exec, exec, s[6:7]
	s_cbranch_execnz .LBB1_23808
; %bb.59645:
	s_getpc_b64 s[14:15]
.Lpost_getpc15486:
	s_add_u32 s14, s14, (.LBB1_9470-.Lpost_getpc15486)&4294967295
	s_addc_u32 s15, s15, (.LBB1_9470-.Lpost_getpc15486)>>32
	s_setpc_b64 s[14:15]
.LBB1_23808:
	v_mov_b32_e32 v3, 0
	v_cmp_ne_u16_sdwa s[8:9], v5, v3 src0_sel:BYTE_3 src1_sel:DWORD
	s_andn2_b64 s[4:5], s[4:5], exec
	s_and_b64 s[8:9], s[8:9], exec
	s_or_b64 s[4:5], s[4:5], s[8:9]
	s_or_b64 exec, exec, s[6:7]
	s_and_saveexec_b64 s[6:7], s[4:5]
	s_cbranch_execz .LBB1_33407
; %bb.59647:
	s_getpc_b64 s[14:15]
.Lpost_getpc15487:
	s_add_u32 s14, s14, (.LBB1_9471-.Lpost_getpc15487)&4294967295
	s_addc_u32 s15, s15, (.LBB1_9471-.Lpost_getpc15487)>>32
	s_setpc_b64 s[14:15]
.LBB1_33407:
	s_getpc_b64 s[14:15]
.Lpost_getpc2367:
	s_add_u32 s14, s14, (.LBB1_9472-.Lpost_getpc2367)&4294967295
	s_addc_u32 s15, s15, (.LBB1_9472-.Lpost_getpc2367)>>32
	s_setpc_b64 s[14:15]
.LBB1_23809:
	s_movk_i32 s4, 0x80
	v_cmp_eq_u16_sdwa s[12:13], v6, s4 src0_sel:BYTE_0 src1_sel:DWORD
	s_mov_b64 s[4:5], -1
                                        ; implicit-def: $sgpr10
	s_and_saveexec_b64 s[8:9], s[12:13]
; %bb.23810:
	s_mov_b32 s10, 0x7f800001
	s_xor_b64 s[4:5], exec, -1
; %bb.23811:
	s_or_b64 exec, exec, s[8:9]
	s_and_b64 s[4:5], s[4:5], exec
	s_or_saveexec_b64 s[6:7], s[6:7]
	v_mov_b32_e32 v12, s10
	s_xor_b64 exec, exec, s[6:7]
	s_cbranch_execnz .LBB1_23812
; %bb.59649:
	s_getpc_b64 s[14:15]
.Lpost_getpc15488:
	s_add_u32 s14, s14, (.LBB1_9474-.Lpost_getpc15488)&4294967295
	s_addc_u32 s15, s15, (.LBB1_9474-.Lpost_getpc15488)>>32
	s_setpc_b64 s[14:15]
.LBB1_23812:
	v_mov_b32_e32 v12, 0
	v_cmp_ne_u16_sdwa s[8:9], v6, v12 src0_sel:BYTE_0 src1_sel:DWORD
	s_andn2_b64 s[4:5], s[4:5], exec
	s_and_b64 s[8:9], s[8:9], exec
	s_or_b64 s[4:5], s[4:5], s[8:9]
	s_or_b64 exec, exec, s[6:7]
	s_and_saveexec_b64 s[6:7], s[4:5]
	s_cbranch_execz .LBB1_33409
; %bb.59651:
	s_getpc_b64 s[14:15]
.Lpost_getpc15489:
	s_add_u32 s14, s14, (.LBB1_9475-.Lpost_getpc15489)&4294967295
	s_addc_u32 s15, s15, (.LBB1_9475-.Lpost_getpc15489)>>32
	s_setpc_b64 s[14:15]
.LBB1_33409:
	s_getpc_b64 s[14:15]
.Lpost_getpc2368:
	s_add_u32 s14, s14, (.LBB1_9476-.Lpost_getpc2368)&4294967295
	s_addc_u32 s15, s15, (.LBB1_9476-.Lpost_getpc2368)>>32
	s_setpc_b64 s[14:15]
.LBB1_23813:
	s_movk_i32 s4, 0x80
	v_cmp_eq_u16_sdwa s[12:13], v2, s4 src0_sel:BYTE_0 src1_sel:DWORD
	s_mov_b64 s[4:5], -1
                                        ; implicit-def: $sgpr10
	s_and_saveexec_b64 s[8:9], s[12:13]
; %bb.23814:
	s_mov_b32 s10, 0x7f800001
	s_xor_b64 s[4:5], exec, -1
; %bb.23815:
	s_or_b64 exec, exec, s[8:9]
	s_and_b64 s[4:5], s[4:5], exec
	s_or_saveexec_b64 s[6:7], s[6:7]
	v_mov_b32_e32 v13, s10
	s_xor_b64 exec, exec, s[6:7]
	s_cbranch_execnz .LBB1_23816
; %bb.59653:
	s_getpc_b64 s[14:15]
.Lpost_getpc15490:
	s_add_u32 s14, s14, (.LBB1_9478-.Lpost_getpc15490)&4294967295
	s_addc_u32 s15, s15, (.LBB1_9478-.Lpost_getpc15490)>>32
	s_setpc_b64 s[14:15]
.LBB1_23816:
	v_mov_b32_e32 v13, 0
	v_cmp_ne_u16_sdwa s[8:9], v2, v13 src0_sel:BYTE_0 src1_sel:DWORD
	s_andn2_b64 s[4:5], s[4:5], exec
	s_and_b64 s[8:9], s[8:9], exec
	s_or_b64 s[4:5], s[4:5], s[8:9]
	s_or_b64 exec, exec, s[6:7]
	s_and_saveexec_b64 s[6:7], s[4:5]
	s_cbranch_execz .LBB1_33411
; %bb.59655:
	s_getpc_b64 s[14:15]
.Lpost_getpc15491:
	s_add_u32 s14, s14, (.LBB1_9479-.Lpost_getpc15491)&4294967295
	s_addc_u32 s15, s15, (.LBB1_9479-.Lpost_getpc15491)>>32
	s_setpc_b64 s[14:15]
.LBB1_33411:
	s_getpc_b64 s[14:15]
.Lpost_getpc2369:
	s_add_u32 s14, s14, (.LBB1_9480-.Lpost_getpc2369)&4294967295
	s_addc_u32 s15, s15, (.LBB1_9480-.Lpost_getpc2369)>>32
	s_setpc_b64 s[14:15]
.LBB1_23817:
	s_movk_i32 s4, 0x80
	v_cmp_eq_u16_sdwa s[12:13], v13, s4 src0_sel:BYTE_0 src1_sel:DWORD
	s_mov_b64 s[4:5], -1
                                        ; implicit-def: $sgpr10
	s_and_saveexec_b64 s[8:9], s[12:13]
; %bb.23818:
	s_mov_b32 s10, 0x7f800001
	s_xor_b64 s[4:5], exec, -1
; %bb.23819:
	s_or_b64 exec, exec, s[8:9]
	s_and_b64 s[4:5], s[4:5], exec
	s_or_saveexec_b64 s[6:7], s[6:7]
	v_mov_b32_e32 v12, s10
	s_xor_b64 exec, exec, s[6:7]
	s_cbranch_execnz .LBB1_23820
; %bb.59657:
	s_getpc_b64 s[14:15]
.Lpost_getpc15492:
	s_add_u32 s14, s14, (.LBB1_9482-.Lpost_getpc15492)&4294967295
	s_addc_u32 s15, s15, (.LBB1_9482-.Lpost_getpc15492)>>32
	s_setpc_b64 s[14:15]
.LBB1_23820:
	v_mov_b32_e32 v12, 0
	v_cmp_ne_u16_sdwa s[8:9], v13, v12 src0_sel:BYTE_0 src1_sel:DWORD
	s_andn2_b64 s[4:5], s[4:5], exec
	s_and_b64 s[8:9], s[8:9], exec
	s_or_b64 s[4:5], s[4:5], s[8:9]
	s_or_b64 exec, exec, s[6:7]
	s_and_saveexec_b64 s[6:7], s[4:5]
	s_cbranch_execz .LBB1_33413
; %bb.59659:
	s_getpc_b64 s[14:15]
.Lpost_getpc15493:
	s_add_u32 s14, s14, (.LBB1_9483-.Lpost_getpc15493)&4294967295
	s_addc_u32 s15, s15, (.LBB1_9483-.Lpost_getpc15493)>>32
	s_setpc_b64 s[14:15]
.LBB1_33413:
	s_getpc_b64 s[14:15]
.Lpost_getpc2370:
	s_add_u32 s14, s14, (.LBB1_9484-.Lpost_getpc2370)&4294967295
	s_addc_u32 s15, s15, (.LBB1_9484-.Lpost_getpc2370)>>32
	s_setpc_b64 s[14:15]
.LBB1_23821:
	s_movk_i32 s4, 0x80
	v_cmp_eq_u16_sdwa s[12:13], v13, s4 src0_sel:BYTE_0 src1_sel:DWORD
	s_mov_b64 s[4:5], -1
                                        ; implicit-def: $sgpr10
	s_and_saveexec_b64 s[8:9], s[12:13]
; %bb.23822:
	s_mov_b32 s10, 0x7f800001
	s_xor_b64 s[4:5], exec, -1
; %bb.23823:
	s_or_b64 exec, exec, s[8:9]
	s_and_b64 s[4:5], s[4:5], exec
	s_or_saveexec_b64 s[6:7], s[6:7]
	v_mov_b32_e32 v14, s10
	s_xor_b64 exec, exec, s[6:7]
	s_cbranch_execnz .LBB1_23824
; %bb.59661:
	s_getpc_b64 s[14:15]
.Lpost_getpc15494:
	s_add_u32 s14, s14, (.LBB1_9486-.Lpost_getpc15494)&4294967295
	s_addc_u32 s15, s15, (.LBB1_9486-.Lpost_getpc15494)>>32
	s_setpc_b64 s[14:15]
.LBB1_23824:
	v_mov_b32_e32 v14, 0
	v_cmp_ne_u16_sdwa s[8:9], v13, v14 src0_sel:BYTE_0 src1_sel:DWORD
	s_andn2_b64 s[4:5], s[4:5], exec
	s_and_b64 s[8:9], s[8:9], exec
	s_or_b64 s[4:5], s[4:5], s[8:9]
	s_or_b64 exec, exec, s[6:7]
	s_and_saveexec_b64 s[6:7], s[4:5]
	s_cbranch_execz .LBB1_33415
; %bb.59663:
	s_getpc_b64 s[14:15]
.Lpost_getpc15495:
	s_add_u32 s14, s14, (.LBB1_9487-.Lpost_getpc15495)&4294967295
	s_addc_u32 s15, s15, (.LBB1_9487-.Lpost_getpc15495)>>32
	s_setpc_b64 s[14:15]
.LBB1_33415:
	s_getpc_b64 s[14:15]
.Lpost_getpc2371:
	s_add_u32 s14, s14, (.LBB1_9488-.Lpost_getpc2371)&4294967295
	s_addc_u32 s15, s15, (.LBB1_9488-.Lpost_getpc2371)>>32
	s_setpc_b64 s[14:15]
.LBB1_23825:
	s_movk_i32 s4, 0x80
	v_cmp_eq_u16_e32 vcc, s4, v13
	s_mov_b64 s[4:5], -1
                                        ; implicit-def: $sgpr10
	s_and_saveexec_b64 s[8:9], vcc
; %bb.23826:
	s_mov_b32 s10, 0x7f800001
	s_xor_b64 s[4:5], exec, -1
; %bb.23827:
	s_or_b64 exec, exec, s[8:9]
	s_and_b64 s[4:5], s[4:5], exec
                                        ; implicit-def: $vgpr13
	s_or_saveexec_b64 s[6:7], s[6:7]
	v_mov_b32_e32 v12, s10
	s_xor_b64 exec, exec, s[6:7]
	s_cbranch_execnz .LBB1_23828
; %bb.59665:
	s_getpc_b64 s[14:15]
.Lpost_getpc15496:
	s_add_u32 s14, s14, (.LBB1_9490-.Lpost_getpc15496)&4294967295
	s_addc_u32 s15, s15, (.LBB1_9490-.Lpost_getpc15496)>>32
	s_setpc_b64 s[14:15]
.LBB1_23828:
	v_cmp_ne_u16_e32 vcc, 0, v13
	s_andn2_b64 s[4:5], s[4:5], exec
	s_and_b64 s[8:9], vcc, exec
	v_mov_b32_e32 v12, 0
	s_or_b64 s[4:5], s[4:5], s[8:9]
	s_or_b64 exec, exec, s[6:7]
	s_and_saveexec_b64 s[6:7], s[4:5]
	s_cbranch_execz .LBB1_33417
; %bb.59667:
	s_getpc_b64 s[14:15]
.Lpost_getpc15497:
	s_add_u32 s14, s14, (.LBB1_9491-.Lpost_getpc15497)&4294967295
	s_addc_u32 s15, s15, (.LBB1_9491-.Lpost_getpc15497)>>32
	s_setpc_b64 s[14:15]
.LBB1_33417:
	s_getpc_b64 s[14:15]
.Lpost_getpc2372:
	s_add_u32 s14, s14, (.LBB1_9492-.Lpost_getpc2372)&4294967295
	s_addc_u32 s15, s15, (.LBB1_9492-.Lpost_getpc2372)>>32
	s_setpc_b64 s[14:15]
.LBB1_23829:
	s_movk_i32 s4, 0x80
	v_cmp_eq_u16_e32 vcc, s4, v13
	s_mov_b64 s[4:5], -1
                                        ; implicit-def: $sgpr10
	s_and_saveexec_b64 s[8:9], vcc
; %bb.23830:
	s_mov_b32 s10, 0x7f800001
	s_xor_b64 s[4:5], exec, -1
; %bb.23831:
	s_or_b64 exec, exec, s[8:9]
	s_and_b64 s[4:5], s[4:5], exec
                                        ; implicit-def: $vgpr13
	s_or_saveexec_b64 s[6:7], s[6:7]
	v_mov_b32_e32 v14, s10
	s_xor_b64 exec, exec, s[6:7]
	s_cbranch_execnz .LBB1_23832
; %bb.59669:
	s_getpc_b64 s[14:15]
.Lpost_getpc15498:
	s_add_u32 s14, s14, (.LBB1_9494-.Lpost_getpc15498)&4294967295
	s_addc_u32 s15, s15, (.LBB1_9494-.Lpost_getpc15498)>>32
	s_setpc_b64 s[14:15]
.LBB1_23832:
	v_cmp_ne_u16_e32 vcc, 0, v13
	s_andn2_b64 s[4:5], s[4:5], exec
	s_and_b64 s[8:9], vcc, exec
	v_mov_b32_e32 v14, 0
	s_or_b64 s[4:5], s[4:5], s[8:9]
	s_or_b64 exec, exec, s[6:7]
	s_and_saveexec_b64 s[6:7], s[4:5]
	s_cbranch_execz .LBB1_33419
; %bb.59671:
	s_getpc_b64 s[14:15]
.Lpost_getpc15499:
	s_add_u32 s14, s14, (.LBB1_9495-.Lpost_getpc15499)&4294967295
	s_addc_u32 s15, s15, (.LBB1_9495-.Lpost_getpc15499)>>32
	s_setpc_b64 s[14:15]
.LBB1_33419:
	s_getpc_b64 s[14:15]
.Lpost_getpc2373:
	s_add_u32 s14, s14, (.LBB1_9496-.Lpost_getpc2373)&4294967295
	s_addc_u32 s15, s15, (.LBB1_9496-.Lpost_getpc2373)>>32
	s_setpc_b64 s[14:15]
.LBB1_23833:
	s_movk_i32 s4, 0x80
	v_cmp_eq_u16_sdwa s[12:13], v6, s4 src0_sel:BYTE_3 src1_sel:DWORD
	s_mov_b64 s[4:5], -1
                                        ; implicit-def: $sgpr10
	s_and_saveexec_b64 s[8:9], s[12:13]
; %bb.23834:
	s_mov_b32 s10, 0x7f800001
	s_xor_b64 s[4:5], exec, -1
; %bb.23835:
	s_or_b64 exec, exec, s[8:9]
	s_and_b64 s[4:5], s[4:5], exec
	s_or_saveexec_b64 s[6:7], s[6:7]
	v_mov_b32_e32 v12, s10
	s_xor_b64 exec, exec, s[6:7]
	s_cbranch_execnz .LBB1_23836
; %bb.59673:
	s_getpc_b64 s[14:15]
.Lpost_getpc15500:
	s_add_u32 s14, s14, (.LBB1_9498-.Lpost_getpc15500)&4294967295
	s_addc_u32 s15, s15, (.LBB1_9498-.Lpost_getpc15500)>>32
	s_setpc_b64 s[14:15]
.LBB1_23836:
	v_mov_b32_e32 v12, 0
	v_cmp_ne_u16_sdwa s[8:9], v6, v12 src0_sel:BYTE_3 src1_sel:DWORD
	s_andn2_b64 s[4:5], s[4:5], exec
	s_and_b64 s[8:9], s[8:9], exec
	s_or_b64 s[4:5], s[4:5], s[8:9]
	s_or_b64 exec, exec, s[6:7]
	s_and_saveexec_b64 s[6:7], s[4:5]
	s_cbranch_execz .LBB1_33421
; %bb.59675:
	s_getpc_b64 s[14:15]
.Lpost_getpc15501:
	s_add_u32 s14, s14, (.LBB1_9499-.Lpost_getpc15501)&4294967295
	s_addc_u32 s15, s15, (.LBB1_9499-.Lpost_getpc15501)>>32
	s_setpc_b64 s[14:15]
.LBB1_33421:
	s_getpc_b64 s[14:15]
.Lpost_getpc2374:
	s_add_u32 s14, s14, (.LBB1_9500-.Lpost_getpc2374)&4294967295
	s_addc_u32 s15, s15, (.LBB1_9500-.Lpost_getpc2374)>>32
	s_setpc_b64 s[14:15]
.LBB1_23837:
	s_movk_i32 s4, 0x80
	v_cmp_eq_u16_sdwa s[12:13], v2, s4 src0_sel:BYTE_3 src1_sel:DWORD
	s_mov_b64 s[4:5], -1
                                        ; implicit-def: $sgpr10
	s_and_saveexec_b64 s[8:9], s[12:13]
; %bb.23838:
	s_mov_b32 s10, 0x7f800001
	s_xor_b64 s[4:5], exec, -1
; %bb.23839:
	s_or_b64 exec, exec, s[8:9]
	s_and_b64 s[4:5], s[4:5], exec
	s_or_saveexec_b64 s[6:7], s[6:7]
	v_mov_b32_e32 v6, s10
	s_xor_b64 exec, exec, s[6:7]
	s_cbranch_execnz .LBB1_23840
; %bb.59677:
	s_getpc_b64 s[14:15]
.Lpost_getpc15502:
	s_add_u32 s14, s14, (.LBB1_9502-.Lpost_getpc15502)&4294967295
	s_addc_u32 s15, s15, (.LBB1_9502-.Lpost_getpc15502)>>32
	s_setpc_b64 s[14:15]
.LBB1_23840:
	v_mov_b32_e32 v6, 0
	v_cmp_ne_u16_sdwa s[8:9], v2, v6 src0_sel:BYTE_3 src1_sel:DWORD
	s_andn2_b64 s[4:5], s[4:5], exec
	s_and_b64 s[8:9], s[8:9], exec
	s_or_b64 s[4:5], s[4:5], s[8:9]
	s_or_b64 exec, exec, s[6:7]
	s_and_saveexec_b64 s[6:7], s[4:5]
	s_cbranch_execz .LBB1_33423
; %bb.59679:
	s_getpc_b64 s[14:15]
.Lpost_getpc15503:
	s_add_u32 s14, s14, (.LBB1_9503-.Lpost_getpc15503)&4294967295
	s_addc_u32 s15, s15, (.LBB1_9503-.Lpost_getpc15503)>>32
	s_setpc_b64 s[14:15]
.LBB1_33423:
	s_getpc_b64 s[14:15]
.Lpost_getpc2375:
	s_add_u32 s14, s14, (.LBB1_9504-.Lpost_getpc2375)&4294967295
	s_addc_u32 s15, s15, (.LBB1_9504-.Lpost_getpc2375)>>32
	s_setpc_b64 s[14:15]
.LBB1_23841:
	s_movk_i32 s4, 0x80
	v_cmp_eq_u16_sdwa s[12:13], v7, s4 src0_sel:BYTE_0 src1_sel:DWORD
	s_mov_b64 s[4:5], -1
                                        ; implicit-def: $sgpr10
	s_and_saveexec_b64 s[8:9], s[12:13]
; %bb.23842:
	s_mov_b32 s10, 0x7f800001
	s_xor_b64 s[4:5], exec, -1
; %bb.23843:
	s_or_b64 exec, exec, s[8:9]
	s_and_b64 s[4:5], s[4:5], exec
	s_or_saveexec_b64 s[6:7], s[6:7]
	v_mov_b32_e32 v2, s10
	s_xor_b64 exec, exec, s[6:7]
	s_cbranch_execnz .LBB1_23844
; %bb.59681:
	s_getpc_b64 s[14:15]
.Lpost_getpc15504:
	s_add_u32 s14, s14, (.LBB1_9506-.Lpost_getpc15504)&4294967295
	s_addc_u32 s15, s15, (.LBB1_9506-.Lpost_getpc15504)>>32
	s_setpc_b64 s[14:15]
.LBB1_23844:
	v_mov_b32_e32 v2, 0
	v_cmp_ne_u16_sdwa s[8:9], v7, v2 src0_sel:BYTE_0 src1_sel:DWORD
	s_andn2_b64 s[4:5], s[4:5], exec
	s_and_b64 s[8:9], s[8:9], exec
	s_or_b64 s[4:5], s[4:5], s[8:9]
	s_or_b64 exec, exec, s[6:7]
	s_and_saveexec_b64 s[6:7], s[4:5]
	s_cbranch_execz .LBB1_33425
; %bb.59683:
	s_getpc_b64 s[14:15]
.Lpost_getpc15505:
	s_add_u32 s14, s14, (.LBB1_9507-.Lpost_getpc15505)&4294967295
	s_addc_u32 s15, s15, (.LBB1_9507-.Lpost_getpc15505)>>32
	s_setpc_b64 s[14:15]
.LBB1_33425:
	s_getpc_b64 s[14:15]
.Lpost_getpc2376:
	s_add_u32 s14, s14, (.LBB1_9508-.Lpost_getpc2376)&4294967295
	s_addc_u32 s15, s15, (.LBB1_9508-.Lpost_getpc2376)>>32
	s_setpc_b64 s[14:15]
.LBB1_23845:
	s_movk_i32 s4, 0x80
	v_cmp_eq_u16_sdwa s[12:13], v3, s4 src0_sel:BYTE_0 src1_sel:DWORD
	s_mov_b64 s[4:5], -1
                                        ; implicit-def: $sgpr10
	s_and_saveexec_b64 s[8:9], s[12:13]
; %bb.23846:
	s_mov_b32 s10, 0x7f800001
	s_xor_b64 s[4:5], exec, -1
; %bb.23847:
	s_or_b64 exec, exec, s[8:9]
	s_and_b64 s[4:5], s[4:5], exec
	s_or_saveexec_b64 s[6:7], s[6:7]
	v_mov_b32_e32 v6, s10
	s_xor_b64 exec, exec, s[6:7]
	s_cbranch_execnz .LBB1_23848
; %bb.59685:
	s_getpc_b64 s[14:15]
.Lpost_getpc15506:
	s_add_u32 s14, s14, (.LBB1_9510-.Lpost_getpc15506)&4294967295
	s_addc_u32 s15, s15, (.LBB1_9510-.Lpost_getpc15506)>>32
	s_setpc_b64 s[14:15]
.LBB1_23848:
	v_mov_b32_e32 v6, 0
	v_cmp_ne_u16_sdwa s[8:9], v3, v6 src0_sel:BYTE_0 src1_sel:DWORD
	s_andn2_b64 s[4:5], s[4:5], exec
	s_and_b64 s[8:9], s[8:9], exec
	s_or_b64 s[4:5], s[4:5], s[8:9]
	s_or_b64 exec, exec, s[6:7]
	s_and_saveexec_b64 s[6:7], s[4:5]
	s_cbranch_execz .LBB1_33427
; %bb.59687:
	s_getpc_b64 s[14:15]
.Lpost_getpc15507:
	s_add_u32 s14, s14, (.LBB1_9511-.Lpost_getpc15507)&4294967295
	s_addc_u32 s15, s15, (.LBB1_9511-.Lpost_getpc15507)>>32
	s_setpc_b64 s[14:15]
.LBB1_33427:
	s_getpc_b64 s[14:15]
.Lpost_getpc2377:
	s_add_u32 s14, s14, (.LBB1_9512-.Lpost_getpc2377)&4294967295
	s_addc_u32 s15, s15, (.LBB1_9512-.Lpost_getpc2377)>>32
	s_setpc_b64 s[14:15]
.LBB1_23849:
	s_movk_i32 s4, 0x80
	v_cmp_eq_u16_sdwa s[12:13], v6, s4 src0_sel:BYTE_0 src1_sel:DWORD
	s_mov_b64 s[4:5], -1
                                        ; implicit-def: $sgpr10
	s_and_saveexec_b64 s[8:9], s[12:13]
; %bb.23850:
	s_mov_b32 s10, 0x7f800001
	s_xor_b64 s[4:5], exec, -1
; %bb.23851:
	s_or_b64 exec, exec, s[8:9]
	s_and_b64 s[4:5], s[4:5], exec
	s_or_saveexec_b64 s[6:7], s[6:7]
	v_mov_b32_e32 v2, s10
	s_xor_b64 exec, exec, s[6:7]
	s_cbranch_execnz .LBB1_23852
; %bb.59689:
	s_getpc_b64 s[14:15]
.Lpost_getpc15508:
	s_add_u32 s14, s14, (.LBB1_9514-.Lpost_getpc15508)&4294967295
	s_addc_u32 s15, s15, (.LBB1_9514-.Lpost_getpc15508)>>32
	s_setpc_b64 s[14:15]
.LBB1_23852:
	v_mov_b32_e32 v2, 0
	v_cmp_ne_u16_sdwa s[8:9], v6, v2 src0_sel:BYTE_0 src1_sel:DWORD
	s_andn2_b64 s[4:5], s[4:5], exec
	s_and_b64 s[8:9], s[8:9], exec
	s_or_b64 s[4:5], s[4:5], s[8:9]
	s_or_b64 exec, exec, s[6:7]
	s_and_saveexec_b64 s[6:7], s[4:5]
	s_cbranch_execz .LBB1_33429
; %bb.59691:
	s_getpc_b64 s[14:15]
.Lpost_getpc15509:
	s_add_u32 s14, s14, (.LBB1_9515-.Lpost_getpc15509)&4294967295
	s_addc_u32 s15, s15, (.LBB1_9515-.Lpost_getpc15509)>>32
	s_setpc_b64 s[14:15]
.LBB1_33429:
	s_getpc_b64 s[14:15]
.Lpost_getpc2378:
	s_add_u32 s14, s14, (.LBB1_9516-.Lpost_getpc2378)&4294967295
	s_addc_u32 s15, s15, (.LBB1_9516-.Lpost_getpc2378)>>32
	s_setpc_b64 s[14:15]
.LBB1_23853:
	s_movk_i32 s4, 0x80
	v_cmp_eq_u16_sdwa s[12:13], v6, s4 src0_sel:BYTE_0 src1_sel:DWORD
	s_mov_b64 s[4:5], -1
                                        ; implicit-def: $sgpr10
	s_and_saveexec_b64 s[8:9], s[12:13]
; %bb.23854:
	s_mov_b32 s10, 0x7f800001
	s_xor_b64 s[4:5], exec, -1
; %bb.23855:
	s_or_b64 exec, exec, s[8:9]
	s_and_b64 s[4:5], s[4:5], exec
	s_or_saveexec_b64 s[6:7], s[6:7]
	v_mov_b32_e32 v12, s10
	s_xor_b64 exec, exec, s[6:7]
	s_cbranch_execnz .LBB1_23856
; %bb.59693:
	s_getpc_b64 s[14:15]
.Lpost_getpc15510:
	s_add_u32 s14, s14, (.LBB1_9518-.Lpost_getpc15510)&4294967295
	s_addc_u32 s15, s15, (.LBB1_9518-.Lpost_getpc15510)>>32
	s_setpc_b64 s[14:15]
.LBB1_23856:
	v_mov_b32_e32 v12, 0
	v_cmp_ne_u16_sdwa s[8:9], v6, v12 src0_sel:BYTE_0 src1_sel:DWORD
	s_andn2_b64 s[4:5], s[4:5], exec
	s_and_b64 s[8:9], s[8:9], exec
	s_or_b64 s[4:5], s[4:5], s[8:9]
	s_or_b64 exec, exec, s[6:7]
	s_and_saveexec_b64 s[6:7], s[4:5]
	s_cbranch_execz .LBB1_33431
; %bb.59695:
	s_getpc_b64 s[14:15]
.Lpost_getpc15511:
	s_add_u32 s14, s14, (.LBB1_9519-.Lpost_getpc15511)&4294967295
	s_addc_u32 s15, s15, (.LBB1_9519-.Lpost_getpc15511)>>32
	s_setpc_b64 s[14:15]
.LBB1_33431:
	s_getpc_b64 s[14:15]
.Lpost_getpc2379:
	s_add_u32 s14, s14, (.LBB1_9520-.Lpost_getpc2379)&4294967295
	s_addc_u32 s15, s15, (.LBB1_9520-.Lpost_getpc2379)>>32
	s_setpc_b64 s[14:15]
.LBB1_23857:
	s_movk_i32 s4, 0x80
	v_cmp_eq_u16_e32 vcc, s4, v6
	s_mov_b64 s[4:5], -1
                                        ; implicit-def: $sgpr10
	s_and_saveexec_b64 s[8:9], vcc
; %bb.23858:
	s_mov_b32 s10, 0x7f800001
	s_xor_b64 s[4:5], exec, -1
; %bb.23859:
	s_or_b64 exec, exec, s[8:9]
	s_and_b64 s[4:5], s[4:5], exec
                                        ; implicit-def: $vgpr6
	s_or_saveexec_b64 s[6:7], s[6:7]
	v_mov_b32_e32 v2, s10
	s_xor_b64 exec, exec, s[6:7]
	s_cbranch_execnz .LBB1_23860
; %bb.59697:
	s_getpc_b64 s[14:15]
.Lpost_getpc15512:
	s_add_u32 s14, s14, (.LBB1_9522-.Lpost_getpc15512)&4294967295
	s_addc_u32 s15, s15, (.LBB1_9522-.Lpost_getpc15512)>>32
	s_setpc_b64 s[14:15]
.LBB1_23860:
	v_cmp_ne_u16_e32 vcc, 0, v6
	s_andn2_b64 s[4:5], s[4:5], exec
	s_and_b64 s[8:9], vcc, exec
	v_mov_b32_e32 v2, 0
	s_or_b64 s[4:5], s[4:5], s[8:9]
	s_or_b64 exec, exec, s[6:7]
	s_and_saveexec_b64 s[6:7], s[4:5]
	s_cbranch_execz .LBB1_33433
; %bb.59699:
	s_getpc_b64 s[14:15]
.Lpost_getpc15513:
	s_add_u32 s14, s14, (.LBB1_9523-.Lpost_getpc15513)&4294967295
	s_addc_u32 s15, s15, (.LBB1_9523-.Lpost_getpc15513)>>32
	s_setpc_b64 s[14:15]
.LBB1_33433:
	s_getpc_b64 s[14:15]
.Lpost_getpc2380:
	s_add_u32 s14, s14, (.LBB1_9524-.Lpost_getpc2380)&4294967295
	s_addc_u32 s15, s15, (.LBB1_9524-.Lpost_getpc2380)>>32
	s_setpc_b64 s[14:15]
.LBB1_23861:
	s_movk_i32 s4, 0x80
	v_cmp_eq_u16_e32 vcc, s4, v6
	s_mov_b64 s[4:5], -1
                                        ; implicit-def: $sgpr10
	s_and_saveexec_b64 s[8:9], vcc
; %bb.23862:
	s_mov_b32 s10, 0x7f800001
	s_xor_b64 s[4:5], exec, -1
; %bb.23863:
	s_or_b64 exec, exec, s[8:9]
	s_and_b64 s[4:5], s[4:5], exec
                                        ; implicit-def: $vgpr6
	s_or_saveexec_b64 s[6:7], s[6:7]
	v_mov_b32_e32 v12, s10
	s_xor_b64 exec, exec, s[6:7]
	s_cbranch_execnz .LBB1_23864
; %bb.59701:
	s_getpc_b64 s[14:15]
.Lpost_getpc15514:
	s_add_u32 s14, s14, (.LBB1_9526-.Lpost_getpc15514)&4294967295
	s_addc_u32 s15, s15, (.LBB1_9526-.Lpost_getpc15514)>>32
	s_setpc_b64 s[14:15]
.LBB1_23864:
	v_cmp_ne_u16_e32 vcc, 0, v6
	s_andn2_b64 s[4:5], s[4:5], exec
	s_and_b64 s[8:9], vcc, exec
	v_mov_b32_e32 v12, 0
	s_or_b64 s[4:5], s[4:5], s[8:9]
	s_or_b64 exec, exec, s[6:7]
	s_and_saveexec_b64 s[6:7], s[4:5]
	s_cbranch_execz .LBB1_33435
; %bb.59703:
	s_getpc_b64 s[14:15]
.Lpost_getpc15515:
	s_add_u32 s14, s14, (.LBB1_9527-.Lpost_getpc15515)&4294967295
	s_addc_u32 s15, s15, (.LBB1_9527-.Lpost_getpc15515)>>32
	s_setpc_b64 s[14:15]
.LBB1_33435:
	s_getpc_b64 s[14:15]
.Lpost_getpc2381:
	s_add_u32 s14, s14, (.LBB1_9528-.Lpost_getpc2381)&4294967295
	s_addc_u32 s15, s15, (.LBB1_9528-.Lpost_getpc2381)>>32
	s_setpc_b64 s[14:15]
.LBB1_23865:
	s_movk_i32 s4, 0x80
	v_cmp_eq_u16_sdwa s[12:13], v7, s4 src0_sel:BYTE_3 src1_sel:DWORD
	s_mov_b64 s[4:5], -1
                                        ; implicit-def: $sgpr10
	s_and_saveexec_b64 s[8:9], s[12:13]
; %bb.23866:
	s_mov_b32 s10, 0x7f800001
	s_xor_b64 s[4:5], exec, -1
; %bb.23867:
	s_or_b64 exec, exec, s[8:9]
	s_and_b64 s[4:5], s[4:5], exec
	s_or_saveexec_b64 s[6:7], s[6:7]
	v_mov_b32_e32 v2, s10
	s_xor_b64 exec, exec, s[6:7]
	s_cbranch_execnz .LBB1_23868
; %bb.59705:
	s_getpc_b64 s[14:15]
.Lpost_getpc15516:
	s_add_u32 s14, s14, (.LBB1_9530-.Lpost_getpc15516)&4294967295
	s_addc_u32 s15, s15, (.LBB1_9530-.Lpost_getpc15516)>>32
	s_setpc_b64 s[14:15]
.LBB1_23868:
	v_mov_b32_e32 v2, 0
	v_cmp_ne_u16_sdwa s[8:9], v7, v2 src0_sel:BYTE_3 src1_sel:DWORD
	s_andn2_b64 s[4:5], s[4:5], exec
	s_and_b64 s[8:9], s[8:9], exec
	s_or_b64 s[4:5], s[4:5], s[8:9]
	s_or_b64 exec, exec, s[6:7]
	s_and_saveexec_b64 s[6:7], s[4:5]
	s_cbranch_execz .LBB1_33437
; %bb.59707:
	s_getpc_b64 s[14:15]
.Lpost_getpc15517:
	s_add_u32 s14, s14, (.LBB1_9531-.Lpost_getpc15517)&4294967295
	s_addc_u32 s15, s15, (.LBB1_9531-.Lpost_getpc15517)>>32
	s_setpc_b64 s[14:15]
.LBB1_33437:
	s_getpc_b64 s[14:15]
.Lpost_getpc2382:
	s_add_u32 s14, s14, (.LBB1_9532-.Lpost_getpc2382)&4294967295
	s_addc_u32 s15, s15, (.LBB1_9532-.Lpost_getpc2382)>>32
	s_setpc_b64 s[14:15]
.LBB1_23869:
	s_movk_i32 s4, 0x80
	v_cmp_eq_u16_sdwa s[12:13], v3, s4 src0_sel:BYTE_3 src1_sel:DWORD
	s_mov_b64 s[4:5], -1
                                        ; implicit-def: $sgpr10
	s_and_saveexec_b64 s[8:9], s[12:13]
; %bb.23870:
	s_mov_b32 s10, 0x7f800001
	s_xor_b64 s[4:5], exec, -1
; %bb.23871:
	s_or_b64 exec, exec, s[8:9]
	s_and_b64 s[4:5], s[4:5], exec
	s_or_saveexec_b64 s[6:7], s[6:7]
	v_mov_b32_e32 v6, s10
	s_xor_b64 exec, exec, s[6:7]
	s_cbranch_execnz .LBB1_23872
; %bb.59709:
	s_getpc_b64 s[14:15]
.Lpost_getpc15518:
	s_add_u32 s14, s14, (.LBB1_9534-.Lpost_getpc15518)&4294967295
	s_addc_u32 s15, s15, (.LBB1_9534-.Lpost_getpc15518)>>32
	s_setpc_b64 s[14:15]
.LBB1_23872:
	v_mov_b32_e32 v6, 0
	v_cmp_ne_u16_sdwa s[8:9], v3, v6 src0_sel:BYTE_3 src1_sel:DWORD
	s_andn2_b64 s[4:5], s[4:5], exec
	s_and_b64 s[8:9], s[8:9], exec
	s_or_b64 s[4:5], s[4:5], s[8:9]
	s_or_b64 exec, exec, s[6:7]
	s_and_saveexec_b64 s[6:7], s[4:5]
	s_cbranch_execz .LBB1_33439
; %bb.59711:
	s_getpc_b64 s[14:15]
.Lpost_getpc15519:
	s_add_u32 s14, s14, (.LBB1_9535-.Lpost_getpc15519)&4294967295
	s_addc_u32 s15, s15, (.LBB1_9535-.Lpost_getpc15519)>>32
	s_setpc_b64 s[14:15]
.LBB1_33439:
	s_getpc_b64 s[14:15]
.Lpost_getpc2383:
	s_add_u32 s14, s14, (.LBB1_9536-.Lpost_getpc2383)&4294967295
	s_addc_u32 s15, s15, (.LBB1_9536-.Lpost_getpc2383)>>32
	s_setpc_b64 s[14:15]
.LBB1_23873:
	s_movk_i32 s4, 0x80
	v_cmp_eq_u16_sdwa s[12:13], v8, s4 src0_sel:BYTE_0 src1_sel:DWORD
	s_mov_b64 s[4:5], -1
                                        ; implicit-def: $sgpr10
	s_and_saveexec_b64 s[8:9], s[12:13]
; %bb.23874:
	s_mov_b32 s10, 0x7f800001
	s_xor_b64 s[4:5], exec, -1
; %bb.23875:
	s_or_b64 exec, exec, s[8:9]
	s_and_b64 s[4:5], s[4:5], exec
	s_or_saveexec_b64 s[6:7], s[6:7]
	v_mov_b32_e32 v2, s10
	s_xor_b64 exec, exec, s[6:7]
	s_cbranch_execnz .LBB1_23876
; %bb.59713:
	s_getpc_b64 s[14:15]
.Lpost_getpc15520:
	s_add_u32 s14, s14, (.LBB1_9538-.Lpost_getpc15520)&4294967295
	s_addc_u32 s15, s15, (.LBB1_9538-.Lpost_getpc15520)>>32
	s_setpc_b64 s[14:15]
.LBB1_23876:
	v_mov_b32_e32 v2, 0
	v_cmp_ne_u16_sdwa s[8:9], v8, v2 src0_sel:BYTE_0 src1_sel:DWORD
	s_andn2_b64 s[4:5], s[4:5], exec
	s_and_b64 s[8:9], s[8:9], exec
	s_or_b64 s[4:5], s[4:5], s[8:9]
	s_or_b64 exec, exec, s[6:7]
	s_and_saveexec_b64 s[6:7], s[4:5]
	s_cbranch_execz .LBB1_33441
; %bb.59715:
	s_getpc_b64 s[14:15]
.Lpost_getpc15521:
	s_add_u32 s14, s14, (.LBB1_9539-.Lpost_getpc15521)&4294967295
	s_addc_u32 s15, s15, (.LBB1_9539-.Lpost_getpc15521)>>32
	s_setpc_b64 s[14:15]
.LBB1_33441:
	s_getpc_b64 s[14:15]
.Lpost_getpc2384:
	s_add_u32 s14, s14, (.LBB1_9540-.Lpost_getpc2384)&4294967295
	s_addc_u32 s15, s15, (.LBB1_9540-.Lpost_getpc2384)>>32
	s_setpc_b64 s[14:15]
.LBB1_23877:
	s_movk_i32 s4, 0x80
	v_cmp_eq_u16_sdwa s[12:13], v4, s4 src0_sel:BYTE_0 src1_sel:DWORD
	s_mov_b64 s[4:5], -1
                                        ; implicit-def: $sgpr10
	s_and_saveexec_b64 s[8:9], s[12:13]
; %bb.23878:
	s_mov_b32 s10, 0x7f800001
	s_xor_b64 s[4:5], exec, -1
; %bb.23879:
	s_or_b64 exec, exec, s[8:9]
	s_and_b64 s[4:5], s[4:5], exec
	s_or_saveexec_b64 s[6:7], s[6:7]
	v_mov_b32_e32 v3, s10
	s_xor_b64 exec, exec, s[6:7]
	s_cbranch_execnz .LBB1_23880
; %bb.59717:
	s_getpc_b64 s[14:15]
.Lpost_getpc15522:
	s_add_u32 s14, s14, (.LBB1_9542-.Lpost_getpc15522)&4294967295
	s_addc_u32 s15, s15, (.LBB1_9542-.Lpost_getpc15522)>>32
	s_setpc_b64 s[14:15]
.LBB1_23880:
	v_mov_b32_e32 v3, 0
	v_cmp_ne_u16_sdwa s[8:9], v4, v3 src0_sel:BYTE_0 src1_sel:DWORD
	s_andn2_b64 s[4:5], s[4:5], exec
	s_and_b64 s[8:9], s[8:9], exec
	s_or_b64 s[4:5], s[4:5], s[8:9]
	s_or_b64 exec, exec, s[6:7]
	s_and_saveexec_b64 s[6:7], s[4:5]
	s_cbranch_execz .LBB1_33443
; %bb.59719:
	s_getpc_b64 s[14:15]
.Lpost_getpc15523:
	s_add_u32 s14, s14, (.LBB1_9543-.Lpost_getpc15523)&4294967295
	s_addc_u32 s15, s15, (.LBB1_9543-.Lpost_getpc15523)>>32
	s_setpc_b64 s[14:15]
.LBB1_33443:
	s_getpc_b64 s[14:15]
.Lpost_getpc2385:
	s_add_u32 s14, s14, (.LBB1_9544-.Lpost_getpc2385)&4294967295
	s_addc_u32 s15, s15, (.LBB1_9544-.Lpost_getpc2385)>>32
	s_setpc_b64 s[14:15]
.LBB1_23881:
	s_movk_i32 s4, 0x80
	v_cmp_eq_u16_sdwa s[12:13], v3, s4 src0_sel:BYTE_0 src1_sel:DWORD
	s_mov_b64 s[4:5], -1
                                        ; implicit-def: $sgpr10
	s_and_saveexec_b64 s[8:9], s[12:13]
; %bb.23882:
	s_mov_b32 s10, 0x7f800001
	s_xor_b64 s[4:5], exec, -1
; %bb.23883:
	s_or_b64 exec, exec, s[8:9]
	s_and_b64 s[4:5], s[4:5], exec
	s_or_saveexec_b64 s[6:7], s[6:7]
	v_mov_b32_e32 v2, s10
	s_xor_b64 exec, exec, s[6:7]
	s_cbranch_execnz .LBB1_23884
; %bb.59721:
	s_getpc_b64 s[14:15]
.Lpost_getpc15524:
	s_add_u32 s14, s14, (.LBB1_9546-.Lpost_getpc15524)&4294967295
	s_addc_u32 s15, s15, (.LBB1_9546-.Lpost_getpc15524)>>32
	s_setpc_b64 s[14:15]
.LBB1_23884:
	v_mov_b32_e32 v2, 0
	v_cmp_ne_u16_sdwa s[8:9], v3, v2 src0_sel:BYTE_0 src1_sel:DWORD
	s_andn2_b64 s[4:5], s[4:5], exec
	s_and_b64 s[8:9], s[8:9], exec
	s_or_b64 s[4:5], s[4:5], s[8:9]
	s_or_b64 exec, exec, s[6:7]
	s_and_saveexec_b64 s[6:7], s[4:5]
	s_cbranch_execz .LBB1_33445
; %bb.59723:
	s_getpc_b64 s[14:15]
.Lpost_getpc15525:
	s_add_u32 s14, s14, (.LBB1_9547-.Lpost_getpc15525)&4294967295
	s_addc_u32 s15, s15, (.LBB1_9547-.Lpost_getpc15525)>>32
	s_setpc_b64 s[14:15]
.LBB1_33445:
	s_getpc_b64 s[14:15]
.Lpost_getpc2386:
	s_add_u32 s14, s14, (.LBB1_9548-.Lpost_getpc2386)&4294967295
	s_addc_u32 s15, s15, (.LBB1_9548-.Lpost_getpc2386)>>32
	s_setpc_b64 s[14:15]
.LBB1_23885:
	s_movk_i32 s4, 0x80
	v_cmp_eq_u16_sdwa s[12:13], v3, s4 src0_sel:BYTE_0 src1_sel:DWORD
	s_mov_b64 s[4:5], -1
                                        ; implicit-def: $sgpr10
	s_and_saveexec_b64 s[8:9], s[12:13]
; %bb.23886:
	s_mov_b32 s10, 0x7f800001
	s_xor_b64 s[4:5], exec, -1
; %bb.23887:
	s_or_b64 exec, exec, s[8:9]
	s_and_b64 s[4:5], s[4:5], exec
	s_or_saveexec_b64 s[6:7], s[6:7]
	v_mov_b32_e32 v6, s10
	s_xor_b64 exec, exec, s[6:7]
	s_cbranch_execnz .LBB1_23888
; %bb.59725:
	s_getpc_b64 s[14:15]
.Lpost_getpc15526:
	s_add_u32 s14, s14, (.LBB1_9550-.Lpost_getpc15526)&4294967295
	s_addc_u32 s15, s15, (.LBB1_9550-.Lpost_getpc15526)>>32
	s_setpc_b64 s[14:15]
.LBB1_23888:
	v_mov_b32_e32 v6, 0
	v_cmp_ne_u16_sdwa s[8:9], v3, v6 src0_sel:BYTE_0 src1_sel:DWORD
	s_andn2_b64 s[4:5], s[4:5], exec
	s_and_b64 s[8:9], s[8:9], exec
	s_or_b64 s[4:5], s[4:5], s[8:9]
	s_or_b64 exec, exec, s[6:7]
	s_and_saveexec_b64 s[6:7], s[4:5]
	s_cbranch_execz .LBB1_33447
; %bb.59727:
	s_getpc_b64 s[14:15]
.Lpost_getpc15527:
	s_add_u32 s14, s14, (.LBB1_9551-.Lpost_getpc15527)&4294967295
	s_addc_u32 s15, s15, (.LBB1_9551-.Lpost_getpc15527)>>32
	s_setpc_b64 s[14:15]
.LBB1_33447:
	s_getpc_b64 s[14:15]
.Lpost_getpc2387:
	s_add_u32 s14, s14, (.LBB1_9552-.Lpost_getpc2387)&4294967295
	s_addc_u32 s15, s15, (.LBB1_9552-.Lpost_getpc2387)>>32
	s_setpc_b64 s[14:15]
.LBB1_23889:
	s_movk_i32 s4, 0x80
	v_cmp_eq_u16_e32 vcc, s4, v3
	s_mov_b64 s[4:5], -1
                                        ; implicit-def: $sgpr10
	s_and_saveexec_b64 s[8:9], vcc
; %bb.23890:
	s_mov_b32 s10, 0x7f800001
	s_xor_b64 s[4:5], exec, -1
; %bb.23891:
	s_or_b64 exec, exec, s[8:9]
	s_and_b64 s[4:5], s[4:5], exec
                                        ; implicit-def: $vgpr3
	s_or_saveexec_b64 s[6:7], s[6:7]
	v_mov_b32_e32 v2, s10
	s_xor_b64 exec, exec, s[6:7]
	s_cbranch_execnz .LBB1_23892
; %bb.59729:
	s_getpc_b64 s[14:15]
.Lpost_getpc15528:
	s_add_u32 s14, s14, (.LBB1_9554-.Lpost_getpc15528)&4294967295
	s_addc_u32 s15, s15, (.LBB1_9554-.Lpost_getpc15528)>>32
	s_setpc_b64 s[14:15]
.LBB1_23892:
	v_cmp_ne_u16_e32 vcc, 0, v3
	s_andn2_b64 s[4:5], s[4:5], exec
	s_and_b64 s[8:9], vcc, exec
	v_mov_b32_e32 v2, 0
	s_or_b64 s[4:5], s[4:5], s[8:9]
	s_or_b64 exec, exec, s[6:7]
	s_and_saveexec_b64 s[6:7], s[4:5]
	s_cbranch_execz .LBB1_33449
; %bb.59731:
	s_getpc_b64 s[14:15]
.Lpost_getpc15529:
	s_add_u32 s14, s14, (.LBB1_9555-.Lpost_getpc15529)&4294967295
	s_addc_u32 s15, s15, (.LBB1_9555-.Lpost_getpc15529)>>32
	s_setpc_b64 s[14:15]
.LBB1_33449:
	s_getpc_b64 s[14:15]
.Lpost_getpc2388:
	s_add_u32 s14, s14, (.LBB1_9556-.Lpost_getpc2388)&4294967295
	s_addc_u32 s15, s15, (.LBB1_9556-.Lpost_getpc2388)>>32
	s_setpc_b64 s[14:15]
.LBB1_23893:
	s_movk_i32 s4, 0x80
	v_cmp_eq_u16_e32 vcc, s4, v3
	s_mov_b64 s[4:5], -1
                                        ; implicit-def: $sgpr10
	s_and_saveexec_b64 s[8:9], vcc
; %bb.23894:
	s_mov_b32 s10, 0x7f800001
	s_xor_b64 s[4:5], exec, -1
; %bb.23895:
	s_or_b64 exec, exec, s[8:9]
	s_and_b64 s[4:5], s[4:5], exec
                                        ; implicit-def: $vgpr3
	s_or_saveexec_b64 s[6:7], s[6:7]
	v_mov_b32_e32 v6, s10
	s_xor_b64 exec, exec, s[6:7]
	s_cbranch_execnz .LBB1_23896
; %bb.59733:
	s_getpc_b64 s[14:15]
.Lpost_getpc15530:
	s_add_u32 s14, s14, (.LBB1_9558-.Lpost_getpc15530)&4294967295
	s_addc_u32 s15, s15, (.LBB1_9558-.Lpost_getpc15530)>>32
	s_setpc_b64 s[14:15]
.LBB1_23896:
	v_cmp_ne_u16_e32 vcc, 0, v3
	s_andn2_b64 s[4:5], s[4:5], exec
	s_and_b64 s[8:9], vcc, exec
	v_mov_b32_e32 v6, 0
	s_or_b64 s[4:5], s[4:5], s[8:9]
	s_or_b64 exec, exec, s[6:7]
	s_and_saveexec_b64 s[6:7], s[4:5]
	s_cbranch_execz .LBB1_33451
; %bb.59735:
	s_getpc_b64 s[14:15]
.Lpost_getpc15531:
	s_add_u32 s14, s14, (.LBB1_9559-.Lpost_getpc15531)&4294967295
	s_addc_u32 s15, s15, (.LBB1_9559-.Lpost_getpc15531)>>32
	s_setpc_b64 s[14:15]
.LBB1_33451:
	s_getpc_b64 s[14:15]
.Lpost_getpc2389:
	s_add_u32 s14, s14, (.LBB1_9560-.Lpost_getpc2389)&4294967295
	s_addc_u32 s15, s15, (.LBB1_9560-.Lpost_getpc2389)>>32
	s_setpc_b64 s[14:15]
.LBB1_23897:
	s_movk_i32 s4, 0x80
	v_cmp_eq_u16_sdwa s[12:13], v8, s4 src0_sel:BYTE_3 src1_sel:DWORD
	s_mov_b64 s[4:5], -1
                                        ; implicit-def: $sgpr10
	s_and_saveexec_b64 s[8:9], s[12:13]
; %bb.23898:
	s_mov_b32 s10, 0x7f800001
	s_xor_b64 s[4:5], exec, -1
; %bb.23899:
	s_or_b64 exec, exec, s[8:9]
	s_and_b64 s[4:5], s[4:5], exec
	s_or_saveexec_b64 s[6:7], s[6:7]
	v_mov_b32_e32 v2, s10
	s_xor_b64 exec, exec, s[6:7]
	s_cbranch_execnz .LBB1_23900
; %bb.59737:
	s_getpc_b64 s[14:15]
.Lpost_getpc15532:
	s_add_u32 s14, s14, (.LBB1_9562-.Lpost_getpc15532)&4294967295
	s_addc_u32 s15, s15, (.LBB1_9562-.Lpost_getpc15532)>>32
	s_setpc_b64 s[14:15]
.LBB1_23900:
	v_mov_b32_e32 v2, 0
	v_cmp_ne_u16_sdwa s[8:9], v8, v2 src0_sel:BYTE_3 src1_sel:DWORD
	s_andn2_b64 s[4:5], s[4:5], exec
	s_and_b64 s[8:9], s[8:9], exec
	s_or_b64 s[4:5], s[4:5], s[8:9]
	s_or_b64 exec, exec, s[6:7]
	s_and_saveexec_b64 s[6:7], s[4:5]
	s_cbranch_execz .LBB1_33453
; %bb.59739:
	s_getpc_b64 s[14:15]
.Lpost_getpc15533:
	s_add_u32 s14, s14, (.LBB1_9563-.Lpost_getpc15533)&4294967295
	s_addc_u32 s15, s15, (.LBB1_9563-.Lpost_getpc15533)>>32
	s_setpc_b64 s[14:15]
.LBB1_33453:
	s_getpc_b64 s[14:15]
.Lpost_getpc2390:
	s_add_u32 s14, s14, (.LBB1_9564-.Lpost_getpc2390)&4294967295
	s_addc_u32 s15, s15, (.LBB1_9564-.Lpost_getpc2390)>>32
	s_setpc_b64 s[14:15]
.LBB1_23901:
	s_movk_i32 s4, 0x80
	v_cmp_eq_u16_sdwa s[12:13], v4, s4 src0_sel:BYTE_3 src1_sel:DWORD
	s_mov_b64 s[4:5], -1
                                        ; implicit-def: $sgpr10
	s_and_saveexec_b64 s[8:9], s[12:13]
; %bb.23902:
	s_mov_b32 s10, 0x7f800001
	s_xor_b64 s[4:5], exec, -1
; %bb.23903:
	s_or_b64 exec, exec, s[8:9]
	s_and_b64 s[4:5], s[4:5], exec
	s_or_saveexec_b64 s[6:7], s[6:7]
	v_mov_b32_e32 v3, s10
	s_xor_b64 exec, exec, s[6:7]
	s_cbranch_execnz .LBB1_23904
; %bb.59741:
	s_getpc_b64 s[14:15]
.Lpost_getpc15534:
	s_add_u32 s14, s14, (.LBB1_9566-.Lpost_getpc15534)&4294967295
	s_addc_u32 s15, s15, (.LBB1_9566-.Lpost_getpc15534)>>32
	s_setpc_b64 s[14:15]
.LBB1_23904:
	v_mov_b32_e32 v3, 0
	v_cmp_ne_u16_sdwa s[8:9], v4, v3 src0_sel:BYTE_3 src1_sel:DWORD
	s_andn2_b64 s[4:5], s[4:5], exec
	s_and_b64 s[8:9], s[8:9], exec
	s_or_b64 s[4:5], s[4:5], s[8:9]
	s_or_b64 exec, exec, s[6:7]
	s_and_saveexec_b64 s[6:7], s[4:5]
	s_cbranch_execz .LBB1_33455
; %bb.59743:
	s_getpc_b64 s[14:15]
.Lpost_getpc15535:
	s_add_u32 s14, s14, (.LBB1_9567-.Lpost_getpc15535)&4294967295
	s_addc_u32 s15, s15, (.LBB1_9567-.Lpost_getpc15535)>>32
	s_setpc_b64 s[14:15]
.LBB1_33455:
	s_getpc_b64 s[14:15]
.Lpost_getpc2391:
	s_add_u32 s14, s14, (.LBB1_9568-.Lpost_getpc2391)&4294967295
	s_addc_u32 s15, s15, (.LBB1_9568-.Lpost_getpc2391)>>32
	s_setpc_b64 s[14:15]
.LBB1_23905:
	s_movk_i32 s4, 0x80
	v_cmp_eq_u16_sdwa s[12:13], v9, s4 src0_sel:BYTE_0 src1_sel:DWORD
	s_mov_b64 s[4:5], -1
                                        ; implicit-def: $sgpr10
	s_and_saveexec_b64 s[8:9], s[12:13]
; %bb.23906:
	s_mov_b32 s10, 0x7f800001
	s_xor_b64 s[4:5], exec, -1
; %bb.23907:
	s_or_b64 exec, exec, s[8:9]
	s_and_b64 s[4:5], s[4:5], exec
	s_or_saveexec_b64 s[6:7], s[6:7]
	v_mov_b32_e32 v2, s10
	s_xor_b64 exec, exec, s[6:7]
	s_cbranch_execnz .LBB1_23908
; %bb.59745:
	s_getpc_b64 s[14:15]
.Lpost_getpc15536:
	s_add_u32 s14, s14, (.LBB1_9570-.Lpost_getpc15536)&4294967295
	s_addc_u32 s15, s15, (.LBB1_9570-.Lpost_getpc15536)>>32
	s_setpc_b64 s[14:15]
.LBB1_23908:
	v_mov_b32_e32 v2, 0
	v_cmp_ne_u16_sdwa s[8:9], v9, v2 src0_sel:BYTE_0 src1_sel:DWORD
	s_andn2_b64 s[4:5], s[4:5], exec
	s_and_b64 s[8:9], s[8:9], exec
	s_or_b64 s[4:5], s[4:5], s[8:9]
	s_or_b64 exec, exec, s[6:7]
	s_and_saveexec_b64 s[6:7], s[4:5]
	s_cbranch_execz .LBB1_33457
; %bb.59747:
	s_getpc_b64 s[14:15]
.Lpost_getpc15537:
	s_add_u32 s14, s14, (.LBB1_9571-.Lpost_getpc15537)&4294967295
	s_addc_u32 s15, s15, (.LBB1_9571-.Lpost_getpc15537)>>32
	s_setpc_b64 s[14:15]
.LBB1_33457:
	s_getpc_b64 s[14:15]
.Lpost_getpc2392:
	s_add_u32 s14, s14, (.LBB1_9572-.Lpost_getpc2392)&4294967295
	s_addc_u32 s15, s15, (.LBB1_9572-.Lpost_getpc2392)>>32
	s_setpc_b64 s[14:15]
.LBB1_23909:
	s_movk_i32 s4, 0x80
	v_cmp_eq_u16_sdwa s[12:13], v5, s4 src0_sel:BYTE_0 src1_sel:DWORD
	s_mov_b64 s[4:5], -1
                                        ; implicit-def: $sgpr10
	s_and_saveexec_b64 s[8:9], s[12:13]
; %bb.23910:
	s_mov_b32 s10, 0x7f800001
	s_xor_b64 s[4:5], exec, -1
; %bb.23911:
	s_or_b64 exec, exec, s[8:9]
	s_and_b64 s[4:5], s[4:5], exec
	s_or_saveexec_b64 s[6:7], s[6:7]
	v_mov_b32_e32 v3, s10
	s_xor_b64 exec, exec, s[6:7]
	s_cbranch_execnz .LBB1_23912
; %bb.59749:
	s_getpc_b64 s[14:15]
.Lpost_getpc15538:
	s_add_u32 s14, s14, (.LBB1_9574-.Lpost_getpc15538)&4294967295
	s_addc_u32 s15, s15, (.LBB1_9574-.Lpost_getpc15538)>>32
	s_setpc_b64 s[14:15]
.LBB1_23912:
	v_mov_b32_e32 v3, 0
	v_cmp_ne_u16_sdwa s[8:9], v5, v3 src0_sel:BYTE_0 src1_sel:DWORD
	s_andn2_b64 s[4:5], s[4:5], exec
	s_and_b64 s[8:9], s[8:9], exec
	s_or_b64 s[4:5], s[4:5], s[8:9]
	s_or_b64 exec, exec, s[6:7]
	s_and_saveexec_b64 s[6:7], s[4:5]
	s_cbranch_execz .LBB1_33459
; %bb.59751:
	s_getpc_b64 s[14:15]
.Lpost_getpc15539:
	s_add_u32 s14, s14, (.LBB1_9575-.Lpost_getpc15539)&4294967295
	s_addc_u32 s15, s15, (.LBB1_9575-.Lpost_getpc15539)>>32
	s_setpc_b64 s[14:15]
.LBB1_33459:
	s_getpc_b64 s[14:15]
.Lpost_getpc2393:
	s_add_u32 s14, s14, (.LBB1_9576-.Lpost_getpc2393)&4294967295
	s_addc_u32 s15, s15, (.LBB1_9576-.Lpost_getpc2393)>>32
	s_setpc_b64 s[14:15]
.LBB1_23913:
	s_movk_i32 s4, 0x80
	v_cmp_eq_u16_sdwa s[12:13], v3, s4 src0_sel:BYTE_0 src1_sel:DWORD
	s_mov_b64 s[4:5], -1
                                        ; implicit-def: $sgpr10
	s_and_saveexec_b64 s[8:9], s[12:13]
; %bb.23914:
	s_mov_b32 s10, 0x7f800001
	s_xor_b64 s[4:5], exec, -1
; %bb.23915:
	s_or_b64 exec, exec, s[8:9]
	s_and_b64 s[4:5], s[4:5], exec
	s_or_saveexec_b64 s[6:7], s[6:7]
	v_mov_b32_e32 v2, s10
	s_xor_b64 exec, exec, s[6:7]
	s_cbranch_execnz .LBB1_23916
; %bb.59753:
	s_getpc_b64 s[14:15]
.Lpost_getpc15540:
	s_add_u32 s14, s14, (.LBB1_9578-.Lpost_getpc15540)&4294967295
	s_addc_u32 s15, s15, (.LBB1_9578-.Lpost_getpc15540)>>32
	s_setpc_b64 s[14:15]
.LBB1_23916:
	v_mov_b32_e32 v2, 0
	v_cmp_ne_u16_sdwa s[8:9], v3, v2 src0_sel:BYTE_0 src1_sel:DWORD
	s_andn2_b64 s[4:5], s[4:5], exec
	s_and_b64 s[8:9], s[8:9], exec
	s_or_b64 s[4:5], s[4:5], s[8:9]
	s_or_b64 exec, exec, s[6:7]
	s_and_saveexec_b64 s[6:7], s[4:5]
	s_cbranch_execz .LBB1_33461
; %bb.59755:
	s_getpc_b64 s[14:15]
.Lpost_getpc15541:
	s_add_u32 s14, s14, (.LBB1_9579-.Lpost_getpc15541)&4294967295
	s_addc_u32 s15, s15, (.LBB1_9579-.Lpost_getpc15541)>>32
	s_setpc_b64 s[14:15]
.LBB1_33461:
	s_getpc_b64 s[14:15]
.Lpost_getpc2394:
	s_add_u32 s14, s14, (.LBB1_9580-.Lpost_getpc2394)&4294967295
	s_addc_u32 s15, s15, (.LBB1_9580-.Lpost_getpc2394)>>32
	s_setpc_b64 s[14:15]
.LBB1_23917:
	s_movk_i32 s4, 0x80
	v_cmp_eq_u16_sdwa s[12:13], v3, s4 src0_sel:BYTE_0 src1_sel:DWORD
	s_mov_b64 s[4:5], -1
                                        ; implicit-def: $sgpr10
	s_and_saveexec_b64 s[8:9], s[12:13]
; %bb.23918:
	s_mov_b32 s10, 0x7f800001
	s_xor_b64 s[4:5], exec, -1
; %bb.23919:
	s_or_b64 exec, exec, s[8:9]
	s_and_b64 s[4:5], s[4:5], exec
	s_or_saveexec_b64 s[6:7], s[6:7]
	v_mov_b32_e32 v4, s10
	s_xor_b64 exec, exec, s[6:7]
	s_cbranch_execnz .LBB1_23920
; %bb.59757:
	s_getpc_b64 s[14:15]
.Lpost_getpc15542:
	s_add_u32 s14, s14, (.LBB1_9582-.Lpost_getpc15542)&4294967295
	s_addc_u32 s15, s15, (.LBB1_9582-.Lpost_getpc15542)>>32
	s_setpc_b64 s[14:15]
.LBB1_23920:
	v_mov_b32_e32 v4, 0
	v_cmp_ne_u16_sdwa s[8:9], v3, v4 src0_sel:BYTE_0 src1_sel:DWORD
	s_andn2_b64 s[4:5], s[4:5], exec
	s_and_b64 s[8:9], s[8:9], exec
	s_or_b64 s[4:5], s[4:5], s[8:9]
	s_or_b64 exec, exec, s[6:7]
	s_and_saveexec_b64 s[6:7], s[4:5]
	s_cbranch_execz .LBB1_33463
; %bb.59759:
	s_getpc_b64 s[14:15]
.Lpost_getpc15543:
	s_add_u32 s14, s14, (.LBB1_9583-.Lpost_getpc15543)&4294967295
	s_addc_u32 s15, s15, (.LBB1_9583-.Lpost_getpc15543)>>32
	s_setpc_b64 s[14:15]
.LBB1_33463:
	s_getpc_b64 s[14:15]
.Lpost_getpc2395:
	s_add_u32 s14, s14, (.LBB1_9584-.Lpost_getpc2395)&4294967295
	s_addc_u32 s15, s15, (.LBB1_9584-.Lpost_getpc2395)>>32
	s_setpc_b64 s[14:15]
.LBB1_23921:
	s_movk_i32 s4, 0x80
	v_cmp_eq_u16_e32 vcc, s4, v3
	s_mov_b64 s[4:5], -1
                                        ; implicit-def: $sgpr10
	s_and_saveexec_b64 s[8:9], vcc
; %bb.23922:
	s_mov_b32 s10, 0x7f800001
	s_xor_b64 s[4:5], exec, -1
; %bb.23923:
	s_or_b64 exec, exec, s[8:9]
	s_and_b64 s[4:5], s[4:5], exec
                                        ; implicit-def: $vgpr3
	s_or_saveexec_b64 s[6:7], s[6:7]
	v_mov_b32_e32 v2, s10
	s_xor_b64 exec, exec, s[6:7]
	s_cbranch_execnz .LBB1_23924
; %bb.59761:
	s_getpc_b64 s[14:15]
.Lpost_getpc15544:
	s_add_u32 s14, s14, (.LBB1_9586-.Lpost_getpc15544)&4294967295
	s_addc_u32 s15, s15, (.LBB1_9586-.Lpost_getpc15544)>>32
	s_setpc_b64 s[14:15]
.LBB1_23924:
	v_cmp_ne_u16_e32 vcc, 0, v3
	s_andn2_b64 s[4:5], s[4:5], exec
	s_and_b64 s[8:9], vcc, exec
	v_mov_b32_e32 v2, 0
	s_or_b64 s[4:5], s[4:5], s[8:9]
	s_or_b64 exec, exec, s[6:7]
	s_and_saveexec_b64 s[6:7], s[4:5]
	s_cbranch_execz .LBB1_33465
; %bb.59763:
	s_getpc_b64 s[14:15]
.Lpost_getpc15545:
	s_add_u32 s14, s14, (.LBB1_9587-.Lpost_getpc15545)&4294967295
	s_addc_u32 s15, s15, (.LBB1_9587-.Lpost_getpc15545)>>32
	s_setpc_b64 s[14:15]
.LBB1_33465:
	s_getpc_b64 s[14:15]
.Lpost_getpc2396:
	s_add_u32 s14, s14, (.LBB1_9588-.Lpost_getpc2396)&4294967295
	s_addc_u32 s15, s15, (.LBB1_9588-.Lpost_getpc2396)>>32
	s_setpc_b64 s[14:15]
.LBB1_23925:
	s_movk_i32 s4, 0x80
	v_cmp_eq_u16_e32 vcc, s4, v3
	s_mov_b64 s[4:5], -1
                                        ; implicit-def: $sgpr10
	s_and_saveexec_b64 s[8:9], vcc
; %bb.23926:
	s_mov_b32 s10, 0x7f800001
	s_xor_b64 s[4:5], exec, -1
; %bb.23927:
	s_or_b64 exec, exec, s[8:9]
	s_and_b64 s[4:5], s[4:5], exec
                                        ; implicit-def: $vgpr3
	s_or_saveexec_b64 s[6:7], s[6:7]
	v_mov_b32_e32 v4, s10
	s_xor_b64 exec, exec, s[6:7]
	s_cbranch_execnz .LBB1_23928
; %bb.59765:
	s_getpc_b64 s[14:15]
.Lpost_getpc15546:
	s_add_u32 s14, s14, (.LBB1_9590-.Lpost_getpc15546)&4294967295
	s_addc_u32 s15, s15, (.LBB1_9590-.Lpost_getpc15546)>>32
	s_setpc_b64 s[14:15]
.LBB1_23928:
	v_cmp_ne_u16_e32 vcc, 0, v3
	s_andn2_b64 s[4:5], s[4:5], exec
	s_and_b64 s[8:9], vcc, exec
	v_mov_b32_e32 v4, 0
	s_or_b64 s[4:5], s[4:5], s[8:9]
	s_or_b64 exec, exec, s[6:7]
	s_and_saveexec_b64 s[6:7], s[4:5]
	s_cbranch_execz .LBB1_33467
; %bb.59767:
	s_getpc_b64 s[14:15]
.Lpost_getpc15547:
	s_add_u32 s14, s14, (.LBB1_9591-.Lpost_getpc15547)&4294967295
	s_addc_u32 s15, s15, (.LBB1_9591-.Lpost_getpc15547)>>32
	s_setpc_b64 s[14:15]
.LBB1_33467:
	s_getpc_b64 s[14:15]
.Lpost_getpc2397:
	s_add_u32 s14, s14, (.LBB1_9592-.Lpost_getpc2397)&4294967295
	s_addc_u32 s15, s15, (.LBB1_9592-.Lpost_getpc2397)>>32
	s_setpc_b64 s[14:15]
.LBB1_23929:
	s_movk_i32 s4, 0x80
	v_cmp_eq_u16_sdwa s[12:13], v9, s4 src0_sel:BYTE_3 src1_sel:DWORD
	s_mov_b64 s[4:5], -1
                                        ; implicit-def: $sgpr10
	s_and_saveexec_b64 s[8:9], s[12:13]
; %bb.23930:
	s_mov_b32 s10, 0x7f800001
	s_xor_b64 s[4:5], exec, -1
; %bb.23931:
	s_or_b64 exec, exec, s[8:9]
	s_and_b64 s[4:5], s[4:5], exec
	s_or_saveexec_b64 s[6:7], s[6:7]
	v_mov_b32_e32 v2, s10
	s_xor_b64 exec, exec, s[6:7]
	s_cbranch_execnz .LBB1_23932
; %bb.59769:
	s_getpc_b64 s[14:15]
.Lpost_getpc15548:
	s_add_u32 s14, s14, (.LBB1_9594-.Lpost_getpc15548)&4294967295
	s_addc_u32 s15, s15, (.LBB1_9594-.Lpost_getpc15548)>>32
	s_setpc_b64 s[14:15]
.LBB1_23932:
	v_mov_b32_e32 v2, 0
	v_cmp_ne_u16_sdwa s[8:9], v9, v2 src0_sel:BYTE_3 src1_sel:DWORD
	s_andn2_b64 s[4:5], s[4:5], exec
	s_and_b64 s[8:9], s[8:9], exec
	s_or_b64 s[4:5], s[4:5], s[8:9]
	s_or_b64 exec, exec, s[6:7]
	s_and_saveexec_b64 s[6:7], s[4:5]
	s_cbranch_execz .LBB1_33469
; %bb.59771:
	s_getpc_b64 s[14:15]
.Lpost_getpc15549:
	s_add_u32 s14, s14, (.LBB1_9595-.Lpost_getpc15549)&4294967295
	s_addc_u32 s15, s15, (.LBB1_9595-.Lpost_getpc15549)>>32
	s_setpc_b64 s[14:15]
.LBB1_33469:
	s_getpc_b64 s[14:15]
.Lpost_getpc2398:
	s_add_u32 s14, s14, (.LBB1_9596-.Lpost_getpc2398)&4294967295
	s_addc_u32 s15, s15, (.LBB1_9596-.Lpost_getpc2398)>>32
	s_setpc_b64 s[14:15]
.LBB1_23933:
	s_movk_i32 s4, 0x80
	v_cmp_eq_u16_sdwa s[12:13], v5, s4 src0_sel:BYTE_3 src1_sel:DWORD
	s_mov_b64 s[4:5], -1
                                        ; implicit-def: $sgpr10
	s_and_saveexec_b64 s[8:9], s[12:13]
; %bb.23934:
	s_mov_b32 s10, 0x7f800001
	s_xor_b64 s[4:5], exec, -1
; %bb.23935:
	s_or_b64 exec, exec, s[8:9]
	s_and_b64 s[4:5], s[4:5], exec
	s_or_saveexec_b64 s[6:7], s[6:7]
	v_mov_b32_e32 v3, s10
	s_xor_b64 exec, exec, s[6:7]
	s_cbranch_execnz .LBB1_23936
; %bb.59773:
	s_getpc_b64 s[14:15]
.Lpost_getpc15550:
	s_add_u32 s14, s14, (.LBB1_9598-.Lpost_getpc15550)&4294967295
	s_addc_u32 s15, s15, (.LBB1_9598-.Lpost_getpc15550)>>32
	s_setpc_b64 s[14:15]
.LBB1_23936:
	v_mov_b32_e32 v3, 0
	v_cmp_ne_u16_sdwa s[8:9], v5, v3 src0_sel:BYTE_3 src1_sel:DWORD
	s_andn2_b64 s[4:5], s[4:5], exec
	s_and_b64 s[8:9], s[8:9], exec
	s_or_b64 s[4:5], s[4:5], s[8:9]
	s_or_b64 exec, exec, s[6:7]
	s_and_saveexec_b64 s[6:7], s[4:5]
	s_cbranch_execz .LBB1_33471
; %bb.59775:
	s_getpc_b64 s[14:15]
.Lpost_getpc15551:
	s_add_u32 s14, s14, (.LBB1_9599-.Lpost_getpc15551)&4294967295
	s_addc_u32 s15, s15, (.LBB1_9599-.Lpost_getpc15551)>>32
	s_setpc_b64 s[14:15]
.LBB1_33471:
	s_getpc_b64 s[14:15]
.Lpost_getpc2399:
	s_add_u32 s14, s14, (.LBB1_9600-.Lpost_getpc2399)&4294967295
	s_addc_u32 s15, s15, (.LBB1_9600-.Lpost_getpc2399)>>32
	s_setpc_b64 s[14:15]
.LBB1_23937:
	s_movk_i32 s4, 0x80
	v_cmp_eq_u16_sdwa s[12:13], v6, s4 src0_sel:BYTE_0 src1_sel:DWORD
	s_mov_b64 s[4:5], -1
                                        ; implicit-def: $sgpr10
	s_and_saveexec_b64 s[8:9], s[12:13]
; %bb.23938:
	s_mov_b32 s10, 0x7f800001
	s_xor_b64 s[4:5], exec, -1
; %bb.23939:
	s_or_b64 exec, exec, s[8:9]
	s_and_b64 s[4:5], s[4:5], exec
	s_or_saveexec_b64 s[6:7], s[6:7]
	v_mov_b32_e32 v12, s10
	s_xor_b64 exec, exec, s[6:7]
	s_cbranch_execnz .LBB1_23940
; %bb.59777:
	s_getpc_b64 s[14:15]
.Lpost_getpc15552:
	s_add_u32 s14, s14, (.LBB1_9602-.Lpost_getpc15552)&4294967295
	s_addc_u32 s15, s15, (.LBB1_9602-.Lpost_getpc15552)>>32
	s_setpc_b64 s[14:15]
.LBB1_23940:
	v_mov_b32_e32 v12, 0
	v_cmp_ne_u16_sdwa s[8:9], v6, v12 src0_sel:BYTE_0 src1_sel:DWORD
	s_andn2_b64 s[4:5], s[4:5], exec
	s_and_b64 s[8:9], s[8:9], exec
	s_or_b64 s[4:5], s[4:5], s[8:9]
	s_or_b64 exec, exec, s[6:7]
	s_and_saveexec_b64 s[6:7], s[4:5]
	s_cbranch_execz .LBB1_33473
; %bb.59779:
	s_getpc_b64 s[14:15]
.Lpost_getpc15553:
	s_add_u32 s14, s14, (.LBB1_9603-.Lpost_getpc15553)&4294967295
	s_addc_u32 s15, s15, (.LBB1_9603-.Lpost_getpc15553)>>32
	s_setpc_b64 s[14:15]
.LBB1_33473:
	s_getpc_b64 s[14:15]
.Lpost_getpc2400:
	s_add_u32 s14, s14, (.LBB1_9604-.Lpost_getpc2400)&4294967295
	s_addc_u32 s15, s15, (.LBB1_9604-.Lpost_getpc2400)>>32
	s_setpc_b64 s[14:15]
.LBB1_23941:
	s_movk_i32 s4, 0x80
	v_cmp_eq_u16_sdwa s[12:13], v2, s4 src0_sel:BYTE_0 src1_sel:DWORD
	s_mov_b64 s[4:5], -1
                                        ; implicit-def: $sgpr10
	s_and_saveexec_b64 s[8:9], s[12:13]
; %bb.23942:
	s_mov_b32 s10, 0x7f800001
	s_xor_b64 s[4:5], exec, -1
; %bb.23943:
	s_or_b64 exec, exec, s[8:9]
	s_and_b64 s[4:5], s[4:5], exec
	s_or_saveexec_b64 s[6:7], s[6:7]
	v_mov_b32_e32 v13, s10
	s_xor_b64 exec, exec, s[6:7]
	s_cbranch_execnz .LBB1_23944
; %bb.59781:
	s_getpc_b64 s[14:15]
.Lpost_getpc15554:
	s_add_u32 s14, s14, (.LBB1_9606-.Lpost_getpc15554)&4294967295
	s_addc_u32 s15, s15, (.LBB1_9606-.Lpost_getpc15554)>>32
	s_setpc_b64 s[14:15]
.LBB1_23944:
	v_mov_b32_e32 v13, 0
	v_cmp_ne_u16_sdwa s[8:9], v2, v13 src0_sel:BYTE_0 src1_sel:DWORD
	s_andn2_b64 s[4:5], s[4:5], exec
	s_and_b64 s[8:9], s[8:9], exec
	s_or_b64 s[4:5], s[4:5], s[8:9]
	s_or_b64 exec, exec, s[6:7]
	s_and_saveexec_b64 s[6:7], s[4:5]
	s_cbranch_execz .LBB1_33475
; %bb.59783:
	s_getpc_b64 s[14:15]
.Lpost_getpc15555:
	s_add_u32 s14, s14, (.LBB1_9607-.Lpost_getpc15555)&4294967295
	s_addc_u32 s15, s15, (.LBB1_9607-.Lpost_getpc15555)>>32
	s_setpc_b64 s[14:15]
.LBB1_33475:
	s_getpc_b64 s[14:15]
.Lpost_getpc2401:
	s_add_u32 s14, s14, (.LBB1_9608-.Lpost_getpc2401)&4294967295
	s_addc_u32 s15, s15, (.LBB1_9608-.Lpost_getpc2401)>>32
	s_setpc_b64 s[14:15]
.LBB1_23945:
	s_movk_i32 s4, 0x80
	v_cmp_eq_u16_sdwa s[12:13], v13, s4 src0_sel:BYTE_0 src1_sel:DWORD
	s_mov_b64 s[4:5], -1
                                        ; implicit-def: $sgpr10
	s_and_saveexec_b64 s[8:9], s[12:13]
; %bb.23946:
	s_mov_b32 s10, 0x7f800001
	s_xor_b64 s[4:5], exec, -1
; %bb.23947:
	s_or_b64 exec, exec, s[8:9]
	s_and_b64 s[4:5], s[4:5], exec
	s_or_saveexec_b64 s[6:7], s[6:7]
	v_mov_b32_e32 v12, s10
	s_xor_b64 exec, exec, s[6:7]
	s_cbranch_execnz .LBB1_23948
; %bb.59785:
	s_getpc_b64 s[14:15]
.Lpost_getpc15556:
	s_add_u32 s14, s14, (.LBB1_9610-.Lpost_getpc15556)&4294967295
	s_addc_u32 s15, s15, (.LBB1_9610-.Lpost_getpc15556)>>32
	s_setpc_b64 s[14:15]
.LBB1_23948:
	v_mov_b32_e32 v12, 0
	v_cmp_ne_u16_sdwa s[8:9], v13, v12 src0_sel:BYTE_0 src1_sel:DWORD
	s_andn2_b64 s[4:5], s[4:5], exec
	s_and_b64 s[8:9], s[8:9], exec
	s_or_b64 s[4:5], s[4:5], s[8:9]
	s_or_b64 exec, exec, s[6:7]
	s_and_saveexec_b64 s[6:7], s[4:5]
	s_cbranch_execz .LBB1_33477
; %bb.59787:
	s_getpc_b64 s[14:15]
.Lpost_getpc15557:
	s_add_u32 s14, s14, (.LBB1_9611-.Lpost_getpc15557)&4294967295
	s_addc_u32 s15, s15, (.LBB1_9611-.Lpost_getpc15557)>>32
	s_setpc_b64 s[14:15]
.LBB1_33477:
	s_getpc_b64 s[14:15]
.Lpost_getpc2402:
	s_add_u32 s14, s14, (.LBB1_9612-.Lpost_getpc2402)&4294967295
	s_addc_u32 s15, s15, (.LBB1_9612-.Lpost_getpc2402)>>32
	s_setpc_b64 s[14:15]
.LBB1_23949:
	s_movk_i32 s4, 0x80
	v_cmp_eq_u16_sdwa s[12:13], v13, s4 src0_sel:BYTE_0 src1_sel:DWORD
	s_mov_b64 s[4:5], -1
                                        ; implicit-def: $sgpr10
	s_and_saveexec_b64 s[8:9], s[12:13]
; %bb.23950:
	s_mov_b32 s10, 0x7f800001
	s_xor_b64 s[4:5], exec, -1
; %bb.23951:
	s_or_b64 exec, exec, s[8:9]
	s_and_b64 s[4:5], s[4:5], exec
	s_or_saveexec_b64 s[6:7], s[6:7]
	v_mov_b32_e32 v14, s10
	s_xor_b64 exec, exec, s[6:7]
	s_cbranch_execnz .LBB1_23952
; %bb.59789:
	s_getpc_b64 s[14:15]
.Lpost_getpc15558:
	s_add_u32 s14, s14, (.LBB1_9614-.Lpost_getpc15558)&4294967295
	s_addc_u32 s15, s15, (.LBB1_9614-.Lpost_getpc15558)>>32
	s_setpc_b64 s[14:15]
.LBB1_23952:
	v_mov_b32_e32 v14, 0
	v_cmp_ne_u16_sdwa s[8:9], v13, v14 src0_sel:BYTE_0 src1_sel:DWORD
	s_andn2_b64 s[4:5], s[4:5], exec
	s_and_b64 s[8:9], s[8:9], exec
	s_or_b64 s[4:5], s[4:5], s[8:9]
	s_or_b64 exec, exec, s[6:7]
	s_and_saveexec_b64 s[6:7], s[4:5]
	s_cbranch_execz .LBB1_33479
; %bb.59791:
	s_getpc_b64 s[14:15]
.Lpost_getpc15559:
	s_add_u32 s14, s14, (.LBB1_9615-.Lpost_getpc15559)&4294967295
	s_addc_u32 s15, s15, (.LBB1_9615-.Lpost_getpc15559)>>32
	s_setpc_b64 s[14:15]
.LBB1_33479:
	s_getpc_b64 s[14:15]
.Lpost_getpc2403:
	s_add_u32 s14, s14, (.LBB1_9616-.Lpost_getpc2403)&4294967295
	s_addc_u32 s15, s15, (.LBB1_9616-.Lpost_getpc2403)>>32
	s_setpc_b64 s[14:15]
.LBB1_23953:
	s_movk_i32 s4, 0x80
	v_cmp_eq_u16_e32 vcc, s4, v13
	s_mov_b64 s[4:5], -1
                                        ; implicit-def: $sgpr10
	s_and_saveexec_b64 s[8:9], vcc
; %bb.23954:
	s_mov_b32 s10, 0x7f800001
	s_xor_b64 s[4:5], exec, -1
; %bb.23955:
	s_or_b64 exec, exec, s[8:9]
	s_and_b64 s[4:5], s[4:5], exec
                                        ; implicit-def: $vgpr13
	s_or_saveexec_b64 s[6:7], s[6:7]
	v_mov_b32_e32 v12, s10
	s_xor_b64 exec, exec, s[6:7]
	s_cbranch_execnz .LBB1_23956
; %bb.59793:
	s_getpc_b64 s[14:15]
.Lpost_getpc15560:
	s_add_u32 s14, s14, (.LBB1_9618-.Lpost_getpc15560)&4294967295
	s_addc_u32 s15, s15, (.LBB1_9618-.Lpost_getpc15560)>>32
	s_setpc_b64 s[14:15]
.LBB1_23956:
	v_cmp_ne_u16_e32 vcc, 0, v13
	s_andn2_b64 s[4:5], s[4:5], exec
	s_and_b64 s[8:9], vcc, exec
	v_mov_b32_e32 v12, 0
	s_or_b64 s[4:5], s[4:5], s[8:9]
	s_or_b64 exec, exec, s[6:7]
	s_and_saveexec_b64 s[6:7], s[4:5]
	s_cbranch_execz .LBB1_33481
; %bb.59795:
	s_getpc_b64 s[14:15]
.Lpost_getpc15561:
	s_add_u32 s14, s14, (.LBB1_9619-.Lpost_getpc15561)&4294967295
	s_addc_u32 s15, s15, (.LBB1_9619-.Lpost_getpc15561)>>32
	s_setpc_b64 s[14:15]
.LBB1_33481:
	s_getpc_b64 s[14:15]
.Lpost_getpc2404:
	s_add_u32 s14, s14, (.LBB1_9620-.Lpost_getpc2404)&4294967295
	s_addc_u32 s15, s15, (.LBB1_9620-.Lpost_getpc2404)>>32
	s_setpc_b64 s[14:15]
.LBB1_23957:
	s_movk_i32 s4, 0x80
	v_cmp_eq_u16_e32 vcc, s4, v13
	s_mov_b64 s[4:5], -1
                                        ; implicit-def: $sgpr10
	s_and_saveexec_b64 s[8:9], vcc
; %bb.23958:
	s_mov_b32 s10, 0x7f800001
	s_xor_b64 s[4:5], exec, -1
; %bb.23959:
	s_or_b64 exec, exec, s[8:9]
	s_and_b64 s[4:5], s[4:5], exec
                                        ; implicit-def: $vgpr13
	s_or_saveexec_b64 s[6:7], s[6:7]
	v_mov_b32_e32 v14, s10
	s_xor_b64 exec, exec, s[6:7]
	s_cbranch_execnz .LBB1_23960
; %bb.59797:
	s_getpc_b64 s[14:15]
.Lpost_getpc15562:
	s_add_u32 s14, s14, (.LBB1_9622-.Lpost_getpc15562)&4294967295
	s_addc_u32 s15, s15, (.LBB1_9622-.Lpost_getpc15562)>>32
	s_setpc_b64 s[14:15]
.LBB1_23960:
	v_cmp_ne_u16_e32 vcc, 0, v13
	s_andn2_b64 s[4:5], s[4:5], exec
	s_and_b64 s[8:9], vcc, exec
	v_mov_b32_e32 v14, 0
	s_or_b64 s[4:5], s[4:5], s[8:9]
	s_or_b64 exec, exec, s[6:7]
	s_and_saveexec_b64 s[6:7], s[4:5]
	s_cbranch_execz .LBB1_33483
; %bb.59799:
	s_getpc_b64 s[14:15]
.Lpost_getpc15563:
	s_add_u32 s14, s14, (.LBB1_9623-.Lpost_getpc15563)&4294967295
	s_addc_u32 s15, s15, (.LBB1_9623-.Lpost_getpc15563)>>32
	s_setpc_b64 s[14:15]
.LBB1_33483:
	s_getpc_b64 s[14:15]
.Lpost_getpc2405:
	s_add_u32 s14, s14, (.LBB1_9624-.Lpost_getpc2405)&4294967295
	s_addc_u32 s15, s15, (.LBB1_9624-.Lpost_getpc2405)>>32
	s_setpc_b64 s[14:15]
.LBB1_23961:
	s_movk_i32 s4, 0x80
	v_cmp_eq_u16_sdwa s[12:13], v6, s4 src0_sel:BYTE_3 src1_sel:DWORD
	s_mov_b64 s[4:5], -1
                                        ; implicit-def: $sgpr10
	s_and_saveexec_b64 s[8:9], s[12:13]
; %bb.23962:
	s_mov_b32 s10, 0x7f800001
	s_xor_b64 s[4:5], exec, -1
; %bb.23963:
	s_or_b64 exec, exec, s[8:9]
	s_and_b64 s[4:5], s[4:5], exec
	s_or_saveexec_b64 s[6:7], s[6:7]
	v_mov_b32_e32 v12, s10
	s_xor_b64 exec, exec, s[6:7]
	s_cbranch_execnz .LBB1_23964
; %bb.59801:
	s_getpc_b64 s[14:15]
.Lpost_getpc15564:
	s_add_u32 s14, s14, (.LBB1_9626-.Lpost_getpc15564)&4294967295
	s_addc_u32 s15, s15, (.LBB1_9626-.Lpost_getpc15564)>>32
	s_setpc_b64 s[14:15]
.LBB1_23964:
	v_mov_b32_e32 v12, 0
	v_cmp_ne_u16_sdwa s[8:9], v6, v12 src0_sel:BYTE_3 src1_sel:DWORD
	s_andn2_b64 s[4:5], s[4:5], exec
	s_and_b64 s[8:9], s[8:9], exec
	s_or_b64 s[4:5], s[4:5], s[8:9]
	s_or_b64 exec, exec, s[6:7]
	s_and_saveexec_b64 s[6:7], s[4:5]
	s_cbranch_execz .LBB1_33485
; %bb.59803:
	s_getpc_b64 s[14:15]
.Lpost_getpc15565:
	s_add_u32 s14, s14, (.LBB1_9627-.Lpost_getpc15565)&4294967295
	s_addc_u32 s15, s15, (.LBB1_9627-.Lpost_getpc15565)>>32
	s_setpc_b64 s[14:15]
.LBB1_33485:
	s_getpc_b64 s[14:15]
.Lpost_getpc2406:
	s_add_u32 s14, s14, (.LBB1_9628-.Lpost_getpc2406)&4294967295
	s_addc_u32 s15, s15, (.LBB1_9628-.Lpost_getpc2406)>>32
	s_setpc_b64 s[14:15]
.LBB1_23965:
	s_movk_i32 s4, 0x80
	v_cmp_eq_u16_sdwa s[12:13], v2, s4 src0_sel:BYTE_3 src1_sel:DWORD
	s_mov_b64 s[4:5], -1
                                        ; implicit-def: $sgpr10
	s_and_saveexec_b64 s[8:9], s[12:13]
; %bb.23966:
	s_mov_b32 s10, 0x7f800001
	s_xor_b64 s[4:5], exec, -1
; %bb.23967:
	s_or_b64 exec, exec, s[8:9]
	s_and_b64 s[4:5], s[4:5], exec
	s_or_saveexec_b64 s[6:7], s[6:7]
	v_mov_b32_e32 v6, s10
	s_xor_b64 exec, exec, s[6:7]
	s_cbranch_execnz .LBB1_23968
; %bb.59805:
	s_getpc_b64 s[14:15]
.Lpost_getpc15566:
	s_add_u32 s14, s14, (.LBB1_9630-.Lpost_getpc15566)&4294967295
	s_addc_u32 s15, s15, (.LBB1_9630-.Lpost_getpc15566)>>32
	s_setpc_b64 s[14:15]
.LBB1_23968:
	v_mov_b32_e32 v6, 0
	v_cmp_ne_u16_sdwa s[8:9], v2, v6 src0_sel:BYTE_3 src1_sel:DWORD
	s_andn2_b64 s[4:5], s[4:5], exec
	s_and_b64 s[8:9], s[8:9], exec
	s_or_b64 s[4:5], s[4:5], s[8:9]
	s_or_b64 exec, exec, s[6:7]
	s_and_saveexec_b64 s[6:7], s[4:5]
	s_cbranch_execz .LBB1_33487
; %bb.59807:
	s_getpc_b64 s[14:15]
.Lpost_getpc15567:
	s_add_u32 s14, s14, (.LBB1_9631-.Lpost_getpc15567)&4294967295
	s_addc_u32 s15, s15, (.LBB1_9631-.Lpost_getpc15567)>>32
	s_setpc_b64 s[14:15]
.LBB1_33487:
	s_getpc_b64 s[14:15]
.Lpost_getpc2407:
	s_add_u32 s14, s14, (.LBB1_9632-.Lpost_getpc2407)&4294967295
	s_addc_u32 s15, s15, (.LBB1_9632-.Lpost_getpc2407)>>32
	s_setpc_b64 s[14:15]
.LBB1_23969:
	s_movk_i32 s4, 0x80
	v_cmp_eq_u16_sdwa s[12:13], v7, s4 src0_sel:BYTE_0 src1_sel:DWORD
	s_mov_b64 s[4:5], -1
                                        ; implicit-def: $sgpr10
	s_and_saveexec_b64 s[8:9], s[12:13]
; %bb.23970:
	s_mov_b32 s10, 0x7f800001
	s_xor_b64 s[4:5], exec, -1
; %bb.23971:
	s_or_b64 exec, exec, s[8:9]
	s_and_b64 s[4:5], s[4:5], exec
	s_or_saveexec_b64 s[6:7], s[6:7]
	v_mov_b32_e32 v2, s10
	s_xor_b64 exec, exec, s[6:7]
	s_cbranch_execnz .LBB1_23972
; %bb.59809:
	s_getpc_b64 s[14:15]
.Lpost_getpc15568:
	s_add_u32 s14, s14, (.LBB1_9634-.Lpost_getpc15568)&4294967295
	s_addc_u32 s15, s15, (.LBB1_9634-.Lpost_getpc15568)>>32
	s_setpc_b64 s[14:15]
.LBB1_23972:
	v_mov_b32_e32 v2, 0
	v_cmp_ne_u16_sdwa s[8:9], v7, v2 src0_sel:BYTE_0 src1_sel:DWORD
	s_andn2_b64 s[4:5], s[4:5], exec
	s_and_b64 s[8:9], s[8:9], exec
	s_or_b64 s[4:5], s[4:5], s[8:9]
	s_or_b64 exec, exec, s[6:7]
	s_and_saveexec_b64 s[6:7], s[4:5]
	s_cbranch_execz .LBB1_33489
; %bb.59811:
	s_getpc_b64 s[14:15]
.Lpost_getpc15569:
	s_add_u32 s14, s14, (.LBB1_9635-.Lpost_getpc15569)&4294967295
	s_addc_u32 s15, s15, (.LBB1_9635-.Lpost_getpc15569)>>32
	s_setpc_b64 s[14:15]
.LBB1_33489:
	s_getpc_b64 s[14:15]
.Lpost_getpc2408:
	s_add_u32 s14, s14, (.LBB1_9636-.Lpost_getpc2408)&4294967295
	s_addc_u32 s15, s15, (.LBB1_9636-.Lpost_getpc2408)>>32
	s_setpc_b64 s[14:15]
.LBB1_23973:
	s_movk_i32 s4, 0x80
	v_cmp_eq_u16_sdwa s[12:13], v3, s4 src0_sel:BYTE_0 src1_sel:DWORD
	s_mov_b64 s[4:5], -1
                                        ; implicit-def: $sgpr10
	s_and_saveexec_b64 s[8:9], s[12:13]
; %bb.23974:
	s_mov_b32 s10, 0x7f800001
	s_xor_b64 s[4:5], exec, -1
; %bb.23975:
	s_or_b64 exec, exec, s[8:9]
	s_and_b64 s[4:5], s[4:5], exec
	s_or_saveexec_b64 s[6:7], s[6:7]
	v_mov_b32_e32 v6, s10
	s_xor_b64 exec, exec, s[6:7]
	s_cbranch_execnz .LBB1_23976
; %bb.59813:
	s_getpc_b64 s[14:15]
.Lpost_getpc15570:
	s_add_u32 s14, s14, (.LBB1_9638-.Lpost_getpc15570)&4294967295
	s_addc_u32 s15, s15, (.LBB1_9638-.Lpost_getpc15570)>>32
	s_setpc_b64 s[14:15]
.LBB1_23976:
	v_mov_b32_e32 v6, 0
	v_cmp_ne_u16_sdwa s[8:9], v3, v6 src0_sel:BYTE_0 src1_sel:DWORD
	s_andn2_b64 s[4:5], s[4:5], exec
	s_and_b64 s[8:9], s[8:9], exec
	s_or_b64 s[4:5], s[4:5], s[8:9]
	s_or_b64 exec, exec, s[6:7]
	s_and_saveexec_b64 s[6:7], s[4:5]
	s_cbranch_execz .LBB1_33491
; %bb.59815:
	s_getpc_b64 s[14:15]
.Lpost_getpc15571:
	s_add_u32 s14, s14, (.LBB1_9639-.Lpost_getpc15571)&4294967295
	s_addc_u32 s15, s15, (.LBB1_9639-.Lpost_getpc15571)>>32
	s_setpc_b64 s[14:15]
.LBB1_33491:
	s_getpc_b64 s[14:15]
.Lpost_getpc2409:
	s_add_u32 s14, s14, (.LBB1_9640-.Lpost_getpc2409)&4294967295
	s_addc_u32 s15, s15, (.LBB1_9640-.Lpost_getpc2409)>>32
	s_setpc_b64 s[14:15]
.LBB1_23977:
	s_movk_i32 s4, 0x80
	v_cmp_eq_u16_sdwa s[12:13], v6, s4 src0_sel:BYTE_0 src1_sel:DWORD
	s_mov_b64 s[4:5], -1
                                        ; implicit-def: $sgpr10
	s_and_saveexec_b64 s[8:9], s[12:13]
; %bb.23978:
	s_mov_b32 s10, 0x7f800001
	s_xor_b64 s[4:5], exec, -1
; %bb.23979:
	s_or_b64 exec, exec, s[8:9]
	s_and_b64 s[4:5], s[4:5], exec
	s_or_saveexec_b64 s[6:7], s[6:7]
	v_mov_b32_e32 v2, s10
	s_xor_b64 exec, exec, s[6:7]
	s_cbranch_execnz .LBB1_23980
; %bb.59817:
	s_getpc_b64 s[14:15]
.Lpost_getpc15572:
	s_add_u32 s14, s14, (.LBB1_9642-.Lpost_getpc15572)&4294967295
	s_addc_u32 s15, s15, (.LBB1_9642-.Lpost_getpc15572)>>32
	s_setpc_b64 s[14:15]
.LBB1_23980:
	v_mov_b32_e32 v2, 0
	v_cmp_ne_u16_sdwa s[8:9], v6, v2 src0_sel:BYTE_0 src1_sel:DWORD
	s_andn2_b64 s[4:5], s[4:5], exec
	s_and_b64 s[8:9], s[8:9], exec
	s_or_b64 s[4:5], s[4:5], s[8:9]
	s_or_b64 exec, exec, s[6:7]
	s_and_saveexec_b64 s[6:7], s[4:5]
	s_cbranch_execz .LBB1_33493
; %bb.59819:
	s_getpc_b64 s[14:15]
.Lpost_getpc15573:
	s_add_u32 s14, s14, (.LBB1_9643-.Lpost_getpc15573)&4294967295
	s_addc_u32 s15, s15, (.LBB1_9643-.Lpost_getpc15573)>>32
	s_setpc_b64 s[14:15]
.LBB1_33493:
	s_getpc_b64 s[14:15]
.Lpost_getpc2410:
	s_add_u32 s14, s14, (.LBB1_9644-.Lpost_getpc2410)&4294967295
	s_addc_u32 s15, s15, (.LBB1_9644-.Lpost_getpc2410)>>32
	s_setpc_b64 s[14:15]
.LBB1_23981:
	s_movk_i32 s4, 0x80
	v_cmp_eq_u16_sdwa s[12:13], v6, s4 src0_sel:BYTE_0 src1_sel:DWORD
	s_mov_b64 s[4:5], -1
                                        ; implicit-def: $sgpr10
	s_and_saveexec_b64 s[8:9], s[12:13]
; %bb.23982:
	s_mov_b32 s10, 0x7f800001
	s_xor_b64 s[4:5], exec, -1
; %bb.23983:
	s_or_b64 exec, exec, s[8:9]
	s_and_b64 s[4:5], s[4:5], exec
	s_or_saveexec_b64 s[6:7], s[6:7]
	v_mov_b32_e32 v12, s10
	s_xor_b64 exec, exec, s[6:7]
	s_cbranch_execnz .LBB1_23984
; %bb.59821:
	s_getpc_b64 s[14:15]
.Lpost_getpc15574:
	s_add_u32 s14, s14, (.LBB1_9646-.Lpost_getpc15574)&4294967295
	s_addc_u32 s15, s15, (.LBB1_9646-.Lpost_getpc15574)>>32
	s_setpc_b64 s[14:15]
.LBB1_23984:
	v_mov_b32_e32 v12, 0
	v_cmp_ne_u16_sdwa s[8:9], v6, v12 src0_sel:BYTE_0 src1_sel:DWORD
	s_andn2_b64 s[4:5], s[4:5], exec
	s_and_b64 s[8:9], s[8:9], exec
	s_or_b64 s[4:5], s[4:5], s[8:9]
	s_or_b64 exec, exec, s[6:7]
	s_and_saveexec_b64 s[6:7], s[4:5]
	s_cbranch_execz .LBB1_33495
; %bb.59823:
	s_getpc_b64 s[14:15]
.Lpost_getpc15575:
	s_add_u32 s14, s14, (.LBB1_9647-.Lpost_getpc15575)&4294967295
	s_addc_u32 s15, s15, (.LBB1_9647-.Lpost_getpc15575)>>32
	s_setpc_b64 s[14:15]
.LBB1_33495:
	s_getpc_b64 s[14:15]
.Lpost_getpc2411:
	s_add_u32 s14, s14, (.LBB1_9648-.Lpost_getpc2411)&4294967295
	s_addc_u32 s15, s15, (.LBB1_9648-.Lpost_getpc2411)>>32
	s_setpc_b64 s[14:15]
.LBB1_23985:
	s_movk_i32 s4, 0x80
	v_cmp_eq_u16_e32 vcc, s4, v6
	s_mov_b64 s[4:5], -1
                                        ; implicit-def: $sgpr10
	s_and_saveexec_b64 s[8:9], vcc
; %bb.23986:
	s_mov_b32 s10, 0x7f800001
	s_xor_b64 s[4:5], exec, -1
; %bb.23987:
	s_or_b64 exec, exec, s[8:9]
	s_and_b64 s[4:5], s[4:5], exec
                                        ; implicit-def: $vgpr6
	s_or_saveexec_b64 s[6:7], s[6:7]
	v_mov_b32_e32 v2, s10
	s_xor_b64 exec, exec, s[6:7]
	s_cbranch_execnz .LBB1_23988
; %bb.59825:
	s_getpc_b64 s[14:15]
.Lpost_getpc15576:
	s_add_u32 s14, s14, (.LBB1_9650-.Lpost_getpc15576)&4294967295
	s_addc_u32 s15, s15, (.LBB1_9650-.Lpost_getpc15576)>>32
	s_setpc_b64 s[14:15]
.LBB1_23988:
	v_cmp_ne_u16_e32 vcc, 0, v6
	s_andn2_b64 s[4:5], s[4:5], exec
	s_and_b64 s[8:9], vcc, exec
	v_mov_b32_e32 v2, 0
	s_or_b64 s[4:5], s[4:5], s[8:9]
	s_or_b64 exec, exec, s[6:7]
	s_and_saveexec_b64 s[6:7], s[4:5]
	s_cbranch_execz .LBB1_33497
; %bb.59827:
	s_getpc_b64 s[14:15]
.Lpost_getpc15577:
	s_add_u32 s14, s14, (.LBB1_9651-.Lpost_getpc15577)&4294967295
	s_addc_u32 s15, s15, (.LBB1_9651-.Lpost_getpc15577)>>32
	s_setpc_b64 s[14:15]
.LBB1_33497:
	s_getpc_b64 s[14:15]
.Lpost_getpc2412:
	s_add_u32 s14, s14, (.LBB1_9652-.Lpost_getpc2412)&4294967295
	s_addc_u32 s15, s15, (.LBB1_9652-.Lpost_getpc2412)>>32
	s_setpc_b64 s[14:15]
.LBB1_23989:
	s_movk_i32 s4, 0x80
	v_cmp_eq_u16_e32 vcc, s4, v6
	s_mov_b64 s[4:5], -1
                                        ; implicit-def: $sgpr10
	s_and_saveexec_b64 s[8:9], vcc
; %bb.23990:
	s_mov_b32 s10, 0x7f800001
	s_xor_b64 s[4:5], exec, -1
; %bb.23991:
	s_or_b64 exec, exec, s[8:9]
	s_and_b64 s[4:5], s[4:5], exec
                                        ; implicit-def: $vgpr6
	s_or_saveexec_b64 s[6:7], s[6:7]
	v_mov_b32_e32 v12, s10
	s_xor_b64 exec, exec, s[6:7]
	s_cbranch_execnz .LBB1_23992
; %bb.59829:
	s_getpc_b64 s[14:15]
.Lpost_getpc15578:
	s_add_u32 s14, s14, (.LBB1_9654-.Lpost_getpc15578)&4294967295
	s_addc_u32 s15, s15, (.LBB1_9654-.Lpost_getpc15578)>>32
	s_setpc_b64 s[14:15]
.LBB1_23992:
	v_cmp_ne_u16_e32 vcc, 0, v6
	s_andn2_b64 s[4:5], s[4:5], exec
	s_and_b64 s[8:9], vcc, exec
	v_mov_b32_e32 v12, 0
	s_or_b64 s[4:5], s[4:5], s[8:9]
	s_or_b64 exec, exec, s[6:7]
	s_and_saveexec_b64 s[6:7], s[4:5]
	s_cbranch_execz .LBB1_33499
; %bb.59831:
	s_getpc_b64 s[14:15]
.Lpost_getpc15579:
	s_add_u32 s14, s14, (.LBB1_9655-.Lpost_getpc15579)&4294967295
	s_addc_u32 s15, s15, (.LBB1_9655-.Lpost_getpc15579)>>32
	s_setpc_b64 s[14:15]
.LBB1_33499:
	s_getpc_b64 s[14:15]
.Lpost_getpc2413:
	s_add_u32 s14, s14, (.LBB1_9656-.Lpost_getpc2413)&4294967295
	s_addc_u32 s15, s15, (.LBB1_9656-.Lpost_getpc2413)>>32
	s_setpc_b64 s[14:15]
.LBB1_23993:
	s_movk_i32 s4, 0x80
	v_cmp_eq_u16_sdwa s[12:13], v7, s4 src0_sel:BYTE_3 src1_sel:DWORD
	s_mov_b64 s[4:5], -1
                                        ; implicit-def: $sgpr10
	s_and_saveexec_b64 s[8:9], s[12:13]
; %bb.23994:
	s_mov_b32 s10, 0x7f800001
	s_xor_b64 s[4:5], exec, -1
; %bb.23995:
	s_or_b64 exec, exec, s[8:9]
	s_and_b64 s[4:5], s[4:5], exec
	s_or_saveexec_b64 s[6:7], s[6:7]
	v_mov_b32_e32 v2, s10
	s_xor_b64 exec, exec, s[6:7]
	s_cbranch_execnz .LBB1_23996
; %bb.59833:
	s_getpc_b64 s[14:15]
.Lpost_getpc15580:
	s_add_u32 s14, s14, (.LBB1_9658-.Lpost_getpc15580)&4294967295
	s_addc_u32 s15, s15, (.LBB1_9658-.Lpost_getpc15580)>>32
	s_setpc_b64 s[14:15]
.LBB1_23996:
	v_mov_b32_e32 v2, 0
	v_cmp_ne_u16_sdwa s[8:9], v7, v2 src0_sel:BYTE_3 src1_sel:DWORD
	s_andn2_b64 s[4:5], s[4:5], exec
	s_and_b64 s[8:9], s[8:9], exec
	s_or_b64 s[4:5], s[4:5], s[8:9]
	s_or_b64 exec, exec, s[6:7]
	s_and_saveexec_b64 s[6:7], s[4:5]
	s_cbranch_execz .LBB1_33501
; %bb.59835:
	s_getpc_b64 s[14:15]
.Lpost_getpc15581:
	s_add_u32 s14, s14, (.LBB1_9659-.Lpost_getpc15581)&4294967295
	s_addc_u32 s15, s15, (.LBB1_9659-.Lpost_getpc15581)>>32
	s_setpc_b64 s[14:15]
.LBB1_33501:
	s_getpc_b64 s[14:15]
.Lpost_getpc2414:
	s_add_u32 s14, s14, (.LBB1_9660-.Lpost_getpc2414)&4294967295
	s_addc_u32 s15, s15, (.LBB1_9660-.Lpost_getpc2414)>>32
	s_setpc_b64 s[14:15]
.LBB1_23997:
	s_movk_i32 s4, 0x80
	v_cmp_eq_u16_sdwa s[12:13], v3, s4 src0_sel:BYTE_3 src1_sel:DWORD
	s_mov_b64 s[4:5], -1
                                        ; implicit-def: $sgpr10
	s_and_saveexec_b64 s[8:9], s[12:13]
; %bb.23998:
	s_mov_b32 s10, 0x7f800001
	s_xor_b64 s[4:5], exec, -1
; %bb.23999:
	s_or_b64 exec, exec, s[8:9]
	s_and_b64 s[4:5], s[4:5], exec
	s_or_saveexec_b64 s[6:7], s[6:7]
	v_mov_b32_e32 v6, s10
	s_xor_b64 exec, exec, s[6:7]
	s_cbranch_execnz .LBB1_24000
; %bb.59837:
	s_getpc_b64 s[14:15]
.Lpost_getpc15582:
	s_add_u32 s14, s14, (.LBB1_9662-.Lpost_getpc15582)&4294967295
	s_addc_u32 s15, s15, (.LBB1_9662-.Lpost_getpc15582)>>32
	s_setpc_b64 s[14:15]
.LBB1_24000:
	v_mov_b32_e32 v6, 0
	v_cmp_ne_u16_sdwa s[8:9], v3, v6 src0_sel:BYTE_3 src1_sel:DWORD
	s_andn2_b64 s[4:5], s[4:5], exec
	s_and_b64 s[8:9], s[8:9], exec
	s_or_b64 s[4:5], s[4:5], s[8:9]
	s_or_b64 exec, exec, s[6:7]
	s_and_saveexec_b64 s[6:7], s[4:5]
	s_cbranch_execz .LBB1_33503
; %bb.59839:
	s_getpc_b64 s[14:15]
.Lpost_getpc15583:
	s_add_u32 s14, s14, (.LBB1_9663-.Lpost_getpc15583)&4294967295
	s_addc_u32 s15, s15, (.LBB1_9663-.Lpost_getpc15583)>>32
	s_setpc_b64 s[14:15]
.LBB1_33503:
	s_getpc_b64 s[14:15]
.Lpost_getpc2415:
	s_add_u32 s14, s14, (.LBB1_9664-.Lpost_getpc2415)&4294967295
	s_addc_u32 s15, s15, (.LBB1_9664-.Lpost_getpc2415)>>32
	s_setpc_b64 s[14:15]
.LBB1_24001:
	s_movk_i32 s4, 0x80
	v_cmp_eq_u16_sdwa s[12:13], v8, s4 src0_sel:BYTE_0 src1_sel:DWORD
	s_mov_b64 s[4:5], -1
                                        ; implicit-def: $sgpr10
	s_and_saveexec_b64 s[8:9], s[12:13]
; %bb.24002:
	s_mov_b32 s10, 0x7f800001
	s_xor_b64 s[4:5], exec, -1
; %bb.24003:
	s_or_b64 exec, exec, s[8:9]
	s_and_b64 s[4:5], s[4:5], exec
	s_or_saveexec_b64 s[6:7], s[6:7]
	v_mov_b32_e32 v2, s10
	s_xor_b64 exec, exec, s[6:7]
	s_cbranch_execnz .LBB1_24004
; %bb.59841:
	s_getpc_b64 s[14:15]
.Lpost_getpc15584:
	s_add_u32 s14, s14, (.LBB1_9666-.Lpost_getpc15584)&4294967295
	s_addc_u32 s15, s15, (.LBB1_9666-.Lpost_getpc15584)>>32
	s_setpc_b64 s[14:15]
.LBB1_24004:
	v_mov_b32_e32 v2, 0
	v_cmp_ne_u16_sdwa s[8:9], v8, v2 src0_sel:BYTE_0 src1_sel:DWORD
	s_andn2_b64 s[4:5], s[4:5], exec
	s_and_b64 s[8:9], s[8:9], exec
	s_or_b64 s[4:5], s[4:5], s[8:9]
	s_or_b64 exec, exec, s[6:7]
	s_and_saveexec_b64 s[6:7], s[4:5]
	s_cbranch_execz .LBB1_33505
; %bb.59843:
	s_getpc_b64 s[14:15]
.Lpost_getpc15585:
	s_add_u32 s14, s14, (.LBB1_9667-.Lpost_getpc15585)&4294967295
	s_addc_u32 s15, s15, (.LBB1_9667-.Lpost_getpc15585)>>32
	s_setpc_b64 s[14:15]
.LBB1_33505:
	s_getpc_b64 s[14:15]
.Lpost_getpc2416:
	s_add_u32 s14, s14, (.LBB1_9668-.Lpost_getpc2416)&4294967295
	s_addc_u32 s15, s15, (.LBB1_9668-.Lpost_getpc2416)>>32
	s_setpc_b64 s[14:15]
.LBB1_24005:
	s_movk_i32 s4, 0x80
	v_cmp_eq_u16_sdwa s[12:13], v4, s4 src0_sel:BYTE_0 src1_sel:DWORD
	s_mov_b64 s[4:5], -1
                                        ; implicit-def: $sgpr10
	s_and_saveexec_b64 s[8:9], s[12:13]
; %bb.24006:
	s_mov_b32 s10, 0x7f800001
	s_xor_b64 s[4:5], exec, -1
; %bb.24007:
	s_or_b64 exec, exec, s[8:9]
	s_and_b64 s[4:5], s[4:5], exec
	s_or_saveexec_b64 s[6:7], s[6:7]
	v_mov_b32_e32 v3, s10
	s_xor_b64 exec, exec, s[6:7]
	s_cbranch_execnz .LBB1_24008
; %bb.59845:
	s_getpc_b64 s[14:15]
.Lpost_getpc15586:
	s_add_u32 s14, s14, (.LBB1_9670-.Lpost_getpc15586)&4294967295
	s_addc_u32 s15, s15, (.LBB1_9670-.Lpost_getpc15586)>>32
	s_setpc_b64 s[14:15]
.LBB1_24008:
	v_mov_b32_e32 v3, 0
	v_cmp_ne_u16_sdwa s[8:9], v4, v3 src0_sel:BYTE_0 src1_sel:DWORD
	s_andn2_b64 s[4:5], s[4:5], exec
	s_and_b64 s[8:9], s[8:9], exec
	s_or_b64 s[4:5], s[4:5], s[8:9]
	s_or_b64 exec, exec, s[6:7]
	s_and_saveexec_b64 s[6:7], s[4:5]
	s_cbranch_execz .LBB1_33507
; %bb.59847:
	s_getpc_b64 s[14:15]
.Lpost_getpc15587:
	s_add_u32 s14, s14, (.LBB1_9671-.Lpost_getpc15587)&4294967295
	s_addc_u32 s15, s15, (.LBB1_9671-.Lpost_getpc15587)>>32
	s_setpc_b64 s[14:15]
.LBB1_33507:
	s_getpc_b64 s[14:15]
.Lpost_getpc2417:
	s_add_u32 s14, s14, (.LBB1_9672-.Lpost_getpc2417)&4294967295
	s_addc_u32 s15, s15, (.LBB1_9672-.Lpost_getpc2417)>>32
	s_setpc_b64 s[14:15]
.LBB1_24009:
	s_movk_i32 s4, 0x80
	v_cmp_eq_u16_sdwa s[12:13], v3, s4 src0_sel:BYTE_0 src1_sel:DWORD
	s_mov_b64 s[4:5], -1
                                        ; implicit-def: $sgpr10
	s_and_saveexec_b64 s[8:9], s[12:13]
; %bb.24010:
	s_mov_b32 s10, 0x7f800001
	s_xor_b64 s[4:5], exec, -1
; %bb.24011:
	s_or_b64 exec, exec, s[8:9]
	s_and_b64 s[4:5], s[4:5], exec
	s_or_saveexec_b64 s[6:7], s[6:7]
	v_mov_b32_e32 v2, s10
	s_xor_b64 exec, exec, s[6:7]
	s_cbranch_execnz .LBB1_24012
; %bb.59849:
	s_getpc_b64 s[14:15]
.Lpost_getpc15588:
	s_add_u32 s14, s14, (.LBB1_9674-.Lpost_getpc15588)&4294967295
	s_addc_u32 s15, s15, (.LBB1_9674-.Lpost_getpc15588)>>32
	s_setpc_b64 s[14:15]
.LBB1_24012:
	v_mov_b32_e32 v2, 0
	v_cmp_ne_u16_sdwa s[8:9], v3, v2 src0_sel:BYTE_0 src1_sel:DWORD
	s_andn2_b64 s[4:5], s[4:5], exec
	s_and_b64 s[8:9], s[8:9], exec
	s_or_b64 s[4:5], s[4:5], s[8:9]
	s_or_b64 exec, exec, s[6:7]
	s_and_saveexec_b64 s[6:7], s[4:5]
	s_cbranch_execz .LBB1_33509
; %bb.59851:
	s_getpc_b64 s[14:15]
.Lpost_getpc15589:
	s_add_u32 s14, s14, (.LBB1_9675-.Lpost_getpc15589)&4294967295
	s_addc_u32 s15, s15, (.LBB1_9675-.Lpost_getpc15589)>>32
	s_setpc_b64 s[14:15]
.LBB1_33509:
	s_getpc_b64 s[14:15]
.Lpost_getpc2418:
	s_add_u32 s14, s14, (.LBB1_9676-.Lpost_getpc2418)&4294967295
	s_addc_u32 s15, s15, (.LBB1_9676-.Lpost_getpc2418)>>32
	s_setpc_b64 s[14:15]
.LBB1_24013:
	s_movk_i32 s4, 0x80
	v_cmp_eq_u16_sdwa s[12:13], v3, s4 src0_sel:BYTE_0 src1_sel:DWORD
	s_mov_b64 s[4:5], -1
                                        ; implicit-def: $sgpr10
	s_and_saveexec_b64 s[8:9], s[12:13]
; %bb.24014:
	s_mov_b32 s10, 0x7f800001
	s_xor_b64 s[4:5], exec, -1
; %bb.24015:
	s_or_b64 exec, exec, s[8:9]
	s_and_b64 s[4:5], s[4:5], exec
	s_or_saveexec_b64 s[6:7], s[6:7]
	v_mov_b32_e32 v6, s10
	s_xor_b64 exec, exec, s[6:7]
	s_cbranch_execnz .LBB1_24016
; %bb.59853:
	s_getpc_b64 s[14:15]
.Lpost_getpc15590:
	s_add_u32 s14, s14, (.LBB1_9678-.Lpost_getpc15590)&4294967295
	s_addc_u32 s15, s15, (.LBB1_9678-.Lpost_getpc15590)>>32
	s_setpc_b64 s[14:15]
.LBB1_24016:
	v_mov_b32_e32 v6, 0
	v_cmp_ne_u16_sdwa s[8:9], v3, v6 src0_sel:BYTE_0 src1_sel:DWORD
	s_andn2_b64 s[4:5], s[4:5], exec
	s_and_b64 s[8:9], s[8:9], exec
	s_or_b64 s[4:5], s[4:5], s[8:9]
	s_or_b64 exec, exec, s[6:7]
	s_and_saveexec_b64 s[6:7], s[4:5]
	s_cbranch_execz .LBB1_33511
; %bb.59855:
	s_getpc_b64 s[14:15]
.Lpost_getpc15591:
	s_add_u32 s14, s14, (.LBB1_9679-.Lpost_getpc15591)&4294967295
	s_addc_u32 s15, s15, (.LBB1_9679-.Lpost_getpc15591)>>32
	s_setpc_b64 s[14:15]
.LBB1_33511:
	s_getpc_b64 s[14:15]
.Lpost_getpc2419:
	s_add_u32 s14, s14, (.LBB1_9680-.Lpost_getpc2419)&4294967295
	s_addc_u32 s15, s15, (.LBB1_9680-.Lpost_getpc2419)>>32
	s_setpc_b64 s[14:15]
.LBB1_24017:
	s_movk_i32 s4, 0x80
	v_cmp_eq_u16_e32 vcc, s4, v3
	s_mov_b64 s[4:5], -1
                                        ; implicit-def: $sgpr10
	s_and_saveexec_b64 s[8:9], vcc
; %bb.24018:
	s_mov_b32 s10, 0x7f800001
	s_xor_b64 s[4:5], exec, -1
; %bb.24019:
	s_or_b64 exec, exec, s[8:9]
	s_and_b64 s[4:5], s[4:5], exec
                                        ; implicit-def: $vgpr3
	s_or_saveexec_b64 s[6:7], s[6:7]
	v_mov_b32_e32 v2, s10
	s_xor_b64 exec, exec, s[6:7]
	s_cbranch_execnz .LBB1_24020
; %bb.59857:
	s_getpc_b64 s[14:15]
.Lpost_getpc15592:
	s_add_u32 s14, s14, (.LBB1_9682-.Lpost_getpc15592)&4294967295
	s_addc_u32 s15, s15, (.LBB1_9682-.Lpost_getpc15592)>>32
	s_setpc_b64 s[14:15]
.LBB1_24020:
	v_cmp_ne_u16_e32 vcc, 0, v3
	s_andn2_b64 s[4:5], s[4:5], exec
	s_and_b64 s[8:9], vcc, exec
	v_mov_b32_e32 v2, 0
	s_or_b64 s[4:5], s[4:5], s[8:9]
	s_or_b64 exec, exec, s[6:7]
	s_and_saveexec_b64 s[6:7], s[4:5]
	s_cbranch_execz .LBB1_33513
; %bb.59859:
	s_getpc_b64 s[14:15]
.Lpost_getpc15593:
	s_add_u32 s14, s14, (.LBB1_9683-.Lpost_getpc15593)&4294967295
	s_addc_u32 s15, s15, (.LBB1_9683-.Lpost_getpc15593)>>32
	s_setpc_b64 s[14:15]
.LBB1_33513:
	s_getpc_b64 s[14:15]
.Lpost_getpc2420:
	s_add_u32 s14, s14, (.LBB1_9684-.Lpost_getpc2420)&4294967295
	s_addc_u32 s15, s15, (.LBB1_9684-.Lpost_getpc2420)>>32
	s_setpc_b64 s[14:15]
.LBB1_24021:
	s_movk_i32 s4, 0x80
	v_cmp_eq_u16_e32 vcc, s4, v3
	s_mov_b64 s[4:5], -1
                                        ; implicit-def: $sgpr10
	s_and_saveexec_b64 s[8:9], vcc
; %bb.24022:
	s_mov_b32 s10, 0x7f800001
	s_xor_b64 s[4:5], exec, -1
; %bb.24023:
	s_or_b64 exec, exec, s[8:9]
	s_and_b64 s[4:5], s[4:5], exec
                                        ; implicit-def: $vgpr3
	s_or_saveexec_b64 s[6:7], s[6:7]
	v_mov_b32_e32 v6, s10
	s_xor_b64 exec, exec, s[6:7]
	s_cbranch_execnz .LBB1_24024
; %bb.59861:
	s_getpc_b64 s[14:15]
.Lpost_getpc15594:
	s_add_u32 s14, s14, (.LBB1_9686-.Lpost_getpc15594)&4294967295
	s_addc_u32 s15, s15, (.LBB1_9686-.Lpost_getpc15594)>>32
	s_setpc_b64 s[14:15]
.LBB1_24024:
	v_cmp_ne_u16_e32 vcc, 0, v3
	s_andn2_b64 s[4:5], s[4:5], exec
	s_and_b64 s[8:9], vcc, exec
	v_mov_b32_e32 v6, 0
	s_or_b64 s[4:5], s[4:5], s[8:9]
	s_or_b64 exec, exec, s[6:7]
	s_and_saveexec_b64 s[6:7], s[4:5]
	s_cbranch_execz .LBB1_33515
; %bb.59863:
	s_getpc_b64 s[14:15]
.Lpost_getpc15595:
	s_add_u32 s14, s14, (.LBB1_9687-.Lpost_getpc15595)&4294967295
	s_addc_u32 s15, s15, (.LBB1_9687-.Lpost_getpc15595)>>32
	s_setpc_b64 s[14:15]
.LBB1_33515:
	s_getpc_b64 s[14:15]
.Lpost_getpc2421:
	s_add_u32 s14, s14, (.LBB1_9688-.Lpost_getpc2421)&4294967295
	s_addc_u32 s15, s15, (.LBB1_9688-.Lpost_getpc2421)>>32
	s_setpc_b64 s[14:15]
.LBB1_24025:
	s_movk_i32 s4, 0x80
	v_cmp_eq_u16_sdwa s[12:13], v8, s4 src0_sel:BYTE_3 src1_sel:DWORD
	s_mov_b64 s[4:5], -1
                                        ; implicit-def: $sgpr10
	s_and_saveexec_b64 s[8:9], s[12:13]
; %bb.24026:
	s_mov_b32 s10, 0x7f800001
	s_xor_b64 s[4:5], exec, -1
; %bb.24027:
	s_or_b64 exec, exec, s[8:9]
	s_and_b64 s[4:5], s[4:5], exec
	s_or_saveexec_b64 s[6:7], s[6:7]
	v_mov_b32_e32 v2, s10
	s_xor_b64 exec, exec, s[6:7]
	s_cbranch_execnz .LBB1_24028
; %bb.59865:
	s_getpc_b64 s[14:15]
.Lpost_getpc15596:
	s_add_u32 s14, s14, (.LBB1_9690-.Lpost_getpc15596)&4294967295
	s_addc_u32 s15, s15, (.LBB1_9690-.Lpost_getpc15596)>>32
	s_setpc_b64 s[14:15]
.LBB1_24028:
	v_mov_b32_e32 v2, 0
	v_cmp_ne_u16_sdwa s[8:9], v8, v2 src0_sel:BYTE_3 src1_sel:DWORD
	s_andn2_b64 s[4:5], s[4:5], exec
	s_and_b64 s[8:9], s[8:9], exec
	s_or_b64 s[4:5], s[4:5], s[8:9]
	s_or_b64 exec, exec, s[6:7]
	s_and_saveexec_b64 s[6:7], s[4:5]
	s_cbranch_execz .LBB1_33517
; %bb.59867:
	s_getpc_b64 s[14:15]
.Lpost_getpc15597:
	s_add_u32 s14, s14, (.LBB1_9691-.Lpost_getpc15597)&4294967295
	s_addc_u32 s15, s15, (.LBB1_9691-.Lpost_getpc15597)>>32
	s_setpc_b64 s[14:15]
.LBB1_33517:
	s_getpc_b64 s[14:15]
.Lpost_getpc2422:
	s_add_u32 s14, s14, (.LBB1_9692-.Lpost_getpc2422)&4294967295
	s_addc_u32 s15, s15, (.LBB1_9692-.Lpost_getpc2422)>>32
	s_setpc_b64 s[14:15]
.LBB1_24029:
	s_movk_i32 s4, 0x80
	v_cmp_eq_u16_sdwa s[12:13], v4, s4 src0_sel:BYTE_3 src1_sel:DWORD
	s_mov_b64 s[4:5], -1
                                        ; implicit-def: $sgpr10
	s_and_saveexec_b64 s[8:9], s[12:13]
; %bb.24030:
	s_mov_b32 s10, 0x7f800001
	s_xor_b64 s[4:5], exec, -1
; %bb.24031:
	s_or_b64 exec, exec, s[8:9]
	s_and_b64 s[4:5], s[4:5], exec
	s_or_saveexec_b64 s[6:7], s[6:7]
	v_mov_b32_e32 v3, s10
	s_xor_b64 exec, exec, s[6:7]
	s_cbranch_execnz .LBB1_24032
; %bb.59869:
	s_getpc_b64 s[14:15]
.Lpost_getpc15598:
	s_add_u32 s14, s14, (.LBB1_9694-.Lpost_getpc15598)&4294967295
	s_addc_u32 s15, s15, (.LBB1_9694-.Lpost_getpc15598)>>32
	s_setpc_b64 s[14:15]
.LBB1_24032:
	v_mov_b32_e32 v3, 0
	v_cmp_ne_u16_sdwa s[8:9], v4, v3 src0_sel:BYTE_3 src1_sel:DWORD
	s_andn2_b64 s[4:5], s[4:5], exec
	s_and_b64 s[8:9], s[8:9], exec
	s_or_b64 s[4:5], s[4:5], s[8:9]
	s_or_b64 exec, exec, s[6:7]
	s_and_saveexec_b64 s[6:7], s[4:5]
	s_cbranch_execz .LBB1_33519
; %bb.59871:
	s_getpc_b64 s[14:15]
.Lpost_getpc15599:
	s_add_u32 s14, s14, (.LBB1_9695-.Lpost_getpc15599)&4294967295
	s_addc_u32 s15, s15, (.LBB1_9695-.Lpost_getpc15599)>>32
	s_setpc_b64 s[14:15]
.LBB1_33519:
	s_getpc_b64 s[14:15]
.Lpost_getpc2423:
	s_add_u32 s14, s14, (.LBB1_9696-.Lpost_getpc2423)&4294967295
	s_addc_u32 s15, s15, (.LBB1_9696-.Lpost_getpc2423)>>32
	s_setpc_b64 s[14:15]
.LBB1_24033:
	s_movk_i32 s4, 0x80
	v_cmp_eq_u16_sdwa s[12:13], v9, s4 src0_sel:BYTE_0 src1_sel:DWORD
	s_mov_b64 s[4:5], -1
                                        ; implicit-def: $sgpr10
	s_and_saveexec_b64 s[8:9], s[12:13]
; %bb.24034:
	s_mov_b32 s10, 0x7f800001
	s_xor_b64 s[4:5], exec, -1
; %bb.24035:
	s_or_b64 exec, exec, s[8:9]
	s_and_b64 s[4:5], s[4:5], exec
	s_or_saveexec_b64 s[6:7], s[6:7]
	v_mov_b32_e32 v2, s10
	s_xor_b64 exec, exec, s[6:7]
	s_cbranch_execnz .LBB1_24036
; %bb.59873:
	s_getpc_b64 s[14:15]
.Lpost_getpc15600:
	s_add_u32 s14, s14, (.LBB1_9698-.Lpost_getpc15600)&4294967295
	s_addc_u32 s15, s15, (.LBB1_9698-.Lpost_getpc15600)>>32
	s_setpc_b64 s[14:15]
.LBB1_24036:
	v_mov_b32_e32 v2, 0
	v_cmp_ne_u16_sdwa s[8:9], v9, v2 src0_sel:BYTE_0 src1_sel:DWORD
	s_andn2_b64 s[4:5], s[4:5], exec
	s_and_b64 s[8:9], s[8:9], exec
	s_or_b64 s[4:5], s[4:5], s[8:9]
	s_or_b64 exec, exec, s[6:7]
	s_and_saveexec_b64 s[6:7], s[4:5]
	s_cbranch_execz .LBB1_33521
; %bb.59875:
	s_getpc_b64 s[14:15]
.Lpost_getpc15601:
	s_add_u32 s14, s14, (.LBB1_9699-.Lpost_getpc15601)&4294967295
	s_addc_u32 s15, s15, (.LBB1_9699-.Lpost_getpc15601)>>32
	s_setpc_b64 s[14:15]
.LBB1_33521:
	s_getpc_b64 s[14:15]
.Lpost_getpc2424:
	s_add_u32 s14, s14, (.LBB1_9700-.Lpost_getpc2424)&4294967295
	s_addc_u32 s15, s15, (.LBB1_9700-.Lpost_getpc2424)>>32
	s_setpc_b64 s[14:15]
.LBB1_24037:
	s_movk_i32 s4, 0x80
	v_cmp_eq_u16_sdwa s[12:13], v5, s4 src0_sel:BYTE_0 src1_sel:DWORD
	s_mov_b64 s[4:5], -1
                                        ; implicit-def: $sgpr10
	s_and_saveexec_b64 s[8:9], s[12:13]
; %bb.24038:
	s_mov_b32 s10, 0x7f800001
	s_xor_b64 s[4:5], exec, -1
; %bb.24039:
	s_or_b64 exec, exec, s[8:9]
	s_and_b64 s[4:5], s[4:5], exec
	s_or_saveexec_b64 s[6:7], s[6:7]
	v_mov_b32_e32 v3, s10
	s_xor_b64 exec, exec, s[6:7]
	s_cbranch_execnz .LBB1_24040
; %bb.59877:
	s_getpc_b64 s[14:15]
.Lpost_getpc15602:
	s_add_u32 s14, s14, (.LBB1_9702-.Lpost_getpc15602)&4294967295
	s_addc_u32 s15, s15, (.LBB1_9702-.Lpost_getpc15602)>>32
	s_setpc_b64 s[14:15]
.LBB1_24040:
	v_mov_b32_e32 v3, 0
	v_cmp_ne_u16_sdwa s[8:9], v5, v3 src0_sel:BYTE_0 src1_sel:DWORD
	s_andn2_b64 s[4:5], s[4:5], exec
	s_and_b64 s[8:9], s[8:9], exec
	s_or_b64 s[4:5], s[4:5], s[8:9]
	s_or_b64 exec, exec, s[6:7]
	s_and_saveexec_b64 s[6:7], s[4:5]
	s_cbranch_execz .LBB1_33523
; %bb.59879:
	s_getpc_b64 s[14:15]
.Lpost_getpc15603:
	s_add_u32 s14, s14, (.LBB1_9703-.Lpost_getpc15603)&4294967295
	s_addc_u32 s15, s15, (.LBB1_9703-.Lpost_getpc15603)>>32
	s_setpc_b64 s[14:15]
.LBB1_33523:
	s_getpc_b64 s[14:15]
.Lpost_getpc2425:
	s_add_u32 s14, s14, (.LBB1_9704-.Lpost_getpc2425)&4294967295
	s_addc_u32 s15, s15, (.LBB1_9704-.Lpost_getpc2425)>>32
	s_setpc_b64 s[14:15]
.LBB1_24041:
	s_movk_i32 s4, 0x80
	v_cmp_eq_u16_sdwa s[12:13], v3, s4 src0_sel:BYTE_0 src1_sel:DWORD
	s_mov_b64 s[4:5], -1
                                        ; implicit-def: $sgpr10
	s_and_saveexec_b64 s[8:9], s[12:13]
; %bb.24042:
	s_mov_b32 s10, 0x7f800001
	s_xor_b64 s[4:5], exec, -1
; %bb.24043:
	s_or_b64 exec, exec, s[8:9]
	s_and_b64 s[4:5], s[4:5], exec
	s_or_saveexec_b64 s[6:7], s[6:7]
	v_mov_b32_e32 v2, s10
	s_xor_b64 exec, exec, s[6:7]
	s_cbranch_execnz .LBB1_24044
; %bb.59881:
	s_getpc_b64 s[14:15]
.Lpost_getpc15604:
	s_add_u32 s14, s14, (.LBB1_9706-.Lpost_getpc15604)&4294967295
	s_addc_u32 s15, s15, (.LBB1_9706-.Lpost_getpc15604)>>32
	s_setpc_b64 s[14:15]
.LBB1_24044:
	v_mov_b32_e32 v2, 0
	v_cmp_ne_u16_sdwa s[8:9], v3, v2 src0_sel:BYTE_0 src1_sel:DWORD
	s_andn2_b64 s[4:5], s[4:5], exec
	s_and_b64 s[8:9], s[8:9], exec
	s_or_b64 s[4:5], s[4:5], s[8:9]
	s_or_b64 exec, exec, s[6:7]
	s_and_saveexec_b64 s[6:7], s[4:5]
	s_cbranch_execz .LBB1_33525
; %bb.59883:
	s_getpc_b64 s[14:15]
.Lpost_getpc15605:
	s_add_u32 s14, s14, (.LBB1_9707-.Lpost_getpc15605)&4294967295
	s_addc_u32 s15, s15, (.LBB1_9707-.Lpost_getpc15605)>>32
	s_setpc_b64 s[14:15]
.LBB1_33525:
	s_getpc_b64 s[14:15]
.Lpost_getpc2426:
	s_add_u32 s14, s14, (.LBB1_9708-.Lpost_getpc2426)&4294967295
	s_addc_u32 s15, s15, (.LBB1_9708-.Lpost_getpc2426)>>32
	s_setpc_b64 s[14:15]
.LBB1_24045:
	s_movk_i32 s4, 0x80
	v_cmp_eq_u16_sdwa s[12:13], v3, s4 src0_sel:BYTE_0 src1_sel:DWORD
	s_mov_b64 s[4:5], -1
                                        ; implicit-def: $sgpr10
	s_and_saveexec_b64 s[8:9], s[12:13]
; %bb.24046:
	s_mov_b32 s10, 0x7f800001
	s_xor_b64 s[4:5], exec, -1
; %bb.24047:
	s_or_b64 exec, exec, s[8:9]
	s_and_b64 s[4:5], s[4:5], exec
	s_or_saveexec_b64 s[6:7], s[6:7]
	v_mov_b32_e32 v4, s10
	s_xor_b64 exec, exec, s[6:7]
	s_cbranch_execnz .LBB1_24048
; %bb.59885:
	s_getpc_b64 s[14:15]
.Lpost_getpc15606:
	s_add_u32 s14, s14, (.LBB1_9710-.Lpost_getpc15606)&4294967295
	s_addc_u32 s15, s15, (.LBB1_9710-.Lpost_getpc15606)>>32
	s_setpc_b64 s[14:15]
.LBB1_24048:
	v_mov_b32_e32 v4, 0
	v_cmp_ne_u16_sdwa s[8:9], v3, v4 src0_sel:BYTE_0 src1_sel:DWORD
	s_andn2_b64 s[4:5], s[4:5], exec
	s_and_b64 s[8:9], s[8:9], exec
	s_or_b64 s[4:5], s[4:5], s[8:9]
	s_or_b64 exec, exec, s[6:7]
	s_and_saveexec_b64 s[6:7], s[4:5]
	s_cbranch_execz .LBB1_33527
; %bb.59887:
	s_getpc_b64 s[14:15]
.Lpost_getpc15607:
	s_add_u32 s14, s14, (.LBB1_9711-.Lpost_getpc15607)&4294967295
	s_addc_u32 s15, s15, (.LBB1_9711-.Lpost_getpc15607)>>32
	s_setpc_b64 s[14:15]
.LBB1_33527:
	s_getpc_b64 s[14:15]
.Lpost_getpc2427:
	s_add_u32 s14, s14, (.LBB1_9712-.Lpost_getpc2427)&4294967295
	s_addc_u32 s15, s15, (.LBB1_9712-.Lpost_getpc2427)>>32
	s_setpc_b64 s[14:15]
.LBB1_24049:
	s_movk_i32 s4, 0x80
	v_cmp_eq_u16_e32 vcc, s4, v3
	s_mov_b64 s[4:5], -1
                                        ; implicit-def: $sgpr10
	s_and_saveexec_b64 s[8:9], vcc
; %bb.24050:
	s_mov_b32 s10, 0x7f800001
	s_xor_b64 s[4:5], exec, -1
; %bb.24051:
	s_or_b64 exec, exec, s[8:9]
	s_and_b64 s[4:5], s[4:5], exec
                                        ; implicit-def: $vgpr3
	s_or_saveexec_b64 s[6:7], s[6:7]
	v_mov_b32_e32 v2, s10
	s_xor_b64 exec, exec, s[6:7]
	s_cbranch_execnz .LBB1_24052
; %bb.59889:
	s_getpc_b64 s[14:15]
.Lpost_getpc15608:
	s_add_u32 s14, s14, (.LBB1_9714-.Lpost_getpc15608)&4294967295
	s_addc_u32 s15, s15, (.LBB1_9714-.Lpost_getpc15608)>>32
	s_setpc_b64 s[14:15]
.LBB1_24052:
	v_cmp_ne_u16_e32 vcc, 0, v3
	s_andn2_b64 s[4:5], s[4:5], exec
	s_and_b64 s[8:9], vcc, exec
	v_mov_b32_e32 v2, 0
	s_or_b64 s[4:5], s[4:5], s[8:9]
	s_or_b64 exec, exec, s[6:7]
	s_and_saveexec_b64 s[6:7], s[4:5]
	s_cbranch_execz .LBB1_33529
; %bb.59891:
	s_getpc_b64 s[14:15]
.Lpost_getpc15609:
	s_add_u32 s14, s14, (.LBB1_9715-.Lpost_getpc15609)&4294967295
	s_addc_u32 s15, s15, (.LBB1_9715-.Lpost_getpc15609)>>32
	s_setpc_b64 s[14:15]
.LBB1_33529:
	s_getpc_b64 s[14:15]
.Lpost_getpc2428:
	s_add_u32 s14, s14, (.LBB1_9716-.Lpost_getpc2428)&4294967295
	s_addc_u32 s15, s15, (.LBB1_9716-.Lpost_getpc2428)>>32
	s_setpc_b64 s[14:15]
.LBB1_24053:
	s_movk_i32 s4, 0x80
	v_cmp_eq_u16_e32 vcc, s4, v3
	s_mov_b64 s[4:5], -1
                                        ; implicit-def: $sgpr10
	s_and_saveexec_b64 s[8:9], vcc
; %bb.24054:
	s_mov_b32 s10, 0x7f800001
	s_xor_b64 s[4:5], exec, -1
; %bb.24055:
	s_or_b64 exec, exec, s[8:9]
	s_and_b64 s[4:5], s[4:5], exec
                                        ; implicit-def: $vgpr3
	s_or_saveexec_b64 s[6:7], s[6:7]
	v_mov_b32_e32 v4, s10
	s_xor_b64 exec, exec, s[6:7]
	s_cbranch_execnz .LBB1_24056
; %bb.59893:
	s_getpc_b64 s[14:15]
.Lpost_getpc15610:
	s_add_u32 s14, s14, (.LBB1_9718-.Lpost_getpc15610)&4294967295
	s_addc_u32 s15, s15, (.LBB1_9718-.Lpost_getpc15610)>>32
	s_setpc_b64 s[14:15]
.LBB1_24056:
	v_cmp_ne_u16_e32 vcc, 0, v3
	s_andn2_b64 s[4:5], s[4:5], exec
	s_and_b64 s[8:9], vcc, exec
	v_mov_b32_e32 v4, 0
	s_or_b64 s[4:5], s[4:5], s[8:9]
	s_or_b64 exec, exec, s[6:7]
	s_and_saveexec_b64 s[6:7], s[4:5]
	s_cbranch_execz .LBB1_33531
; %bb.59895:
	s_getpc_b64 s[14:15]
.Lpost_getpc15611:
	s_add_u32 s14, s14, (.LBB1_9719-.Lpost_getpc15611)&4294967295
	s_addc_u32 s15, s15, (.LBB1_9719-.Lpost_getpc15611)>>32
	s_setpc_b64 s[14:15]
.LBB1_33531:
	s_getpc_b64 s[14:15]
.Lpost_getpc2429:
	s_add_u32 s14, s14, (.LBB1_9720-.Lpost_getpc2429)&4294967295
	s_addc_u32 s15, s15, (.LBB1_9720-.Lpost_getpc2429)>>32
	s_setpc_b64 s[14:15]
.LBB1_24057:
	s_movk_i32 s4, 0x80
	v_cmp_eq_u16_sdwa s[12:13], v9, s4 src0_sel:BYTE_3 src1_sel:DWORD
	s_mov_b64 s[4:5], -1
                                        ; implicit-def: $sgpr10
	s_and_saveexec_b64 s[8:9], s[12:13]
; %bb.24058:
	s_mov_b32 s10, 0x7f800001
	s_xor_b64 s[4:5], exec, -1
; %bb.24059:
	s_or_b64 exec, exec, s[8:9]
	s_and_b64 s[4:5], s[4:5], exec
	s_or_saveexec_b64 s[6:7], s[6:7]
	v_mov_b32_e32 v2, s10
	s_xor_b64 exec, exec, s[6:7]
	s_cbranch_execnz .LBB1_24060
; %bb.59897:
	s_getpc_b64 s[14:15]
.Lpost_getpc15612:
	s_add_u32 s14, s14, (.LBB1_9722-.Lpost_getpc15612)&4294967295
	s_addc_u32 s15, s15, (.LBB1_9722-.Lpost_getpc15612)>>32
	s_setpc_b64 s[14:15]
.LBB1_24060:
	v_mov_b32_e32 v2, 0
	v_cmp_ne_u16_sdwa s[8:9], v9, v2 src0_sel:BYTE_3 src1_sel:DWORD
	s_andn2_b64 s[4:5], s[4:5], exec
	s_and_b64 s[8:9], s[8:9], exec
	s_or_b64 s[4:5], s[4:5], s[8:9]
	s_or_b64 exec, exec, s[6:7]
	s_and_saveexec_b64 s[6:7], s[4:5]
	s_cbranch_execz .LBB1_33533
; %bb.59899:
	s_getpc_b64 s[14:15]
.Lpost_getpc15613:
	s_add_u32 s14, s14, (.LBB1_9723-.Lpost_getpc15613)&4294967295
	s_addc_u32 s15, s15, (.LBB1_9723-.Lpost_getpc15613)>>32
	s_setpc_b64 s[14:15]
.LBB1_33533:
	s_getpc_b64 s[14:15]
.Lpost_getpc2430:
	s_add_u32 s14, s14, (.LBB1_9724-.Lpost_getpc2430)&4294967295
	s_addc_u32 s15, s15, (.LBB1_9724-.Lpost_getpc2430)>>32
	s_setpc_b64 s[14:15]
.LBB1_24061:
	s_movk_i32 s4, 0x80
	v_cmp_eq_u16_sdwa s[12:13], v5, s4 src0_sel:BYTE_3 src1_sel:DWORD
	s_mov_b64 s[4:5], -1
                                        ; implicit-def: $sgpr10
	s_and_saveexec_b64 s[8:9], s[12:13]
; %bb.24062:
	s_mov_b32 s10, 0x7f800001
	s_xor_b64 s[4:5], exec, -1
; %bb.24063:
	s_or_b64 exec, exec, s[8:9]
	s_and_b64 s[4:5], s[4:5], exec
	s_or_saveexec_b64 s[6:7], s[6:7]
	v_mov_b32_e32 v3, s10
	s_xor_b64 exec, exec, s[6:7]
	s_cbranch_execnz .LBB1_24064
; %bb.59901:
	s_getpc_b64 s[14:15]
.Lpost_getpc15614:
	s_add_u32 s14, s14, (.LBB1_9726-.Lpost_getpc15614)&4294967295
	s_addc_u32 s15, s15, (.LBB1_9726-.Lpost_getpc15614)>>32
	s_setpc_b64 s[14:15]
.LBB1_24064:
	v_mov_b32_e32 v3, 0
	v_cmp_ne_u16_sdwa s[8:9], v5, v3 src0_sel:BYTE_3 src1_sel:DWORD
	s_andn2_b64 s[4:5], s[4:5], exec
	s_and_b64 s[8:9], s[8:9], exec
	s_or_b64 s[4:5], s[4:5], s[8:9]
	s_or_b64 exec, exec, s[6:7]
	s_and_saveexec_b64 s[6:7], s[4:5]
	s_cbranch_execz .LBB1_33535
; %bb.59903:
	s_getpc_b64 s[14:15]
.Lpost_getpc15615:
	s_add_u32 s14, s14, (.LBB1_9727-.Lpost_getpc15615)&4294967295
	s_addc_u32 s15, s15, (.LBB1_9727-.Lpost_getpc15615)>>32
	s_setpc_b64 s[14:15]
.LBB1_33535:
	s_getpc_b64 s[14:15]
.Lpost_getpc2431:
	s_add_u32 s14, s14, (.LBB1_9728-.Lpost_getpc2431)&4294967295
	s_addc_u32 s15, s15, (.LBB1_9728-.Lpost_getpc2431)>>32
	s_setpc_b64 s[14:15]
.LBB1_24065:
	s_movk_i32 s4, 0x80
	v_cmp_eq_u16_sdwa s[12:13], v6, s4 src0_sel:BYTE_0 src1_sel:DWORD
	s_mov_b64 s[4:5], -1
                                        ; implicit-def: $sgpr10
	s_and_saveexec_b64 s[8:9], s[12:13]
; %bb.24066:
	s_mov_b32 s10, 0x7f800001
	s_xor_b64 s[4:5], exec, -1
; %bb.24067:
	s_or_b64 exec, exec, s[8:9]
	s_and_b64 s[4:5], s[4:5], exec
	s_or_saveexec_b64 s[6:7], s[6:7]
	v_mov_b32_e32 v12, s10
	s_xor_b64 exec, exec, s[6:7]
	s_cbranch_execnz .LBB1_24068
; %bb.59905:
	s_getpc_b64 s[14:15]
.Lpost_getpc15616:
	s_add_u32 s14, s14, (.LBB1_9730-.Lpost_getpc15616)&4294967295
	s_addc_u32 s15, s15, (.LBB1_9730-.Lpost_getpc15616)>>32
	s_setpc_b64 s[14:15]
.LBB1_24068:
	v_mov_b32_e32 v12, 0
	v_cmp_ne_u16_sdwa s[8:9], v6, v12 src0_sel:BYTE_0 src1_sel:DWORD
	s_andn2_b64 s[4:5], s[4:5], exec
	s_and_b64 s[8:9], s[8:9], exec
	s_or_b64 s[4:5], s[4:5], s[8:9]
	s_or_b64 exec, exec, s[6:7]
	s_and_saveexec_b64 s[6:7], s[4:5]
	s_cbranch_execz .LBB1_33537
; %bb.59907:
	s_getpc_b64 s[14:15]
.Lpost_getpc15617:
	s_add_u32 s14, s14, (.LBB1_9731-.Lpost_getpc15617)&4294967295
	s_addc_u32 s15, s15, (.LBB1_9731-.Lpost_getpc15617)>>32
	s_setpc_b64 s[14:15]
.LBB1_33537:
	s_getpc_b64 s[14:15]
.Lpost_getpc2432:
	s_add_u32 s14, s14, (.LBB1_9732-.Lpost_getpc2432)&4294967295
	s_addc_u32 s15, s15, (.LBB1_9732-.Lpost_getpc2432)>>32
	s_setpc_b64 s[14:15]
.LBB1_24069:
	s_movk_i32 s4, 0x80
	v_cmp_eq_u16_sdwa s[12:13], v2, s4 src0_sel:BYTE_0 src1_sel:DWORD
	s_mov_b64 s[4:5], -1
                                        ; implicit-def: $sgpr10
	s_and_saveexec_b64 s[8:9], s[12:13]
; %bb.24070:
	s_mov_b32 s10, 0x7f800001
	s_xor_b64 s[4:5], exec, -1
; %bb.24071:
	s_or_b64 exec, exec, s[8:9]
	s_and_b64 s[4:5], s[4:5], exec
	s_or_saveexec_b64 s[6:7], s[6:7]
	v_mov_b32_e32 v13, s10
	s_xor_b64 exec, exec, s[6:7]
	s_cbranch_execnz .LBB1_24072
; %bb.59909:
	s_getpc_b64 s[14:15]
.Lpost_getpc15618:
	s_add_u32 s14, s14, (.LBB1_9734-.Lpost_getpc15618)&4294967295
	s_addc_u32 s15, s15, (.LBB1_9734-.Lpost_getpc15618)>>32
	s_setpc_b64 s[14:15]
.LBB1_24072:
	v_mov_b32_e32 v13, 0
	v_cmp_ne_u16_sdwa s[8:9], v2, v13 src0_sel:BYTE_0 src1_sel:DWORD
	s_andn2_b64 s[4:5], s[4:5], exec
	s_and_b64 s[8:9], s[8:9], exec
	s_or_b64 s[4:5], s[4:5], s[8:9]
	s_or_b64 exec, exec, s[6:7]
	s_and_saveexec_b64 s[6:7], s[4:5]
	s_cbranch_execz .LBB1_33539
; %bb.59911:
	s_getpc_b64 s[14:15]
.Lpost_getpc15619:
	s_add_u32 s14, s14, (.LBB1_9735-.Lpost_getpc15619)&4294967295
	s_addc_u32 s15, s15, (.LBB1_9735-.Lpost_getpc15619)>>32
	s_setpc_b64 s[14:15]
.LBB1_33539:
	s_getpc_b64 s[14:15]
.Lpost_getpc2433:
	s_add_u32 s14, s14, (.LBB1_9736-.Lpost_getpc2433)&4294967295
	s_addc_u32 s15, s15, (.LBB1_9736-.Lpost_getpc2433)>>32
	s_setpc_b64 s[14:15]
.LBB1_24073:
	s_movk_i32 s4, 0x80
	v_cmp_eq_u16_sdwa s[12:13], v13, s4 src0_sel:BYTE_0 src1_sel:DWORD
	s_mov_b64 s[4:5], -1
                                        ; implicit-def: $sgpr10
	s_and_saveexec_b64 s[8:9], s[12:13]
; %bb.24074:
	s_mov_b32 s10, 0x7f800001
	s_xor_b64 s[4:5], exec, -1
; %bb.24075:
	s_or_b64 exec, exec, s[8:9]
	s_and_b64 s[4:5], s[4:5], exec
	s_or_saveexec_b64 s[6:7], s[6:7]
	v_mov_b32_e32 v12, s10
	s_xor_b64 exec, exec, s[6:7]
	s_cbranch_execnz .LBB1_24076
; %bb.59913:
	s_getpc_b64 s[14:15]
.Lpost_getpc15620:
	s_add_u32 s14, s14, (.LBB1_9738-.Lpost_getpc15620)&4294967295
	s_addc_u32 s15, s15, (.LBB1_9738-.Lpost_getpc15620)>>32
	s_setpc_b64 s[14:15]
.LBB1_24076:
	v_mov_b32_e32 v12, 0
	v_cmp_ne_u16_sdwa s[8:9], v13, v12 src0_sel:BYTE_0 src1_sel:DWORD
	s_andn2_b64 s[4:5], s[4:5], exec
	s_and_b64 s[8:9], s[8:9], exec
	s_or_b64 s[4:5], s[4:5], s[8:9]
	s_or_b64 exec, exec, s[6:7]
	s_and_saveexec_b64 s[6:7], s[4:5]
	s_cbranch_execz .LBB1_33541
; %bb.59915:
	s_getpc_b64 s[14:15]
.Lpost_getpc15621:
	s_add_u32 s14, s14, (.LBB1_9739-.Lpost_getpc15621)&4294967295
	s_addc_u32 s15, s15, (.LBB1_9739-.Lpost_getpc15621)>>32
	s_setpc_b64 s[14:15]
.LBB1_33541:
	s_getpc_b64 s[14:15]
.Lpost_getpc2434:
	s_add_u32 s14, s14, (.LBB1_9740-.Lpost_getpc2434)&4294967295
	s_addc_u32 s15, s15, (.LBB1_9740-.Lpost_getpc2434)>>32
	s_setpc_b64 s[14:15]
.LBB1_24077:
	s_movk_i32 s4, 0x80
	v_cmp_eq_u16_sdwa s[12:13], v13, s4 src0_sel:BYTE_0 src1_sel:DWORD
	s_mov_b64 s[4:5], -1
                                        ; implicit-def: $sgpr10
	s_and_saveexec_b64 s[8:9], s[12:13]
; %bb.24078:
	s_mov_b32 s10, 0x7f800001
	s_xor_b64 s[4:5], exec, -1
; %bb.24079:
	s_or_b64 exec, exec, s[8:9]
	s_and_b64 s[4:5], s[4:5], exec
	s_or_saveexec_b64 s[6:7], s[6:7]
	v_mov_b32_e32 v14, s10
	s_xor_b64 exec, exec, s[6:7]
	s_cbranch_execnz .LBB1_24080
; %bb.59917:
	s_getpc_b64 s[14:15]
.Lpost_getpc15622:
	s_add_u32 s14, s14, (.LBB1_9742-.Lpost_getpc15622)&4294967295
	s_addc_u32 s15, s15, (.LBB1_9742-.Lpost_getpc15622)>>32
	s_setpc_b64 s[14:15]
.LBB1_24080:
	v_mov_b32_e32 v14, 0
	v_cmp_ne_u16_sdwa s[8:9], v13, v14 src0_sel:BYTE_0 src1_sel:DWORD
	s_andn2_b64 s[4:5], s[4:5], exec
	s_and_b64 s[8:9], s[8:9], exec
	s_or_b64 s[4:5], s[4:5], s[8:9]
	s_or_b64 exec, exec, s[6:7]
	s_and_saveexec_b64 s[6:7], s[4:5]
	s_cbranch_execz .LBB1_33543
; %bb.59919:
	s_getpc_b64 s[14:15]
.Lpost_getpc15623:
	s_add_u32 s14, s14, (.LBB1_9743-.Lpost_getpc15623)&4294967295
	s_addc_u32 s15, s15, (.LBB1_9743-.Lpost_getpc15623)>>32
	s_setpc_b64 s[14:15]
.LBB1_33543:
	s_getpc_b64 s[14:15]
.Lpost_getpc2435:
	s_add_u32 s14, s14, (.LBB1_9744-.Lpost_getpc2435)&4294967295
	s_addc_u32 s15, s15, (.LBB1_9744-.Lpost_getpc2435)>>32
	s_setpc_b64 s[14:15]
.LBB1_24081:
	s_movk_i32 s4, 0x80
	v_cmp_eq_u16_e32 vcc, s4, v13
	s_mov_b64 s[4:5], -1
                                        ; implicit-def: $sgpr10
	s_and_saveexec_b64 s[8:9], vcc
; %bb.24082:
	s_mov_b32 s10, 0x7f800001
	s_xor_b64 s[4:5], exec, -1
; %bb.24083:
	s_or_b64 exec, exec, s[8:9]
	s_and_b64 s[4:5], s[4:5], exec
                                        ; implicit-def: $vgpr13
	s_or_saveexec_b64 s[6:7], s[6:7]
	v_mov_b32_e32 v12, s10
	s_xor_b64 exec, exec, s[6:7]
	s_cbranch_execnz .LBB1_24084
; %bb.59921:
	s_getpc_b64 s[14:15]
.Lpost_getpc15624:
	s_add_u32 s14, s14, (.LBB1_9746-.Lpost_getpc15624)&4294967295
	s_addc_u32 s15, s15, (.LBB1_9746-.Lpost_getpc15624)>>32
	s_setpc_b64 s[14:15]
.LBB1_24084:
	v_cmp_ne_u16_e32 vcc, 0, v13
	s_andn2_b64 s[4:5], s[4:5], exec
	s_and_b64 s[8:9], vcc, exec
	v_mov_b32_e32 v12, 0
	s_or_b64 s[4:5], s[4:5], s[8:9]
	s_or_b64 exec, exec, s[6:7]
	s_and_saveexec_b64 s[6:7], s[4:5]
	s_cbranch_execz .LBB1_33545
; %bb.59923:
	s_getpc_b64 s[14:15]
.Lpost_getpc15625:
	s_add_u32 s14, s14, (.LBB1_9747-.Lpost_getpc15625)&4294967295
	s_addc_u32 s15, s15, (.LBB1_9747-.Lpost_getpc15625)>>32
	s_setpc_b64 s[14:15]
.LBB1_33545:
	s_getpc_b64 s[14:15]
.Lpost_getpc2436:
	s_add_u32 s14, s14, (.LBB1_9748-.Lpost_getpc2436)&4294967295
	s_addc_u32 s15, s15, (.LBB1_9748-.Lpost_getpc2436)>>32
	s_setpc_b64 s[14:15]
.LBB1_24085:
	s_movk_i32 s4, 0x80
	v_cmp_eq_u16_e32 vcc, s4, v13
	s_mov_b64 s[4:5], -1
                                        ; implicit-def: $sgpr10
	s_and_saveexec_b64 s[8:9], vcc
; %bb.24086:
	s_mov_b32 s10, 0x7f800001
	s_xor_b64 s[4:5], exec, -1
; %bb.24087:
	s_or_b64 exec, exec, s[8:9]
	s_and_b64 s[4:5], s[4:5], exec
                                        ; implicit-def: $vgpr13
	s_or_saveexec_b64 s[6:7], s[6:7]
	v_mov_b32_e32 v14, s10
	s_xor_b64 exec, exec, s[6:7]
	s_cbranch_execnz .LBB1_24088
; %bb.59925:
	s_getpc_b64 s[14:15]
.Lpost_getpc15626:
	s_add_u32 s14, s14, (.LBB1_9750-.Lpost_getpc15626)&4294967295
	s_addc_u32 s15, s15, (.LBB1_9750-.Lpost_getpc15626)>>32
	s_setpc_b64 s[14:15]
.LBB1_24088:
	v_cmp_ne_u16_e32 vcc, 0, v13
	s_andn2_b64 s[4:5], s[4:5], exec
	s_and_b64 s[8:9], vcc, exec
	v_mov_b32_e32 v14, 0
	s_or_b64 s[4:5], s[4:5], s[8:9]
	s_or_b64 exec, exec, s[6:7]
	s_and_saveexec_b64 s[6:7], s[4:5]
	s_cbranch_execz .LBB1_33547
; %bb.59927:
	s_getpc_b64 s[14:15]
.Lpost_getpc15627:
	s_add_u32 s14, s14, (.LBB1_9751-.Lpost_getpc15627)&4294967295
	s_addc_u32 s15, s15, (.LBB1_9751-.Lpost_getpc15627)>>32
	s_setpc_b64 s[14:15]
.LBB1_33547:
	s_getpc_b64 s[14:15]
.Lpost_getpc2437:
	s_add_u32 s14, s14, (.LBB1_9752-.Lpost_getpc2437)&4294967295
	s_addc_u32 s15, s15, (.LBB1_9752-.Lpost_getpc2437)>>32
	s_setpc_b64 s[14:15]
.LBB1_24089:
	s_movk_i32 s4, 0x80
	v_cmp_eq_u16_sdwa s[12:13], v6, s4 src0_sel:BYTE_3 src1_sel:DWORD
	s_mov_b64 s[4:5], -1
                                        ; implicit-def: $sgpr10
	s_and_saveexec_b64 s[8:9], s[12:13]
; %bb.24090:
	s_mov_b32 s10, 0x7f800001
	s_xor_b64 s[4:5], exec, -1
; %bb.24091:
	s_or_b64 exec, exec, s[8:9]
	s_and_b64 s[4:5], s[4:5], exec
	s_or_saveexec_b64 s[6:7], s[6:7]
	v_mov_b32_e32 v12, s10
	s_xor_b64 exec, exec, s[6:7]
	s_cbranch_execnz .LBB1_24092
; %bb.59929:
	s_getpc_b64 s[14:15]
.Lpost_getpc15628:
	s_add_u32 s14, s14, (.LBB1_9754-.Lpost_getpc15628)&4294967295
	s_addc_u32 s15, s15, (.LBB1_9754-.Lpost_getpc15628)>>32
	s_setpc_b64 s[14:15]
.LBB1_24092:
	v_mov_b32_e32 v12, 0
	v_cmp_ne_u16_sdwa s[8:9], v6, v12 src0_sel:BYTE_3 src1_sel:DWORD
	s_andn2_b64 s[4:5], s[4:5], exec
	s_and_b64 s[8:9], s[8:9], exec
	s_or_b64 s[4:5], s[4:5], s[8:9]
	s_or_b64 exec, exec, s[6:7]
	s_and_saveexec_b64 s[6:7], s[4:5]
	s_cbranch_execz .LBB1_33549
; %bb.59931:
	s_getpc_b64 s[14:15]
.Lpost_getpc15629:
	s_add_u32 s14, s14, (.LBB1_9755-.Lpost_getpc15629)&4294967295
	s_addc_u32 s15, s15, (.LBB1_9755-.Lpost_getpc15629)>>32
	s_setpc_b64 s[14:15]
.LBB1_33549:
	s_getpc_b64 s[14:15]
.Lpost_getpc2438:
	s_add_u32 s14, s14, (.LBB1_9756-.Lpost_getpc2438)&4294967295
	s_addc_u32 s15, s15, (.LBB1_9756-.Lpost_getpc2438)>>32
	s_setpc_b64 s[14:15]
.LBB1_24093:
	s_movk_i32 s4, 0x80
	v_cmp_eq_u16_sdwa s[12:13], v2, s4 src0_sel:BYTE_3 src1_sel:DWORD
	s_mov_b64 s[4:5], -1
                                        ; implicit-def: $sgpr10
	s_and_saveexec_b64 s[8:9], s[12:13]
; %bb.24094:
	s_mov_b32 s10, 0x7f800001
	s_xor_b64 s[4:5], exec, -1
; %bb.24095:
	s_or_b64 exec, exec, s[8:9]
	s_and_b64 s[4:5], s[4:5], exec
	s_or_saveexec_b64 s[6:7], s[6:7]
	v_mov_b32_e32 v6, s10
	s_xor_b64 exec, exec, s[6:7]
	s_cbranch_execnz .LBB1_24096
; %bb.59933:
	s_getpc_b64 s[14:15]
.Lpost_getpc15630:
	s_add_u32 s14, s14, (.LBB1_9758-.Lpost_getpc15630)&4294967295
	s_addc_u32 s15, s15, (.LBB1_9758-.Lpost_getpc15630)>>32
	s_setpc_b64 s[14:15]
.LBB1_24096:
	v_mov_b32_e32 v6, 0
	v_cmp_ne_u16_sdwa s[8:9], v2, v6 src0_sel:BYTE_3 src1_sel:DWORD
	s_andn2_b64 s[4:5], s[4:5], exec
	s_and_b64 s[8:9], s[8:9], exec
	s_or_b64 s[4:5], s[4:5], s[8:9]
	s_or_b64 exec, exec, s[6:7]
	s_and_saveexec_b64 s[6:7], s[4:5]
	s_cbranch_execz .LBB1_33551
; %bb.59935:
	s_getpc_b64 s[14:15]
.Lpost_getpc15631:
	s_add_u32 s14, s14, (.LBB1_9759-.Lpost_getpc15631)&4294967295
	s_addc_u32 s15, s15, (.LBB1_9759-.Lpost_getpc15631)>>32
	s_setpc_b64 s[14:15]
.LBB1_33551:
	s_getpc_b64 s[14:15]
.Lpost_getpc2439:
	s_add_u32 s14, s14, (.LBB1_9760-.Lpost_getpc2439)&4294967295
	s_addc_u32 s15, s15, (.LBB1_9760-.Lpost_getpc2439)>>32
	s_setpc_b64 s[14:15]
.LBB1_24097:
	s_movk_i32 s4, 0x80
	v_cmp_eq_u16_sdwa s[12:13], v7, s4 src0_sel:BYTE_0 src1_sel:DWORD
	s_mov_b64 s[4:5], -1
                                        ; implicit-def: $sgpr10
	s_and_saveexec_b64 s[8:9], s[12:13]
; %bb.24098:
	s_mov_b32 s10, 0x7f800001
	s_xor_b64 s[4:5], exec, -1
; %bb.24099:
	s_or_b64 exec, exec, s[8:9]
	s_and_b64 s[4:5], s[4:5], exec
	s_or_saveexec_b64 s[6:7], s[6:7]
	v_mov_b32_e32 v2, s10
	s_xor_b64 exec, exec, s[6:7]
	s_cbranch_execnz .LBB1_24100
; %bb.59937:
	s_getpc_b64 s[14:15]
.Lpost_getpc15632:
	s_add_u32 s14, s14, (.LBB1_9762-.Lpost_getpc15632)&4294967295
	s_addc_u32 s15, s15, (.LBB1_9762-.Lpost_getpc15632)>>32
	s_setpc_b64 s[14:15]
.LBB1_24100:
	v_mov_b32_e32 v2, 0
	v_cmp_ne_u16_sdwa s[8:9], v7, v2 src0_sel:BYTE_0 src1_sel:DWORD
	s_andn2_b64 s[4:5], s[4:5], exec
	s_and_b64 s[8:9], s[8:9], exec
	s_or_b64 s[4:5], s[4:5], s[8:9]
	s_or_b64 exec, exec, s[6:7]
	s_and_saveexec_b64 s[6:7], s[4:5]
	s_cbranch_execz .LBB1_33553
; %bb.59939:
	s_getpc_b64 s[14:15]
.Lpost_getpc15633:
	s_add_u32 s14, s14, (.LBB1_9763-.Lpost_getpc15633)&4294967295
	s_addc_u32 s15, s15, (.LBB1_9763-.Lpost_getpc15633)>>32
	s_setpc_b64 s[14:15]
.LBB1_33553:
	s_getpc_b64 s[14:15]
.Lpost_getpc2440:
	s_add_u32 s14, s14, (.LBB1_9764-.Lpost_getpc2440)&4294967295
	s_addc_u32 s15, s15, (.LBB1_9764-.Lpost_getpc2440)>>32
	s_setpc_b64 s[14:15]
.LBB1_24101:
	s_movk_i32 s4, 0x80
	v_cmp_eq_u16_sdwa s[12:13], v3, s4 src0_sel:BYTE_0 src1_sel:DWORD
	s_mov_b64 s[4:5], -1
                                        ; implicit-def: $sgpr10
	s_and_saveexec_b64 s[8:9], s[12:13]
; %bb.24102:
	s_mov_b32 s10, 0x7f800001
	s_xor_b64 s[4:5], exec, -1
; %bb.24103:
	s_or_b64 exec, exec, s[8:9]
	s_and_b64 s[4:5], s[4:5], exec
	s_or_saveexec_b64 s[6:7], s[6:7]
	v_mov_b32_e32 v6, s10
	s_xor_b64 exec, exec, s[6:7]
	s_cbranch_execnz .LBB1_24104
; %bb.59941:
	s_getpc_b64 s[14:15]
.Lpost_getpc15634:
	s_add_u32 s14, s14, (.LBB1_9766-.Lpost_getpc15634)&4294967295
	s_addc_u32 s15, s15, (.LBB1_9766-.Lpost_getpc15634)>>32
	s_setpc_b64 s[14:15]
.LBB1_24104:
	v_mov_b32_e32 v6, 0
	v_cmp_ne_u16_sdwa s[8:9], v3, v6 src0_sel:BYTE_0 src1_sel:DWORD
	s_andn2_b64 s[4:5], s[4:5], exec
	s_and_b64 s[8:9], s[8:9], exec
	s_or_b64 s[4:5], s[4:5], s[8:9]
	s_or_b64 exec, exec, s[6:7]
	s_and_saveexec_b64 s[6:7], s[4:5]
	s_cbranch_execz .LBB1_33555
; %bb.59943:
	s_getpc_b64 s[14:15]
.Lpost_getpc15635:
	s_add_u32 s14, s14, (.LBB1_9767-.Lpost_getpc15635)&4294967295
	s_addc_u32 s15, s15, (.LBB1_9767-.Lpost_getpc15635)>>32
	s_setpc_b64 s[14:15]
.LBB1_33555:
	s_getpc_b64 s[14:15]
.Lpost_getpc2441:
	s_add_u32 s14, s14, (.LBB1_9768-.Lpost_getpc2441)&4294967295
	s_addc_u32 s15, s15, (.LBB1_9768-.Lpost_getpc2441)>>32
	s_setpc_b64 s[14:15]
.LBB1_24105:
	s_movk_i32 s4, 0x80
	v_cmp_eq_u16_sdwa s[12:13], v6, s4 src0_sel:BYTE_0 src1_sel:DWORD
	s_mov_b64 s[4:5], -1
                                        ; implicit-def: $sgpr10
	s_and_saveexec_b64 s[8:9], s[12:13]
; %bb.24106:
	s_mov_b32 s10, 0x7f800001
	s_xor_b64 s[4:5], exec, -1
; %bb.24107:
	s_or_b64 exec, exec, s[8:9]
	s_and_b64 s[4:5], s[4:5], exec
	s_or_saveexec_b64 s[6:7], s[6:7]
	v_mov_b32_e32 v2, s10
	s_xor_b64 exec, exec, s[6:7]
	s_cbranch_execnz .LBB1_24108
; %bb.59945:
	s_getpc_b64 s[14:15]
.Lpost_getpc15636:
	s_add_u32 s14, s14, (.LBB1_9770-.Lpost_getpc15636)&4294967295
	s_addc_u32 s15, s15, (.LBB1_9770-.Lpost_getpc15636)>>32
	s_setpc_b64 s[14:15]
.LBB1_24108:
	v_mov_b32_e32 v2, 0
	v_cmp_ne_u16_sdwa s[8:9], v6, v2 src0_sel:BYTE_0 src1_sel:DWORD
	s_andn2_b64 s[4:5], s[4:5], exec
	s_and_b64 s[8:9], s[8:9], exec
	s_or_b64 s[4:5], s[4:5], s[8:9]
	s_or_b64 exec, exec, s[6:7]
	s_and_saveexec_b64 s[6:7], s[4:5]
	s_cbranch_execz .LBB1_33557
; %bb.59947:
	s_getpc_b64 s[14:15]
.Lpost_getpc15637:
	s_add_u32 s14, s14, (.LBB1_9771-.Lpost_getpc15637)&4294967295
	s_addc_u32 s15, s15, (.LBB1_9771-.Lpost_getpc15637)>>32
	s_setpc_b64 s[14:15]
.LBB1_33557:
	s_getpc_b64 s[14:15]
.Lpost_getpc2442:
	s_add_u32 s14, s14, (.LBB1_9772-.Lpost_getpc2442)&4294967295
	s_addc_u32 s15, s15, (.LBB1_9772-.Lpost_getpc2442)>>32
	s_setpc_b64 s[14:15]
.LBB1_24109:
	s_movk_i32 s4, 0x80
	v_cmp_eq_u16_sdwa s[12:13], v6, s4 src0_sel:BYTE_0 src1_sel:DWORD
	s_mov_b64 s[4:5], -1
                                        ; implicit-def: $sgpr10
	s_and_saveexec_b64 s[8:9], s[12:13]
; %bb.24110:
	s_mov_b32 s10, 0x7f800001
	s_xor_b64 s[4:5], exec, -1
; %bb.24111:
	s_or_b64 exec, exec, s[8:9]
	s_and_b64 s[4:5], s[4:5], exec
	s_or_saveexec_b64 s[6:7], s[6:7]
	v_mov_b32_e32 v12, s10
	s_xor_b64 exec, exec, s[6:7]
	s_cbranch_execnz .LBB1_24112
; %bb.59949:
	s_getpc_b64 s[14:15]
.Lpost_getpc15638:
	s_add_u32 s14, s14, (.LBB1_9774-.Lpost_getpc15638)&4294967295
	s_addc_u32 s15, s15, (.LBB1_9774-.Lpost_getpc15638)>>32
	s_setpc_b64 s[14:15]
.LBB1_24112:
	v_mov_b32_e32 v12, 0
	v_cmp_ne_u16_sdwa s[8:9], v6, v12 src0_sel:BYTE_0 src1_sel:DWORD
	s_andn2_b64 s[4:5], s[4:5], exec
	s_and_b64 s[8:9], s[8:9], exec
	s_or_b64 s[4:5], s[4:5], s[8:9]
	s_or_b64 exec, exec, s[6:7]
	s_and_saveexec_b64 s[6:7], s[4:5]
	s_cbranch_execz .LBB1_33559
; %bb.59951:
	s_getpc_b64 s[14:15]
.Lpost_getpc15639:
	s_add_u32 s14, s14, (.LBB1_9775-.Lpost_getpc15639)&4294967295
	s_addc_u32 s15, s15, (.LBB1_9775-.Lpost_getpc15639)>>32
	s_setpc_b64 s[14:15]
.LBB1_33559:
	s_getpc_b64 s[14:15]
.Lpost_getpc2443:
	s_add_u32 s14, s14, (.LBB1_9776-.Lpost_getpc2443)&4294967295
	s_addc_u32 s15, s15, (.LBB1_9776-.Lpost_getpc2443)>>32
	s_setpc_b64 s[14:15]
.LBB1_24113:
	s_movk_i32 s4, 0x80
	v_cmp_eq_u16_e32 vcc, s4, v6
	s_mov_b64 s[4:5], -1
                                        ; implicit-def: $sgpr10
	s_and_saveexec_b64 s[8:9], vcc
; %bb.24114:
	s_mov_b32 s10, 0x7f800001
	s_xor_b64 s[4:5], exec, -1
; %bb.24115:
	s_or_b64 exec, exec, s[8:9]
	s_and_b64 s[4:5], s[4:5], exec
                                        ; implicit-def: $vgpr6
	s_or_saveexec_b64 s[6:7], s[6:7]
	v_mov_b32_e32 v2, s10
	s_xor_b64 exec, exec, s[6:7]
	s_cbranch_execnz .LBB1_24116
; %bb.59953:
	s_getpc_b64 s[14:15]
.Lpost_getpc15640:
	s_add_u32 s14, s14, (.LBB1_9778-.Lpost_getpc15640)&4294967295
	s_addc_u32 s15, s15, (.LBB1_9778-.Lpost_getpc15640)>>32
	s_setpc_b64 s[14:15]
.LBB1_24116:
	v_cmp_ne_u16_e32 vcc, 0, v6
	s_andn2_b64 s[4:5], s[4:5], exec
	s_and_b64 s[8:9], vcc, exec
	v_mov_b32_e32 v2, 0
	s_or_b64 s[4:5], s[4:5], s[8:9]
	s_or_b64 exec, exec, s[6:7]
	s_and_saveexec_b64 s[6:7], s[4:5]
	s_cbranch_execz .LBB1_33561
; %bb.59955:
	s_getpc_b64 s[14:15]
.Lpost_getpc15641:
	s_add_u32 s14, s14, (.LBB1_9779-.Lpost_getpc15641)&4294967295
	s_addc_u32 s15, s15, (.LBB1_9779-.Lpost_getpc15641)>>32
	s_setpc_b64 s[14:15]
.LBB1_33561:
	s_getpc_b64 s[14:15]
.Lpost_getpc2444:
	s_add_u32 s14, s14, (.LBB1_9780-.Lpost_getpc2444)&4294967295
	s_addc_u32 s15, s15, (.LBB1_9780-.Lpost_getpc2444)>>32
	s_setpc_b64 s[14:15]
.LBB1_24117:
	s_movk_i32 s4, 0x80
	v_cmp_eq_u16_e32 vcc, s4, v6
	s_mov_b64 s[4:5], -1
                                        ; implicit-def: $sgpr10
	s_and_saveexec_b64 s[8:9], vcc
; %bb.24118:
	s_mov_b32 s10, 0x7f800001
	s_xor_b64 s[4:5], exec, -1
; %bb.24119:
	s_or_b64 exec, exec, s[8:9]
	s_and_b64 s[4:5], s[4:5], exec
                                        ; implicit-def: $vgpr6
	s_or_saveexec_b64 s[6:7], s[6:7]
	v_mov_b32_e32 v12, s10
	s_xor_b64 exec, exec, s[6:7]
	s_cbranch_execnz .LBB1_24120
; %bb.59957:
	s_getpc_b64 s[14:15]
.Lpost_getpc15642:
	s_add_u32 s14, s14, (.LBB1_9782-.Lpost_getpc15642)&4294967295
	s_addc_u32 s15, s15, (.LBB1_9782-.Lpost_getpc15642)>>32
	s_setpc_b64 s[14:15]
.LBB1_24120:
	v_cmp_ne_u16_e32 vcc, 0, v6
	s_andn2_b64 s[4:5], s[4:5], exec
	s_and_b64 s[8:9], vcc, exec
	v_mov_b32_e32 v12, 0
	s_or_b64 s[4:5], s[4:5], s[8:9]
	s_or_b64 exec, exec, s[6:7]
	s_and_saveexec_b64 s[6:7], s[4:5]
	s_cbranch_execz .LBB1_33563
; %bb.59959:
	s_getpc_b64 s[14:15]
.Lpost_getpc15643:
	s_add_u32 s14, s14, (.LBB1_9783-.Lpost_getpc15643)&4294967295
	s_addc_u32 s15, s15, (.LBB1_9783-.Lpost_getpc15643)>>32
	s_setpc_b64 s[14:15]
.LBB1_33563:
	s_getpc_b64 s[14:15]
.Lpost_getpc2445:
	s_add_u32 s14, s14, (.LBB1_9784-.Lpost_getpc2445)&4294967295
	s_addc_u32 s15, s15, (.LBB1_9784-.Lpost_getpc2445)>>32
	s_setpc_b64 s[14:15]
.LBB1_24121:
	s_movk_i32 s4, 0x80
	v_cmp_eq_u16_sdwa s[12:13], v7, s4 src0_sel:BYTE_3 src1_sel:DWORD
	s_mov_b64 s[4:5], -1
                                        ; implicit-def: $sgpr10
	s_and_saveexec_b64 s[8:9], s[12:13]
; %bb.24122:
	s_mov_b32 s10, 0x7f800001
	s_xor_b64 s[4:5], exec, -1
; %bb.24123:
	s_or_b64 exec, exec, s[8:9]
	s_and_b64 s[4:5], s[4:5], exec
	s_or_saveexec_b64 s[6:7], s[6:7]
	v_mov_b32_e32 v2, s10
	s_xor_b64 exec, exec, s[6:7]
	s_cbranch_execnz .LBB1_24124
; %bb.59961:
	s_getpc_b64 s[14:15]
.Lpost_getpc15644:
	s_add_u32 s14, s14, (.LBB1_9786-.Lpost_getpc15644)&4294967295
	s_addc_u32 s15, s15, (.LBB1_9786-.Lpost_getpc15644)>>32
	s_setpc_b64 s[14:15]
.LBB1_24124:
	v_mov_b32_e32 v2, 0
	v_cmp_ne_u16_sdwa s[8:9], v7, v2 src0_sel:BYTE_3 src1_sel:DWORD
	s_andn2_b64 s[4:5], s[4:5], exec
	s_and_b64 s[8:9], s[8:9], exec
	s_or_b64 s[4:5], s[4:5], s[8:9]
	s_or_b64 exec, exec, s[6:7]
	s_and_saveexec_b64 s[6:7], s[4:5]
	s_cbranch_execz .LBB1_33565
; %bb.59963:
	s_getpc_b64 s[14:15]
.Lpost_getpc15645:
	s_add_u32 s14, s14, (.LBB1_9787-.Lpost_getpc15645)&4294967295
	s_addc_u32 s15, s15, (.LBB1_9787-.Lpost_getpc15645)>>32
	s_setpc_b64 s[14:15]
.LBB1_33565:
	s_getpc_b64 s[14:15]
.Lpost_getpc2446:
	s_add_u32 s14, s14, (.LBB1_9788-.Lpost_getpc2446)&4294967295
	s_addc_u32 s15, s15, (.LBB1_9788-.Lpost_getpc2446)>>32
	s_setpc_b64 s[14:15]
.LBB1_24125:
	s_movk_i32 s4, 0x80
	v_cmp_eq_u16_sdwa s[12:13], v3, s4 src0_sel:BYTE_3 src1_sel:DWORD
	s_mov_b64 s[4:5], -1
                                        ; implicit-def: $sgpr10
	s_and_saveexec_b64 s[8:9], s[12:13]
; %bb.24126:
	s_mov_b32 s10, 0x7f800001
	s_xor_b64 s[4:5], exec, -1
; %bb.24127:
	s_or_b64 exec, exec, s[8:9]
	s_and_b64 s[4:5], s[4:5], exec
	s_or_saveexec_b64 s[6:7], s[6:7]
	v_mov_b32_e32 v6, s10
	s_xor_b64 exec, exec, s[6:7]
	s_cbranch_execnz .LBB1_24128
; %bb.59965:
	s_getpc_b64 s[14:15]
.Lpost_getpc15646:
	s_add_u32 s14, s14, (.LBB1_9790-.Lpost_getpc15646)&4294967295
	s_addc_u32 s15, s15, (.LBB1_9790-.Lpost_getpc15646)>>32
	s_setpc_b64 s[14:15]
.LBB1_24128:
	v_mov_b32_e32 v6, 0
	v_cmp_ne_u16_sdwa s[8:9], v3, v6 src0_sel:BYTE_3 src1_sel:DWORD
	s_andn2_b64 s[4:5], s[4:5], exec
	s_and_b64 s[8:9], s[8:9], exec
	s_or_b64 s[4:5], s[4:5], s[8:9]
	s_or_b64 exec, exec, s[6:7]
	s_and_saveexec_b64 s[6:7], s[4:5]
	s_cbranch_execz .LBB1_33567
; %bb.59967:
	s_getpc_b64 s[14:15]
.Lpost_getpc15647:
	s_add_u32 s14, s14, (.LBB1_9791-.Lpost_getpc15647)&4294967295
	s_addc_u32 s15, s15, (.LBB1_9791-.Lpost_getpc15647)>>32
	s_setpc_b64 s[14:15]
.LBB1_33567:
	s_getpc_b64 s[14:15]
.Lpost_getpc2447:
	s_add_u32 s14, s14, (.LBB1_9792-.Lpost_getpc2447)&4294967295
	s_addc_u32 s15, s15, (.LBB1_9792-.Lpost_getpc2447)>>32
	s_setpc_b64 s[14:15]
.LBB1_24129:
	s_movk_i32 s4, 0x80
	v_cmp_eq_u16_sdwa s[12:13], v8, s4 src0_sel:BYTE_0 src1_sel:DWORD
	s_mov_b64 s[4:5], -1
                                        ; implicit-def: $sgpr10
	s_and_saveexec_b64 s[8:9], s[12:13]
; %bb.24130:
	s_mov_b32 s10, 0x7f800001
	s_xor_b64 s[4:5], exec, -1
; %bb.24131:
	s_or_b64 exec, exec, s[8:9]
	s_and_b64 s[4:5], s[4:5], exec
	s_or_saveexec_b64 s[6:7], s[6:7]
	v_mov_b32_e32 v2, s10
	s_xor_b64 exec, exec, s[6:7]
	s_cbranch_execnz .LBB1_24132
; %bb.59969:
	s_getpc_b64 s[14:15]
.Lpost_getpc15648:
	s_add_u32 s14, s14, (.LBB1_9794-.Lpost_getpc15648)&4294967295
	s_addc_u32 s15, s15, (.LBB1_9794-.Lpost_getpc15648)>>32
	s_setpc_b64 s[14:15]
.LBB1_24132:
	v_mov_b32_e32 v2, 0
	v_cmp_ne_u16_sdwa s[8:9], v8, v2 src0_sel:BYTE_0 src1_sel:DWORD
	s_andn2_b64 s[4:5], s[4:5], exec
	s_and_b64 s[8:9], s[8:9], exec
	s_or_b64 s[4:5], s[4:5], s[8:9]
	s_or_b64 exec, exec, s[6:7]
	s_and_saveexec_b64 s[6:7], s[4:5]
	s_cbranch_execz .LBB1_33569
; %bb.59971:
	s_getpc_b64 s[14:15]
.Lpost_getpc15649:
	s_add_u32 s14, s14, (.LBB1_9795-.Lpost_getpc15649)&4294967295
	s_addc_u32 s15, s15, (.LBB1_9795-.Lpost_getpc15649)>>32
	s_setpc_b64 s[14:15]
.LBB1_33569:
	s_getpc_b64 s[14:15]
.Lpost_getpc2448:
	s_add_u32 s14, s14, (.LBB1_9796-.Lpost_getpc2448)&4294967295
	s_addc_u32 s15, s15, (.LBB1_9796-.Lpost_getpc2448)>>32
	s_setpc_b64 s[14:15]
.LBB1_24133:
	s_movk_i32 s4, 0x80
	v_cmp_eq_u16_sdwa s[12:13], v4, s4 src0_sel:BYTE_0 src1_sel:DWORD
	s_mov_b64 s[4:5], -1
                                        ; implicit-def: $sgpr10
	s_and_saveexec_b64 s[8:9], s[12:13]
; %bb.24134:
	s_mov_b32 s10, 0x7f800001
	s_xor_b64 s[4:5], exec, -1
; %bb.24135:
	s_or_b64 exec, exec, s[8:9]
	s_and_b64 s[4:5], s[4:5], exec
	s_or_saveexec_b64 s[6:7], s[6:7]
	v_mov_b32_e32 v3, s10
	s_xor_b64 exec, exec, s[6:7]
	s_cbranch_execnz .LBB1_24136
; %bb.59973:
	s_getpc_b64 s[14:15]
.Lpost_getpc15650:
	s_add_u32 s14, s14, (.LBB1_9798-.Lpost_getpc15650)&4294967295
	s_addc_u32 s15, s15, (.LBB1_9798-.Lpost_getpc15650)>>32
	s_setpc_b64 s[14:15]
.LBB1_24136:
	v_mov_b32_e32 v3, 0
	v_cmp_ne_u16_sdwa s[8:9], v4, v3 src0_sel:BYTE_0 src1_sel:DWORD
	s_andn2_b64 s[4:5], s[4:5], exec
	s_and_b64 s[8:9], s[8:9], exec
	s_or_b64 s[4:5], s[4:5], s[8:9]
	s_or_b64 exec, exec, s[6:7]
	s_and_saveexec_b64 s[6:7], s[4:5]
	s_cbranch_execz .LBB1_33571
; %bb.59975:
	s_getpc_b64 s[14:15]
.Lpost_getpc15651:
	s_add_u32 s14, s14, (.LBB1_9799-.Lpost_getpc15651)&4294967295
	s_addc_u32 s15, s15, (.LBB1_9799-.Lpost_getpc15651)>>32
	s_setpc_b64 s[14:15]
.LBB1_33571:
	s_getpc_b64 s[14:15]
.Lpost_getpc2449:
	s_add_u32 s14, s14, (.LBB1_9800-.Lpost_getpc2449)&4294967295
	s_addc_u32 s15, s15, (.LBB1_9800-.Lpost_getpc2449)>>32
	s_setpc_b64 s[14:15]
.LBB1_24137:
	s_movk_i32 s4, 0x80
	v_cmp_eq_u16_sdwa s[12:13], v3, s4 src0_sel:BYTE_0 src1_sel:DWORD
	s_mov_b64 s[4:5], -1
                                        ; implicit-def: $sgpr10
	s_and_saveexec_b64 s[8:9], s[12:13]
; %bb.24138:
	s_mov_b32 s10, 0x7f800001
	s_xor_b64 s[4:5], exec, -1
; %bb.24139:
	s_or_b64 exec, exec, s[8:9]
	s_and_b64 s[4:5], s[4:5], exec
	s_or_saveexec_b64 s[6:7], s[6:7]
	v_mov_b32_e32 v2, s10
	s_xor_b64 exec, exec, s[6:7]
	s_cbranch_execnz .LBB1_24140
; %bb.59977:
	s_getpc_b64 s[14:15]
.Lpost_getpc15652:
	s_add_u32 s14, s14, (.LBB1_9802-.Lpost_getpc15652)&4294967295
	s_addc_u32 s15, s15, (.LBB1_9802-.Lpost_getpc15652)>>32
	s_setpc_b64 s[14:15]
.LBB1_24140:
	v_mov_b32_e32 v2, 0
	v_cmp_ne_u16_sdwa s[8:9], v3, v2 src0_sel:BYTE_0 src1_sel:DWORD
	s_andn2_b64 s[4:5], s[4:5], exec
	s_and_b64 s[8:9], s[8:9], exec
	s_or_b64 s[4:5], s[4:5], s[8:9]
	s_or_b64 exec, exec, s[6:7]
	s_and_saveexec_b64 s[6:7], s[4:5]
	s_cbranch_execz .LBB1_33573
; %bb.59979:
	s_getpc_b64 s[14:15]
.Lpost_getpc15653:
	s_add_u32 s14, s14, (.LBB1_9803-.Lpost_getpc15653)&4294967295
	s_addc_u32 s15, s15, (.LBB1_9803-.Lpost_getpc15653)>>32
	s_setpc_b64 s[14:15]
.LBB1_33573:
	s_getpc_b64 s[14:15]
.Lpost_getpc2450:
	s_add_u32 s14, s14, (.LBB1_9804-.Lpost_getpc2450)&4294967295
	s_addc_u32 s15, s15, (.LBB1_9804-.Lpost_getpc2450)>>32
	s_setpc_b64 s[14:15]
.LBB1_24141:
	s_movk_i32 s4, 0x80
	v_cmp_eq_u16_sdwa s[12:13], v3, s4 src0_sel:BYTE_0 src1_sel:DWORD
	s_mov_b64 s[4:5], -1
                                        ; implicit-def: $sgpr10
	s_and_saveexec_b64 s[8:9], s[12:13]
; %bb.24142:
	s_mov_b32 s10, 0x7f800001
	s_xor_b64 s[4:5], exec, -1
; %bb.24143:
	s_or_b64 exec, exec, s[8:9]
	s_and_b64 s[4:5], s[4:5], exec
	s_or_saveexec_b64 s[6:7], s[6:7]
	v_mov_b32_e32 v6, s10
	s_xor_b64 exec, exec, s[6:7]
	s_cbranch_execnz .LBB1_24144
; %bb.59981:
	s_getpc_b64 s[14:15]
.Lpost_getpc15654:
	s_add_u32 s14, s14, (.LBB1_9806-.Lpost_getpc15654)&4294967295
	s_addc_u32 s15, s15, (.LBB1_9806-.Lpost_getpc15654)>>32
	s_setpc_b64 s[14:15]
.LBB1_24144:
	v_mov_b32_e32 v6, 0
	v_cmp_ne_u16_sdwa s[8:9], v3, v6 src0_sel:BYTE_0 src1_sel:DWORD
	s_andn2_b64 s[4:5], s[4:5], exec
	s_and_b64 s[8:9], s[8:9], exec
	s_or_b64 s[4:5], s[4:5], s[8:9]
	s_or_b64 exec, exec, s[6:7]
	s_and_saveexec_b64 s[6:7], s[4:5]
	s_cbranch_execz .LBB1_33575
; %bb.59983:
	s_getpc_b64 s[14:15]
.Lpost_getpc15655:
	s_add_u32 s14, s14, (.LBB1_9807-.Lpost_getpc15655)&4294967295
	s_addc_u32 s15, s15, (.LBB1_9807-.Lpost_getpc15655)>>32
	s_setpc_b64 s[14:15]
.LBB1_33575:
	s_getpc_b64 s[14:15]
.Lpost_getpc2451:
	s_add_u32 s14, s14, (.LBB1_9808-.Lpost_getpc2451)&4294967295
	s_addc_u32 s15, s15, (.LBB1_9808-.Lpost_getpc2451)>>32
	s_setpc_b64 s[14:15]
.LBB1_24145:
	s_movk_i32 s4, 0x80
	v_cmp_eq_u16_e32 vcc, s4, v3
	s_mov_b64 s[4:5], -1
                                        ; implicit-def: $sgpr10
	s_and_saveexec_b64 s[8:9], vcc
; %bb.24146:
	s_mov_b32 s10, 0x7f800001
	s_xor_b64 s[4:5], exec, -1
; %bb.24147:
	s_or_b64 exec, exec, s[8:9]
	s_and_b64 s[4:5], s[4:5], exec
                                        ; implicit-def: $vgpr3
	s_or_saveexec_b64 s[6:7], s[6:7]
	v_mov_b32_e32 v2, s10
	s_xor_b64 exec, exec, s[6:7]
	s_cbranch_execnz .LBB1_24148
; %bb.59985:
	s_getpc_b64 s[14:15]
.Lpost_getpc15656:
	s_add_u32 s14, s14, (.LBB1_9810-.Lpost_getpc15656)&4294967295
	s_addc_u32 s15, s15, (.LBB1_9810-.Lpost_getpc15656)>>32
	s_setpc_b64 s[14:15]
.LBB1_24148:
	v_cmp_ne_u16_e32 vcc, 0, v3
	s_andn2_b64 s[4:5], s[4:5], exec
	s_and_b64 s[8:9], vcc, exec
	v_mov_b32_e32 v2, 0
	s_or_b64 s[4:5], s[4:5], s[8:9]
	s_or_b64 exec, exec, s[6:7]
	s_and_saveexec_b64 s[6:7], s[4:5]
	s_cbranch_execz .LBB1_33577
; %bb.59987:
	s_getpc_b64 s[14:15]
.Lpost_getpc15657:
	s_add_u32 s14, s14, (.LBB1_9811-.Lpost_getpc15657)&4294967295
	s_addc_u32 s15, s15, (.LBB1_9811-.Lpost_getpc15657)>>32
	s_setpc_b64 s[14:15]
.LBB1_33577:
	s_getpc_b64 s[14:15]
.Lpost_getpc2452:
	s_add_u32 s14, s14, (.LBB1_9812-.Lpost_getpc2452)&4294967295
	s_addc_u32 s15, s15, (.LBB1_9812-.Lpost_getpc2452)>>32
	s_setpc_b64 s[14:15]
.LBB1_24149:
	s_movk_i32 s4, 0x80
	v_cmp_eq_u16_e32 vcc, s4, v3
	s_mov_b64 s[4:5], -1
                                        ; implicit-def: $sgpr10
	s_and_saveexec_b64 s[8:9], vcc
; %bb.24150:
	s_mov_b32 s10, 0x7f800001
	s_xor_b64 s[4:5], exec, -1
; %bb.24151:
	s_or_b64 exec, exec, s[8:9]
	s_and_b64 s[4:5], s[4:5], exec
                                        ; implicit-def: $vgpr3
	s_or_saveexec_b64 s[6:7], s[6:7]
	v_mov_b32_e32 v6, s10
	s_xor_b64 exec, exec, s[6:7]
	s_cbranch_execnz .LBB1_24152
; %bb.59989:
	s_getpc_b64 s[14:15]
.Lpost_getpc15658:
	s_add_u32 s14, s14, (.LBB1_9814-.Lpost_getpc15658)&4294967295
	s_addc_u32 s15, s15, (.LBB1_9814-.Lpost_getpc15658)>>32
	s_setpc_b64 s[14:15]
.LBB1_24152:
	v_cmp_ne_u16_e32 vcc, 0, v3
	s_andn2_b64 s[4:5], s[4:5], exec
	s_and_b64 s[8:9], vcc, exec
	v_mov_b32_e32 v6, 0
	s_or_b64 s[4:5], s[4:5], s[8:9]
	s_or_b64 exec, exec, s[6:7]
	s_and_saveexec_b64 s[6:7], s[4:5]
	s_cbranch_execz .LBB1_33579
; %bb.59991:
	s_getpc_b64 s[14:15]
.Lpost_getpc15659:
	s_add_u32 s14, s14, (.LBB1_9815-.Lpost_getpc15659)&4294967295
	s_addc_u32 s15, s15, (.LBB1_9815-.Lpost_getpc15659)>>32
	s_setpc_b64 s[14:15]
.LBB1_33579:
	s_getpc_b64 s[14:15]
.Lpost_getpc2453:
	s_add_u32 s14, s14, (.LBB1_9816-.Lpost_getpc2453)&4294967295
	s_addc_u32 s15, s15, (.LBB1_9816-.Lpost_getpc2453)>>32
	s_setpc_b64 s[14:15]
.LBB1_24153:
	s_movk_i32 s4, 0x80
	v_cmp_eq_u16_sdwa s[12:13], v8, s4 src0_sel:BYTE_3 src1_sel:DWORD
	s_mov_b64 s[4:5], -1
                                        ; implicit-def: $sgpr10
	s_and_saveexec_b64 s[8:9], s[12:13]
; %bb.24154:
	s_mov_b32 s10, 0x7f800001
	s_xor_b64 s[4:5], exec, -1
; %bb.24155:
	s_or_b64 exec, exec, s[8:9]
	s_and_b64 s[4:5], s[4:5], exec
	s_or_saveexec_b64 s[6:7], s[6:7]
	v_mov_b32_e32 v2, s10
	s_xor_b64 exec, exec, s[6:7]
	s_cbranch_execnz .LBB1_24156
; %bb.59993:
	s_getpc_b64 s[14:15]
.Lpost_getpc15660:
	s_add_u32 s14, s14, (.LBB1_9818-.Lpost_getpc15660)&4294967295
	s_addc_u32 s15, s15, (.LBB1_9818-.Lpost_getpc15660)>>32
	s_setpc_b64 s[14:15]
.LBB1_24156:
	v_mov_b32_e32 v2, 0
	v_cmp_ne_u16_sdwa s[8:9], v8, v2 src0_sel:BYTE_3 src1_sel:DWORD
	s_andn2_b64 s[4:5], s[4:5], exec
	s_and_b64 s[8:9], s[8:9], exec
	s_or_b64 s[4:5], s[4:5], s[8:9]
	s_or_b64 exec, exec, s[6:7]
	s_and_saveexec_b64 s[6:7], s[4:5]
	s_cbranch_execz .LBB1_33581
; %bb.59995:
	s_getpc_b64 s[14:15]
.Lpost_getpc15661:
	s_add_u32 s14, s14, (.LBB1_9819-.Lpost_getpc15661)&4294967295
	s_addc_u32 s15, s15, (.LBB1_9819-.Lpost_getpc15661)>>32
	s_setpc_b64 s[14:15]
.LBB1_33581:
	s_getpc_b64 s[14:15]
.Lpost_getpc2454:
	s_add_u32 s14, s14, (.LBB1_9820-.Lpost_getpc2454)&4294967295
	s_addc_u32 s15, s15, (.LBB1_9820-.Lpost_getpc2454)>>32
	s_setpc_b64 s[14:15]
.LBB1_24157:
	s_movk_i32 s4, 0x80
	v_cmp_eq_u16_sdwa s[12:13], v4, s4 src0_sel:BYTE_3 src1_sel:DWORD
	s_mov_b64 s[4:5], -1
                                        ; implicit-def: $sgpr10
	s_and_saveexec_b64 s[8:9], s[12:13]
; %bb.24158:
	s_mov_b32 s10, 0x7f800001
	s_xor_b64 s[4:5], exec, -1
; %bb.24159:
	s_or_b64 exec, exec, s[8:9]
	s_and_b64 s[4:5], s[4:5], exec
	s_or_saveexec_b64 s[6:7], s[6:7]
	v_mov_b32_e32 v3, s10
	s_xor_b64 exec, exec, s[6:7]
	s_cbranch_execnz .LBB1_24160
; %bb.59997:
	s_getpc_b64 s[14:15]
.Lpost_getpc15662:
	s_add_u32 s14, s14, (.LBB1_9822-.Lpost_getpc15662)&4294967295
	s_addc_u32 s15, s15, (.LBB1_9822-.Lpost_getpc15662)>>32
	s_setpc_b64 s[14:15]
.LBB1_24160:
	v_mov_b32_e32 v3, 0
	v_cmp_ne_u16_sdwa s[8:9], v4, v3 src0_sel:BYTE_3 src1_sel:DWORD
	s_andn2_b64 s[4:5], s[4:5], exec
	s_and_b64 s[8:9], s[8:9], exec
	s_or_b64 s[4:5], s[4:5], s[8:9]
	s_or_b64 exec, exec, s[6:7]
	s_and_saveexec_b64 s[6:7], s[4:5]
	s_cbranch_execz .LBB1_33583
; %bb.59999:
	s_getpc_b64 s[14:15]
.Lpost_getpc15663:
	s_add_u32 s14, s14, (.LBB1_9823-.Lpost_getpc15663)&4294967295
	s_addc_u32 s15, s15, (.LBB1_9823-.Lpost_getpc15663)>>32
	s_setpc_b64 s[14:15]
.LBB1_33583:
	s_getpc_b64 s[14:15]
.Lpost_getpc2455:
	s_add_u32 s14, s14, (.LBB1_9824-.Lpost_getpc2455)&4294967295
	s_addc_u32 s15, s15, (.LBB1_9824-.Lpost_getpc2455)>>32
	s_setpc_b64 s[14:15]
.LBB1_24161:
	s_movk_i32 s4, 0x80
	v_cmp_eq_u16_sdwa s[12:13], v9, s4 src0_sel:BYTE_0 src1_sel:DWORD
	s_mov_b64 s[4:5], -1
                                        ; implicit-def: $sgpr10
	s_and_saveexec_b64 s[8:9], s[12:13]
; %bb.24162:
	s_mov_b32 s10, 0x7f800001
	s_xor_b64 s[4:5], exec, -1
; %bb.24163:
	s_or_b64 exec, exec, s[8:9]
	s_and_b64 s[4:5], s[4:5], exec
	s_or_saveexec_b64 s[6:7], s[6:7]
	v_mov_b32_e32 v2, s10
	s_xor_b64 exec, exec, s[6:7]
	s_cbranch_execnz .LBB1_24164
; %bb.60001:
	s_getpc_b64 s[14:15]
.Lpost_getpc15664:
	s_add_u32 s14, s14, (.LBB1_9826-.Lpost_getpc15664)&4294967295
	s_addc_u32 s15, s15, (.LBB1_9826-.Lpost_getpc15664)>>32
	s_setpc_b64 s[14:15]
.LBB1_24164:
	v_mov_b32_e32 v2, 0
	v_cmp_ne_u16_sdwa s[8:9], v9, v2 src0_sel:BYTE_0 src1_sel:DWORD
	s_andn2_b64 s[4:5], s[4:5], exec
	s_and_b64 s[8:9], s[8:9], exec
	s_or_b64 s[4:5], s[4:5], s[8:9]
	s_or_b64 exec, exec, s[6:7]
	s_and_saveexec_b64 s[6:7], s[4:5]
	s_cbranch_execz .LBB1_33585
; %bb.60003:
	s_getpc_b64 s[14:15]
.Lpost_getpc15665:
	s_add_u32 s14, s14, (.LBB1_9827-.Lpost_getpc15665)&4294967295
	s_addc_u32 s15, s15, (.LBB1_9827-.Lpost_getpc15665)>>32
	s_setpc_b64 s[14:15]
.LBB1_33585:
	s_getpc_b64 s[14:15]
.Lpost_getpc2456:
	s_add_u32 s14, s14, (.LBB1_9828-.Lpost_getpc2456)&4294967295
	s_addc_u32 s15, s15, (.LBB1_9828-.Lpost_getpc2456)>>32
	s_setpc_b64 s[14:15]
.LBB1_24165:
	s_movk_i32 s4, 0x80
	v_cmp_eq_u16_sdwa s[12:13], v5, s4 src0_sel:BYTE_0 src1_sel:DWORD
	s_mov_b64 s[4:5], -1
                                        ; implicit-def: $sgpr10
	s_and_saveexec_b64 s[8:9], s[12:13]
; %bb.24166:
	s_mov_b32 s10, 0x7f800001
	s_xor_b64 s[4:5], exec, -1
; %bb.24167:
	s_or_b64 exec, exec, s[8:9]
	s_and_b64 s[4:5], s[4:5], exec
	s_or_saveexec_b64 s[6:7], s[6:7]
	v_mov_b32_e32 v3, s10
	s_xor_b64 exec, exec, s[6:7]
	s_cbranch_execnz .LBB1_24168
; %bb.60005:
	s_getpc_b64 s[14:15]
.Lpost_getpc15666:
	s_add_u32 s14, s14, (.LBB1_9830-.Lpost_getpc15666)&4294967295
	s_addc_u32 s15, s15, (.LBB1_9830-.Lpost_getpc15666)>>32
	s_setpc_b64 s[14:15]
.LBB1_24168:
	v_mov_b32_e32 v3, 0
	v_cmp_ne_u16_sdwa s[8:9], v5, v3 src0_sel:BYTE_0 src1_sel:DWORD
	s_andn2_b64 s[4:5], s[4:5], exec
	s_and_b64 s[8:9], s[8:9], exec
	s_or_b64 s[4:5], s[4:5], s[8:9]
	s_or_b64 exec, exec, s[6:7]
	s_and_saveexec_b64 s[6:7], s[4:5]
	s_cbranch_execz .LBB1_33587
; %bb.60007:
	s_getpc_b64 s[14:15]
.Lpost_getpc15667:
	s_add_u32 s14, s14, (.LBB1_9831-.Lpost_getpc15667)&4294967295
	s_addc_u32 s15, s15, (.LBB1_9831-.Lpost_getpc15667)>>32
	s_setpc_b64 s[14:15]
.LBB1_33587:
	s_getpc_b64 s[14:15]
.Lpost_getpc2457:
	s_add_u32 s14, s14, (.LBB1_9832-.Lpost_getpc2457)&4294967295
	s_addc_u32 s15, s15, (.LBB1_9832-.Lpost_getpc2457)>>32
	s_setpc_b64 s[14:15]
.LBB1_24169:
	s_movk_i32 s4, 0x80
	v_cmp_eq_u16_sdwa s[12:13], v3, s4 src0_sel:BYTE_0 src1_sel:DWORD
	s_mov_b64 s[4:5], -1
                                        ; implicit-def: $sgpr10
	s_and_saveexec_b64 s[8:9], s[12:13]
; %bb.24170:
	s_mov_b32 s10, 0x7f800001
	s_xor_b64 s[4:5], exec, -1
; %bb.24171:
	s_or_b64 exec, exec, s[8:9]
	s_and_b64 s[4:5], s[4:5], exec
	s_or_saveexec_b64 s[6:7], s[6:7]
	v_mov_b32_e32 v2, s10
	s_xor_b64 exec, exec, s[6:7]
	s_cbranch_execnz .LBB1_24172
; %bb.60009:
	s_getpc_b64 s[14:15]
.Lpost_getpc15668:
	s_add_u32 s14, s14, (.LBB1_9834-.Lpost_getpc15668)&4294967295
	s_addc_u32 s15, s15, (.LBB1_9834-.Lpost_getpc15668)>>32
	s_setpc_b64 s[14:15]
.LBB1_24172:
	v_mov_b32_e32 v2, 0
	v_cmp_ne_u16_sdwa s[8:9], v3, v2 src0_sel:BYTE_0 src1_sel:DWORD
	s_andn2_b64 s[4:5], s[4:5], exec
	s_and_b64 s[8:9], s[8:9], exec
	s_or_b64 s[4:5], s[4:5], s[8:9]
	s_or_b64 exec, exec, s[6:7]
	s_and_saveexec_b64 s[6:7], s[4:5]
	s_cbranch_execz .LBB1_33589
; %bb.60011:
	s_getpc_b64 s[14:15]
.Lpost_getpc15669:
	s_add_u32 s14, s14, (.LBB1_9835-.Lpost_getpc15669)&4294967295
	s_addc_u32 s15, s15, (.LBB1_9835-.Lpost_getpc15669)>>32
	s_setpc_b64 s[14:15]
.LBB1_33589:
	s_getpc_b64 s[14:15]
.Lpost_getpc2458:
	s_add_u32 s14, s14, (.LBB1_9836-.Lpost_getpc2458)&4294967295
	s_addc_u32 s15, s15, (.LBB1_9836-.Lpost_getpc2458)>>32
	s_setpc_b64 s[14:15]
.LBB1_24173:
	s_movk_i32 s4, 0x80
	v_cmp_eq_u16_sdwa s[12:13], v3, s4 src0_sel:BYTE_0 src1_sel:DWORD
	s_mov_b64 s[4:5], -1
                                        ; implicit-def: $sgpr10
	s_and_saveexec_b64 s[8:9], s[12:13]
; %bb.24174:
	s_mov_b32 s10, 0x7f800001
	s_xor_b64 s[4:5], exec, -1
; %bb.24175:
	s_or_b64 exec, exec, s[8:9]
	s_and_b64 s[4:5], s[4:5], exec
	s_or_saveexec_b64 s[6:7], s[6:7]
	v_mov_b32_e32 v4, s10
	s_xor_b64 exec, exec, s[6:7]
	s_cbranch_execnz .LBB1_24176
; %bb.60013:
	s_getpc_b64 s[14:15]
.Lpost_getpc15670:
	s_add_u32 s14, s14, (.LBB1_9838-.Lpost_getpc15670)&4294967295
	s_addc_u32 s15, s15, (.LBB1_9838-.Lpost_getpc15670)>>32
	s_setpc_b64 s[14:15]
.LBB1_24176:
	v_mov_b32_e32 v4, 0
	v_cmp_ne_u16_sdwa s[8:9], v3, v4 src0_sel:BYTE_0 src1_sel:DWORD
	s_andn2_b64 s[4:5], s[4:5], exec
	s_and_b64 s[8:9], s[8:9], exec
	s_or_b64 s[4:5], s[4:5], s[8:9]
	s_or_b64 exec, exec, s[6:7]
	s_and_saveexec_b64 s[6:7], s[4:5]
	s_cbranch_execz .LBB1_33591
; %bb.60015:
	s_getpc_b64 s[14:15]
.Lpost_getpc15671:
	s_add_u32 s14, s14, (.LBB1_9839-.Lpost_getpc15671)&4294967295
	s_addc_u32 s15, s15, (.LBB1_9839-.Lpost_getpc15671)>>32
	s_setpc_b64 s[14:15]
.LBB1_33591:
	s_getpc_b64 s[14:15]
.Lpost_getpc2459:
	s_add_u32 s14, s14, (.LBB1_9840-.Lpost_getpc2459)&4294967295
	s_addc_u32 s15, s15, (.LBB1_9840-.Lpost_getpc2459)>>32
	s_setpc_b64 s[14:15]
.LBB1_24177:
	s_movk_i32 s4, 0x80
	v_cmp_eq_u16_e32 vcc, s4, v3
	s_mov_b64 s[4:5], -1
                                        ; implicit-def: $sgpr10
	s_and_saveexec_b64 s[8:9], vcc
; %bb.24178:
	s_mov_b32 s10, 0x7f800001
	s_xor_b64 s[4:5], exec, -1
; %bb.24179:
	s_or_b64 exec, exec, s[8:9]
	s_and_b64 s[4:5], s[4:5], exec
                                        ; implicit-def: $vgpr3
	s_or_saveexec_b64 s[6:7], s[6:7]
	v_mov_b32_e32 v2, s10
	s_xor_b64 exec, exec, s[6:7]
	s_cbranch_execnz .LBB1_24180
; %bb.60017:
	s_getpc_b64 s[14:15]
.Lpost_getpc15672:
	s_add_u32 s14, s14, (.LBB1_9842-.Lpost_getpc15672)&4294967295
	s_addc_u32 s15, s15, (.LBB1_9842-.Lpost_getpc15672)>>32
	s_setpc_b64 s[14:15]
.LBB1_24180:
	v_cmp_ne_u16_e32 vcc, 0, v3
	s_andn2_b64 s[4:5], s[4:5], exec
	s_and_b64 s[8:9], vcc, exec
	v_mov_b32_e32 v2, 0
	s_or_b64 s[4:5], s[4:5], s[8:9]
	s_or_b64 exec, exec, s[6:7]
	s_and_saveexec_b64 s[6:7], s[4:5]
	s_cbranch_execz .LBB1_33593
; %bb.60019:
	s_getpc_b64 s[14:15]
.Lpost_getpc15673:
	s_add_u32 s14, s14, (.LBB1_9843-.Lpost_getpc15673)&4294967295
	s_addc_u32 s15, s15, (.LBB1_9843-.Lpost_getpc15673)>>32
	s_setpc_b64 s[14:15]
.LBB1_33593:
	s_getpc_b64 s[14:15]
.Lpost_getpc2460:
	s_add_u32 s14, s14, (.LBB1_9844-.Lpost_getpc2460)&4294967295
	s_addc_u32 s15, s15, (.LBB1_9844-.Lpost_getpc2460)>>32
	s_setpc_b64 s[14:15]
.LBB1_24181:
	s_movk_i32 s4, 0x80
	v_cmp_eq_u16_e32 vcc, s4, v3
	s_mov_b64 s[4:5], -1
                                        ; implicit-def: $sgpr10
	s_and_saveexec_b64 s[8:9], vcc
; %bb.24182:
	s_mov_b32 s10, 0x7f800001
	s_xor_b64 s[4:5], exec, -1
; %bb.24183:
	s_or_b64 exec, exec, s[8:9]
	s_and_b64 s[4:5], s[4:5], exec
                                        ; implicit-def: $vgpr3
	s_or_saveexec_b64 s[6:7], s[6:7]
	v_mov_b32_e32 v4, s10
	s_xor_b64 exec, exec, s[6:7]
	s_cbranch_execnz .LBB1_24184
; %bb.60021:
	s_getpc_b64 s[14:15]
.Lpost_getpc15674:
	s_add_u32 s14, s14, (.LBB1_9846-.Lpost_getpc15674)&4294967295
	s_addc_u32 s15, s15, (.LBB1_9846-.Lpost_getpc15674)>>32
	s_setpc_b64 s[14:15]
.LBB1_24184:
	v_cmp_ne_u16_e32 vcc, 0, v3
	s_andn2_b64 s[4:5], s[4:5], exec
	s_and_b64 s[8:9], vcc, exec
	v_mov_b32_e32 v4, 0
	s_or_b64 s[4:5], s[4:5], s[8:9]
	s_or_b64 exec, exec, s[6:7]
	s_and_saveexec_b64 s[6:7], s[4:5]
	s_cbranch_execz .LBB1_33595
; %bb.60023:
	s_getpc_b64 s[14:15]
.Lpost_getpc15675:
	s_add_u32 s14, s14, (.LBB1_9847-.Lpost_getpc15675)&4294967295
	s_addc_u32 s15, s15, (.LBB1_9847-.Lpost_getpc15675)>>32
	s_setpc_b64 s[14:15]
.LBB1_33595:
	s_getpc_b64 s[14:15]
.Lpost_getpc2461:
	s_add_u32 s14, s14, (.LBB1_9848-.Lpost_getpc2461)&4294967295
	s_addc_u32 s15, s15, (.LBB1_9848-.Lpost_getpc2461)>>32
	s_setpc_b64 s[14:15]
.LBB1_24185:
	s_movk_i32 s4, 0x80
	v_cmp_eq_u16_sdwa s[12:13], v9, s4 src0_sel:BYTE_3 src1_sel:DWORD
	s_mov_b64 s[4:5], -1
                                        ; implicit-def: $sgpr10
	s_and_saveexec_b64 s[8:9], s[12:13]
; %bb.24186:
	s_mov_b32 s10, 0x7f800001
	s_xor_b64 s[4:5], exec, -1
; %bb.24187:
	s_or_b64 exec, exec, s[8:9]
	s_and_b64 s[4:5], s[4:5], exec
	s_or_saveexec_b64 s[6:7], s[6:7]
	v_mov_b32_e32 v2, s10
	s_xor_b64 exec, exec, s[6:7]
	s_cbranch_execnz .LBB1_24188
; %bb.60025:
	s_getpc_b64 s[14:15]
.Lpost_getpc15676:
	s_add_u32 s14, s14, (.LBB1_9850-.Lpost_getpc15676)&4294967295
	s_addc_u32 s15, s15, (.LBB1_9850-.Lpost_getpc15676)>>32
	s_setpc_b64 s[14:15]
.LBB1_24188:
	v_mov_b32_e32 v2, 0
	v_cmp_ne_u16_sdwa s[8:9], v9, v2 src0_sel:BYTE_3 src1_sel:DWORD
	s_andn2_b64 s[4:5], s[4:5], exec
	s_and_b64 s[8:9], s[8:9], exec
	s_or_b64 s[4:5], s[4:5], s[8:9]
	s_or_b64 exec, exec, s[6:7]
	s_and_saveexec_b64 s[6:7], s[4:5]
	s_cbranch_execz .LBB1_33597
; %bb.60027:
	s_getpc_b64 s[14:15]
.Lpost_getpc15677:
	s_add_u32 s14, s14, (.LBB1_9851-.Lpost_getpc15677)&4294967295
	s_addc_u32 s15, s15, (.LBB1_9851-.Lpost_getpc15677)>>32
	s_setpc_b64 s[14:15]
.LBB1_33597:
	s_getpc_b64 s[14:15]
.Lpost_getpc2462:
	s_add_u32 s14, s14, (.LBB1_9852-.Lpost_getpc2462)&4294967295
	s_addc_u32 s15, s15, (.LBB1_9852-.Lpost_getpc2462)>>32
	s_setpc_b64 s[14:15]
.LBB1_24189:
	s_movk_i32 s4, 0x80
	v_cmp_eq_u16_sdwa s[12:13], v5, s4 src0_sel:BYTE_3 src1_sel:DWORD
	s_mov_b64 s[4:5], -1
                                        ; implicit-def: $sgpr10
	s_and_saveexec_b64 s[8:9], s[12:13]
; %bb.24190:
	s_mov_b32 s10, 0x7f800001
	s_xor_b64 s[4:5], exec, -1
; %bb.24191:
	s_or_b64 exec, exec, s[8:9]
	s_and_b64 s[4:5], s[4:5], exec
	s_or_saveexec_b64 s[6:7], s[6:7]
	v_mov_b32_e32 v3, s10
	s_xor_b64 exec, exec, s[6:7]
	s_cbranch_execnz .LBB1_24192
; %bb.60029:
	s_getpc_b64 s[14:15]
.Lpost_getpc15678:
	s_add_u32 s14, s14, (.LBB1_9854-.Lpost_getpc15678)&4294967295
	s_addc_u32 s15, s15, (.LBB1_9854-.Lpost_getpc15678)>>32
	s_setpc_b64 s[14:15]
.LBB1_24192:
	v_mov_b32_e32 v3, 0
	v_cmp_ne_u16_sdwa s[8:9], v5, v3 src0_sel:BYTE_3 src1_sel:DWORD
	s_andn2_b64 s[4:5], s[4:5], exec
	s_and_b64 s[8:9], s[8:9], exec
	s_or_b64 s[4:5], s[4:5], s[8:9]
	s_or_b64 exec, exec, s[6:7]
	s_and_saveexec_b64 s[6:7], s[4:5]
	s_cbranch_execz .LBB1_33599
; %bb.60031:
	s_getpc_b64 s[14:15]
.Lpost_getpc15679:
	s_add_u32 s14, s14, (.LBB1_9855-.Lpost_getpc15679)&4294967295
	s_addc_u32 s15, s15, (.LBB1_9855-.Lpost_getpc15679)>>32
	s_setpc_b64 s[14:15]
.LBB1_33599:
	s_getpc_b64 s[14:15]
.Lpost_getpc2463:
	s_add_u32 s14, s14, (.LBB1_9856-.Lpost_getpc2463)&4294967295
	s_addc_u32 s15, s15, (.LBB1_9856-.Lpost_getpc2463)>>32
	s_setpc_b64 s[14:15]
.LBB1_24193:
	s_movk_i32 s4, 0x80
	v_cmp_eq_u16_sdwa s[12:13], v6, s4 src0_sel:BYTE_0 src1_sel:DWORD
	s_mov_b64 s[4:5], -1
                                        ; implicit-def: $sgpr10
	s_and_saveexec_b64 s[8:9], s[12:13]
; %bb.24194:
	s_mov_b32 s10, 0x7f800001
	s_xor_b64 s[4:5], exec, -1
; %bb.24195:
	s_or_b64 exec, exec, s[8:9]
	s_and_b64 s[4:5], s[4:5], exec
	s_or_saveexec_b64 s[6:7], s[6:7]
	v_mov_b32_e32 v12, s10
	s_xor_b64 exec, exec, s[6:7]
	s_cbranch_execnz .LBB1_24196
; %bb.60033:
	s_getpc_b64 s[14:15]
.Lpost_getpc15680:
	s_add_u32 s14, s14, (.LBB1_9858-.Lpost_getpc15680)&4294967295
	s_addc_u32 s15, s15, (.LBB1_9858-.Lpost_getpc15680)>>32
	s_setpc_b64 s[14:15]
.LBB1_24196:
	v_mov_b32_e32 v12, 0
	v_cmp_ne_u16_sdwa s[8:9], v6, v12 src0_sel:BYTE_0 src1_sel:DWORD
	s_andn2_b64 s[4:5], s[4:5], exec
	s_and_b64 s[8:9], s[8:9], exec
	s_or_b64 s[4:5], s[4:5], s[8:9]
	s_or_b64 exec, exec, s[6:7]
	s_and_saveexec_b64 s[6:7], s[4:5]
	s_cbranch_execz .LBB1_33601
; %bb.60035:
	s_getpc_b64 s[14:15]
.Lpost_getpc15681:
	s_add_u32 s14, s14, (.LBB1_9859-.Lpost_getpc15681)&4294967295
	s_addc_u32 s15, s15, (.LBB1_9859-.Lpost_getpc15681)>>32
	s_setpc_b64 s[14:15]
.LBB1_33601:
	s_getpc_b64 s[14:15]
.Lpost_getpc2464:
	s_add_u32 s14, s14, (.LBB1_9860-.Lpost_getpc2464)&4294967295
	s_addc_u32 s15, s15, (.LBB1_9860-.Lpost_getpc2464)>>32
	s_setpc_b64 s[14:15]
.LBB1_24197:
	s_movk_i32 s4, 0x80
	v_cmp_eq_u16_sdwa s[12:13], v2, s4 src0_sel:BYTE_0 src1_sel:DWORD
	s_mov_b64 s[4:5], -1
                                        ; implicit-def: $sgpr10
	s_and_saveexec_b64 s[8:9], s[12:13]
; %bb.24198:
	s_mov_b32 s10, 0x7f800001
	s_xor_b64 s[4:5], exec, -1
; %bb.24199:
	s_or_b64 exec, exec, s[8:9]
	s_and_b64 s[4:5], s[4:5], exec
	s_or_saveexec_b64 s[6:7], s[6:7]
	v_mov_b32_e32 v13, s10
	s_xor_b64 exec, exec, s[6:7]
	s_cbranch_execnz .LBB1_24200
; %bb.60037:
	s_getpc_b64 s[14:15]
.Lpost_getpc15682:
	s_add_u32 s14, s14, (.LBB1_9862-.Lpost_getpc15682)&4294967295
	s_addc_u32 s15, s15, (.LBB1_9862-.Lpost_getpc15682)>>32
	s_setpc_b64 s[14:15]
.LBB1_24200:
	v_mov_b32_e32 v13, 0
	v_cmp_ne_u16_sdwa s[8:9], v2, v13 src0_sel:BYTE_0 src1_sel:DWORD
	s_andn2_b64 s[4:5], s[4:5], exec
	s_and_b64 s[8:9], s[8:9], exec
	s_or_b64 s[4:5], s[4:5], s[8:9]
	s_or_b64 exec, exec, s[6:7]
	s_and_saveexec_b64 s[6:7], s[4:5]
	s_cbranch_execz .LBB1_33603
; %bb.60039:
	s_getpc_b64 s[14:15]
.Lpost_getpc15683:
	s_add_u32 s14, s14, (.LBB1_9863-.Lpost_getpc15683)&4294967295
	s_addc_u32 s15, s15, (.LBB1_9863-.Lpost_getpc15683)>>32
	s_setpc_b64 s[14:15]
.LBB1_33603:
	s_getpc_b64 s[14:15]
.Lpost_getpc2465:
	s_add_u32 s14, s14, (.LBB1_9864-.Lpost_getpc2465)&4294967295
	s_addc_u32 s15, s15, (.LBB1_9864-.Lpost_getpc2465)>>32
	s_setpc_b64 s[14:15]
.LBB1_24201:
	s_movk_i32 s4, 0x80
	v_cmp_eq_u16_sdwa s[12:13], v13, s4 src0_sel:BYTE_0 src1_sel:DWORD
	s_mov_b64 s[4:5], -1
                                        ; implicit-def: $sgpr10
	s_and_saveexec_b64 s[8:9], s[12:13]
; %bb.24202:
	s_mov_b32 s10, 0x7f800001
	s_xor_b64 s[4:5], exec, -1
; %bb.24203:
	s_or_b64 exec, exec, s[8:9]
	s_and_b64 s[4:5], s[4:5], exec
	s_or_saveexec_b64 s[6:7], s[6:7]
	v_mov_b32_e32 v12, s10
	s_xor_b64 exec, exec, s[6:7]
	s_cbranch_execnz .LBB1_24204
; %bb.60041:
	s_getpc_b64 s[14:15]
.Lpost_getpc15684:
	s_add_u32 s14, s14, (.LBB1_9866-.Lpost_getpc15684)&4294967295
	s_addc_u32 s15, s15, (.LBB1_9866-.Lpost_getpc15684)>>32
	s_setpc_b64 s[14:15]
.LBB1_24204:
	v_mov_b32_e32 v12, 0
	v_cmp_ne_u16_sdwa s[8:9], v13, v12 src0_sel:BYTE_0 src1_sel:DWORD
	s_andn2_b64 s[4:5], s[4:5], exec
	s_and_b64 s[8:9], s[8:9], exec
	s_or_b64 s[4:5], s[4:5], s[8:9]
	s_or_b64 exec, exec, s[6:7]
	s_and_saveexec_b64 s[6:7], s[4:5]
	s_cbranch_execz .LBB1_33605
; %bb.60043:
	s_getpc_b64 s[14:15]
.Lpost_getpc15685:
	s_add_u32 s14, s14, (.LBB1_9867-.Lpost_getpc15685)&4294967295
	s_addc_u32 s15, s15, (.LBB1_9867-.Lpost_getpc15685)>>32
	s_setpc_b64 s[14:15]
.LBB1_33605:
	s_getpc_b64 s[14:15]
.Lpost_getpc2466:
	s_add_u32 s14, s14, (.LBB1_9868-.Lpost_getpc2466)&4294967295
	s_addc_u32 s15, s15, (.LBB1_9868-.Lpost_getpc2466)>>32
	s_setpc_b64 s[14:15]
.LBB1_24205:
	s_movk_i32 s4, 0x80
	v_cmp_eq_u16_sdwa s[12:13], v13, s4 src0_sel:BYTE_0 src1_sel:DWORD
	s_mov_b64 s[4:5], -1
                                        ; implicit-def: $sgpr10
	s_and_saveexec_b64 s[8:9], s[12:13]
; %bb.24206:
	s_mov_b32 s10, 0x7f800001
	s_xor_b64 s[4:5], exec, -1
; %bb.24207:
	s_or_b64 exec, exec, s[8:9]
	s_and_b64 s[4:5], s[4:5], exec
	s_or_saveexec_b64 s[6:7], s[6:7]
	v_mov_b32_e32 v14, s10
	s_xor_b64 exec, exec, s[6:7]
	s_cbranch_execnz .LBB1_24208
; %bb.60045:
	s_getpc_b64 s[14:15]
.Lpost_getpc15686:
	s_add_u32 s14, s14, (.LBB1_9870-.Lpost_getpc15686)&4294967295
	s_addc_u32 s15, s15, (.LBB1_9870-.Lpost_getpc15686)>>32
	s_setpc_b64 s[14:15]
.LBB1_24208:
	v_mov_b32_e32 v14, 0
	v_cmp_ne_u16_sdwa s[8:9], v13, v14 src0_sel:BYTE_0 src1_sel:DWORD
	s_andn2_b64 s[4:5], s[4:5], exec
	s_and_b64 s[8:9], s[8:9], exec
	s_or_b64 s[4:5], s[4:5], s[8:9]
	s_or_b64 exec, exec, s[6:7]
	s_and_saveexec_b64 s[6:7], s[4:5]
	s_cbranch_execz .LBB1_33607
; %bb.60047:
	s_getpc_b64 s[14:15]
.Lpost_getpc15687:
	s_add_u32 s14, s14, (.LBB1_9871-.Lpost_getpc15687)&4294967295
	s_addc_u32 s15, s15, (.LBB1_9871-.Lpost_getpc15687)>>32
	s_setpc_b64 s[14:15]
.LBB1_33607:
	s_getpc_b64 s[14:15]
.Lpost_getpc2467:
	s_add_u32 s14, s14, (.LBB1_9872-.Lpost_getpc2467)&4294967295
	s_addc_u32 s15, s15, (.LBB1_9872-.Lpost_getpc2467)>>32
	s_setpc_b64 s[14:15]
.LBB1_24209:
	s_movk_i32 s4, 0x80
	v_cmp_eq_u16_e32 vcc, s4, v13
	s_mov_b64 s[4:5], -1
                                        ; implicit-def: $sgpr10
	s_and_saveexec_b64 s[8:9], vcc
; %bb.24210:
	s_mov_b32 s10, 0x7f800001
	s_xor_b64 s[4:5], exec, -1
; %bb.24211:
	s_or_b64 exec, exec, s[8:9]
	s_and_b64 s[4:5], s[4:5], exec
                                        ; implicit-def: $vgpr13
	s_or_saveexec_b64 s[6:7], s[6:7]
	v_mov_b32_e32 v12, s10
	s_xor_b64 exec, exec, s[6:7]
	s_cbranch_execnz .LBB1_24212
; %bb.60049:
	s_getpc_b64 s[14:15]
.Lpost_getpc15688:
	s_add_u32 s14, s14, (.LBB1_9874-.Lpost_getpc15688)&4294967295
	s_addc_u32 s15, s15, (.LBB1_9874-.Lpost_getpc15688)>>32
	s_setpc_b64 s[14:15]
.LBB1_24212:
	v_cmp_ne_u16_e32 vcc, 0, v13
	s_andn2_b64 s[4:5], s[4:5], exec
	s_and_b64 s[8:9], vcc, exec
	v_mov_b32_e32 v12, 0
	s_or_b64 s[4:5], s[4:5], s[8:9]
	s_or_b64 exec, exec, s[6:7]
	s_and_saveexec_b64 s[6:7], s[4:5]
	s_cbranch_execz .LBB1_33609
; %bb.60051:
	s_getpc_b64 s[14:15]
.Lpost_getpc15689:
	s_add_u32 s14, s14, (.LBB1_9875-.Lpost_getpc15689)&4294967295
	s_addc_u32 s15, s15, (.LBB1_9875-.Lpost_getpc15689)>>32
	s_setpc_b64 s[14:15]
.LBB1_33609:
	s_getpc_b64 s[14:15]
.Lpost_getpc2468:
	s_add_u32 s14, s14, (.LBB1_9876-.Lpost_getpc2468)&4294967295
	s_addc_u32 s15, s15, (.LBB1_9876-.Lpost_getpc2468)>>32
	s_setpc_b64 s[14:15]
.LBB1_24213:
	s_movk_i32 s4, 0x80
	v_cmp_eq_u16_e32 vcc, s4, v13
	s_mov_b64 s[4:5], -1
                                        ; implicit-def: $sgpr10
	s_and_saveexec_b64 s[8:9], vcc
; %bb.24214:
	s_mov_b32 s10, 0x7f800001
	s_xor_b64 s[4:5], exec, -1
; %bb.24215:
	s_or_b64 exec, exec, s[8:9]
	s_and_b64 s[4:5], s[4:5], exec
                                        ; implicit-def: $vgpr13
	s_or_saveexec_b64 s[6:7], s[6:7]
	v_mov_b32_e32 v14, s10
	s_xor_b64 exec, exec, s[6:7]
	s_cbranch_execnz .LBB1_24216
; %bb.60053:
	s_getpc_b64 s[14:15]
.Lpost_getpc15690:
	s_add_u32 s14, s14, (.LBB1_9878-.Lpost_getpc15690)&4294967295
	s_addc_u32 s15, s15, (.LBB1_9878-.Lpost_getpc15690)>>32
	s_setpc_b64 s[14:15]
.LBB1_24216:
	v_cmp_ne_u16_e32 vcc, 0, v13
	s_andn2_b64 s[4:5], s[4:5], exec
	s_and_b64 s[8:9], vcc, exec
	v_mov_b32_e32 v14, 0
	s_or_b64 s[4:5], s[4:5], s[8:9]
	s_or_b64 exec, exec, s[6:7]
	s_and_saveexec_b64 s[6:7], s[4:5]
	s_cbranch_execz .LBB1_33611
; %bb.60055:
	s_getpc_b64 s[14:15]
.Lpost_getpc15691:
	s_add_u32 s14, s14, (.LBB1_9879-.Lpost_getpc15691)&4294967295
	s_addc_u32 s15, s15, (.LBB1_9879-.Lpost_getpc15691)>>32
	s_setpc_b64 s[14:15]
.LBB1_33611:
	s_getpc_b64 s[14:15]
.Lpost_getpc2469:
	s_add_u32 s14, s14, (.LBB1_9880-.Lpost_getpc2469)&4294967295
	s_addc_u32 s15, s15, (.LBB1_9880-.Lpost_getpc2469)>>32
	s_setpc_b64 s[14:15]
.LBB1_24217:
	s_movk_i32 s4, 0x80
	v_cmp_eq_u16_sdwa s[12:13], v6, s4 src0_sel:BYTE_3 src1_sel:DWORD
	s_mov_b64 s[4:5], -1
                                        ; implicit-def: $sgpr10
	s_and_saveexec_b64 s[8:9], s[12:13]
; %bb.24218:
	s_mov_b32 s10, 0x7f800001
	s_xor_b64 s[4:5], exec, -1
; %bb.24219:
	s_or_b64 exec, exec, s[8:9]
	s_and_b64 s[4:5], s[4:5], exec
	s_or_saveexec_b64 s[6:7], s[6:7]
	v_mov_b32_e32 v12, s10
	s_xor_b64 exec, exec, s[6:7]
	s_cbranch_execnz .LBB1_24220
; %bb.60057:
	s_getpc_b64 s[14:15]
.Lpost_getpc15692:
	s_add_u32 s14, s14, (.LBB1_9882-.Lpost_getpc15692)&4294967295
	s_addc_u32 s15, s15, (.LBB1_9882-.Lpost_getpc15692)>>32
	s_setpc_b64 s[14:15]
.LBB1_24220:
	v_mov_b32_e32 v12, 0
	v_cmp_ne_u16_sdwa s[8:9], v6, v12 src0_sel:BYTE_3 src1_sel:DWORD
	s_andn2_b64 s[4:5], s[4:5], exec
	s_and_b64 s[8:9], s[8:9], exec
	s_or_b64 s[4:5], s[4:5], s[8:9]
	s_or_b64 exec, exec, s[6:7]
	s_and_saveexec_b64 s[6:7], s[4:5]
	s_cbranch_execz .LBB1_33613
; %bb.60059:
	s_getpc_b64 s[14:15]
.Lpost_getpc15693:
	s_add_u32 s14, s14, (.LBB1_9883-.Lpost_getpc15693)&4294967295
	s_addc_u32 s15, s15, (.LBB1_9883-.Lpost_getpc15693)>>32
	s_setpc_b64 s[14:15]
.LBB1_33613:
	s_getpc_b64 s[14:15]
.Lpost_getpc2470:
	s_add_u32 s14, s14, (.LBB1_9884-.Lpost_getpc2470)&4294967295
	s_addc_u32 s15, s15, (.LBB1_9884-.Lpost_getpc2470)>>32
	s_setpc_b64 s[14:15]
.LBB1_24221:
	s_movk_i32 s4, 0x80
	v_cmp_eq_u16_sdwa s[12:13], v2, s4 src0_sel:BYTE_3 src1_sel:DWORD
	s_mov_b64 s[4:5], -1
                                        ; implicit-def: $sgpr10
	s_and_saveexec_b64 s[8:9], s[12:13]
; %bb.24222:
	s_mov_b32 s10, 0x7f800001
	s_xor_b64 s[4:5], exec, -1
; %bb.24223:
	s_or_b64 exec, exec, s[8:9]
	s_and_b64 s[4:5], s[4:5], exec
	s_or_saveexec_b64 s[6:7], s[6:7]
	v_mov_b32_e32 v6, s10
	s_xor_b64 exec, exec, s[6:7]
	s_cbranch_execnz .LBB1_24224
; %bb.60061:
	s_getpc_b64 s[14:15]
.Lpost_getpc15694:
	s_add_u32 s14, s14, (.LBB1_9886-.Lpost_getpc15694)&4294967295
	s_addc_u32 s15, s15, (.LBB1_9886-.Lpost_getpc15694)>>32
	s_setpc_b64 s[14:15]
.LBB1_24224:
	v_mov_b32_e32 v6, 0
	v_cmp_ne_u16_sdwa s[8:9], v2, v6 src0_sel:BYTE_3 src1_sel:DWORD
	s_andn2_b64 s[4:5], s[4:5], exec
	s_and_b64 s[8:9], s[8:9], exec
	s_or_b64 s[4:5], s[4:5], s[8:9]
	s_or_b64 exec, exec, s[6:7]
	s_and_saveexec_b64 s[6:7], s[4:5]
	s_cbranch_execz .LBB1_33615
; %bb.60063:
	s_getpc_b64 s[14:15]
.Lpost_getpc15695:
	s_add_u32 s14, s14, (.LBB1_9887-.Lpost_getpc15695)&4294967295
	s_addc_u32 s15, s15, (.LBB1_9887-.Lpost_getpc15695)>>32
	s_setpc_b64 s[14:15]
.LBB1_33615:
	s_getpc_b64 s[14:15]
.Lpost_getpc2471:
	s_add_u32 s14, s14, (.LBB1_9888-.Lpost_getpc2471)&4294967295
	s_addc_u32 s15, s15, (.LBB1_9888-.Lpost_getpc2471)>>32
	s_setpc_b64 s[14:15]
.LBB1_24225:
	s_movk_i32 s4, 0x80
	v_cmp_eq_u16_sdwa s[12:13], v7, s4 src0_sel:BYTE_0 src1_sel:DWORD
	s_mov_b64 s[4:5], -1
                                        ; implicit-def: $sgpr10
	s_and_saveexec_b64 s[8:9], s[12:13]
; %bb.24226:
	s_mov_b32 s10, 0x7f800001
	s_xor_b64 s[4:5], exec, -1
; %bb.24227:
	s_or_b64 exec, exec, s[8:9]
	s_and_b64 s[4:5], s[4:5], exec
	s_or_saveexec_b64 s[6:7], s[6:7]
	v_mov_b32_e32 v2, s10
	s_xor_b64 exec, exec, s[6:7]
	s_cbranch_execnz .LBB1_24228
; %bb.60065:
	s_getpc_b64 s[14:15]
.Lpost_getpc15696:
	s_add_u32 s14, s14, (.LBB1_9890-.Lpost_getpc15696)&4294967295
	s_addc_u32 s15, s15, (.LBB1_9890-.Lpost_getpc15696)>>32
	s_setpc_b64 s[14:15]
.LBB1_24228:
	v_mov_b32_e32 v2, 0
	v_cmp_ne_u16_sdwa s[8:9], v7, v2 src0_sel:BYTE_0 src1_sel:DWORD
	s_andn2_b64 s[4:5], s[4:5], exec
	s_and_b64 s[8:9], s[8:9], exec
	s_or_b64 s[4:5], s[4:5], s[8:9]
	s_or_b64 exec, exec, s[6:7]
	s_and_saveexec_b64 s[6:7], s[4:5]
	s_cbranch_execz .LBB1_33617
; %bb.60067:
	s_getpc_b64 s[14:15]
.Lpost_getpc15697:
	s_add_u32 s14, s14, (.LBB1_9891-.Lpost_getpc15697)&4294967295
	s_addc_u32 s15, s15, (.LBB1_9891-.Lpost_getpc15697)>>32
	s_setpc_b64 s[14:15]
.LBB1_33617:
	s_getpc_b64 s[14:15]
.Lpost_getpc2472:
	s_add_u32 s14, s14, (.LBB1_9892-.Lpost_getpc2472)&4294967295
	s_addc_u32 s15, s15, (.LBB1_9892-.Lpost_getpc2472)>>32
	s_setpc_b64 s[14:15]
.LBB1_24229:
	s_movk_i32 s4, 0x80
	v_cmp_eq_u16_sdwa s[12:13], v3, s4 src0_sel:BYTE_0 src1_sel:DWORD
	s_mov_b64 s[4:5], -1
                                        ; implicit-def: $sgpr10
	s_and_saveexec_b64 s[8:9], s[12:13]
; %bb.24230:
	s_mov_b32 s10, 0x7f800001
	s_xor_b64 s[4:5], exec, -1
; %bb.24231:
	s_or_b64 exec, exec, s[8:9]
	s_and_b64 s[4:5], s[4:5], exec
	s_or_saveexec_b64 s[6:7], s[6:7]
	v_mov_b32_e32 v6, s10
	s_xor_b64 exec, exec, s[6:7]
	s_cbranch_execnz .LBB1_24232
; %bb.60069:
	s_getpc_b64 s[14:15]
.Lpost_getpc15698:
	s_add_u32 s14, s14, (.LBB1_9894-.Lpost_getpc15698)&4294967295
	s_addc_u32 s15, s15, (.LBB1_9894-.Lpost_getpc15698)>>32
	s_setpc_b64 s[14:15]
.LBB1_24232:
	v_mov_b32_e32 v6, 0
	v_cmp_ne_u16_sdwa s[8:9], v3, v6 src0_sel:BYTE_0 src1_sel:DWORD
	s_andn2_b64 s[4:5], s[4:5], exec
	s_and_b64 s[8:9], s[8:9], exec
	s_or_b64 s[4:5], s[4:5], s[8:9]
	s_or_b64 exec, exec, s[6:7]
	s_and_saveexec_b64 s[6:7], s[4:5]
	s_cbranch_execz .LBB1_33619
; %bb.60071:
	s_getpc_b64 s[14:15]
.Lpost_getpc15699:
	s_add_u32 s14, s14, (.LBB1_9895-.Lpost_getpc15699)&4294967295
	s_addc_u32 s15, s15, (.LBB1_9895-.Lpost_getpc15699)>>32
	s_setpc_b64 s[14:15]
.LBB1_33619:
	s_getpc_b64 s[14:15]
.Lpost_getpc2473:
	s_add_u32 s14, s14, (.LBB1_9896-.Lpost_getpc2473)&4294967295
	s_addc_u32 s15, s15, (.LBB1_9896-.Lpost_getpc2473)>>32
	s_setpc_b64 s[14:15]
.LBB1_24233:
	s_movk_i32 s4, 0x80
	v_cmp_eq_u16_sdwa s[12:13], v6, s4 src0_sel:BYTE_0 src1_sel:DWORD
	s_mov_b64 s[4:5], -1
                                        ; implicit-def: $sgpr10
	s_and_saveexec_b64 s[8:9], s[12:13]
; %bb.24234:
	s_mov_b32 s10, 0x7f800001
	s_xor_b64 s[4:5], exec, -1
; %bb.24235:
	s_or_b64 exec, exec, s[8:9]
	s_and_b64 s[4:5], s[4:5], exec
	s_or_saveexec_b64 s[6:7], s[6:7]
	v_mov_b32_e32 v2, s10
	s_xor_b64 exec, exec, s[6:7]
	s_cbranch_execnz .LBB1_24236
; %bb.60073:
	s_getpc_b64 s[14:15]
.Lpost_getpc15700:
	s_add_u32 s14, s14, (.LBB1_9898-.Lpost_getpc15700)&4294967295
	s_addc_u32 s15, s15, (.LBB1_9898-.Lpost_getpc15700)>>32
	s_setpc_b64 s[14:15]
.LBB1_24236:
	v_mov_b32_e32 v2, 0
	v_cmp_ne_u16_sdwa s[8:9], v6, v2 src0_sel:BYTE_0 src1_sel:DWORD
	s_andn2_b64 s[4:5], s[4:5], exec
	s_and_b64 s[8:9], s[8:9], exec
	s_or_b64 s[4:5], s[4:5], s[8:9]
	s_or_b64 exec, exec, s[6:7]
	s_and_saveexec_b64 s[6:7], s[4:5]
	s_cbranch_execz .LBB1_33621
; %bb.60075:
	s_getpc_b64 s[14:15]
.Lpost_getpc15701:
	s_add_u32 s14, s14, (.LBB1_9899-.Lpost_getpc15701)&4294967295
	s_addc_u32 s15, s15, (.LBB1_9899-.Lpost_getpc15701)>>32
	s_setpc_b64 s[14:15]
.LBB1_33621:
	s_getpc_b64 s[14:15]
.Lpost_getpc2474:
	s_add_u32 s14, s14, (.LBB1_9900-.Lpost_getpc2474)&4294967295
	s_addc_u32 s15, s15, (.LBB1_9900-.Lpost_getpc2474)>>32
	s_setpc_b64 s[14:15]
.LBB1_24237:
	s_movk_i32 s4, 0x80
	v_cmp_eq_u16_sdwa s[12:13], v6, s4 src0_sel:BYTE_0 src1_sel:DWORD
	s_mov_b64 s[4:5], -1
                                        ; implicit-def: $sgpr10
	s_and_saveexec_b64 s[8:9], s[12:13]
; %bb.24238:
	s_mov_b32 s10, 0x7f800001
	s_xor_b64 s[4:5], exec, -1
; %bb.24239:
	s_or_b64 exec, exec, s[8:9]
	s_and_b64 s[4:5], s[4:5], exec
	s_or_saveexec_b64 s[6:7], s[6:7]
	v_mov_b32_e32 v12, s10
	s_xor_b64 exec, exec, s[6:7]
	s_cbranch_execnz .LBB1_24240
; %bb.60077:
	s_getpc_b64 s[14:15]
.Lpost_getpc15702:
	s_add_u32 s14, s14, (.LBB1_9902-.Lpost_getpc15702)&4294967295
	s_addc_u32 s15, s15, (.LBB1_9902-.Lpost_getpc15702)>>32
	s_setpc_b64 s[14:15]
.LBB1_24240:
	v_mov_b32_e32 v12, 0
	v_cmp_ne_u16_sdwa s[8:9], v6, v12 src0_sel:BYTE_0 src1_sel:DWORD
	s_andn2_b64 s[4:5], s[4:5], exec
	s_and_b64 s[8:9], s[8:9], exec
	s_or_b64 s[4:5], s[4:5], s[8:9]
	s_or_b64 exec, exec, s[6:7]
	s_and_saveexec_b64 s[6:7], s[4:5]
	s_cbranch_execz .LBB1_33623
; %bb.60079:
	s_getpc_b64 s[14:15]
.Lpost_getpc15703:
	s_add_u32 s14, s14, (.LBB1_9903-.Lpost_getpc15703)&4294967295
	s_addc_u32 s15, s15, (.LBB1_9903-.Lpost_getpc15703)>>32
	s_setpc_b64 s[14:15]
.LBB1_33623:
	s_getpc_b64 s[14:15]
.Lpost_getpc2475:
	s_add_u32 s14, s14, (.LBB1_9904-.Lpost_getpc2475)&4294967295
	s_addc_u32 s15, s15, (.LBB1_9904-.Lpost_getpc2475)>>32
	s_setpc_b64 s[14:15]
.LBB1_24241:
	s_movk_i32 s4, 0x80
	v_cmp_eq_u16_e32 vcc, s4, v6
	s_mov_b64 s[4:5], -1
                                        ; implicit-def: $sgpr10
	s_and_saveexec_b64 s[8:9], vcc
; %bb.24242:
	s_mov_b32 s10, 0x7f800001
	s_xor_b64 s[4:5], exec, -1
; %bb.24243:
	s_or_b64 exec, exec, s[8:9]
	s_and_b64 s[4:5], s[4:5], exec
                                        ; implicit-def: $vgpr6
	s_or_saveexec_b64 s[6:7], s[6:7]
	v_mov_b32_e32 v2, s10
	s_xor_b64 exec, exec, s[6:7]
	s_cbranch_execnz .LBB1_24244
; %bb.60081:
	s_getpc_b64 s[14:15]
.Lpost_getpc15704:
	s_add_u32 s14, s14, (.LBB1_9906-.Lpost_getpc15704)&4294967295
	s_addc_u32 s15, s15, (.LBB1_9906-.Lpost_getpc15704)>>32
	s_setpc_b64 s[14:15]
.LBB1_24244:
	v_cmp_ne_u16_e32 vcc, 0, v6
	s_andn2_b64 s[4:5], s[4:5], exec
	s_and_b64 s[8:9], vcc, exec
	v_mov_b32_e32 v2, 0
	s_or_b64 s[4:5], s[4:5], s[8:9]
	s_or_b64 exec, exec, s[6:7]
	s_and_saveexec_b64 s[6:7], s[4:5]
	s_cbranch_execz .LBB1_33625
; %bb.60083:
	s_getpc_b64 s[14:15]
.Lpost_getpc15705:
	s_add_u32 s14, s14, (.LBB1_9907-.Lpost_getpc15705)&4294967295
	s_addc_u32 s15, s15, (.LBB1_9907-.Lpost_getpc15705)>>32
	s_setpc_b64 s[14:15]
.LBB1_33625:
	s_getpc_b64 s[14:15]
.Lpost_getpc2476:
	s_add_u32 s14, s14, (.LBB1_9908-.Lpost_getpc2476)&4294967295
	s_addc_u32 s15, s15, (.LBB1_9908-.Lpost_getpc2476)>>32
	s_setpc_b64 s[14:15]
.LBB1_24245:
	s_movk_i32 s4, 0x80
	v_cmp_eq_u16_e32 vcc, s4, v6
	s_mov_b64 s[4:5], -1
                                        ; implicit-def: $sgpr10
	s_and_saveexec_b64 s[8:9], vcc
; %bb.24246:
	s_mov_b32 s10, 0x7f800001
	s_xor_b64 s[4:5], exec, -1
; %bb.24247:
	s_or_b64 exec, exec, s[8:9]
	s_and_b64 s[4:5], s[4:5], exec
                                        ; implicit-def: $vgpr6
	s_or_saveexec_b64 s[6:7], s[6:7]
	v_mov_b32_e32 v12, s10
	s_xor_b64 exec, exec, s[6:7]
	s_cbranch_execnz .LBB1_24248
; %bb.60085:
	s_getpc_b64 s[14:15]
.Lpost_getpc15706:
	s_add_u32 s14, s14, (.LBB1_9910-.Lpost_getpc15706)&4294967295
	s_addc_u32 s15, s15, (.LBB1_9910-.Lpost_getpc15706)>>32
	s_setpc_b64 s[14:15]
.LBB1_24248:
	v_cmp_ne_u16_e32 vcc, 0, v6
	s_andn2_b64 s[4:5], s[4:5], exec
	s_and_b64 s[8:9], vcc, exec
	v_mov_b32_e32 v12, 0
	s_or_b64 s[4:5], s[4:5], s[8:9]
	s_or_b64 exec, exec, s[6:7]
	s_and_saveexec_b64 s[6:7], s[4:5]
	s_cbranch_execz .LBB1_33627
; %bb.60087:
	s_getpc_b64 s[14:15]
.Lpost_getpc15707:
	s_add_u32 s14, s14, (.LBB1_9911-.Lpost_getpc15707)&4294967295
	s_addc_u32 s15, s15, (.LBB1_9911-.Lpost_getpc15707)>>32
	s_setpc_b64 s[14:15]
.LBB1_33627:
	s_getpc_b64 s[14:15]
.Lpost_getpc2477:
	s_add_u32 s14, s14, (.LBB1_9912-.Lpost_getpc2477)&4294967295
	s_addc_u32 s15, s15, (.LBB1_9912-.Lpost_getpc2477)>>32
	s_setpc_b64 s[14:15]
.LBB1_24249:
	s_movk_i32 s4, 0x80
	v_cmp_eq_u16_sdwa s[12:13], v7, s4 src0_sel:BYTE_3 src1_sel:DWORD
	s_mov_b64 s[4:5], -1
                                        ; implicit-def: $sgpr10
	s_and_saveexec_b64 s[8:9], s[12:13]
; %bb.24250:
	s_mov_b32 s10, 0x7f800001
	s_xor_b64 s[4:5], exec, -1
; %bb.24251:
	s_or_b64 exec, exec, s[8:9]
	s_and_b64 s[4:5], s[4:5], exec
	s_or_saveexec_b64 s[6:7], s[6:7]
	v_mov_b32_e32 v2, s10
	s_xor_b64 exec, exec, s[6:7]
	s_cbranch_execnz .LBB1_24252
; %bb.60089:
	s_getpc_b64 s[14:15]
.Lpost_getpc15708:
	s_add_u32 s14, s14, (.LBB1_9914-.Lpost_getpc15708)&4294967295
	s_addc_u32 s15, s15, (.LBB1_9914-.Lpost_getpc15708)>>32
	s_setpc_b64 s[14:15]
.LBB1_24252:
	v_mov_b32_e32 v2, 0
	v_cmp_ne_u16_sdwa s[8:9], v7, v2 src0_sel:BYTE_3 src1_sel:DWORD
	s_andn2_b64 s[4:5], s[4:5], exec
	s_and_b64 s[8:9], s[8:9], exec
	s_or_b64 s[4:5], s[4:5], s[8:9]
	s_or_b64 exec, exec, s[6:7]
	s_and_saveexec_b64 s[6:7], s[4:5]
	s_cbranch_execz .LBB1_33629
; %bb.60091:
	s_getpc_b64 s[14:15]
.Lpost_getpc15709:
	s_add_u32 s14, s14, (.LBB1_9915-.Lpost_getpc15709)&4294967295
	s_addc_u32 s15, s15, (.LBB1_9915-.Lpost_getpc15709)>>32
	s_setpc_b64 s[14:15]
.LBB1_33629:
	s_getpc_b64 s[14:15]
.Lpost_getpc2478:
	s_add_u32 s14, s14, (.LBB1_9916-.Lpost_getpc2478)&4294967295
	s_addc_u32 s15, s15, (.LBB1_9916-.Lpost_getpc2478)>>32
	s_setpc_b64 s[14:15]
.LBB1_24253:
	s_movk_i32 s4, 0x80
	v_cmp_eq_u16_sdwa s[12:13], v3, s4 src0_sel:BYTE_3 src1_sel:DWORD
	s_mov_b64 s[4:5], -1
                                        ; implicit-def: $sgpr10
	s_and_saveexec_b64 s[8:9], s[12:13]
; %bb.24254:
	s_mov_b32 s10, 0x7f800001
	s_xor_b64 s[4:5], exec, -1
; %bb.24255:
	s_or_b64 exec, exec, s[8:9]
	s_and_b64 s[4:5], s[4:5], exec
	s_or_saveexec_b64 s[6:7], s[6:7]
	v_mov_b32_e32 v6, s10
	s_xor_b64 exec, exec, s[6:7]
	s_cbranch_execnz .LBB1_24256
; %bb.60093:
	s_getpc_b64 s[14:15]
.Lpost_getpc15710:
	s_add_u32 s14, s14, (.LBB1_9918-.Lpost_getpc15710)&4294967295
	s_addc_u32 s15, s15, (.LBB1_9918-.Lpost_getpc15710)>>32
	s_setpc_b64 s[14:15]
.LBB1_24256:
	v_mov_b32_e32 v6, 0
	v_cmp_ne_u16_sdwa s[8:9], v3, v6 src0_sel:BYTE_3 src1_sel:DWORD
	s_andn2_b64 s[4:5], s[4:5], exec
	s_and_b64 s[8:9], s[8:9], exec
	s_or_b64 s[4:5], s[4:5], s[8:9]
	s_or_b64 exec, exec, s[6:7]
	s_and_saveexec_b64 s[6:7], s[4:5]
	s_cbranch_execz .LBB1_33631
; %bb.60095:
	s_getpc_b64 s[14:15]
.Lpost_getpc15711:
	s_add_u32 s14, s14, (.LBB1_9919-.Lpost_getpc15711)&4294967295
	s_addc_u32 s15, s15, (.LBB1_9919-.Lpost_getpc15711)>>32
	s_setpc_b64 s[14:15]
.LBB1_33631:
	s_getpc_b64 s[14:15]
.Lpost_getpc2479:
	s_add_u32 s14, s14, (.LBB1_9920-.Lpost_getpc2479)&4294967295
	s_addc_u32 s15, s15, (.LBB1_9920-.Lpost_getpc2479)>>32
	s_setpc_b64 s[14:15]
.LBB1_24257:
	s_movk_i32 s4, 0x80
	v_cmp_eq_u16_sdwa s[12:13], v8, s4 src0_sel:BYTE_0 src1_sel:DWORD
	s_mov_b64 s[4:5], -1
                                        ; implicit-def: $sgpr10
	s_and_saveexec_b64 s[8:9], s[12:13]
; %bb.24258:
	s_mov_b32 s10, 0x7f800001
	s_xor_b64 s[4:5], exec, -1
; %bb.24259:
	s_or_b64 exec, exec, s[8:9]
	s_and_b64 s[4:5], s[4:5], exec
	s_or_saveexec_b64 s[6:7], s[6:7]
	v_mov_b32_e32 v2, s10
	s_xor_b64 exec, exec, s[6:7]
	s_cbranch_execnz .LBB1_24260
; %bb.60097:
	s_getpc_b64 s[14:15]
.Lpost_getpc15712:
	s_add_u32 s14, s14, (.LBB1_9922-.Lpost_getpc15712)&4294967295
	s_addc_u32 s15, s15, (.LBB1_9922-.Lpost_getpc15712)>>32
	s_setpc_b64 s[14:15]
.LBB1_24260:
	v_mov_b32_e32 v2, 0
	v_cmp_ne_u16_sdwa s[8:9], v8, v2 src0_sel:BYTE_0 src1_sel:DWORD
	s_andn2_b64 s[4:5], s[4:5], exec
	s_and_b64 s[8:9], s[8:9], exec
	s_or_b64 s[4:5], s[4:5], s[8:9]
	s_or_b64 exec, exec, s[6:7]
	s_and_saveexec_b64 s[6:7], s[4:5]
	s_cbranch_execz .LBB1_33633
; %bb.60099:
	s_getpc_b64 s[14:15]
.Lpost_getpc15713:
	s_add_u32 s14, s14, (.LBB1_9923-.Lpost_getpc15713)&4294967295
	s_addc_u32 s15, s15, (.LBB1_9923-.Lpost_getpc15713)>>32
	s_setpc_b64 s[14:15]
.LBB1_33633:
	s_getpc_b64 s[14:15]
.Lpost_getpc2480:
	s_add_u32 s14, s14, (.LBB1_9924-.Lpost_getpc2480)&4294967295
	s_addc_u32 s15, s15, (.LBB1_9924-.Lpost_getpc2480)>>32
	s_setpc_b64 s[14:15]
.LBB1_24261:
	s_movk_i32 s4, 0x80
	v_cmp_eq_u16_sdwa s[12:13], v4, s4 src0_sel:BYTE_0 src1_sel:DWORD
	s_mov_b64 s[4:5], -1
                                        ; implicit-def: $sgpr10
	s_and_saveexec_b64 s[8:9], s[12:13]
; %bb.24262:
	s_mov_b32 s10, 0x7f800001
	s_xor_b64 s[4:5], exec, -1
; %bb.24263:
	s_or_b64 exec, exec, s[8:9]
	s_and_b64 s[4:5], s[4:5], exec
	s_or_saveexec_b64 s[6:7], s[6:7]
	v_mov_b32_e32 v3, s10
	s_xor_b64 exec, exec, s[6:7]
	s_cbranch_execnz .LBB1_24264
; %bb.60101:
	s_getpc_b64 s[14:15]
.Lpost_getpc15714:
	s_add_u32 s14, s14, (.LBB1_9926-.Lpost_getpc15714)&4294967295
	s_addc_u32 s15, s15, (.LBB1_9926-.Lpost_getpc15714)>>32
	s_setpc_b64 s[14:15]
.LBB1_24264:
	v_mov_b32_e32 v3, 0
	v_cmp_ne_u16_sdwa s[8:9], v4, v3 src0_sel:BYTE_0 src1_sel:DWORD
	s_andn2_b64 s[4:5], s[4:5], exec
	s_and_b64 s[8:9], s[8:9], exec
	s_or_b64 s[4:5], s[4:5], s[8:9]
	s_or_b64 exec, exec, s[6:7]
	s_and_saveexec_b64 s[6:7], s[4:5]
	s_cbranch_execz .LBB1_33635
; %bb.60103:
	s_getpc_b64 s[14:15]
.Lpost_getpc15715:
	s_add_u32 s14, s14, (.LBB1_9927-.Lpost_getpc15715)&4294967295
	s_addc_u32 s15, s15, (.LBB1_9927-.Lpost_getpc15715)>>32
	s_setpc_b64 s[14:15]
.LBB1_33635:
	s_getpc_b64 s[14:15]
.Lpost_getpc2481:
	s_add_u32 s14, s14, (.LBB1_9928-.Lpost_getpc2481)&4294967295
	s_addc_u32 s15, s15, (.LBB1_9928-.Lpost_getpc2481)>>32
	s_setpc_b64 s[14:15]
.LBB1_24265:
	s_movk_i32 s4, 0x80
	v_cmp_eq_u16_sdwa s[12:13], v3, s4 src0_sel:BYTE_0 src1_sel:DWORD
	s_mov_b64 s[4:5], -1
                                        ; implicit-def: $sgpr10
	s_and_saveexec_b64 s[8:9], s[12:13]
; %bb.24266:
	s_mov_b32 s10, 0x7f800001
	s_xor_b64 s[4:5], exec, -1
; %bb.24267:
	s_or_b64 exec, exec, s[8:9]
	s_and_b64 s[4:5], s[4:5], exec
	s_or_saveexec_b64 s[6:7], s[6:7]
	v_mov_b32_e32 v2, s10
	s_xor_b64 exec, exec, s[6:7]
	s_cbranch_execnz .LBB1_24268
; %bb.60105:
	s_getpc_b64 s[14:15]
.Lpost_getpc15716:
	s_add_u32 s14, s14, (.LBB1_9930-.Lpost_getpc15716)&4294967295
	s_addc_u32 s15, s15, (.LBB1_9930-.Lpost_getpc15716)>>32
	s_setpc_b64 s[14:15]
.LBB1_24268:
	v_mov_b32_e32 v2, 0
	v_cmp_ne_u16_sdwa s[8:9], v3, v2 src0_sel:BYTE_0 src1_sel:DWORD
	s_andn2_b64 s[4:5], s[4:5], exec
	s_and_b64 s[8:9], s[8:9], exec
	s_or_b64 s[4:5], s[4:5], s[8:9]
	s_or_b64 exec, exec, s[6:7]
	s_and_saveexec_b64 s[6:7], s[4:5]
	s_cbranch_execz .LBB1_33637
; %bb.60107:
	s_getpc_b64 s[14:15]
.Lpost_getpc15717:
	s_add_u32 s14, s14, (.LBB1_9931-.Lpost_getpc15717)&4294967295
	s_addc_u32 s15, s15, (.LBB1_9931-.Lpost_getpc15717)>>32
	s_setpc_b64 s[14:15]
.LBB1_33637:
	s_getpc_b64 s[14:15]
.Lpost_getpc2482:
	s_add_u32 s14, s14, (.LBB1_9932-.Lpost_getpc2482)&4294967295
	s_addc_u32 s15, s15, (.LBB1_9932-.Lpost_getpc2482)>>32
	s_setpc_b64 s[14:15]
.LBB1_24269:
	s_movk_i32 s4, 0x80
	v_cmp_eq_u16_sdwa s[12:13], v3, s4 src0_sel:BYTE_0 src1_sel:DWORD
	s_mov_b64 s[4:5], -1
                                        ; implicit-def: $sgpr10
	s_and_saveexec_b64 s[8:9], s[12:13]
; %bb.24270:
	s_mov_b32 s10, 0x7f800001
	s_xor_b64 s[4:5], exec, -1
; %bb.24271:
	s_or_b64 exec, exec, s[8:9]
	s_and_b64 s[4:5], s[4:5], exec
	s_or_saveexec_b64 s[6:7], s[6:7]
	v_mov_b32_e32 v6, s10
	s_xor_b64 exec, exec, s[6:7]
	s_cbranch_execnz .LBB1_24272
; %bb.60109:
	s_getpc_b64 s[14:15]
.Lpost_getpc15718:
	s_add_u32 s14, s14, (.LBB1_9934-.Lpost_getpc15718)&4294967295
	s_addc_u32 s15, s15, (.LBB1_9934-.Lpost_getpc15718)>>32
	s_setpc_b64 s[14:15]
.LBB1_24272:
	v_mov_b32_e32 v6, 0
	v_cmp_ne_u16_sdwa s[8:9], v3, v6 src0_sel:BYTE_0 src1_sel:DWORD
	s_andn2_b64 s[4:5], s[4:5], exec
	s_and_b64 s[8:9], s[8:9], exec
	s_or_b64 s[4:5], s[4:5], s[8:9]
	s_or_b64 exec, exec, s[6:7]
	s_and_saveexec_b64 s[6:7], s[4:5]
	s_cbranch_execz .LBB1_33639
; %bb.60111:
	s_getpc_b64 s[14:15]
.Lpost_getpc15719:
	s_add_u32 s14, s14, (.LBB1_9935-.Lpost_getpc15719)&4294967295
	s_addc_u32 s15, s15, (.LBB1_9935-.Lpost_getpc15719)>>32
	s_setpc_b64 s[14:15]
.LBB1_33639:
	s_getpc_b64 s[14:15]
.Lpost_getpc2483:
	s_add_u32 s14, s14, (.LBB1_9936-.Lpost_getpc2483)&4294967295
	s_addc_u32 s15, s15, (.LBB1_9936-.Lpost_getpc2483)>>32
	s_setpc_b64 s[14:15]
.LBB1_24273:
	s_movk_i32 s4, 0x80
	v_cmp_eq_u16_e32 vcc, s4, v3
	s_mov_b64 s[4:5], -1
                                        ; implicit-def: $sgpr10
	s_and_saveexec_b64 s[8:9], vcc
; %bb.24274:
	s_mov_b32 s10, 0x7f800001
	s_xor_b64 s[4:5], exec, -1
; %bb.24275:
	s_or_b64 exec, exec, s[8:9]
	s_and_b64 s[4:5], s[4:5], exec
                                        ; implicit-def: $vgpr3
	s_or_saveexec_b64 s[6:7], s[6:7]
	v_mov_b32_e32 v2, s10
	s_xor_b64 exec, exec, s[6:7]
	s_cbranch_execnz .LBB1_24276
; %bb.60113:
	s_getpc_b64 s[14:15]
.Lpost_getpc15720:
	s_add_u32 s14, s14, (.LBB1_9938-.Lpost_getpc15720)&4294967295
	s_addc_u32 s15, s15, (.LBB1_9938-.Lpost_getpc15720)>>32
	s_setpc_b64 s[14:15]
.LBB1_24276:
	v_cmp_ne_u16_e32 vcc, 0, v3
	s_andn2_b64 s[4:5], s[4:5], exec
	s_and_b64 s[8:9], vcc, exec
	v_mov_b32_e32 v2, 0
	s_or_b64 s[4:5], s[4:5], s[8:9]
	s_or_b64 exec, exec, s[6:7]
	s_and_saveexec_b64 s[6:7], s[4:5]
	s_cbranch_execz .LBB1_33641
; %bb.60115:
	s_getpc_b64 s[14:15]
.Lpost_getpc15721:
	s_add_u32 s14, s14, (.LBB1_9939-.Lpost_getpc15721)&4294967295
	s_addc_u32 s15, s15, (.LBB1_9939-.Lpost_getpc15721)>>32
	s_setpc_b64 s[14:15]
.LBB1_33641:
	s_getpc_b64 s[14:15]
.Lpost_getpc2484:
	s_add_u32 s14, s14, (.LBB1_9940-.Lpost_getpc2484)&4294967295
	s_addc_u32 s15, s15, (.LBB1_9940-.Lpost_getpc2484)>>32
	s_setpc_b64 s[14:15]
.LBB1_24277:
	s_movk_i32 s4, 0x80
	v_cmp_eq_u16_e32 vcc, s4, v3
	s_mov_b64 s[4:5], -1
                                        ; implicit-def: $sgpr10
	s_and_saveexec_b64 s[8:9], vcc
; %bb.24278:
	s_mov_b32 s10, 0x7f800001
	s_xor_b64 s[4:5], exec, -1
; %bb.24279:
	s_or_b64 exec, exec, s[8:9]
	s_and_b64 s[4:5], s[4:5], exec
                                        ; implicit-def: $vgpr3
	s_or_saveexec_b64 s[6:7], s[6:7]
	v_mov_b32_e32 v6, s10
	s_xor_b64 exec, exec, s[6:7]
	s_cbranch_execnz .LBB1_24280
; %bb.60117:
	s_getpc_b64 s[14:15]
.Lpost_getpc15722:
	s_add_u32 s14, s14, (.LBB1_9942-.Lpost_getpc15722)&4294967295
	s_addc_u32 s15, s15, (.LBB1_9942-.Lpost_getpc15722)>>32
	s_setpc_b64 s[14:15]
.LBB1_24280:
	v_cmp_ne_u16_e32 vcc, 0, v3
	s_andn2_b64 s[4:5], s[4:5], exec
	s_and_b64 s[8:9], vcc, exec
	v_mov_b32_e32 v6, 0
	s_or_b64 s[4:5], s[4:5], s[8:9]
	s_or_b64 exec, exec, s[6:7]
	s_and_saveexec_b64 s[6:7], s[4:5]
	s_cbranch_execz .LBB1_33643
; %bb.60119:
	s_getpc_b64 s[14:15]
.Lpost_getpc15723:
	s_add_u32 s14, s14, (.LBB1_9943-.Lpost_getpc15723)&4294967295
	s_addc_u32 s15, s15, (.LBB1_9943-.Lpost_getpc15723)>>32
	s_setpc_b64 s[14:15]
.LBB1_33643:
	s_getpc_b64 s[14:15]
.Lpost_getpc2485:
	s_add_u32 s14, s14, (.LBB1_9944-.Lpost_getpc2485)&4294967295
	s_addc_u32 s15, s15, (.LBB1_9944-.Lpost_getpc2485)>>32
	s_setpc_b64 s[14:15]
.LBB1_24281:
	s_movk_i32 s4, 0x80
	v_cmp_eq_u16_sdwa s[12:13], v8, s4 src0_sel:BYTE_3 src1_sel:DWORD
	s_mov_b64 s[4:5], -1
                                        ; implicit-def: $sgpr10
	s_and_saveexec_b64 s[8:9], s[12:13]
; %bb.24282:
	s_mov_b32 s10, 0x7f800001
	s_xor_b64 s[4:5], exec, -1
; %bb.24283:
	s_or_b64 exec, exec, s[8:9]
	s_and_b64 s[4:5], s[4:5], exec
	s_or_saveexec_b64 s[6:7], s[6:7]
	v_mov_b32_e32 v2, s10
	s_xor_b64 exec, exec, s[6:7]
	s_cbranch_execnz .LBB1_24284
; %bb.60121:
	s_getpc_b64 s[14:15]
.Lpost_getpc15724:
	s_add_u32 s14, s14, (.LBB1_9946-.Lpost_getpc15724)&4294967295
	s_addc_u32 s15, s15, (.LBB1_9946-.Lpost_getpc15724)>>32
	s_setpc_b64 s[14:15]
.LBB1_24284:
	v_mov_b32_e32 v2, 0
	v_cmp_ne_u16_sdwa s[8:9], v8, v2 src0_sel:BYTE_3 src1_sel:DWORD
	s_andn2_b64 s[4:5], s[4:5], exec
	s_and_b64 s[8:9], s[8:9], exec
	s_or_b64 s[4:5], s[4:5], s[8:9]
	s_or_b64 exec, exec, s[6:7]
	s_and_saveexec_b64 s[6:7], s[4:5]
	s_cbranch_execz .LBB1_33645
; %bb.60123:
	s_getpc_b64 s[14:15]
.Lpost_getpc15725:
	s_add_u32 s14, s14, (.LBB1_9947-.Lpost_getpc15725)&4294967295
	s_addc_u32 s15, s15, (.LBB1_9947-.Lpost_getpc15725)>>32
	s_setpc_b64 s[14:15]
.LBB1_33645:
	s_getpc_b64 s[14:15]
.Lpost_getpc2486:
	s_add_u32 s14, s14, (.LBB1_9948-.Lpost_getpc2486)&4294967295
	s_addc_u32 s15, s15, (.LBB1_9948-.Lpost_getpc2486)>>32
	s_setpc_b64 s[14:15]
.LBB1_24285:
	s_movk_i32 s4, 0x80
	v_cmp_eq_u16_sdwa s[12:13], v4, s4 src0_sel:BYTE_3 src1_sel:DWORD
	s_mov_b64 s[4:5], -1
                                        ; implicit-def: $sgpr10
	s_and_saveexec_b64 s[8:9], s[12:13]
; %bb.24286:
	s_mov_b32 s10, 0x7f800001
	s_xor_b64 s[4:5], exec, -1
; %bb.24287:
	s_or_b64 exec, exec, s[8:9]
	s_and_b64 s[4:5], s[4:5], exec
	s_or_saveexec_b64 s[6:7], s[6:7]
	v_mov_b32_e32 v3, s10
	s_xor_b64 exec, exec, s[6:7]
	s_cbranch_execnz .LBB1_24288
; %bb.60125:
	s_getpc_b64 s[14:15]
.Lpost_getpc15726:
	s_add_u32 s14, s14, (.LBB1_9950-.Lpost_getpc15726)&4294967295
	s_addc_u32 s15, s15, (.LBB1_9950-.Lpost_getpc15726)>>32
	s_setpc_b64 s[14:15]
.LBB1_24288:
	v_mov_b32_e32 v3, 0
	v_cmp_ne_u16_sdwa s[8:9], v4, v3 src0_sel:BYTE_3 src1_sel:DWORD
	s_andn2_b64 s[4:5], s[4:5], exec
	s_and_b64 s[8:9], s[8:9], exec
	s_or_b64 s[4:5], s[4:5], s[8:9]
	s_or_b64 exec, exec, s[6:7]
	s_and_saveexec_b64 s[6:7], s[4:5]
	s_cbranch_execz .LBB1_33647
; %bb.60127:
	s_getpc_b64 s[14:15]
.Lpost_getpc15727:
	s_add_u32 s14, s14, (.LBB1_9951-.Lpost_getpc15727)&4294967295
	s_addc_u32 s15, s15, (.LBB1_9951-.Lpost_getpc15727)>>32
	s_setpc_b64 s[14:15]
.LBB1_33647:
	s_getpc_b64 s[14:15]
.Lpost_getpc2487:
	s_add_u32 s14, s14, (.LBB1_9952-.Lpost_getpc2487)&4294967295
	s_addc_u32 s15, s15, (.LBB1_9952-.Lpost_getpc2487)>>32
	s_setpc_b64 s[14:15]
.LBB1_24289:
	s_movk_i32 s4, 0x80
	v_cmp_eq_u16_sdwa s[12:13], v9, s4 src0_sel:BYTE_0 src1_sel:DWORD
	s_mov_b64 s[4:5], -1
                                        ; implicit-def: $sgpr10
	s_and_saveexec_b64 s[8:9], s[12:13]
; %bb.24290:
	s_mov_b32 s10, 0x7f800001
	s_xor_b64 s[4:5], exec, -1
; %bb.24291:
	s_or_b64 exec, exec, s[8:9]
	s_and_b64 s[4:5], s[4:5], exec
	s_or_saveexec_b64 s[6:7], s[6:7]
	v_mov_b32_e32 v2, s10
	s_xor_b64 exec, exec, s[6:7]
	s_cbranch_execnz .LBB1_24292
; %bb.60129:
	s_getpc_b64 s[14:15]
.Lpost_getpc15728:
	s_add_u32 s14, s14, (.LBB1_9954-.Lpost_getpc15728)&4294967295
	s_addc_u32 s15, s15, (.LBB1_9954-.Lpost_getpc15728)>>32
	s_setpc_b64 s[14:15]
.LBB1_24292:
	v_mov_b32_e32 v2, 0
	v_cmp_ne_u16_sdwa s[8:9], v9, v2 src0_sel:BYTE_0 src1_sel:DWORD
	s_andn2_b64 s[4:5], s[4:5], exec
	s_and_b64 s[8:9], s[8:9], exec
	s_or_b64 s[4:5], s[4:5], s[8:9]
	s_or_b64 exec, exec, s[6:7]
	s_and_saveexec_b64 s[6:7], s[4:5]
	s_cbranch_execz .LBB1_33649
; %bb.60131:
	s_getpc_b64 s[14:15]
.Lpost_getpc15729:
	s_add_u32 s14, s14, (.LBB1_9955-.Lpost_getpc15729)&4294967295
	s_addc_u32 s15, s15, (.LBB1_9955-.Lpost_getpc15729)>>32
	s_setpc_b64 s[14:15]
.LBB1_33649:
	s_getpc_b64 s[14:15]
.Lpost_getpc2488:
	s_add_u32 s14, s14, (.LBB1_9956-.Lpost_getpc2488)&4294967295
	s_addc_u32 s15, s15, (.LBB1_9956-.Lpost_getpc2488)>>32
	s_setpc_b64 s[14:15]
.LBB1_24293:
	s_movk_i32 s4, 0x80
	v_cmp_eq_u16_sdwa s[12:13], v5, s4 src0_sel:BYTE_0 src1_sel:DWORD
	s_mov_b64 s[4:5], -1
                                        ; implicit-def: $sgpr10
	s_and_saveexec_b64 s[8:9], s[12:13]
; %bb.24294:
	s_mov_b32 s10, 0x7f800001
	s_xor_b64 s[4:5], exec, -1
; %bb.24295:
	s_or_b64 exec, exec, s[8:9]
	s_and_b64 s[4:5], s[4:5], exec
	s_or_saveexec_b64 s[6:7], s[6:7]
	v_mov_b32_e32 v3, s10
	s_xor_b64 exec, exec, s[6:7]
	s_cbranch_execnz .LBB1_24296
; %bb.60133:
	s_getpc_b64 s[14:15]
.Lpost_getpc15730:
	s_add_u32 s14, s14, (.LBB1_9958-.Lpost_getpc15730)&4294967295
	s_addc_u32 s15, s15, (.LBB1_9958-.Lpost_getpc15730)>>32
	s_setpc_b64 s[14:15]
.LBB1_24296:
	v_mov_b32_e32 v3, 0
	v_cmp_ne_u16_sdwa s[8:9], v5, v3 src0_sel:BYTE_0 src1_sel:DWORD
	s_andn2_b64 s[4:5], s[4:5], exec
	s_and_b64 s[8:9], s[8:9], exec
	s_or_b64 s[4:5], s[4:5], s[8:9]
	s_or_b64 exec, exec, s[6:7]
	s_and_saveexec_b64 s[6:7], s[4:5]
	s_cbranch_execz .LBB1_33651
; %bb.60135:
	s_getpc_b64 s[14:15]
.Lpost_getpc15731:
	s_add_u32 s14, s14, (.LBB1_9959-.Lpost_getpc15731)&4294967295
	s_addc_u32 s15, s15, (.LBB1_9959-.Lpost_getpc15731)>>32
	s_setpc_b64 s[14:15]
.LBB1_33651:
	s_getpc_b64 s[14:15]
.Lpost_getpc2489:
	s_add_u32 s14, s14, (.LBB1_9960-.Lpost_getpc2489)&4294967295
	s_addc_u32 s15, s15, (.LBB1_9960-.Lpost_getpc2489)>>32
	s_setpc_b64 s[14:15]
.LBB1_24297:
	s_movk_i32 s4, 0x80
	v_cmp_eq_u16_sdwa s[12:13], v3, s4 src0_sel:BYTE_0 src1_sel:DWORD
	s_mov_b64 s[4:5], -1
                                        ; implicit-def: $sgpr10
	s_and_saveexec_b64 s[8:9], s[12:13]
; %bb.24298:
	s_mov_b32 s10, 0x7f800001
	s_xor_b64 s[4:5], exec, -1
; %bb.24299:
	s_or_b64 exec, exec, s[8:9]
	s_and_b64 s[4:5], s[4:5], exec
	s_or_saveexec_b64 s[6:7], s[6:7]
	v_mov_b32_e32 v2, s10
	s_xor_b64 exec, exec, s[6:7]
	s_cbranch_execnz .LBB1_24300
; %bb.60137:
	s_getpc_b64 s[14:15]
.Lpost_getpc15732:
	s_add_u32 s14, s14, (.LBB1_9962-.Lpost_getpc15732)&4294967295
	s_addc_u32 s15, s15, (.LBB1_9962-.Lpost_getpc15732)>>32
	s_setpc_b64 s[14:15]
.LBB1_24300:
	v_mov_b32_e32 v2, 0
	v_cmp_ne_u16_sdwa s[8:9], v3, v2 src0_sel:BYTE_0 src1_sel:DWORD
	s_andn2_b64 s[4:5], s[4:5], exec
	s_and_b64 s[8:9], s[8:9], exec
	s_or_b64 s[4:5], s[4:5], s[8:9]
	s_or_b64 exec, exec, s[6:7]
	s_and_saveexec_b64 s[6:7], s[4:5]
	s_cbranch_execz .LBB1_33653
; %bb.60139:
	s_getpc_b64 s[14:15]
.Lpost_getpc15733:
	s_add_u32 s14, s14, (.LBB1_9963-.Lpost_getpc15733)&4294967295
	s_addc_u32 s15, s15, (.LBB1_9963-.Lpost_getpc15733)>>32
	s_setpc_b64 s[14:15]
.LBB1_33653:
	s_getpc_b64 s[14:15]
.Lpost_getpc2490:
	s_add_u32 s14, s14, (.LBB1_9964-.Lpost_getpc2490)&4294967295
	s_addc_u32 s15, s15, (.LBB1_9964-.Lpost_getpc2490)>>32
	s_setpc_b64 s[14:15]
.LBB1_24301:
	s_movk_i32 s4, 0x80
	v_cmp_eq_u16_sdwa s[12:13], v3, s4 src0_sel:BYTE_0 src1_sel:DWORD
	s_mov_b64 s[4:5], -1
                                        ; implicit-def: $sgpr10
	s_and_saveexec_b64 s[8:9], s[12:13]
; %bb.24302:
	s_mov_b32 s10, 0x7f800001
	s_xor_b64 s[4:5], exec, -1
; %bb.24303:
	s_or_b64 exec, exec, s[8:9]
	s_and_b64 s[4:5], s[4:5], exec
	s_or_saveexec_b64 s[6:7], s[6:7]
	v_mov_b32_e32 v4, s10
	s_xor_b64 exec, exec, s[6:7]
	s_cbranch_execnz .LBB1_24304
; %bb.60141:
	s_getpc_b64 s[14:15]
.Lpost_getpc15734:
	s_add_u32 s14, s14, (.LBB1_9966-.Lpost_getpc15734)&4294967295
	s_addc_u32 s15, s15, (.LBB1_9966-.Lpost_getpc15734)>>32
	s_setpc_b64 s[14:15]
.LBB1_24304:
	v_mov_b32_e32 v4, 0
	v_cmp_ne_u16_sdwa s[8:9], v3, v4 src0_sel:BYTE_0 src1_sel:DWORD
	s_andn2_b64 s[4:5], s[4:5], exec
	s_and_b64 s[8:9], s[8:9], exec
	s_or_b64 s[4:5], s[4:5], s[8:9]
	s_or_b64 exec, exec, s[6:7]
	s_and_saveexec_b64 s[6:7], s[4:5]
	s_cbranch_execz .LBB1_33655
; %bb.60143:
	s_getpc_b64 s[14:15]
.Lpost_getpc15735:
	s_add_u32 s14, s14, (.LBB1_9967-.Lpost_getpc15735)&4294967295
	s_addc_u32 s15, s15, (.LBB1_9967-.Lpost_getpc15735)>>32
	s_setpc_b64 s[14:15]
.LBB1_33655:
	s_getpc_b64 s[14:15]
.Lpost_getpc2491:
	s_add_u32 s14, s14, (.LBB1_9968-.Lpost_getpc2491)&4294967295
	s_addc_u32 s15, s15, (.LBB1_9968-.Lpost_getpc2491)>>32
	s_setpc_b64 s[14:15]
.LBB1_24305:
	s_movk_i32 s4, 0x80
	v_cmp_eq_u16_e32 vcc, s4, v3
	s_mov_b64 s[4:5], -1
                                        ; implicit-def: $sgpr10
	s_and_saveexec_b64 s[8:9], vcc
; %bb.24306:
	s_mov_b32 s10, 0x7f800001
	s_xor_b64 s[4:5], exec, -1
; %bb.24307:
	s_or_b64 exec, exec, s[8:9]
	s_and_b64 s[4:5], s[4:5], exec
                                        ; implicit-def: $vgpr3
	s_or_saveexec_b64 s[6:7], s[6:7]
	v_mov_b32_e32 v2, s10
	s_xor_b64 exec, exec, s[6:7]
	s_cbranch_execnz .LBB1_24308
; %bb.60145:
	s_getpc_b64 s[14:15]
.Lpost_getpc15736:
	s_add_u32 s14, s14, (.LBB1_9970-.Lpost_getpc15736)&4294967295
	s_addc_u32 s15, s15, (.LBB1_9970-.Lpost_getpc15736)>>32
	s_setpc_b64 s[14:15]
.LBB1_24308:
	v_cmp_ne_u16_e32 vcc, 0, v3
	s_andn2_b64 s[4:5], s[4:5], exec
	s_and_b64 s[8:9], vcc, exec
	v_mov_b32_e32 v2, 0
	s_or_b64 s[4:5], s[4:5], s[8:9]
	s_or_b64 exec, exec, s[6:7]
	s_and_saveexec_b64 s[6:7], s[4:5]
	s_cbranch_execz .LBB1_33657
; %bb.60147:
	s_getpc_b64 s[14:15]
.Lpost_getpc15737:
	s_add_u32 s14, s14, (.LBB1_9971-.Lpost_getpc15737)&4294967295
	s_addc_u32 s15, s15, (.LBB1_9971-.Lpost_getpc15737)>>32
	s_setpc_b64 s[14:15]
.LBB1_33657:
	s_getpc_b64 s[14:15]
.Lpost_getpc2492:
	s_add_u32 s14, s14, (.LBB1_9972-.Lpost_getpc2492)&4294967295
	s_addc_u32 s15, s15, (.LBB1_9972-.Lpost_getpc2492)>>32
	s_setpc_b64 s[14:15]
.LBB1_24309:
	s_movk_i32 s4, 0x80
	v_cmp_eq_u16_e32 vcc, s4, v3
	s_mov_b64 s[4:5], -1
                                        ; implicit-def: $sgpr10
	s_and_saveexec_b64 s[8:9], vcc
; %bb.24310:
	s_mov_b32 s10, 0x7f800001
	s_xor_b64 s[4:5], exec, -1
; %bb.24311:
	s_or_b64 exec, exec, s[8:9]
	s_and_b64 s[4:5], s[4:5], exec
                                        ; implicit-def: $vgpr3
	s_or_saveexec_b64 s[6:7], s[6:7]
	v_mov_b32_e32 v4, s10
	s_xor_b64 exec, exec, s[6:7]
	s_cbranch_execnz .LBB1_24312
; %bb.60149:
	s_getpc_b64 s[14:15]
.Lpost_getpc15738:
	s_add_u32 s14, s14, (.LBB1_9974-.Lpost_getpc15738)&4294967295
	s_addc_u32 s15, s15, (.LBB1_9974-.Lpost_getpc15738)>>32
	s_setpc_b64 s[14:15]
.LBB1_24312:
	v_cmp_ne_u16_e32 vcc, 0, v3
	s_andn2_b64 s[4:5], s[4:5], exec
	s_and_b64 s[8:9], vcc, exec
	v_mov_b32_e32 v4, 0
	s_or_b64 s[4:5], s[4:5], s[8:9]
	s_or_b64 exec, exec, s[6:7]
	s_and_saveexec_b64 s[6:7], s[4:5]
	s_cbranch_execz .LBB1_33659
; %bb.60151:
	s_getpc_b64 s[14:15]
.Lpost_getpc15739:
	s_add_u32 s14, s14, (.LBB1_9975-.Lpost_getpc15739)&4294967295
	s_addc_u32 s15, s15, (.LBB1_9975-.Lpost_getpc15739)>>32
	s_setpc_b64 s[14:15]
.LBB1_33659:
	s_getpc_b64 s[14:15]
.Lpost_getpc2493:
	s_add_u32 s14, s14, (.LBB1_9976-.Lpost_getpc2493)&4294967295
	s_addc_u32 s15, s15, (.LBB1_9976-.Lpost_getpc2493)>>32
	s_setpc_b64 s[14:15]
.LBB1_24313:
	s_movk_i32 s4, 0x80
	v_cmp_eq_u16_sdwa s[12:13], v9, s4 src0_sel:BYTE_3 src1_sel:DWORD
	s_mov_b64 s[4:5], -1
                                        ; implicit-def: $sgpr10
	s_and_saveexec_b64 s[8:9], s[12:13]
; %bb.24314:
	s_mov_b32 s10, 0x7f800001
	s_xor_b64 s[4:5], exec, -1
; %bb.24315:
	s_or_b64 exec, exec, s[8:9]
	s_and_b64 s[4:5], s[4:5], exec
	s_or_saveexec_b64 s[6:7], s[6:7]
	v_mov_b32_e32 v2, s10
	s_xor_b64 exec, exec, s[6:7]
	s_cbranch_execnz .LBB1_24316
; %bb.60153:
	s_getpc_b64 s[14:15]
.Lpost_getpc15740:
	s_add_u32 s14, s14, (.LBB1_9978-.Lpost_getpc15740)&4294967295
	s_addc_u32 s15, s15, (.LBB1_9978-.Lpost_getpc15740)>>32
	s_setpc_b64 s[14:15]
.LBB1_24316:
	v_mov_b32_e32 v2, 0
	v_cmp_ne_u16_sdwa s[8:9], v9, v2 src0_sel:BYTE_3 src1_sel:DWORD
	s_andn2_b64 s[4:5], s[4:5], exec
	s_and_b64 s[8:9], s[8:9], exec
	s_or_b64 s[4:5], s[4:5], s[8:9]
	s_or_b64 exec, exec, s[6:7]
	s_and_saveexec_b64 s[6:7], s[4:5]
	s_cbranch_execz .LBB1_33661
; %bb.60155:
	s_getpc_b64 s[14:15]
.Lpost_getpc15741:
	s_add_u32 s14, s14, (.LBB1_9979-.Lpost_getpc15741)&4294967295
	s_addc_u32 s15, s15, (.LBB1_9979-.Lpost_getpc15741)>>32
	s_setpc_b64 s[14:15]
.LBB1_33661:
	s_getpc_b64 s[14:15]
.Lpost_getpc2494:
	s_add_u32 s14, s14, (.LBB1_9980-.Lpost_getpc2494)&4294967295
	s_addc_u32 s15, s15, (.LBB1_9980-.Lpost_getpc2494)>>32
	s_setpc_b64 s[14:15]
.LBB1_24317:
	s_movk_i32 s4, 0x80
	v_cmp_eq_u16_sdwa s[12:13], v5, s4 src0_sel:BYTE_3 src1_sel:DWORD
	s_mov_b64 s[4:5], -1
                                        ; implicit-def: $sgpr10
	s_and_saveexec_b64 s[8:9], s[12:13]
; %bb.24318:
	s_mov_b32 s10, 0x7f800001
	s_xor_b64 s[4:5], exec, -1
; %bb.24319:
	s_or_b64 exec, exec, s[8:9]
	s_and_b64 s[4:5], s[4:5], exec
	s_or_saveexec_b64 s[6:7], s[6:7]
	v_mov_b32_e32 v3, s10
	s_xor_b64 exec, exec, s[6:7]
	s_cbranch_execnz .LBB1_24320
; %bb.60157:
	s_getpc_b64 s[14:15]
.Lpost_getpc15742:
	s_add_u32 s14, s14, (.LBB1_9982-.Lpost_getpc15742)&4294967295
	s_addc_u32 s15, s15, (.LBB1_9982-.Lpost_getpc15742)>>32
	s_setpc_b64 s[14:15]
.LBB1_24320:
	v_mov_b32_e32 v3, 0
	v_cmp_ne_u16_sdwa s[8:9], v5, v3 src0_sel:BYTE_3 src1_sel:DWORD
	s_andn2_b64 s[4:5], s[4:5], exec
	s_and_b64 s[8:9], s[8:9], exec
	s_or_b64 s[4:5], s[4:5], s[8:9]
	s_or_b64 exec, exec, s[6:7]
	s_and_saveexec_b64 s[6:7], s[4:5]
	s_cbranch_execz .LBB1_33663
; %bb.60159:
	s_getpc_b64 s[14:15]
.Lpost_getpc15743:
	s_add_u32 s14, s14, (.LBB1_9983-.Lpost_getpc15743)&4294967295
	s_addc_u32 s15, s15, (.LBB1_9983-.Lpost_getpc15743)>>32
	s_setpc_b64 s[14:15]
.LBB1_33663:
	s_getpc_b64 s[14:15]
.Lpost_getpc2495:
	s_add_u32 s14, s14, (.LBB1_9984-.Lpost_getpc2495)&4294967295
	s_addc_u32 s15, s15, (.LBB1_9984-.Lpost_getpc2495)>>32
	s_setpc_b64 s[14:15]
.LBB1_24321:
	s_movk_i32 s4, 0x80
	v_cmp_eq_u16_sdwa s[12:13], v6, s4 src0_sel:BYTE_0 src1_sel:DWORD
	s_mov_b64 s[4:5], -1
                                        ; implicit-def: $sgpr10
	s_and_saveexec_b64 s[8:9], s[12:13]
; %bb.24322:
	s_mov_b32 s10, 0x7f800001
	s_xor_b64 s[4:5], exec, -1
; %bb.24323:
	s_or_b64 exec, exec, s[8:9]
	s_and_b64 s[4:5], s[4:5], exec
	s_or_saveexec_b64 s[6:7], s[6:7]
	v_mov_b32_e32 v12, s10
	s_xor_b64 exec, exec, s[6:7]
	s_cbranch_execnz .LBB1_24324
; %bb.60161:
	s_getpc_b64 s[14:15]
.Lpost_getpc15744:
	s_add_u32 s14, s14, (.LBB1_9986-.Lpost_getpc15744)&4294967295
	s_addc_u32 s15, s15, (.LBB1_9986-.Lpost_getpc15744)>>32
	s_setpc_b64 s[14:15]
.LBB1_24324:
	v_mov_b32_e32 v12, 0
	v_cmp_ne_u16_sdwa s[8:9], v6, v12 src0_sel:BYTE_0 src1_sel:DWORD
	s_andn2_b64 s[4:5], s[4:5], exec
	s_and_b64 s[8:9], s[8:9], exec
	s_or_b64 s[4:5], s[4:5], s[8:9]
	s_or_b64 exec, exec, s[6:7]
	s_and_saveexec_b64 s[6:7], s[4:5]
	s_cbranch_execz .LBB1_33665
; %bb.60163:
	s_getpc_b64 s[14:15]
.Lpost_getpc15745:
	s_add_u32 s14, s14, (.LBB1_9987-.Lpost_getpc15745)&4294967295
	s_addc_u32 s15, s15, (.LBB1_9987-.Lpost_getpc15745)>>32
	s_setpc_b64 s[14:15]
.LBB1_33665:
	s_getpc_b64 s[14:15]
.Lpost_getpc2496:
	s_add_u32 s14, s14, (.LBB1_9988-.Lpost_getpc2496)&4294967295
	s_addc_u32 s15, s15, (.LBB1_9988-.Lpost_getpc2496)>>32
	s_setpc_b64 s[14:15]
.LBB1_24325:
	s_movk_i32 s4, 0x80
	v_cmp_eq_u16_sdwa s[12:13], v2, s4 src0_sel:BYTE_0 src1_sel:DWORD
	s_mov_b64 s[4:5], -1
                                        ; implicit-def: $sgpr10
	s_and_saveexec_b64 s[8:9], s[12:13]
; %bb.24326:
	s_mov_b32 s10, 0x7f800001
	s_xor_b64 s[4:5], exec, -1
; %bb.24327:
	s_or_b64 exec, exec, s[8:9]
	s_and_b64 s[4:5], s[4:5], exec
	s_or_saveexec_b64 s[6:7], s[6:7]
	v_mov_b32_e32 v13, s10
	s_xor_b64 exec, exec, s[6:7]
	s_cbranch_execnz .LBB1_24328
; %bb.60165:
	s_getpc_b64 s[14:15]
.Lpost_getpc15746:
	s_add_u32 s14, s14, (.LBB1_9990-.Lpost_getpc15746)&4294967295
	s_addc_u32 s15, s15, (.LBB1_9990-.Lpost_getpc15746)>>32
	s_setpc_b64 s[14:15]
.LBB1_24328:
	v_mov_b32_e32 v13, 0
	v_cmp_ne_u16_sdwa s[8:9], v2, v13 src0_sel:BYTE_0 src1_sel:DWORD
	s_andn2_b64 s[4:5], s[4:5], exec
	s_and_b64 s[8:9], s[8:9], exec
	s_or_b64 s[4:5], s[4:5], s[8:9]
	s_or_b64 exec, exec, s[6:7]
	s_and_saveexec_b64 s[6:7], s[4:5]
	s_cbranch_execz .LBB1_33667
; %bb.60167:
	s_getpc_b64 s[14:15]
.Lpost_getpc15747:
	s_add_u32 s14, s14, (.LBB1_9991-.Lpost_getpc15747)&4294967295
	s_addc_u32 s15, s15, (.LBB1_9991-.Lpost_getpc15747)>>32
	s_setpc_b64 s[14:15]
.LBB1_33667:
	s_getpc_b64 s[14:15]
.Lpost_getpc2497:
	s_add_u32 s14, s14, (.LBB1_9992-.Lpost_getpc2497)&4294967295
	s_addc_u32 s15, s15, (.LBB1_9992-.Lpost_getpc2497)>>32
	s_setpc_b64 s[14:15]
.LBB1_24329:
	s_movk_i32 s4, 0x80
	v_cmp_eq_u16_sdwa s[12:13], v13, s4 src0_sel:BYTE_0 src1_sel:DWORD
	s_mov_b64 s[4:5], -1
                                        ; implicit-def: $sgpr10
	s_and_saveexec_b64 s[8:9], s[12:13]
; %bb.24330:
	s_mov_b32 s10, 0x7f800001
	s_xor_b64 s[4:5], exec, -1
; %bb.24331:
	s_or_b64 exec, exec, s[8:9]
	s_and_b64 s[4:5], s[4:5], exec
	s_or_saveexec_b64 s[6:7], s[6:7]
	v_mov_b32_e32 v12, s10
	s_xor_b64 exec, exec, s[6:7]
	s_cbranch_execnz .LBB1_24332
; %bb.60169:
	s_getpc_b64 s[14:15]
.Lpost_getpc15748:
	s_add_u32 s14, s14, (.LBB1_9994-.Lpost_getpc15748)&4294967295
	s_addc_u32 s15, s15, (.LBB1_9994-.Lpost_getpc15748)>>32
	s_setpc_b64 s[14:15]
.LBB1_24332:
	v_mov_b32_e32 v12, 0
	v_cmp_ne_u16_sdwa s[8:9], v13, v12 src0_sel:BYTE_0 src1_sel:DWORD
	s_andn2_b64 s[4:5], s[4:5], exec
	s_and_b64 s[8:9], s[8:9], exec
	s_or_b64 s[4:5], s[4:5], s[8:9]
	s_or_b64 exec, exec, s[6:7]
	s_and_saveexec_b64 s[6:7], s[4:5]
	s_cbranch_execz .LBB1_33669
; %bb.60171:
	s_getpc_b64 s[14:15]
.Lpost_getpc15749:
	s_add_u32 s14, s14, (.LBB1_9995-.Lpost_getpc15749)&4294967295
	s_addc_u32 s15, s15, (.LBB1_9995-.Lpost_getpc15749)>>32
	s_setpc_b64 s[14:15]
.LBB1_33669:
	s_getpc_b64 s[14:15]
.Lpost_getpc2498:
	s_add_u32 s14, s14, (.LBB1_9996-.Lpost_getpc2498)&4294967295
	s_addc_u32 s15, s15, (.LBB1_9996-.Lpost_getpc2498)>>32
	s_setpc_b64 s[14:15]
.LBB1_24333:
	s_movk_i32 s4, 0x80
	v_cmp_eq_u16_sdwa s[12:13], v13, s4 src0_sel:BYTE_0 src1_sel:DWORD
	s_mov_b64 s[4:5], -1
                                        ; implicit-def: $sgpr10
	s_and_saveexec_b64 s[8:9], s[12:13]
; %bb.24334:
	s_mov_b32 s10, 0x7f800001
	s_xor_b64 s[4:5], exec, -1
; %bb.24335:
	s_or_b64 exec, exec, s[8:9]
	s_and_b64 s[4:5], s[4:5], exec
	s_or_saveexec_b64 s[6:7], s[6:7]
	v_mov_b32_e32 v14, s10
	s_xor_b64 exec, exec, s[6:7]
	s_cbranch_execnz .LBB1_24336
; %bb.60173:
	s_getpc_b64 s[14:15]
.Lpost_getpc15750:
	s_add_u32 s14, s14, (.LBB1_9998-.Lpost_getpc15750)&4294967295
	s_addc_u32 s15, s15, (.LBB1_9998-.Lpost_getpc15750)>>32
	s_setpc_b64 s[14:15]
.LBB1_24336:
	v_mov_b32_e32 v14, 0
	v_cmp_ne_u16_sdwa s[8:9], v13, v14 src0_sel:BYTE_0 src1_sel:DWORD
	s_andn2_b64 s[4:5], s[4:5], exec
	s_and_b64 s[8:9], s[8:9], exec
	s_or_b64 s[4:5], s[4:5], s[8:9]
	s_or_b64 exec, exec, s[6:7]
	s_and_saveexec_b64 s[6:7], s[4:5]
	s_cbranch_execz .LBB1_33671
; %bb.60175:
	s_getpc_b64 s[14:15]
.Lpost_getpc15751:
	s_add_u32 s14, s14, (.LBB1_9999-.Lpost_getpc15751)&4294967295
	s_addc_u32 s15, s15, (.LBB1_9999-.Lpost_getpc15751)>>32
	s_setpc_b64 s[14:15]
.LBB1_33671:
	s_getpc_b64 s[14:15]
.Lpost_getpc2499:
	s_add_u32 s14, s14, (.LBB1_10000-.Lpost_getpc2499)&4294967295
	s_addc_u32 s15, s15, (.LBB1_10000-.Lpost_getpc2499)>>32
	s_setpc_b64 s[14:15]
.LBB1_24337:
	s_movk_i32 s4, 0x80
	v_cmp_eq_u16_e32 vcc, s4, v13
	s_mov_b64 s[4:5], -1
                                        ; implicit-def: $sgpr10
	s_and_saveexec_b64 s[8:9], vcc
; %bb.24338:
	s_mov_b32 s10, 0x7f800001
	s_xor_b64 s[4:5], exec, -1
; %bb.24339:
	s_or_b64 exec, exec, s[8:9]
	s_and_b64 s[4:5], s[4:5], exec
                                        ; implicit-def: $vgpr13
	s_or_saveexec_b64 s[6:7], s[6:7]
	v_mov_b32_e32 v12, s10
	s_xor_b64 exec, exec, s[6:7]
	s_cbranch_execnz .LBB1_24340
; %bb.60177:
	s_getpc_b64 s[14:15]
.Lpost_getpc15752:
	s_add_u32 s14, s14, (.LBB1_10002-.Lpost_getpc15752)&4294967295
	s_addc_u32 s15, s15, (.LBB1_10002-.Lpost_getpc15752)>>32
	s_setpc_b64 s[14:15]
.LBB1_24340:
	v_cmp_ne_u16_e32 vcc, 0, v13
	s_andn2_b64 s[4:5], s[4:5], exec
	s_and_b64 s[8:9], vcc, exec
	v_mov_b32_e32 v12, 0
	s_or_b64 s[4:5], s[4:5], s[8:9]
	s_or_b64 exec, exec, s[6:7]
	s_and_saveexec_b64 s[6:7], s[4:5]
	s_cbranch_execz .LBB1_33673
; %bb.60179:
	s_getpc_b64 s[14:15]
.Lpost_getpc15753:
	s_add_u32 s14, s14, (.LBB1_10003-.Lpost_getpc15753)&4294967295
	s_addc_u32 s15, s15, (.LBB1_10003-.Lpost_getpc15753)>>32
	s_setpc_b64 s[14:15]
.LBB1_33673:
	s_getpc_b64 s[14:15]
.Lpost_getpc2500:
	s_add_u32 s14, s14, (.LBB1_10004-.Lpost_getpc2500)&4294967295
	s_addc_u32 s15, s15, (.LBB1_10004-.Lpost_getpc2500)>>32
	s_setpc_b64 s[14:15]
.LBB1_24341:
	s_movk_i32 s4, 0x80
	v_cmp_eq_u16_e32 vcc, s4, v13
	s_mov_b64 s[4:5], -1
                                        ; implicit-def: $sgpr10
	s_and_saveexec_b64 s[8:9], vcc
; %bb.24342:
	s_mov_b32 s10, 0x7f800001
	s_xor_b64 s[4:5], exec, -1
; %bb.24343:
	s_or_b64 exec, exec, s[8:9]
	s_and_b64 s[4:5], s[4:5], exec
                                        ; implicit-def: $vgpr13
	s_or_saveexec_b64 s[6:7], s[6:7]
	v_mov_b32_e32 v14, s10
	s_xor_b64 exec, exec, s[6:7]
	s_cbranch_execnz .LBB1_24344
; %bb.60181:
	s_getpc_b64 s[14:15]
.Lpost_getpc15754:
	s_add_u32 s14, s14, (.LBB1_10006-.Lpost_getpc15754)&4294967295
	s_addc_u32 s15, s15, (.LBB1_10006-.Lpost_getpc15754)>>32
	s_setpc_b64 s[14:15]
.LBB1_24344:
	v_cmp_ne_u16_e32 vcc, 0, v13
	s_andn2_b64 s[4:5], s[4:5], exec
	s_and_b64 s[8:9], vcc, exec
	v_mov_b32_e32 v14, 0
	s_or_b64 s[4:5], s[4:5], s[8:9]
	s_or_b64 exec, exec, s[6:7]
	s_and_saveexec_b64 s[6:7], s[4:5]
	s_cbranch_execz .LBB1_33675
; %bb.60183:
	s_getpc_b64 s[14:15]
.Lpost_getpc15755:
	s_add_u32 s14, s14, (.LBB1_10007-.Lpost_getpc15755)&4294967295
	s_addc_u32 s15, s15, (.LBB1_10007-.Lpost_getpc15755)>>32
	s_setpc_b64 s[14:15]
.LBB1_33675:
	s_getpc_b64 s[14:15]
.Lpost_getpc2501:
	s_add_u32 s14, s14, (.LBB1_10008-.Lpost_getpc2501)&4294967295
	s_addc_u32 s15, s15, (.LBB1_10008-.Lpost_getpc2501)>>32
	s_setpc_b64 s[14:15]
.LBB1_24345:
	s_movk_i32 s4, 0x80
	v_cmp_eq_u16_sdwa s[12:13], v6, s4 src0_sel:BYTE_3 src1_sel:DWORD
	s_mov_b64 s[4:5], -1
                                        ; implicit-def: $sgpr10
	s_and_saveexec_b64 s[8:9], s[12:13]
; %bb.24346:
	s_mov_b32 s10, 0x7f800001
	s_xor_b64 s[4:5], exec, -1
; %bb.24347:
	s_or_b64 exec, exec, s[8:9]
	s_and_b64 s[4:5], s[4:5], exec
	s_or_saveexec_b64 s[6:7], s[6:7]
	v_mov_b32_e32 v12, s10
	s_xor_b64 exec, exec, s[6:7]
	s_cbranch_execnz .LBB1_24348
; %bb.60185:
	s_getpc_b64 s[14:15]
.Lpost_getpc15756:
	s_add_u32 s14, s14, (.LBB1_10010-.Lpost_getpc15756)&4294967295
	s_addc_u32 s15, s15, (.LBB1_10010-.Lpost_getpc15756)>>32
	s_setpc_b64 s[14:15]
.LBB1_24348:
	v_mov_b32_e32 v12, 0
	v_cmp_ne_u16_sdwa s[8:9], v6, v12 src0_sel:BYTE_3 src1_sel:DWORD
	s_andn2_b64 s[4:5], s[4:5], exec
	s_and_b64 s[8:9], s[8:9], exec
	s_or_b64 s[4:5], s[4:5], s[8:9]
	s_or_b64 exec, exec, s[6:7]
	s_and_saveexec_b64 s[6:7], s[4:5]
	s_cbranch_execz .LBB1_33677
; %bb.60187:
	s_getpc_b64 s[14:15]
.Lpost_getpc15757:
	s_add_u32 s14, s14, (.LBB1_10011-.Lpost_getpc15757)&4294967295
	s_addc_u32 s15, s15, (.LBB1_10011-.Lpost_getpc15757)>>32
	s_setpc_b64 s[14:15]
.LBB1_33677:
	s_getpc_b64 s[14:15]
.Lpost_getpc2502:
	s_add_u32 s14, s14, (.LBB1_10012-.Lpost_getpc2502)&4294967295
	s_addc_u32 s15, s15, (.LBB1_10012-.Lpost_getpc2502)>>32
	s_setpc_b64 s[14:15]
.LBB1_24349:
	s_movk_i32 s4, 0x80
	v_cmp_eq_u16_sdwa s[12:13], v2, s4 src0_sel:BYTE_3 src1_sel:DWORD
	s_mov_b64 s[4:5], -1
                                        ; implicit-def: $sgpr10
	s_and_saveexec_b64 s[8:9], s[12:13]
; %bb.24350:
	s_mov_b32 s10, 0x7f800001
	s_xor_b64 s[4:5], exec, -1
; %bb.24351:
	s_or_b64 exec, exec, s[8:9]
	s_and_b64 s[4:5], s[4:5], exec
	s_or_saveexec_b64 s[6:7], s[6:7]
	v_mov_b32_e32 v6, s10
	s_xor_b64 exec, exec, s[6:7]
	s_cbranch_execnz .LBB1_24352
; %bb.60189:
	s_getpc_b64 s[14:15]
.Lpost_getpc15758:
	s_add_u32 s14, s14, (.LBB1_10014-.Lpost_getpc15758)&4294967295
	s_addc_u32 s15, s15, (.LBB1_10014-.Lpost_getpc15758)>>32
	s_setpc_b64 s[14:15]
.LBB1_24352:
	v_mov_b32_e32 v6, 0
	v_cmp_ne_u16_sdwa s[8:9], v2, v6 src0_sel:BYTE_3 src1_sel:DWORD
	s_andn2_b64 s[4:5], s[4:5], exec
	s_and_b64 s[8:9], s[8:9], exec
	s_or_b64 s[4:5], s[4:5], s[8:9]
	s_or_b64 exec, exec, s[6:7]
	s_and_saveexec_b64 s[6:7], s[4:5]
	s_cbranch_execz .LBB1_33679
; %bb.60191:
	s_getpc_b64 s[14:15]
.Lpost_getpc15759:
	s_add_u32 s14, s14, (.LBB1_10015-.Lpost_getpc15759)&4294967295
	s_addc_u32 s15, s15, (.LBB1_10015-.Lpost_getpc15759)>>32
	s_setpc_b64 s[14:15]
.LBB1_33679:
	s_getpc_b64 s[14:15]
.Lpost_getpc2503:
	s_add_u32 s14, s14, (.LBB1_10016-.Lpost_getpc2503)&4294967295
	s_addc_u32 s15, s15, (.LBB1_10016-.Lpost_getpc2503)>>32
	s_setpc_b64 s[14:15]
.LBB1_24353:
	s_movk_i32 s4, 0x80
	v_cmp_eq_u16_sdwa s[12:13], v7, s4 src0_sel:BYTE_0 src1_sel:DWORD
	s_mov_b64 s[4:5], -1
                                        ; implicit-def: $sgpr10
	s_and_saveexec_b64 s[8:9], s[12:13]
; %bb.24354:
	s_mov_b32 s10, 0x7f800001
	s_xor_b64 s[4:5], exec, -1
; %bb.24355:
	s_or_b64 exec, exec, s[8:9]
	s_and_b64 s[4:5], s[4:5], exec
	s_or_saveexec_b64 s[6:7], s[6:7]
	v_mov_b32_e32 v2, s10
	s_xor_b64 exec, exec, s[6:7]
	s_cbranch_execnz .LBB1_24356
; %bb.60193:
	s_getpc_b64 s[14:15]
.Lpost_getpc15760:
	s_add_u32 s14, s14, (.LBB1_10018-.Lpost_getpc15760)&4294967295
	s_addc_u32 s15, s15, (.LBB1_10018-.Lpost_getpc15760)>>32
	s_setpc_b64 s[14:15]
.LBB1_24356:
	v_mov_b32_e32 v2, 0
	v_cmp_ne_u16_sdwa s[8:9], v7, v2 src0_sel:BYTE_0 src1_sel:DWORD
	s_andn2_b64 s[4:5], s[4:5], exec
	s_and_b64 s[8:9], s[8:9], exec
	s_or_b64 s[4:5], s[4:5], s[8:9]
	s_or_b64 exec, exec, s[6:7]
	s_and_saveexec_b64 s[6:7], s[4:5]
	s_cbranch_execz .LBB1_33681
; %bb.60195:
	s_getpc_b64 s[14:15]
.Lpost_getpc15761:
	s_add_u32 s14, s14, (.LBB1_10019-.Lpost_getpc15761)&4294967295
	s_addc_u32 s15, s15, (.LBB1_10019-.Lpost_getpc15761)>>32
	s_setpc_b64 s[14:15]
.LBB1_33681:
	s_getpc_b64 s[14:15]
.Lpost_getpc2504:
	s_add_u32 s14, s14, (.LBB1_10020-.Lpost_getpc2504)&4294967295
	s_addc_u32 s15, s15, (.LBB1_10020-.Lpost_getpc2504)>>32
	s_setpc_b64 s[14:15]
.LBB1_24357:
	s_movk_i32 s4, 0x80
	v_cmp_eq_u16_sdwa s[12:13], v3, s4 src0_sel:BYTE_0 src1_sel:DWORD
	s_mov_b64 s[4:5], -1
                                        ; implicit-def: $sgpr10
	s_and_saveexec_b64 s[8:9], s[12:13]
; %bb.24358:
	s_mov_b32 s10, 0x7f800001
	s_xor_b64 s[4:5], exec, -1
; %bb.24359:
	s_or_b64 exec, exec, s[8:9]
	s_and_b64 s[4:5], s[4:5], exec
	s_or_saveexec_b64 s[6:7], s[6:7]
	v_mov_b32_e32 v6, s10
	s_xor_b64 exec, exec, s[6:7]
	s_cbranch_execnz .LBB1_24360
; %bb.60197:
	s_getpc_b64 s[14:15]
.Lpost_getpc15762:
	s_add_u32 s14, s14, (.LBB1_10022-.Lpost_getpc15762)&4294967295
	s_addc_u32 s15, s15, (.LBB1_10022-.Lpost_getpc15762)>>32
	s_setpc_b64 s[14:15]
.LBB1_24360:
	v_mov_b32_e32 v6, 0
	v_cmp_ne_u16_sdwa s[8:9], v3, v6 src0_sel:BYTE_0 src1_sel:DWORD
	s_andn2_b64 s[4:5], s[4:5], exec
	s_and_b64 s[8:9], s[8:9], exec
	s_or_b64 s[4:5], s[4:5], s[8:9]
	s_or_b64 exec, exec, s[6:7]
	s_and_saveexec_b64 s[6:7], s[4:5]
	s_cbranch_execz .LBB1_33683
; %bb.60199:
	s_getpc_b64 s[14:15]
.Lpost_getpc15763:
	s_add_u32 s14, s14, (.LBB1_10023-.Lpost_getpc15763)&4294967295
	s_addc_u32 s15, s15, (.LBB1_10023-.Lpost_getpc15763)>>32
	s_setpc_b64 s[14:15]
.LBB1_33683:
	s_getpc_b64 s[14:15]
.Lpost_getpc2505:
	s_add_u32 s14, s14, (.LBB1_10024-.Lpost_getpc2505)&4294967295
	s_addc_u32 s15, s15, (.LBB1_10024-.Lpost_getpc2505)>>32
	s_setpc_b64 s[14:15]
.LBB1_24361:
	s_movk_i32 s4, 0x80
	v_cmp_eq_u16_sdwa s[12:13], v6, s4 src0_sel:BYTE_0 src1_sel:DWORD
	s_mov_b64 s[4:5], -1
                                        ; implicit-def: $sgpr10
	s_and_saveexec_b64 s[8:9], s[12:13]
; %bb.24362:
	s_mov_b32 s10, 0x7f800001
	s_xor_b64 s[4:5], exec, -1
; %bb.24363:
	s_or_b64 exec, exec, s[8:9]
	s_and_b64 s[4:5], s[4:5], exec
	s_or_saveexec_b64 s[6:7], s[6:7]
	v_mov_b32_e32 v2, s10
	s_xor_b64 exec, exec, s[6:7]
	s_cbranch_execnz .LBB1_24364
; %bb.60201:
	s_getpc_b64 s[14:15]
.Lpost_getpc15764:
	s_add_u32 s14, s14, (.LBB1_10026-.Lpost_getpc15764)&4294967295
	s_addc_u32 s15, s15, (.LBB1_10026-.Lpost_getpc15764)>>32
	s_setpc_b64 s[14:15]
.LBB1_24364:
	v_mov_b32_e32 v2, 0
	v_cmp_ne_u16_sdwa s[8:9], v6, v2 src0_sel:BYTE_0 src1_sel:DWORD
	s_andn2_b64 s[4:5], s[4:5], exec
	s_and_b64 s[8:9], s[8:9], exec
	s_or_b64 s[4:5], s[4:5], s[8:9]
	s_or_b64 exec, exec, s[6:7]
	s_and_saveexec_b64 s[6:7], s[4:5]
	s_cbranch_execz .LBB1_33685
; %bb.60203:
	s_getpc_b64 s[14:15]
.Lpost_getpc15765:
	s_add_u32 s14, s14, (.LBB1_10027-.Lpost_getpc15765)&4294967295
	s_addc_u32 s15, s15, (.LBB1_10027-.Lpost_getpc15765)>>32
	s_setpc_b64 s[14:15]
.LBB1_33685:
	s_getpc_b64 s[14:15]
.Lpost_getpc2506:
	s_add_u32 s14, s14, (.LBB1_10028-.Lpost_getpc2506)&4294967295
	s_addc_u32 s15, s15, (.LBB1_10028-.Lpost_getpc2506)>>32
	s_setpc_b64 s[14:15]
.LBB1_24365:
	s_movk_i32 s4, 0x80
	v_cmp_eq_u16_sdwa s[12:13], v6, s4 src0_sel:BYTE_0 src1_sel:DWORD
	s_mov_b64 s[4:5], -1
                                        ; implicit-def: $sgpr10
	s_and_saveexec_b64 s[8:9], s[12:13]
; %bb.24366:
	s_mov_b32 s10, 0x7f800001
	s_xor_b64 s[4:5], exec, -1
; %bb.24367:
	s_or_b64 exec, exec, s[8:9]
	s_and_b64 s[4:5], s[4:5], exec
	s_or_saveexec_b64 s[6:7], s[6:7]
	v_mov_b32_e32 v12, s10
	s_xor_b64 exec, exec, s[6:7]
	s_cbranch_execnz .LBB1_24368
; %bb.60205:
	s_getpc_b64 s[14:15]
.Lpost_getpc15766:
	s_add_u32 s14, s14, (.LBB1_10030-.Lpost_getpc15766)&4294967295
	s_addc_u32 s15, s15, (.LBB1_10030-.Lpost_getpc15766)>>32
	s_setpc_b64 s[14:15]
.LBB1_24368:
	v_mov_b32_e32 v12, 0
	v_cmp_ne_u16_sdwa s[8:9], v6, v12 src0_sel:BYTE_0 src1_sel:DWORD
	s_andn2_b64 s[4:5], s[4:5], exec
	s_and_b64 s[8:9], s[8:9], exec
	s_or_b64 s[4:5], s[4:5], s[8:9]
	s_or_b64 exec, exec, s[6:7]
	s_and_saveexec_b64 s[6:7], s[4:5]
	s_cbranch_execz .LBB1_33687
; %bb.60207:
	s_getpc_b64 s[14:15]
.Lpost_getpc15767:
	s_add_u32 s14, s14, (.LBB1_10031-.Lpost_getpc15767)&4294967295
	s_addc_u32 s15, s15, (.LBB1_10031-.Lpost_getpc15767)>>32
	s_setpc_b64 s[14:15]
.LBB1_33687:
	s_getpc_b64 s[14:15]
.Lpost_getpc2507:
	s_add_u32 s14, s14, (.LBB1_10032-.Lpost_getpc2507)&4294967295
	s_addc_u32 s15, s15, (.LBB1_10032-.Lpost_getpc2507)>>32
	s_setpc_b64 s[14:15]
.LBB1_24369:
	s_movk_i32 s4, 0x80
	v_cmp_eq_u16_e32 vcc, s4, v6
	s_mov_b64 s[4:5], -1
                                        ; implicit-def: $sgpr10
	s_and_saveexec_b64 s[8:9], vcc
; %bb.24370:
	s_mov_b32 s10, 0x7f800001
	s_xor_b64 s[4:5], exec, -1
; %bb.24371:
	s_or_b64 exec, exec, s[8:9]
	s_and_b64 s[4:5], s[4:5], exec
                                        ; implicit-def: $vgpr6
	s_or_saveexec_b64 s[6:7], s[6:7]
	v_mov_b32_e32 v2, s10
	s_xor_b64 exec, exec, s[6:7]
	s_cbranch_execnz .LBB1_24372
; %bb.60209:
	s_getpc_b64 s[14:15]
.Lpost_getpc15768:
	s_add_u32 s14, s14, (.LBB1_10034-.Lpost_getpc15768)&4294967295
	s_addc_u32 s15, s15, (.LBB1_10034-.Lpost_getpc15768)>>32
	s_setpc_b64 s[14:15]
.LBB1_24372:
	v_cmp_ne_u16_e32 vcc, 0, v6
	s_andn2_b64 s[4:5], s[4:5], exec
	s_and_b64 s[8:9], vcc, exec
	v_mov_b32_e32 v2, 0
	s_or_b64 s[4:5], s[4:5], s[8:9]
	s_or_b64 exec, exec, s[6:7]
	s_and_saveexec_b64 s[6:7], s[4:5]
	s_cbranch_execz .LBB1_33689
; %bb.60211:
	s_getpc_b64 s[14:15]
.Lpost_getpc15769:
	s_add_u32 s14, s14, (.LBB1_10035-.Lpost_getpc15769)&4294967295
	s_addc_u32 s15, s15, (.LBB1_10035-.Lpost_getpc15769)>>32
	s_setpc_b64 s[14:15]
.LBB1_33689:
	s_getpc_b64 s[14:15]
.Lpost_getpc2508:
	s_add_u32 s14, s14, (.LBB1_10036-.Lpost_getpc2508)&4294967295
	s_addc_u32 s15, s15, (.LBB1_10036-.Lpost_getpc2508)>>32
	s_setpc_b64 s[14:15]
.LBB1_24373:
	s_movk_i32 s4, 0x80
	v_cmp_eq_u16_e32 vcc, s4, v6
	s_mov_b64 s[4:5], -1
                                        ; implicit-def: $sgpr10
	s_and_saveexec_b64 s[8:9], vcc
; %bb.24374:
	s_mov_b32 s10, 0x7f800001
	s_xor_b64 s[4:5], exec, -1
; %bb.24375:
	s_or_b64 exec, exec, s[8:9]
	s_and_b64 s[4:5], s[4:5], exec
                                        ; implicit-def: $vgpr6
	s_or_saveexec_b64 s[6:7], s[6:7]
	v_mov_b32_e32 v12, s10
	s_xor_b64 exec, exec, s[6:7]
	s_cbranch_execnz .LBB1_24376
; %bb.60213:
	s_getpc_b64 s[14:15]
.Lpost_getpc15770:
	s_add_u32 s14, s14, (.LBB1_10038-.Lpost_getpc15770)&4294967295
	s_addc_u32 s15, s15, (.LBB1_10038-.Lpost_getpc15770)>>32
	s_setpc_b64 s[14:15]
.LBB1_24376:
	v_cmp_ne_u16_e32 vcc, 0, v6
	s_andn2_b64 s[4:5], s[4:5], exec
	s_and_b64 s[8:9], vcc, exec
	v_mov_b32_e32 v12, 0
	s_or_b64 s[4:5], s[4:5], s[8:9]
	s_or_b64 exec, exec, s[6:7]
	s_and_saveexec_b64 s[6:7], s[4:5]
	s_cbranch_execz .LBB1_33691
; %bb.60215:
	s_getpc_b64 s[14:15]
.Lpost_getpc15771:
	s_add_u32 s14, s14, (.LBB1_10039-.Lpost_getpc15771)&4294967295
	s_addc_u32 s15, s15, (.LBB1_10039-.Lpost_getpc15771)>>32
	s_setpc_b64 s[14:15]
.LBB1_33691:
	s_getpc_b64 s[14:15]
.Lpost_getpc2509:
	s_add_u32 s14, s14, (.LBB1_10040-.Lpost_getpc2509)&4294967295
	s_addc_u32 s15, s15, (.LBB1_10040-.Lpost_getpc2509)>>32
	s_setpc_b64 s[14:15]
.LBB1_24377:
	s_movk_i32 s4, 0x80
	v_cmp_eq_u16_sdwa s[12:13], v7, s4 src0_sel:BYTE_3 src1_sel:DWORD
	s_mov_b64 s[4:5], -1
                                        ; implicit-def: $sgpr10
	s_and_saveexec_b64 s[8:9], s[12:13]
; %bb.24378:
	s_mov_b32 s10, 0x7f800001
	s_xor_b64 s[4:5], exec, -1
; %bb.24379:
	s_or_b64 exec, exec, s[8:9]
	s_and_b64 s[4:5], s[4:5], exec
	s_or_saveexec_b64 s[6:7], s[6:7]
	v_mov_b32_e32 v2, s10
	s_xor_b64 exec, exec, s[6:7]
	s_cbranch_execnz .LBB1_24380
; %bb.60217:
	s_getpc_b64 s[14:15]
.Lpost_getpc15772:
	s_add_u32 s14, s14, (.LBB1_10042-.Lpost_getpc15772)&4294967295
	s_addc_u32 s15, s15, (.LBB1_10042-.Lpost_getpc15772)>>32
	s_setpc_b64 s[14:15]
.LBB1_24380:
	v_mov_b32_e32 v2, 0
	v_cmp_ne_u16_sdwa s[8:9], v7, v2 src0_sel:BYTE_3 src1_sel:DWORD
	s_andn2_b64 s[4:5], s[4:5], exec
	s_and_b64 s[8:9], s[8:9], exec
	s_or_b64 s[4:5], s[4:5], s[8:9]
	s_or_b64 exec, exec, s[6:7]
	s_and_saveexec_b64 s[6:7], s[4:5]
	s_cbranch_execz .LBB1_33693
; %bb.60219:
	s_getpc_b64 s[14:15]
.Lpost_getpc15773:
	s_add_u32 s14, s14, (.LBB1_10043-.Lpost_getpc15773)&4294967295
	s_addc_u32 s15, s15, (.LBB1_10043-.Lpost_getpc15773)>>32
	s_setpc_b64 s[14:15]
.LBB1_33693:
	s_getpc_b64 s[14:15]
.Lpost_getpc2510:
	s_add_u32 s14, s14, (.LBB1_10044-.Lpost_getpc2510)&4294967295
	s_addc_u32 s15, s15, (.LBB1_10044-.Lpost_getpc2510)>>32
	s_setpc_b64 s[14:15]
.LBB1_24381:
	s_movk_i32 s4, 0x80
	v_cmp_eq_u16_sdwa s[12:13], v3, s4 src0_sel:BYTE_3 src1_sel:DWORD
	s_mov_b64 s[4:5], -1
                                        ; implicit-def: $sgpr10
	s_and_saveexec_b64 s[8:9], s[12:13]
; %bb.24382:
	s_mov_b32 s10, 0x7f800001
	s_xor_b64 s[4:5], exec, -1
; %bb.24383:
	s_or_b64 exec, exec, s[8:9]
	s_and_b64 s[4:5], s[4:5], exec
	s_or_saveexec_b64 s[6:7], s[6:7]
	v_mov_b32_e32 v6, s10
	s_xor_b64 exec, exec, s[6:7]
	s_cbranch_execnz .LBB1_24384
; %bb.60221:
	s_getpc_b64 s[14:15]
.Lpost_getpc15774:
	s_add_u32 s14, s14, (.LBB1_10046-.Lpost_getpc15774)&4294967295
	s_addc_u32 s15, s15, (.LBB1_10046-.Lpost_getpc15774)>>32
	s_setpc_b64 s[14:15]
.LBB1_24384:
	v_mov_b32_e32 v6, 0
	v_cmp_ne_u16_sdwa s[8:9], v3, v6 src0_sel:BYTE_3 src1_sel:DWORD
	s_andn2_b64 s[4:5], s[4:5], exec
	s_and_b64 s[8:9], s[8:9], exec
	s_or_b64 s[4:5], s[4:5], s[8:9]
	s_or_b64 exec, exec, s[6:7]
	s_and_saveexec_b64 s[6:7], s[4:5]
	s_cbranch_execz .LBB1_33695
; %bb.60223:
	s_getpc_b64 s[14:15]
.Lpost_getpc15775:
	s_add_u32 s14, s14, (.LBB1_10047-.Lpost_getpc15775)&4294967295
	s_addc_u32 s15, s15, (.LBB1_10047-.Lpost_getpc15775)>>32
	s_setpc_b64 s[14:15]
.LBB1_33695:
	s_getpc_b64 s[14:15]
.Lpost_getpc2511:
	s_add_u32 s14, s14, (.LBB1_10048-.Lpost_getpc2511)&4294967295
	s_addc_u32 s15, s15, (.LBB1_10048-.Lpost_getpc2511)>>32
	s_setpc_b64 s[14:15]
.LBB1_24385:
	s_movk_i32 s4, 0x80
	v_cmp_eq_u16_sdwa s[12:13], v8, s4 src0_sel:BYTE_0 src1_sel:DWORD
	s_mov_b64 s[4:5], -1
                                        ; implicit-def: $sgpr10
	s_and_saveexec_b64 s[8:9], s[12:13]
; %bb.24386:
	s_mov_b32 s10, 0x7f800001
	s_xor_b64 s[4:5], exec, -1
; %bb.24387:
	s_or_b64 exec, exec, s[8:9]
	s_and_b64 s[4:5], s[4:5], exec
	s_or_saveexec_b64 s[6:7], s[6:7]
	v_mov_b32_e32 v2, s10
	s_xor_b64 exec, exec, s[6:7]
	s_cbranch_execnz .LBB1_24388
; %bb.60225:
	s_getpc_b64 s[14:15]
.Lpost_getpc15776:
	s_add_u32 s14, s14, (.LBB1_10050-.Lpost_getpc15776)&4294967295
	s_addc_u32 s15, s15, (.LBB1_10050-.Lpost_getpc15776)>>32
	s_setpc_b64 s[14:15]
.LBB1_24388:
	v_mov_b32_e32 v2, 0
	v_cmp_ne_u16_sdwa s[8:9], v8, v2 src0_sel:BYTE_0 src1_sel:DWORD
	s_andn2_b64 s[4:5], s[4:5], exec
	s_and_b64 s[8:9], s[8:9], exec
	s_or_b64 s[4:5], s[4:5], s[8:9]
	s_or_b64 exec, exec, s[6:7]
	s_and_saveexec_b64 s[6:7], s[4:5]
	s_cbranch_execz .LBB1_33697
; %bb.60227:
	s_getpc_b64 s[14:15]
.Lpost_getpc15777:
	s_add_u32 s14, s14, (.LBB1_10051-.Lpost_getpc15777)&4294967295
	s_addc_u32 s15, s15, (.LBB1_10051-.Lpost_getpc15777)>>32
	s_setpc_b64 s[14:15]
.LBB1_33697:
	s_getpc_b64 s[14:15]
.Lpost_getpc2512:
	s_add_u32 s14, s14, (.LBB1_10052-.Lpost_getpc2512)&4294967295
	s_addc_u32 s15, s15, (.LBB1_10052-.Lpost_getpc2512)>>32
	s_setpc_b64 s[14:15]
.LBB1_24389:
	s_movk_i32 s4, 0x80
	v_cmp_eq_u16_sdwa s[12:13], v4, s4 src0_sel:BYTE_0 src1_sel:DWORD
	s_mov_b64 s[4:5], -1
                                        ; implicit-def: $sgpr10
	s_and_saveexec_b64 s[8:9], s[12:13]
; %bb.24390:
	s_mov_b32 s10, 0x7f800001
	s_xor_b64 s[4:5], exec, -1
; %bb.24391:
	s_or_b64 exec, exec, s[8:9]
	s_and_b64 s[4:5], s[4:5], exec
	s_or_saveexec_b64 s[6:7], s[6:7]
	v_mov_b32_e32 v3, s10
	s_xor_b64 exec, exec, s[6:7]
	s_cbranch_execnz .LBB1_24392
; %bb.60229:
	s_getpc_b64 s[14:15]
.Lpost_getpc15778:
	s_add_u32 s14, s14, (.LBB1_10054-.Lpost_getpc15778)&4294967295
	s_addc_u32 s15, s15, (.LBB1_10054-.Lpost_getpc15778)>>32
	s_setpc_b64 s[14:15]
.LBB1_24392:
	v_mov_b32_e32 v3, 0
	v_cmp_ne_u16_sdwa s[8:9], v4, v3 src0_sel:BYTE_0 src1_sel:DWORD
	s_andn2_b64 s[4:5], s[4:5], exec
	s_and_b64 s[8:9], s[8:9], exec
	s_or_b64 s[4:5], s[4:5], s[8:9]
	s_or_b64 exec, exec, s[6:7]
	s_and_saveexec_b64 s[6:7], s[4:5]
	s_cbranch_execz .LBB1_33699
; %bb.60231:
	s_getpc_b64 s[14:15]
.Lpost_getpc15779:
	s_add_u32 s14, s14, (.LBB1_10055-.Lpost_getpc15779)&4294967295
	s_addc_u32 s15, s15, (.LBB1_10055-.Lpost_getpc15779)>>32
	s_setpc_b64 s[14:15]
.LBB1_33699:
	s_getpc_b64 s[14:15]
.Lpost_getpc2513:
	s_add_u32 s14, s14, (.LBB1_10056-.Lpost_getpc2513)&4294967295
	s_addc_u32 s15, s15, (.LBB1_10056-.Lpost_getpc2513)>>32
	s_setpc_b64 s[14:15]
.LBB1_24393:
	s_movk_i32 s4, 0x80
	v_cmp_eq_u16_sdwa s[12:13], v3, s4 src0_sel:BYTE_0 src1_sel:DWORD
	s_mov_b64 s[4:5], -1
                                        ; implicit-def: $sgpr10
	s_and_saveexec_b64 s[8:9], s[12:13]
; %bb.24394:
	s_mov_b32 s10, 0x7f800001
	s_xor_b64 s[4:5], exec, -1
; %bb.24395:
	s_or_b64 exec, exec, s[8:9]
	s_and_b64 s[4:5], s[4:5], exec
	s_or_saveexec_b64 s[6:7], s[6:7]
	v_mov_b32_e32 v2, s10
	s_xor_b64 exec, exec, s[6:7]
	s_cbranch_execnz .LBB1_24396
; %bb.60233:
	s_getpc_b64 s[14:15]
.Lpost_getpc15780:
	s_add_u32 s14, s14, (.LBB1_10058-.Lpost_getpc15780)&4294967295
	s_addc_u32 s15, s15, (.LBB1_10058-.Lpost_getpc15780)>>32
	s_setpc_b64 s[14:15]
.LBB1_24396:
	v_mov_b32_e32 v2, 0
	v_cmp_ne_u16_sdwa s[8:9], v3, v2 src0_sel:BYTE_0 src1_sel:DWORD
	s_andn2_b64 s[4:5], s[4:5], exec
	s_and_b64 s[8:9], s[8:9], exec
	s_or_b64 s[4:5], s[4:5], s[8:9]
	s_or_b64 exec, exec, s[6:7]
	s_and_saveexec_b64 s[6:7], s[4:5]
	s_cbranch_execz .LBB1_33701
; %bb.60235:
	s_getpc_b64 s[14:15]
.Lpost_getpc15781:
	s_add_u32 s14, s14, (.LBB1_10059-.Lpost_getpc15781)&4294967295
	s_addc_u32 s15, s15, (.LBB1_10059-.Lpost_getpc15781)>>32
	s_setpc_b64 s[14:15]
.LBB1_33701:
	s_getpc_b64 s[14:15]
.Lpost_getpc2514:
	s_add_u32 s14, s14, (.LBB1_10060-.Lpost_getpc2514)&4294967295
	s_addc_u32 s15, s15, (.LBB1_10060-.Lpost_getpc2514)>>32
	s_setpc_b64 s[14:15]
.LBB1_24397:
	s_movk_i32 s4, 0x80
	v_cmp_eq_u16_sdwa s[12:13], v3, s4 src0_sel:BYTE_0 src1_sel:DWORD
	s_mov_b64 s[4:5], -1
                                        ; implicit-def: $sgpr10
	s_and_saveexec_b64 s[8:9], s[12:13]
; %bb.24398:
	s_mov_b32 s10, 0x7f800001
	s_xor_b64 s[4:5], exec, -1
; %bb.24399:
	s_or_b64 exec, exec, s[8:9]
	s_and_b64 s[4:5], s[4:5], exec
	s_or_saveexec_b64 s[6:7], s[6:7]
	v_mov_b32_e32 v6, s10
	s_xor_b64 exec, exec, s[6:7]
	s_cbranch_execnz .LBB1_24400
; %bb.60237:
	s_getpc_b64 s[14:15]
.Lpost_getpc15782:
	s_add_u32 s14, s14, (.LBB1_10062-.Lpost_getpc15782)&4294967295
	s_addc_u32 s15, s15, (.LBB1_10062-.Lpost_getpc15782)>>32
	s_setpc_b64 s[14:15]
.LBB1_24400:
	v_mov_b32_e32 v6, 0
	v_cmp_ne_u16_sdwa s[8:9], v3, v6 src0_sel:BYTE_0 src1_sel:DWORD
	s_andn2_b64 s[4:5], s[4:5], exec
	s_and_b64 s[8:9], s[8:9], exec
	s_or_b64 s[4:5], s[4:5], s[8:9]
	s_or_b64 exec, exec, s[6:7]
	s_and_saveexec_b64 s[6:7], s[4:5]
	s_cbranch_execz .LBB1_33703
; %bb.60239:
	s_getpc_b64 s[14:15]
.Lpost_getpc15783:
	s_add_u32 s14, s14, (.LBB1_10063-.Lpost_getpc15783)&4294967295
	s_addc_u32 s15, s15, (.LBB1_10063-.Lpost_getpc15783)>>32
	s_setpc_b64 s[14:15]
.LBB1_33703:
	s_getpc_b64 s[14:15]
.Lpost_getpc2515:
	s_add_u32 s14, s14, (.LBB1_10064-.Lpost_getpc2515)&4294967295
	s_addc_u32 s15, s15, (.LBB1_10064-.Lpost_getpc2515)>>32
	s_setpc_b64 s[14:15]
.LBB1_24401:
	s_movk_i32 s4, 0x80
	v_cmp_eq_u16_e32 vcc, s4, v3
	s_mov_b64 s[4:5], -1
                                        ; implicit-def: $sgpr10
	s_and_saveexec_b64 s[8:9], vcc
; %bb.24402:
	s_mov_b32 s10, 0x7f800001
	s_xor_b64 s[4:5], exec, -1
; %bb.24403:
	s_or_b64 exec, exec, s[8:9]
	s_and_b64 s[4:5], s[4:5], exec
                                        ; implicit-def: $vgpr3
	s_or_saveexec_b64 s[6:7], s[6:7]
	v_mov_b32_e32 v2, s10
	s_xor_b64 exec, exec, s[6:7]
	s_cbranch_execnz .LBB1_24404
; %bb.60241:
	s_getpc_b64 s[14:15]
.Lpost_getpc15784:
	s_add_u32 s14, s14, (.LBB1_10066-.Lpost_getpc15784)&4294967295
	s_addc_u32 s15, s15, (.LBB1_10066-.Lpost_getpc15784)>>32
	s_setpc_b64 s[14:15]
.LBB1_24404:
	v_cmp_ne_u16_e32 vcc, 0, v3
	s_andn2_b64 s[4:5], s[4:5], exec
	s_and_b64 s[8:9], vcc, exec
	v_mov_b32_e32 v2, 0
	s_or_b64 s[4:5], s[4:5], s[8:9]
	s_or_b64 exec, exec, s[6:7]
	s_and_saveexec_b64 s[6:7], s[4:5]
	s_cbranch_execz .LBB1_33705
; %bb.60243:
	s_getpc_b64 s[14:15]
.Lpost_getpc15785:
	s_add_u32 s14, s14, (.LBB1_10067-.Lpost_getpc15785)&4294967295
	s_addc_u32 s15, s15, (.LBB1_10067-.Lpost_getpc15785)>>32
	s_setpc_b64 s[14:15]
.LBB1_33705:
	s_getpc_b64 s[14:15]
.Lpost_getpc2516:
	s_add_u32 s14, s14, (.LBB1_10068-.Lpost_getpc2516)&4294967295
	s_addc_u32 s15, s15, (.LBB1_10068-.Lpost_getpc2516)>>32
	s_setpc_b64 s[14:15]
.LBB1_24405:
	s_movk_i32 s4, 0x80
	v_cmp_eq_u16_e32 vcc, s4, v3
	s_mov_b64 s[4:5], -1
                                        ; implicit-def: $sgpr10
	s_and_saveexec_b64 s[8:9], vcc
; %bb.24406:
	s_mov_b32 s10, 0x7f800001
	s_xor_b64 s[4:5], exec, -1
; %bb.24407:
	s_or_b64 exec, exec, s[8:9]
	s_and_b64 s[4:5], s[4:5], exec
                                        ; implicit-def: $vgpr3
	s_or_saveexec_b64 s[6:7], s[6:7]
	v_mov_b32_e32 v6, s10
	s_xor_b64 exec, exec, s[6:7]
	s_cbranch_execnz .LBB1_24408
; %bb.60245:
	s_getpc_b64 s[14:15]
.Lpost_getpc15786:
	s_add_u32 s14, s14, (.LBB1_10070-.Lpost_getpc15786)&4294967295
	s_addc_u32 s15, s15, (.LBB1_10070-.Lpost_getpc15786)>>32
	s_setpc_b64 s[14:15]
.LBB1_24408:
	v_cmp_ne_u16_e32 vcc, 0, v3
	s_andn2_b64 s[4:5], s[4:5], exec
	s_and_b64 s[8:9], vcc, exec
	v_mov_b32_e32 v6, 0
	s_or_b64 s[4:5], s[4:5], s[8:9]
	s_or_b64 exec, exec, s[6:7]
	s_and_saveexec_b64 s[6:7], s[4:5]
	s_cbranch_execz .LBB1_33707
; %bb.60247:
	s_getpc_b64 s[14:15]
.Lpost_getpc15787:
	s_add_u32 s14, s14, (.LBB1_10071-.Lpost_getpc15787)&4294967295
	s_addc_u32 s15, s15, (.LBB1_10071-.Lpost_getpc15787)>>32
	s_setpc_b64 s[14:15]
.LBB1_33707:
	s_getpc_b64 s[14:15]
.Lpost_getpc2517:
	s_add_u32 s14, s14, (.LBB1_10072-.Lpost_getpc2517)&4294967295
	s_addc_u32 s15, s15, (.LBB1_10072-.Lpost_getpc2517)>>32
	s_setpc_b64 s[14:15]
.LBB1_24409:
	s_movk_i32 s4, 0x80
	v_cmp_eq_u16_sdwa s[12:13], v8, s4 src0_sel:BYTE_3 src1_sel:DWORD
	s_mov_b64 s[4:5], -1
                                        ; implicit-def: $sgpr10
	s_and_saveexec_b64 s[8:9], s[12:13]
; %bb.24410:
	s_mov_b32 s10, 0x7f800001
	s_xor_b64 s[4:5], exec, -1
; %bb.24411:
	s_or_b64 exec, exec, s[8:9]
	s_and_b64 s[4:5], s[4:5], exec
	s_or_saveexec_b64 s[6:7], s[6:7]
	v_mov_b32_e32 v2, s10
	s_xor_b64 exec, exec, s[6:7]
	s_cbranch_execnz .LBB1_24412
; %bb.60249:
	s_getpc_b64 s[14:15]
.Lpost_getpc15788:
	s_add_u32 s14, s14, (.LBB1_10074-.Lpost_getpc15788)&4294967295
	s_addc_u32 s15, s15, (.LBB1_10074-.Lpost_getpc15788)>>32
	s_setpc_b64 s[14:15]
.LBB1_24412:
	v_mov_b32_e32 v2, 0
	v_cmp_ne_u16_sdwa s[8:9], v8, v2 src0_sel:BYTE_3 src1_sel:DWORD
	s_andn2_b64 s[4:5], s[4:5], exec
	s_and_b64 s[8:9], s[8:9], exec
	s_or_b64 s[4:5], s[4:5], s[8:9]
	s_or_b64 exec, exec, s[6:7]
	s_and_saveexec_b64 s[6:7], s[4:5]
	s_cbranch_execz .LBB1_33709
; %bb.60251:
	s_getpc_b64 s[14:15]
.Lpost_getpc15789:
	s_add_u32 s14, s14, (.LBB1_10075-.Lpost_getpc15789)&4294967295
	s_addc_u32 s15, s15, (.LBB1_10075-.Lpost_getpc15789)>>32
	s_setpc_b64 s[14:15]
.LBB1_33709:
	s_getpc_b64 s[14:15]
.Lpost_getpc2518:
	s_add_u32 s14, s14, (.LBB1_10076-.Lpost_getpc2518)&4294967295
	s_addc_u32 s15, s15, (.LBB1_10076-.Lpost_getpc2518)>>32
	s_setpc_b64 s[14:15]
.LBB1_24413:
	s_movk_i32 s4, 0x80
	v_cmp_eq_u16_sdwa s[12:13], v4, s4 src0_sel:BYTE_3 src1_sel:DWORD
	s_mov_b64 s[4:5], -1
                                        ; implicit-def: $sgpr10
	s_and_saveexec_b64 s[8:9], s[12:13]
; %bb.24414:
	s_mov_b32 s10, 0x7f800001
	s_xor_b64 s[4:5], exec, -1
; %bb.24415:
	s_or_b64 exec, exec, s[8:9]
	s_and_b64 s[4:5], s[4:5], exec
	s_or_saveexec_b64 s[6:7], s[6:7]
	v_mov_b32_e32 v3, s10
	s_xor_b64 exec, exec, s[6:7]
	s_cbranch_execnz .LBB1_24416
; %bb.60253:
	s_getpc_b64 s[14:15]
.Lpost_getpc15790:
	s_add_u32 s14, s14, (.LBB1_10078-.Lpost_getpc15790)&4294967295
	s_addc_u32 s15, s15, (.LBB1_10078-.Lpost_getpc15790)>>32
	s_setpc_b64 s[14:15]
.LBB1_24416:
	v_mov_b32_e32 v3, 0
	v_cmp_ne_u16_sdwa s[8:9], v4, v3 src0_sel:BYTE_3 src1_sel:DWORD
	s_andn2_b64 s[4:5], s[4:5], exec
	s_and_b64 s[8:9], s[8:9], exec
	s_or_b64 s[4:5], s[4:5], s[8:9]
	s_or_b64 exec, exec, s[6:7]
	s_and_saveexec_b64 s[6:7], s[4:5]
	s_cbranch_execz .LBB1_33711
; %bb.60255:
	s_getpc_b64 s[14:15]
.Lpost_getpc15791:
	s_add_u32 s14, s14, (.LBB1_10079-.Lpost_getpc15791)&4294967295
	s_addc_u32 s15, s15, (.LBB1_10079-.Lpost_getpc15791)>>32
	s_setpc_b64 s[14:15]
.LBB1_33711:
	s_getpc_b64 s[14:15]
.Lpost_getpc2519:
	s_add_u32 s14, s14, (.LBB1_10080-.Lpost_getpc2519)&4294967295
	s_addc_u32 s15, s15, (.LBB1_10080-.Lpost_getpc2519)>>32
	s_setpc_b64 s[14:15]
.LBB1_24417:
	s_movk_i32 s4, 0x80
	v_cmp_eq_u16_sdwa s[12:13], v9, s4 src0_sel:BYTE_0 src1_sel:DWORD
	s_mov_b64 s[4:5], -1
                                        ; implicit-def: $sgpr10
	s_and_saveexec_b64 s[8:9], s[12:13]
; %bb.24418:
	s_mov_b32 s10, 0x7f800001
	s_xor_b64 s[4:5], exec, -1
; %bb.24419:
	s_or_b64 exec, exec, s[8:9]
	s_and_b64 s[4:5], s[4:5], exec
	s_or_saveexec_b64 s[6:7], s[6:7]
	v_mov_b32_e32 v2, s10
	s_xor_b64 exec, exec, s[6:7]
	s_cbranch_execnz .LBB1_24420
; %bb.60257:
	s_getpc_b64 s[14:15]
.Lpost_getpc15792:
	s_add_u32 s14, s14, (.LBB1_10082-.Lpost_getpc15792)&4294967295
	s_addc_u32 s15, s15, (.LBB1_10082-.Lpost_getpc15792)>>32
	s_setpc_b64 s[14:15]
.LBB1_24420:
	v_mov_b32_e32 v2, 0
	v_cmp_ne_u16_sdwa s[8:9], v9, v2 src0_sel:BYTE_0 src1_sel:DWORD
	s_andn2_b64 s[4:5], s[4:5], exec
	s_and_b64 s[8:9], s[8:9], exec
	s_or_b64 s[4:5], s[4:5], s[8:9]
	s_or_b64 exec, exec, s[6:7]
	s_and_saveexec_b64 s[6:7], s[4:5]
	s_cbranch_execz .LBB1_33713
; %bb.60259:
	s_getpc_b64 s[14:15]
.Lpost_getpc15793:
	s_add_u32 s14, s14, (.LBB1_10083-.Lpost_getpc15793)&4294967295
	s_addc_u32 s15, s15, (.LBB1_10083-.Lpost_getpc15793)>>32
	s_setpc_b64 s[14:15]
.LBB1_33713:
	s_getpc_b64 s[14:15]
.Lpost_getpc2520:
	s_add_u32 s14, s14, (.LBB1_10084-.Lpost_getpc2520)&4294967295
	s_addc_u32 s15, s15, (.LBB1_10084-.Lpost_getpc2520)>>32
	s_setpc_b64 s[14:15]
.LBB1_24421:
	s_movk_i32 s4, 0x80
	v_cmp_eq_u16_sdwa s[12:13], v5, s4 src0_sel:BYTE_0 src1_sel:DWORD
	s_mov_b64 s[4:5], -1
                                        ; implicit-def: $sgpr10
	s_and_saveexec_b64 s[8:9], s[12:13]
; %bb.24422:
	s_mov_b32 s10, 0x7f800001
	s_xor_b64 s[4:5], exec, -1
; %bb.24423:
	s_or_b64 exec, exec, s[8:9]
	s_and_b64 s[4:5], s[4:5], exec
	s_or_saveexec_b64 s[6:7], s[6:7]
	v_mov_b32_e32 v3, s10
	s_xor_b64 exec, exec, s[6:7]
	s_cbranch_execnz .LBB1_24424
; %bb.60261:
	s_getpc_b64 s[14:15]
.Lpost_getpc15794:
	s_add_u32 s14, s14, (.LBB1_10086-.Lpost_getpc15794)&4294967295
	s_addc_u32 s15, s15, (.LBB1_10086-.Lpost_getpc15794)>>32
	s_setpc_b64 s[14:15]
.LBB1_24424:
	v_mov_b32_e32 v3, 0
	v_cmp_ne_u16_sdwa s[8:9], v5, v3 src0_sel:BYTE_0 src1_sel:DWORD
	s_andn2_b64 s[4:5], s[4:5], exec
	s_and_b64 s[8:9], s[8:9], exec
	s_or_b64 s[4:5], s[4:5], s[8:9]
	s_or_b64 exec, exec, s[6:7]
	s_and_saveexec_b64 s[6:7], s[4:5]
	s_cbranch_execz .LBB1_33715
; %bb.60263:
	s_getpc_b64 s[14:15]
.Lpost_getpc15795:
	s_add_u32 s14, s14, (.LBB1_10087-.Lpost_getpc15795)&4294967295
	s_addc_u32 s15, s15, (.LBB1_10087-.Lpost_getpc15795)>>32
	s_setpc_b64 s[14:15]
.LBB1_33715:
	s_getpc_b64 s[14:15]
.Lpost_getpc2521:
	s_add_u32 s14, s14, (.LBB1_10088-.Lpost_getpc2521)&4294967295
	s_addc_u32 s15, s15, (.LBB1_10088-.Lpost_getpc2521)>>32
	s_setpc_b64 s[14:15]
.LBB1_24425:
	s_movk_i32 s4, 0x80
	v_cmp_eq_u16_sdwa s[12:13], v3, s4 src0_sel:BYTE_0 src1_sel:DWORD
	s_mov_b64 s[4:5], -1
                                        ; implicit-def: $sgpr10
	s_and_saveexec_b64 s[8:9], s[12:13]
; %bb.24426:
	s_mov_b32 s10, 0x7f800001
	s_xor_b64 s[4:5], exec, -1
; %bb.24427:
	s_or_b64 exec, exec, s[8:9]
	s_and_b64 s[4:5], s[4:5], exec
	s_or_saveexec_b64 s[6:7], s[6:7]
	v_mov_b32_e32 v2, s10
	s_xor_b64 exec, exec, s[6:7]
	s_cbranch_execnz .LBB1_24428
; %bb.60265:
	s_getpc_b64 s[14:15]
.Lpost_getpc15796:
	s_add_u32 s14, s14, (.LBB1_10090-.Lpost_getpc15796)&4294967295
	s_addc_u32 s15, s15, (.LBB1_10090-.Lpost_getpc15796)>>32
	s_setpc_b64 s[14:15]
.LBB1_24428:
	v_mov_b32_e32 v2, 0
	v_cmp_ne_u16_sdwa s[8:9], v3, v2 src0_sel:BYTE_0 src1_sel:DWORD
	s_andn2_b64 s[4:5], s[4:5], exec
	s_and_b64 s[8:9], s[8:9], exec
	s_or_b64 s[4:5], s[4:5], s[8:9]
	s_or_b64 exec, exec, s[6:7]
	s_and_saveexec_b64 s[6:7], s[4:5]
	s_cbranch_execz .LBB1_33717
; %bb.60267:
	s_getpc_b64 s[14:15]
.Lpost_getpc15797:
	s_add_u32 s14, s14, (.LBB1_10091-.Lpost_getpc15797)&4294967295
	s_addc_u32 s15, s15, (.LBB1_10091-.Lpost_getpc15797)>>32
	s_setpc_b64 s[14:15]
.LBB1_33717:
	s_getpc_b64 s[14:15]
.Lpost_getpc2522:
	s_add_u32 s14, s14, (.LBB1_10092-.Lpost_getpc2522)&4294967295
	s_addc_u32 s15, s15, (.LBB1_10092-.Lpost_getpc2522)>>32
	s_setpc_b64 s[14:15]
.LBB1_24429:
	s_movk_i32 s4, 0x80
	v_cmp_eq_u16_sdwa s[12:13], v3, s4 src0_sel:BYTE_0 src1_sel:DWORD
	s_mov_b64 s[4:5], -1
                                        ; implicit-def: $sgpr10
	s_and_saveexec_b64 s[8:9], s[12:13]
; %bb.24430:
	s_mov_b32 s10, 0x7f800001
	s_xor_b64 s[4:5], exec, -1
; %bb.24431:
	s_or_b64 exec, exec, s[8:9]
	s_and_b64 s[4:5], s[4:5], exec
	s_or_saveexec_b64 s[6:7], s[6:7]
	v_mov_b32_e32 v4, s10
	s_xor_b64 exec, exec, s[6:7]
	s_cbranch_execnz .LBB1_24432
; %bb.60269:
	s_getpc_b64 s[14:15]
.Lpost_getpc15798:
	s_add_u32 s14, s14, (.LBB1_10094-.Lpost_getpc15798)&4294967295
	s_addc_u32 s15, s15, (.LBB1_10094-.Lpost_getpc15798)>>32
	s_setpc_b64 s[14:15]
.LBB1_24432:
	v_mov_b32_e32 v4, 0
	v_cmp_ne_u16_sdwa s[8:9], v3, v4 src0_sel:BYTE_0 src1_sel:DWORD
	s_andn2_b64 s[4:5], s[4:5], exec
	s_and_b64 s[8:9], s[8:9], exec
	s_or_b64 s[4:5], s[4:5], s[8:9]
	s_or_b64 exec, exec, s[6:7]
	s_and_saveexec_b64 s[6:7], s[4:5]
	s_cbranch_execz .LBB1_33719
; %bb.60271:
	s_getpc_b64 s[14:15]
.Lpost_getpc15799:
	s_add_u32 s14, s14, (.LBB1_10095-.Lpost_getpc15799)&4294967295
	s_addc_u32 s15, s15, (.LBB1_10095-.Lpost_getpc15799)>>32
	s_setpc_b64 s[14:15]
.LBB1_33719:
	s_getpc_b64 s[14:15]
.Lpost_getpc2523:
	s_add_u32 s14, s14, (.LBB1_10096-.Lpost_getpc2523)&4294967295
	s_addc_u32 s15, s15, (.LBB1_10096-.Lpost_getpc2523)>>32
	s_setpc_b64 s[14:15]
.LBB1_24433:
	s_movk_i32 s4, 0x80
	v_cmp_eq_u16_e32 vcc, s4, v3
	s_mov_b64 s[4:5], -1
                                        ; implicit-def: $sgpr10
	s_and_saveexec_b64 s[8:9], vcc
; %bb.24434:
	s_mov_b32 s10, 0x7f800001
	s_xor_b64 s[4:5], exec, -1
; %bb.24435:
	s_or_b64 exec, exec, s[8:9]
	s_and_b64 s[4:5], s[4:5], exec
                                        ; implicit-def: $vgpr3
	s_or_saveexec_b64 s[6:7], s[6:7]
	v_mov_b32_e32 v2, s10
	s_xor_b64 exec, exec, s[6:7]
	s_cbranch_execnz .LBB1_24436
; %bb.60273:
	s_getpc_b64 s[14:15]
.Lpost_getpc15800:
	s_add_u32 s14, s14, (.LBB1_10098-.Lpost_getpc15800)&4294967295
	s_addc_u32 s15, s15, (.LBB1_10098-.Lpost_getpc15800)>>32
	s_setpc_b64 s[14:15]
.LBB1_24436:
	v_cmp_ne_u16_e32 vcc, 0, v3
	s_andn2_b64 s[4:5], s[4:5], exec
	s_and_b64 s[8:9], vcc, exec
	v_mov_b32_e32 v2, 0
	s_or_b64 s[4:5], s[4:5], s[8:9]
	s_or_b64 exec, exec, s[6:7]
	s_and_saveexec_b64 s[6:7], s[4:5]
	s_cbranch_execz .LBB1_33721
; %bb.60275:
	s_getpc_b64 s[14:15]
.Lpost_getpc15801:
	s_add_u32 s14, s14, (.LBB1_10099-.Lpost_getpc15801)&4294967295
	s_addc_u32 s15, s15, (.LBB1_10099-.Lpost_getpc15801)>>32
	s_setpc_b64 s[14:15]
.LBB1_33721:
	s_getpc_b64 s[14:15]
.Lpost_getpc2524:
	s_add_u32 s14, s14, (.LBB1_10100-.Lpost_getpc2524)&4294967295
	s_addc_u32 s15, s15, (.LBB1_10100-.Lpost_getpc2524)>>32
	s_setpc_b64 s[14:15]
.LBB1_24437:
	s_movk_i32 s4, 0x80
	v_cmp_eq_u16_e32 vcc, s4, v3
	s_mov_b64 s[4:5], -1
                                        ; implicit-def: $sgpr10
	s_and_saveexec_b64 s[8:9], vcc
; %bb.24438:
	s_mov_b32 s10, 0x7f800001
	s_xor_b64 s[4:5], exec, -1
; %bb.24439:
	s_or_b64 exec, exec, s[8:9]
	s_and_b64 s[4:5], s[4:5], exec
                                        ; implicit-def: $vgpr3
	s_or_saveexec_b64 s[6:7], s[6:7]
	v_mov_b32_e32 v4, s10
	s_xor_b64 exec, exec, s[6:7]
	s_cbranch_execnz .LBB1_24440
; %bb.60277:
	s_getpc_b64 s[14:15]
.Lpost_getpc15802:
	s_add_u32 s14, s14, (.LBB1_10102-.Lpost_getpc15802)&4294967295
	s_addc_u32 s15, s15, (.LBB1_10102-.Lpost_getpc15802)>>32
	s_setpc_b64 s[14:15]
.LBB1_24440:
	v_cmp_ne_u16_e32 vcc, 0, v3
	s_andn2_b64 s[4:5], s[4:5], exec
	s_and_b64 s[8:9], vcc, exec
	v_mov_b32_e32 v4, 0
	s_or_b64 s[4:5], s[4:5], s[8:9]
	s_or_b64 exec, exec, s[6:7]
	s_and_saveexec_b64 s[6:7], s[4:5]
	s_cbranch_execz .LBB1_33723
; %bb.60279:
	s_getpc_b64 s[14:15]
.Lpost_getpc15803:
	s_add_u32 s14, s14, (.LBB1_10103-.Lpost_getpc15803)&4294967295
	s_addc_u32 s15, s15, (.LBB1_10103-.Lpost_getpc15803)>>32
	s_setpc_b64 s[14:15]
.LBB1_33723:
	s_getpc_b64 s[14:15]
.Lpost_getpc2525:
	s_add_u32 s14, s14, (.LBB1_10104-.Lpost_getpc2525)&4294967295
	s_addc_u32 s15, s15, (.LBB1_10104-.Lpost_getpc2525)>>32
	s_setpc_b64 s[14:15]
.LBB1_24441:
	s_movk_i32 s4, 0x80
	v_cmp_eq_u16_sdwa s[12:13], v9, s4 src0_sel:BYTE_3 src1_sel:DWORD
	s_mov_b64 s[4:5], -1
                                        ; implicit-def: $sgpr10
	s_and_saveexec_b64 s[8:9], s[12:13]
; %bb.24442:
	s_mov_b32 s10, 0x7f800001
	s_xor_b64 s[4:5], exec, -1
; %bb.24443:
	s_or_b64 exec, exec, s[8:9]
	s_and_b64 s[4:5], s[4:5], exec
	s_or_saveexec_b64 s[6:7], s[6:7]
	v_mov_b32_e32 v2, s10
	s_xor_b64 exec, exec, s[6:7]
	s_cbranch_execnz .LBB1_24444
; %bb.60281:
	s_getpc_b64 s[14:15]
.Lpost_getpc15804:
	s_add_u32 s14, s14, (.LBB1_10106-.Lpost_getpc15804)&4294967295
	s_addc_u32 s15, s15, (.LBB1_10106-.Lpost_getpc15804)>>32
	s_setpc_b64 s[14:15]
.LBB1_24444:
	v_mov_b32_e32 v2, 0
	v_cmp_ne_u16_sdwa s[8:9], v9, v2 src0_sel:BYTE_3 src1_sel:DWORD
	s_andn2_b64 s[4:5], s[4:5], exec
	s_and_b64 s[8:9], s[8:9], exec
	s_or_b64 s[4:5], s[4:5], s[8:9]
	s_or_b64 exec, exec, s[6:7]
	s_and_saveexec_b64 s[6:7], s[4:5]
	s_cbranch_execz .LBB1_33725
; %bb.60283:
	s_getpc_b64 s[14:15]
.Lpost_getpc15805:
	s_add_u32 s14, s14, (.LBB1_10107-.Lpost_getpc15805)&4294967295
	s_addc_u32 s15, s15, (.LBB1_10107-.Lpost_getpc15805)>>32
	s_setpc_b64 s[14:15]
.LBB1_33725:
	s_getpc_b64 s[14:15]
.Lpost_getpc2526:
	s_add_u32 s14, s14, (.LBB1_10108-.Lpost_getpc2526)&4294967295
	s_addc_u32 s15, s15, (.LBB1_10108-.Lpost_getpc2526)>>32
	s_setpc_b64 s[14:15]
.LBB1_24445:
	s_movk_i32 s4, 0x80
	v_cmp_eq_u16_sdwa s[12:13], v5, s4 src0_sel:BYTE_3 src1_sel:DWORD
	s_mov_b64 s[4:5], -1
                                        ; implicit-def: $sgpr10
	s_and_saveexec_b64 s[8:9], s[12:13]
; %bb.24446:
	s_mov_b32 s10, 0x7f800001
	s_xor_b64 s[4:5], exec, -1
; %bb.24447:
	s_or_b64 exec, exec, s[8:9]
	s_and_b64 s[4:5], s[4:5], exec
	s_or_saveexec_b64 s[6:7], s[6:7]
	v_mov_b32_e32 v3, s10
	s_xor_b64 exec, exec, s[6:7]
	s_cbranch_execnz .LBB1_24448
; %bb.60285:
	s_getpc_b64 s[14:15]
.Lpost_getpc15806:
	s_add_u32 s14, s14, (.LBB1_10110-.Lpost_getpc15806)&4294967295
	s_addc_u32 s15, s15, (.LBB1_10110-.Lpost_getpc15806)>>32
	s_setpc_b64 s[14:15]
.LBB1_24448:
	v_mov_b32_e32 v3, 0
	v_cmp_ne_u16_sdwa s[8:9], v5, v3 src0_sel:BYTE_3 src1_sel:DWORD
	s_andn2_b64 s[4:5], s[4:5], exec
	s_and_b64 s[8:9], s[8:9], exec
	s_or_b64 s[4:5], s[4:5], s[8:9]
	s_or_b64 exec, exec, s[6:7]
	s_and_saveexec_b64 s[6:7], s[4:5]
	s_cbranch_execz .LBB1_33727
; %bb.60287:
	s_getpc_b64 s[14:15]
.Lpost_getpc15807:
	s_add_u32 s14, s14, (.LBB1_10111-.Lpost_getpc15807)&4294967295
	s_addc_u32 s15, s15, (.LBB1_10111-.Lpost_getpc15807)>>32
	s_setpc_b64 s[14:15]
.LBB1_33727:
	s_getpc_b64 s[14:15]
.Lpost_getpc2527:
	s_add_u32 s14, s14, (.LBB1_10112-.Lpost_getpc2527)&4294967295
	s_addc_u32 s15, s15, (.LBB1_10112-.Lpost_getpc2527)>>32
	s_setpc_b64 s[14:15]
.LBB1_24449:
	s_movk_i32 s4, 0x80
	v_cmp_eq_u16_sdwa s[12:13], v6, s4 src0_sel:BYTE_0 src1_sel:DWORD
	s_mov_b64 s[4:5], -1
                                        ; implicit-def: $sgpr10
	s_and_saveexec_b64 s[8:9], s[12:13]
; %bb.24450:
	s_mov_b32 s10, 0x7f800001
	s_xor_b64 s[4:5], exec, -1
; %bb.24451:
	s_or_b64 exec, exec, s[8:9]
	s_and_b64 s[4:5], s[4:5], exec
	s_or_saveexec_b64 s[6:7], s[6:7]
	v_mov_b32_e32 v12, s10
	s_xor_b64 exec, exec, s[6:7]
	s_cbranch_execnz .LBB1_24452
; %bb.60289:
	s_getpc_b64 s[14:15]
.Lpost_getpc15808:
	s_add_u32 s14, s14, (.LBB1_10114-.Lpost_getpc15808)&4294967295
	s_addc_u32 s15, s15, (.LBB1_10114-.Lpost_getpc15808)>>32
	s_setpc_b64 s[14:15]
.LBB1_24452:
	v_mov_b32_e32 v12, 0
	v_cmp_ne_u16_sdwa s[8:9], v6, v12 src0_sel:BYTE_0 src1_sel:DWORD
	s_andn2_b64 s[4:5], s[4:5], exec
	s_and_b64 s[8:9], s[8:9], exec
	s_or_b64 s[4:5], s[4:5], s[8:9]
	s_or_b64 exec, exec, s[6:7]
	s_and_saveexec_b64 s[6:7], s[4:5]
	s_cbranch_execz .LBB1_33729
; %bb.60291:
	s_getpc_b64 s[14:15]
.Lpost_getpc15809:
	s_add_u32 s14, s14, (.LBB1_10115-.Lpost_getpc15809)&4294967295
	s_addc_u32 s15, s15, (.LBB1_10115-.Lpost_getpc15809)>>32
	s_setpc_b64 s[14:15]
.LBB1_33729:
	s_getpc_b64 s[14:15]
.Lpost_getpc2528:
	s_add_u32 s14, s14, (.LBB1_10116-.Lpost_getpc2528)&4294967295
	s_addc_u32 s15, s15, (.LBB1_10116-.Lpost_getpc2528)>>32
	s_setpc_b64 s[14:15]
.LBB1_24453:
	s_movk_i32 s4, 0x80
	v_cmp_eq_u16_sdwa s[12:13], v2, s4 src0_sel:BYTE_0 src1_sel:DWORD
	s_mov_b64 s[4:5], -1
                                        ; implicit-def: $sgpr10
	s_and_saveexec_b64 s[8:9], s[12:13]
; %bb.24454:
	s_mov_b32 s10, 0x7f800001
	s_xor_b64 s[4:5], exec, -1
; %bb.24455:
	s_or_b64 exec, exec, s[8:9]
	s_and_b64 s[4:5], s[4:5], exec
	s_or_saveexec_b64 s[6:7], s[6:7]
	v_mov_b32_e32 v13, s10
	s_xor_b64 exec, exec, s[6:7]
	s_cbranch_execnz .LBB1_24456
; %bb.60293:
	s_getpc_b64 s[14:15]
.Lpost_getpc15810:
	s_add_u32 s14, s14, (.LBB1_10118-.Lpost_getpc15810)&4294967295
	s_addc_u32 s15, s15, (.LBB1_10118-.Lpost_getpc15810)>>32
	s_setpc_b64 s[14:15]
.LBB1_24456:
	v_mov_b32_e32 v13, 0
	v_cmp_ne_u16_sdwa s[8:9], v2, v13 src0_sel:BYTE_0 src1_sel:DWORD
	s_andn2_b64 s[4:5], s[4:5], exec
	s_and_b64 s[8:9], s[8:9], exec
	s_or_b64 s[4:5], s[4:5], s[8:9]
	s_or_b64 exec, exec, s[6:7]
	s_and_saveexec_b64 s[6:7], s[4:5]
	s_cbranch_execz .LBB1_33731
; %bb.60295:
	s_getpc_b64 s[14:15]
.Lpost_getpc15811:
	s_add_u32 s14, s14, (.LBB1_10119-.Lpost_getpc15811)&4294967295
	s_addc_u32 s15, s15, (.LBB1_10119-.Lpost_getpc15811)>>32
	s_setpc_b64 s[14:15]
.LBB1_33731:
	s_getpc_b64 s[14:15]
.Lpost_getpc2529:
	s_add_u32 s14, s14, (.LBB1_10120-.Lpost_getpc2529)&4294967295
	s_addc_u32 s15, s15, (.LBB1_10120-.Lpost_getpc2529)>>32
	s_setpc_b64 s[14:15]
.LBB1_24457:
	s_movk_i32 s4, 0x80
	v_cmp_eq_u16_sdwa s[12:13], v13, s4 src0_sel:BYTE_0 src1_sel:DWORD
	s_mov_b64 s[4:5], -1
                                        ; implicit-def: $sgpr10
	s_and_saveexec_b64 s[8:9], s[12:13]
; %bb.24458:
	s_mov_b32 s10, 0x7f800001
	s_xor_b64 s[4:5], exec, -1
; %bb.24459:
	s_or_b64 exec, exec, s[8:9]
	s_and_b64 s[4:5], s[4:5], exec
	s_or_saveexec_b64 s[6:7], s[6:7]
	v_mov_b32_e32 v12, s10
	s_xor_b64 exec, exec, s[6:7]
	s_cbranch_execnz .LBB1_24460
; %bb.60297:
	s_getpc_b64 s[14:15]
.Lpost_getpc15812:
	s_add_u32 s14, s14, (.LBB1_10122-.Lpost_getpc15812)&4294967295
	s_addc_u32 s15, s15, (.LBB1_10122-.Lpost_getpc15812)>>32
	s_setpc_b64 s[14:15]
.LBB1_24460:
	v_mov_b32_e32 v12, 0
	v_cmp_ne_u16_sdwa s[8:9], v13, v12 src0_sel:BYTE_0 src1_sel:DWORD
	s_andn2_b64 s[4:5], s[4:5], exec
	s_and_b64 s[8:9], s[8:9], exec
	s_or_b64 s[4:5], s[4:5], s[8:9]
	s_or_b64 exec, exec, s[6:7]
	s_and_saveexec_b64 s[6:7], s[4:5]
	s_cbranch_execz .LBB1_33733
; %bb.60299:
	s_getpc_b64 s[14:15]
.Lpost_getpc15813:
	s_add_u32 s14, s14, (.LBB1_10123-.Lpost_getpc15813)&4294967295
	s_addc_u32 s15, s15, (.LBB1_10123-.Lpost_getpc15813)>>32
	s_setpc_b64 s[14:15]
.LBB1_33733:
	s_getpc_b64 s[14:15]
.Lpost_getpc2530:
	s_add_u32 s14, s14, (.LBB1_10124-.Lpost_getpc2530)&4294967295
	s_addc_u32 s15, s15, (.LBB1_10124-.Lpost_getpc2530)>>32
	s_setpc_b64 s[14:15]
.LBB1_24461:
	s_movk_i32 s4, 0x80
	v_cmp_eq_u16_sdwa s[12:13], v13, s4 src0_sel:BYTE_0 src1_sel:DWORD
	s_mov_b64 s[4:5], -1
                                        ; implicit-def: $sgpr10
	s_and_saveexec_b64 s[8:9], s[12:13]
; %bb.24462:
	s_mov_b32 s10, 0x7f800001
	s_xor_b64 s[4:5], exec, -1
; %bb.24463:
	s_or_b64 exec, exec, s[8:9]
	s_and_b64 s[4:5], s[4:5], exec
	s_or_saveexec_b64 s[6:7], s[6:7]
	v_mov_b32_e32 v14, s10
	s_xor_b64 exec, exec, s[6:7]
	s_cbranch_execnz .LBB1_24464
; %bb.60301:
	s_getpc_b64 s[14:15]
.Lpost_getpc15814:
	s_add_u32 s14, s14, (.LBB1_10126-.Lpost_getpc15814)&4294967295
	s_addc_u32 s15, s15, (.LBB1_10126-.Lpost_getpc15814)>>32
	s_setpc_b64 s[14:15]
.LBB1_24464:
	v_mov_b32_e32 v14, 0
	v_cmp_ne_u16_sdwa s[8:9], v13, v14 src0_sel:BYTE_0 src1_sel:DWORD
	s_andn2_b64 s[4:5], s[4:5], exec
	s_and_b64 s[8:9], s[8:9], exec
	s_or_b64 s[4:5], s[4:5], s[8:9]
	s_or_b64 exec, exec, s[6:7]
	s_and_saveexec_b64 s[6:7], s[4:5]
	s_cbranch_execz .LBB1_33735
; %bb.60303:
	s_getpc_b64 s[14:15]
.Lpost_getpc15815:
	s_add_u32 s14, s14, (.LBB1_10127-.Lpost_getpc15815)&4294967295
	s_addc_u32 s15, s15, (.LBB1_10127-.Lpost_getpc15815)>>32
	s_setpc_b64 s[14:15]
.LBB1_33735:
	s_getpc_b64 s[14:15]
.Lpost_getpc2531:
	s_add_u32 s14, s14, (.LBB1_10128-.Lpost_getpc2531)&4294967295
	s_addc_u32 s15, s15, (.LBB1_10128-.Lpost_getpc2531)>>32
	s_setpc_b64 s[14:15]
.LBB1_24465:
	s_movk_i32 s4, 0x80
	v_cmp_eq_u16_e32 vcc, s4, v13
	s_mov_b64 s[4:5], -1
                                        ; implicit-def: $sgpr10
	s_and_saveexec_b64 s[8:9], vcc
; %bb.24466:
	s_mov_b32 s10, 0x7f800001
	s_xor_b64 s[4:5], exec, -1
; %bb.24467:
	s_or_b64 exec, exec, s[8:9]
	s_and_b64 s[4:5], s[4:5], exec
                                        ; implicit-def: $vgpr13
	s_or_saveexec_b64 s[6:7], s[6:7]
	v_mov_b32_e32 v12, s10
	s_xor_b64 exec, exec, s[6:7]
	s_cbranch_execnz .LBB1_24468
; %bb.60305:
	s_getpc_b64 s[14:15]
.Lpost_getpc15816:
	s_add_u32 s14, s14, (.LBB1_10130-.Lpost_getpc15816)&4294967295
	s_addc_u32 s15, s15, (.LBB1_10130-.Lpost_getpc15816)>>32
	s_setpc_b64 s[14:15]
.LBB1_24468:
	v_cmp_ne_u16_e32 vcc, 0, v13
	s_andn2_b64 s[4:5], s[4:5], exec
	s_and_b64 s[8:9], vcc, exec
	v_mov_b32_e32 v12, 0
	s_or_b64 s[4:5], s[4:5], s[8:9]
	s_or_b64 exec, exec, s[6:7]
	s_and_saveexec_b64 s[6:7], s[4:5]
	s_cbranch_execz .LBB1_33737
; %bb.60307:
	s_getpc_b64 s[14:15]
.Lpost_getpc15817:
	s_add_u32 s14, s14, (.LBB1_10131-.Lpost_getpc15817)&4294967295
	s_addc_u32 s15, s15, (.LBB1_10131-.Lpost_getpc15817)>>32
	s_setpc_b64 s[14:15]
.LBB1_33737:
	s_getpc_b64 s[14:15]
.Lpost_getpc2532:
	s_add_u32 s14, s14, (.LBB1_10132-.Lpost_getpc2532)&4294967295
	s_addc_u32 s15, s15, (.LBB1_10132-.Lpost_getpc2532)>>32
	s_setpc_b64 s[14:15]
.LBB1_24469:
	s_movk_i32 s4, 0x80
	v_cmp_eq_u16_e32 vcc, s4, v13
	s_mov_b64 s[4:5], -1
                                        ; implicit-def: $sgpr10
	s_and_saveexec_b64 s[8:9], vcc
; %bb.24470:
	s_mov_b32 s10, 0x7f800001
	s_xor_b64 s[4:5], exec, -1
; %bb.24471:
	s_or_b64 exec, exec, s[8:9]
	s_and_b64 s[4:5], s[4:5], exec
                                        ; implicit-def: $vgpr13
	s_or_saveexec_b64 s[6:7], s[6:7]
	v_mov_b32_e32 v14, s10
	s_xor_b64 exec, exec, s[6:7]
	s_cbranch_execnz .LBB1_24472
; %bb.60309:
	s_getpc_b64 s[14:15]
.Lpost_getpc15818:
	s_add_u32 s14, s14, (.LBB1_10134-.Lpost_getpc15818)&4294967295
	s_addc_u32 s15, s15, (.LBB1_10134-.Lpost_getpc15818)>>32
	s_setpc_b64 s[14:15]
.LBB1_24472:
	v_cmp_ne_u16_e32 vcc, 0, v13
	s_andn2_b64 s[4:5], s[4:5], exec
	s_and_b64 s[8:9], vcc, exec
	v_mov_b32_e32 v14, 0
	s_or_b64 s[4:5], s[4:5], s[8:9]
	s_or_b64 exec, exec, s[6:7]
	s_and_saveexec_b64 s[6:7], s[4:5]
	s_cbranch_execz .LBB1_33739
; %bb.60311:
	s_getpc_b64 s[14:15]
.Lpost_getpc15819:
	s_add_u32 s14, s14, (.LBB1_10135-.Lpost_getpc15819)&4294967295
	s_addc_u32 s15, s15, (.LBB1_10135-.Lpost_getpc15819)>>32
	s_setpc_b64 s[14:15]
.LBB1_33739:
	s_getpc_b64 s[14:15]
.Lpost_getpc2533:
	s_add_u32 s14, s14, (.LBB1_10136-.Lpost_getpc2533)&4294967295
	s_addc_u32 s15, s15, (.LBB1_10136-.Lpost_getpc2533)>>32
	s_setpc_b64 s[14:15]
.LBB1_24473:
	s_movk_i32 s4, 0x80
	v_cmp_eq_u16_sdwa s[12:13], v6, s4 src0_sel:BYTE_3 src1_sel:DWORD
	s_mov_b64 s[4:5], -1
                                        ; implicit-def: $sgpr10
	s_and_saveexec_b64 s[8:9], s[12:13]
; %bb.24474:
	s_mov_b32 s10, 0x7f800001
	s_xor_b64 s[4:5], exec, -1
; %bb.24475:
	s_or_b64 exec, exec, s[8:9]
	s_and_b64 s[4:5], s[4:5], exec
	s_or_saveexec_b64 s[6:7], s[6:7]
	v_mov_b32_e32 v12, s10
	s_xor_b64 exec, exec, s[6:7]
	s_cbranch_execnz .LBB1_24476
; %bb.60313:
	s_getpc_b64 s[14:15]
.Lpost_getpc15820:
	s_add_u32 s14, s14, (.LBB1_10138-.Lpost_getpc15820)&4294967295
	s_addc_u32 s15, s15, (.LBB1_10138-.Lpost_getpc15820)>>32
	s_setpc_b64 s[14:15]
.LBB1_24476:
	v_mov_b32_e32 v12, 0
	v_cmp_ne_u16_sdwa s[8:9], v6, v12 src0_sel:BYTE_3 src1_sel:DWORD
	s_andn2_b64 s[4:5], s[4:5], exec
	s_and_b64 s[8:9], s[8:9], exec
	s_or_b64 s[4:5], s[4:5], s[8:9]
	s_or_b64 exec, exec, s[6:7]
	s_and_saveexec_b64 s[6:7], s[4:5]
	s_cbranch_execz .LBB1_33741
; %bb.60315:
	s_getpc_b64 s[14:15]
.Lpost_getpc15821:
	s_add_u32 s14, s14, (.LBB1_10139-.Lpost_getpc15821)&4294967295
	s_addc_u32 s15, s15, (.LBB1_10139-.Lpost_getpc15821)>>32
	s_setpc_b64 s[14:15]
.LBB1_33741:
	s_getpc_b64 s[14:15]
.Lpost_getpc2534:
	s_add_u32 s14, s14, (.LBB1_10140-.Lpost_getpc2534)&4294967295
	s_addc_u32 s15, s15, (.LBB1_10140-.Lpost_getpc2534)>>32
	s_setpc_b64 s[14:15]
.LBB1_24477:
	s_movk_i32 s4, 0x80
	v_cmp_eq_u16_sdwa s[12:13], v2, s4 src0_sel:BYTE_3 src1_sel:DWORD
	s_mov_b64 s[4:5], -1
                                        ; implicit-def: $sgpr10
	s_and_saveexec_b64 s[8:9], s[12:13]
; %bb.24478:
	s_mov_b32 s10, 0x7f800001
	s_xor_b64 s[4:5], exec, -1
; %bb.24479:
	s_or_b64 exec, exec, s[8:9]
	s_and_b64 s[4:5], s[4:5], exec
	s_or_saveexec_b64 s[6:7], s[6:7]
	v_mov_b32_e32 v6, s10
	s_xor_b64 exec, exec, s[6:7]
	s_cbranch_execnz .LBB1_24480
; %bb.60317:
	s_getpc_b64 s[14:15]
.Lpost_getpc15822:
	s_add_u32 s14, s14, (.LBB1_10142-.Lpost_getpc15822)&4294967295
	s_addc_u32 s15, s15, (.LBB1_10142-.Lpost_getpc15822)>>32
	s_setpc_b64 s[14:15]
.LBB1_24480:
	v_mov_b32_e32 v6, 0
	v_cmp_ne_u16_sdwa s[8:9], v2, v6 src0_sel:BYTE_3 src1_sel:DWORD
	s_andn2_b64 s[4:5], s[4:5], exec
	s_and_b64 s[8:9], s[8:9], exec
	s_or_b64 s[4:5], s[4:5], s[8:9]
	s_or_b64 exec, exec, s[6:7]
	s_and_saveexec_b64 s[6:7], s[4:5]
	s_cbranch_execz .LBB1_33743
; %bb.60319:
	s_getpc_b64 s[14:15]
.Lpost_getpc15823:
	s_add_u32 s14, s14, (.LBB1_10143-.Lpost_getpc15823)&4294967295
	s_addc_u32 s15, s15, (.LBB1_10143-.Lpost_getpc15823)>>32
	s_setpc_b64 s[14:15]
.LBB1_33743:
	s_getpc_b64 s[14:15]
.Lpost_getpc2535:
	s_add_u32 s14, s14, (.LBB1_10144-.Lpost_getpc2535)&4294967295
	s_addc_u32 s15, s15, (.LBB1_10144-.Lpost_getpc2535)>>32
	s_setpc_b64 s[14:15]
.LBB1_24481:
	s_movk_i32 s4, 0x80
	v_cmp_eq_u16_sdwa s[12:13], v7, s4 src0_sel:BYTE_0 src1_sel:DWORD
	s_mov_b64 s[4:5], -1
                                        ; implicit-def: $sgpr10
	s_and_saveexec_b64 s[8:9], s[12:13]
; %bb.24482:
	s_mov_b32 s10, 0x7f800001
	s_xor_b64 s[4:5], exec, -1
; %bb.24483:
	s_or_b64 exec, exec, s[8:9]
	s_and_b64 s[4:5], s[4:5], exec
	s_or_saveexec_b64 s[6:7], s[6:7]
	v_mov_b32_e32 v2, s10
	s_xor_b64 exec, exec, s[6:7]
	s_cbranch_execnz .LBB1_24484
; %bb.60321:
	s_getpc_b64 s[14:15]
.Lpost_getpc15824:
	s_add_u32 s14, s14, (.LBB1_10146-.Lpost_getpc15824)&4294967295
	s_addc_u32 s15, s15, (.LBB1_10146-.Lpost_getpc15824)>>32
	s_setpc_b64 s[14:15]
.LBB1_24484:
	v_mov_b32_e32 v2, 0
	v_cmp_ne_u16_sdwa s[8:9], v7, v2 src0_sel:BYTE_0 src1_sel:DWORD
	s_andn2_b64 s[4:5], s[4:5], exec
	s_and_b64 s[8:9], s[8:9], exec
	s_or_b64 s[4:5], s[4:5], s[8:9]
	s_or_b64 exec, exec, s[6:7]
	s_and_saveexec_b64 s[6:7], s[4:5]
	s_cbranch_execz .LBB1_33745
; %bb.60323:
	s_getpc_b64 s[14:15]
.Lpost_getpc15825:
	s_add_u32 s14, s14, (.LBB1_10147-.Lpost_getpc15825)&4294967295
	s_addc_u32 s15, s15, (.LBB1_10147-.Lpost_getpc15825)>>32
	s_setpc_b64 s[14:15]
.LBB1_33745:
	s_getpc_b64 s[14:15]
.Lpost_getpc2536:
	s_add_u32 s14, s14, (.LBB1_10148-.Lpost_getpc2536)&4294967295
	s_addc_u32 s15, s15, (.LBB1_10148-.Lpost_getpc2536)>>32
	s_setpc_b64 s[14:15]
.LBB1_24485:
	s_movk_i32 s4, 0x80
	v_cmp_eq_u16_sdwa s[12:13], v3, s4 src0_sel:BYTE_0 src1_sel:DWORD
	s_mov_b64 s[4:5], -1
                                        ; implicit-def: $sgpr10
	s_and_saveexec_b64 s[8:9], s[12:13]
; %bb.24486:
	s_mov_b32 s10, 0x7f800001
	s_xor_b64 s[4:5], exec, -1
; %bb.24487:
	s_or_b64 exec, exec, s[8:9]
	s_and_b64 s[4:5], s[4:5], exec
	s_or_saveexec_b64 s[6:7], s[6:7]
	v_mov_b32_e32 v6, s10
	s_xor_b64 exec, exec, s[6:7]
	s_cbranch_execnz .LBB1_24488
; %bb.60325:
	s_getpc_b64 s[14:15]
.Lpost_getpc15826:
	s_add_u32 s14, s14, (.LBB1_10150-.Lpost_getpc15826)&4294967295
	s_addc_u32 s15, s15, (.LBB1_10150-.Lpost_getpc15826)>>32
	s_setpc_b64 s[14:15]
.LBB1_24488:
	v_mov_b32_e32 v6, 0
	v_cmp_ne_u16_sdwa s[8:9], v3, v6 src0_sel:BYTE_0 src1_sel:DWORD
	s_andn2_b64 s[4:5], s[4:5], exec
	s_and_b64 s[8:9], s[8:9], exec
	s_or_b64 s[4:5], s[4:5], s[8:9]
	s_or_b64 exec, exec, s[6:7]
	s_and_saveexec_b64 s[6:7], s[4:5]
	s_cbranch_execz .LBB1_33747
; %bb.60327:
	s_getpc_b64 s[14:15]
.Lpost_getpc15827:
	s_add_u32 s14, s14, (.LBB1_10151-.Lpost_getpc15827)&4294967295
	s_addc_u32 s15, s15, (.LBB1_10151-.Lpost_getpc15827)>>32
	s_setpc_b64 s[14:15]
.LBB1_33747:
	s_getpc_b64 s[14:15]
.Lpost_getpc2537:
	s_add_u32 s14, s14, (.LBB1_10152-.Lpost_getpc2537)&4294967295
	s_addc_u32 s15, s15, (.LBB1_10152-.Lpost_getpc2537)>>32
	s_setpc_b64 s[14:15]
.LBB1_24489:
	s_movk_i32 s4, 0x80
	v_cmp_eq_u16_sdwa s[12:13], v6, s4 src0_sel:BYTE_0 src1_sel:DWORD
	s_mov_b64 s[4:5], -1
                                        ; implicit-def: $sgpr10
	s_and_saveexec_b64 s[8:9], s[12:13]
; %bb.24490:
	s_mov_b32 s10, 0x7f800001
	s_xor_b64 s[4:5], exec, -1
; %bb.24491:
	s_or_b64 exec, exec, s[8:9]
	s_and_b64 s[4:5], s[4:5], exec
	s_or_saveexec_b64 s[6:7], s[6:7]
	v_mov_b32_e32 v2, s10
	s_xor_b64 exec, exec, s[6:7]
	s_cbranch_execnz .LBB1_24492
; %bb.60329:
	s_getpc_b64 s[14:15]
.Lpost_getpc15828:
	s_add_u32 s14, s14, (.LBB1_10154-.Lpost_getpc15828)&4294967295
	s_addc_u32 s15, s15, (.LBB1_10154-.Lpost_getpc15828)>>32
	s_setpc_b64 s[14:15]
.LBB1_24492:
	v_mov_b32_e32 v2, 0
	v_cmp_ne_u16_sdwa s[8:9], v6, v2 src0_sel:BYTE_0 src1_sel:DWORD
	s_andn2_b64 s[4:5], s[4:5], exec
	s_and_b64 s[8:9], s[8:9], exec
	s_or_b64 s[4:5], s[4:5], s[8:9]
	s_or_b64 exec, exec, s[6:7]
	s_and_saveexec_b64 s[6:7], s[4:5]
	s_cbranch_execz .LBB1_33749
; %bb.60331:
	s_getpc_b64 s[14:15]
.Lpost_getpc15829:
	s_add_u32 s14, s14, (.LBB1_10155-.Lpost_getpc15829)&4294967295
	s_addc_u32 s15, s15, (.LBB1_10155-.Lpost_getpc15829)>>32
	s_setpc_b64 s[14:15]
.LBB1_33749:
	s_getpc_b64 s[14:15]
.Lpost_getpc2538:
	s_add_u32 s14, s14, (.LBB1_10156-.Lpost_getpc2538)&4294967295
	s_addc_u32 s15, s15, (.LBB1_10156-.Lpost_getpc2538)>>32
	s_setpc_b64 s[14:15]
.LBB1_24493:
	s_movk_i32 s4, 0x80
	v_cmp_eq_u16_sdwa s[12:13], v6, s4 src0_sel:BYTE_0 src1_sel:DWORD
	s_mov_b64 s[4:5], -1
                                        ; implicit-def: $sgpr10
	s_and_saveexec_b64 s[8:9], s[12:13]
; %bb.24494:
	s_mov_b32 s10, 0x7f800001
	s_xor_b64 s[4:5], exec, -1
; %bb.24495:
	s_or_b64 exec, exec, s[8:9]
	s_and_b64 s[4:5], s[4:5], exec
	s_or_saveexec_b64 s[6:7], s[6:7]
	v_mov_b32_e32 v12, s10
	s_xor_b64 exec, exec, s[6:7]
	s_cbranch_execnz .LBB1_24496
; %bb.60333:
	s_getpc_b64 s[14:15]
.Lpost_getpc15830:
	s_add_u32 s14, s14, (.LBB1_10158-.Lpost_getpc15830)&4294967295
	s_addc_u32 s15, s15, (.LBB1_10158-.Lpost_getpc15830)>>32
	s_setpc_b64 s[14:15]
.LBB1_24496:
	v_mov_b32_e32 v12, 0
	v_cmp_ne_u16_sdwa s[8:9], v6, v12 src0_sel:BYTE_0 src1_sel:DWORD
	s_andn2_b64 s[4:5], s[4:5], exec
	s_and_b64 s[8:9], s[8:9], exec
	s_or_b64 s[4:5], s[4:5], s[8:9]
	s_or_b64 exec, exec, s[6:7]
	s_and_saveexec_b64 s[6:7], s[4:5]
	s_cbranch_execz .LBB1_33751
; %bb.60335:
	s_getpc_b64 s[14:15]
.Lpost_getpc15831:
	s_add_u32 s14, s14, (.LBB1_10159-.Lpost_getpc15831)&4294967295
	s_addc_u32 s15, s15, (.LBB1_10159-.Lpost_getpc15831)>>32
	s_setpc_b64 s[14:15]
.LBB1_33751:
	s_getpc_b64 s[14:15]
.Lpost_getpc2539:
	s_add_u32 s14, s14, (.LBB1_10160-.Lpost_getpc2539)&4294967295
	s_addc_u32 s15, s15, (.LBB1_10160-.Lpost_getpc2539)>>32
	s_setpc_b64 s[14:15]
.LBB1_24497:
	s_movk_i32 s4, 0x80
	v_cmp_eq_u16_e32 vcc, s4, v6
	s_mov_b64 s[4:5], -1
                                        ; implicit-def: $sgpr10
	s_and_saveexec_b64 s[8:9], vcc
; %bb.24498:
	s_mov_b32 s10, 0x7f800001
	s_xor_b64 s[4:5], exec, -1
; %bb.24499:
	s_or_b64 exec, exec, s[8:9]
	s_and_b64 s[4:5], s[4:5], exec
                                        ; implicit-def: $vgpr6
	s_or_saveexec_b64 s[6:7], s[6:7]
	v_mov_b32_e32 v2, s10
	s_xor_b64 exec, exec, s[6:7]
	s_cbranch_execnz .LBB1_24500
; %bb.60337:
	s_getpc_b64 s[14:15]
.Lpost_getpc15832:
	s_add_u32 s14, s14, (.LBB1_10162-.Lpost_getpc15832)&4294967295
	s_addc_u32 s15, s15, (.LBB1_10162-.Lpost_getpc15832)>>32
	s_setpc_b64 s[14:15]
.LBB1_24500:
	v_cmp_ne_u16_e32 vcc, 0, v6
	s_andn2_b64 s[4:5], s[4:5], exec
	s_and_b64 s[8:9], vcc, exec
	v_mov_b32_e32 v2, 0
	s_or_b64 s[4:5], s[4:5], s[8:9]
	s_or_b64 exec, exec, s[6:7]
	s_and_saveexec_b64 s[6:7], s[4:5]
	s_cbranch_execz .LBB1_33753
; %bb.60339:
	s_getpc_b64 s[14:15]
.Lpost_getpc15833:
	s_add_u32 s14, s14, (.LBB1_10163-.Lpost_getpc15833)&4294967295
	s_addc_u32 s15, s15, (.LBB1_10163-.Lpost_getpc15833)>>32
	s_setpc_b64 s[14:15]
.LBB1_33753:
	s_getpc_b64 s[14:15]
.Lpost_getpc2540:
	s_add_u32 s14, s14, (.LBB1_10164-.Lpost_getpc2540)&4294967295
	s_addc_u32 s15, s15, (.LBB1_10164-.Lpost_getpc2540)>>32
	s_setpc_b64 s[14:15]
.LBB1_24501:
	s_movk_i32 s4, 0x80
	v_cmp_eq_u16_e32 vcc, s4, v6
	s_mov_b64 s[4:5], -1
                                        ; implicit-def: $sgpr10
	s_and_saveexec_b64 s[8:9], vcc
; %bb.24502:
	s_mov_b32 s10, 0x7f800001
	s_xor_b64 s[4:5], exec, -1
; %bb.24503:
	s_or_b64 exec, exec, s[8:9]
	s_and_b64 s[4:5], s[4:5], exec
                                        ; implicit-def: $vgpr6
	s_or_saveexec_b64 s[6:7], s[6:7]
	v_mov_b32_e32 v12, s10
	s_xor_b64 exec, exec, s[6:7]
	s_cbranch_execnz .LBB1_24504
; %bb.60341:
	s_getpc_b64 s[14:15]
.Lpost_getpc15834:
	s_add_u32 s14, s14, (.LBB1_10166-.Lpost_getpc15834)&4294967295
	s_addc_u32 s15, s15, (.LBB1_10166-.Lpost_getpc15834)>>32
	s_setpc_b64 s[14:15]
.LBB1_24504:
	v_cmp_ne_u16_e32 vcc, 0, v6
	s_andn2_b64 s[4:5], s[4:5], exec
	s_and_b64 s[8:9], vcc, exec
	v_mov_b32_e32 v12, 0
	s_or_b64 s[4:5], s[4:5], s[8:9]
	s_or_b64 exec, exec, s[6:7]
	s_and_saveexec_b64 s[6:7], s[4:5]
	s_cbranch_execz .LBB1_33755
; %bb.60343:
	s_getpc_b64 s[14:15]
.Lpost_getpc15835:
	s_add_u32 s14, s14, (.LBB1_10167-.Lpost_getpc15835)&4294967295
	s_addc_u32 s15, s15, (.LBB1_10167-.Lpost_getpc15835)>>32
	s_setpc_b64 s[14:15]
.LBB1_33755:
	s_getpc_b64 s[14:15]
.Lpost_getpc2541:
	s_add_u32 s14, s14, (.LBB1_10168-.Lpost_getpc2541)&4294967295
	s_addc_u32 s15, s15, (.LBB1_10168-.Lpost_getpc2541)>>32
	s_setpc_b64 s[14:15]
.LBB1_24505:
	s_movk_i32 s4, 0x80
	v_cmp_eq_u16_sdwa s[12:13], v7, s4 src0_sel:BYTE_3 src1_sel:DWORD
	s_mov_b64 s[4:5], -1
                                        ; implicit-def: $sgpr10
	s_and_saveexec_b64 s[8:9], s[12:13]
; %bb.24506:
	s_mov_b32 s10, 0x7f800001
	s_xor_b64 s[4:5], exec, -1
; %bb.24507:
	s_or_b64 exec, exec, s[8:9]
	s_and_b64 s[4:5], s[4:5], exec
	s_or_saveexec_b64 s[6:7], s[6:7]
	v_mov_b32_e32 v2, s10
	s_xor_b64 exec, exec, s[6:7]
	s_cbranch_execnz .LBB1_24508
; %bb.60345:
	s_getpc_b64 s[14:15]
.Lpost_getpc15836:
	s_add_u32 s14, s14, (.LBB1_10170-.Lpost_getpc15836)&4294967295
	s_addc_u32 s15, s15, (.LBB1_10170-.Lpost_getpc15836)>>32
	s_setpc_b64 s[14:15]
.LBB1_24508:
	v_mov_b32_e32 v2, 0
	v_cmp_ne_u16_sdwa s[8:9], v7, v2 src0_sel:BYTE_3 src1_sel:DWORD
	s_andn2_b64 s[4:5], s[4:5], exec
	s_and_b64 s[8:9], s[8:9], exec
	s_or_b64 s[4:5], s[4:5], s[8:9]
	s_or_b64 exec, exec, s[6:7]
	s_and_saveexec_b64 s[6:7], s[4:5]
	s_cbranch_execz .LBB1_33757
; %bb.60347:
	s_getpc_b64 s[14:15]
.Lpost_getpc15837:
	s_add_u32 s14, s14, (.LBB1_10171-.Lpost_getpc15837)&4294967295
	s_addc_u32 s15, s15, (.LBB1_10171-.Lpost_getpc15837)>>32
	s_setpc_b64 s[14:15]
.LBB1_33757:
	s_getpc_b64 s[14:15]
.Lpost_getpc2542:
	s_add_u32 s14, s14, (.LBB1_10172-.Lpost_getpc2542)&4294967295
	s_addc_u32 s15, s15, (.LBB1_10172-.Lpost_getpc2542)>>32
	s_setpc_b64 s[14:15]
.LBB1_24509:
	s_movk_i32 s4, 0x80
	v_cmp_eq_u16_sdwa s[12:13], v3, s4 src0_sel:BYTE_3 src1_sel:DWORD
	s_mov_b64 s[4:5], -1
                                        ; implicit-def: $sgpr10
	s_and_saveexec_b64 s[8:9], s[12:13]
; %bb.24510:
	s_mov_b32 s10, 0x7f800001
	s_xor_b64 s[4:5], exec, -1
; %bb.24511:
	s_or_b64 exec, exec, s[8:9]
	s_and_b64 s[4:5], s[4:5], exec
	s_or_saveexec_b64 s[6:7], s[6:7]
	v_mov_b32_e32 v6, s10
	s_xor_b64 exec, exec, s[6:7]
	s_cbranch_execnz .LBB1_24512
; %bb.60349:
	s_getpc_b64 s[14:15]
.Lpost_getpc15838:
	s_add_u32 s14, s14, (.LBB1_10174-.Lpost_getpc15838)&4294967295
	s_addc_u32 s15, s15, (.LBB1_10174-.Lpost_getpc15838)>>32
	s_setpc_b64 s[14:15]
.LBB1_24512:
	v_mov_b32_e32 v6, 0
	v_cmp_ne_u16_sdwa s[8:9], v3, v6 src0_sel:BYTE_3 src1_sel:DWORD
	s_andn2_b64 s[4:5], s[4:5], exec
	s_and_b64 s[8:9], s[8:9], exec
	s_or_b64 s[4:5], s[4:5], s[8:9]
	s_or_b64 exec, exec, s[6:7]
	s_and_saveexec_b64 s[6:7], s[4:5]
	s_cbranch_execz .LBB1_33759
; %bb.60351:
	s_getpc_b64 s[14:15]
.Lpost_getpc15839:
	s_add_u32 s14, s14, (.LBB1_10175-.Lpost_getpc15839)&4294967295
	s_addc_u32 s15, s15, (.LBB1_10175-.Lpost_getpc15839)>>32
	s_setpc_b64 s[14:15]
.LBB1_33759:
	s_getpc_b64 s[14:15]
.Lpost_getpc2543:
	s_add_u32 s14, s14, (.LBB1_10176-.Lpost_getpc2543)&4294967295
	s_addc_u32 s15, s15, (.LBB1_10176-.Lpost_getpc2543)>>32
	s_setpc_b64 s[14:15]
.LBB1_24513:
	s_movk_i32 s4, 0x80
	v_cmp_eq_u16_sdwa s[12:13], v8, s4 src0_sel:BYTE_0 src1_sel:DWORD
	s_mov_b64 s[4:5], -1
                                        ; implicit-def: $sgpr10
	s_and_saveexec_b64 s[8:9], s[12:13]
; %bb.24514:
	s_mov_b32 s10, 0x7f800001
	s_xor_b64 s[4:5], exec, -1
; %bb.24515:
	s_or_b64 exec, exec, s[8:9]
	s_and_b64 s[4:5], s[4:5], exec
	s_or_saveexec_b64 s[6:7], s[6:7]
	v_mov_b32_e32 v2, s10
	s_xor_b64 exec, exec, s[6:7]
	s_cbranch_execnz .LBB1_24516
; %bb.60353:
	s_getpc_b64 s[14:15]
.Lpost_getpc15840:
	s_add_u32 s14, s14, (.LBB1_10178-.Lpost_getpc15840)&4294967295
	s_addc_u32 s15, s15, (.LBB1_10178-.Lpost_getpc15840)>>32
	s_setpc_b64 s[14:15]
.LBB1_24516:
	v_mov_b32_e32 v2, 0
	v_cmp_ne_u16_sdwa s[8:9], v8, v2 src0_sel:BYTE_0 src1_sel:DWORD
	s_andn2_b64 s[4:5], s[4:5], exec
	s_and_b64 s[8:9], s[8:9], exec
	s_or_b64 s[4:5], s[4:5], s[8:9]
	s_or_b64 exec, exec, s[6:7]
	s_and_saveexec_b64 s[6:7], s[4:5]
	s_cbranch_execz .LBB1_33761
; %bb.60355:
	s_getpc_b64 s[14:15]
.Lpost_getpc15841:
	s_add_u32 s14, s14, (.LBB1_10179-.Lpost_getpc15841)&4294967295
	s_addc_u32 s15, s15, (.LBB1_10179-.Lpost_getpc15841)>>32
	s_setpc_b64 s[14:15]
.LBB1_33761:
	s_getpc_b64 s[14:15]
.Lpost_getpc2544:
	s_add_u32 s14, s14, (.LBB1_10180-.Lpost_getpc2544)&4294967295
	s_addc_u32 s15, s15, (.LBB1_10180-.Lpost_getpc2544)>>32
	s_setpc_b64 s[14:15]
.LBB1_24517:
	s_movk_i32 s4, 0x80
	v_cmp_eq_u16_sdwa s[12:13], v4, s4 src0_sel:BYTE_0 src1_sel:DWORD
	s_mov_b64 s[4:5], -1
                                        ; implicit-def: $sgpr10
	s_and_saveexec_b64 s[8:9], s[12:13]
; %bb.24518:
	s_mov_b32 s10, 0x7f800001
	s_xor_b64 s[4:5], exec, -1
; %bb.24519:
	s_or_b64 exec, exec, s[8:9]
	s_and_b64 s[4:5], s[4:5], exec
	s_or_saveexec_b64 s[6:7], s[6:7]
	v_mov_b32_e32 v3, s10
	s_xor_b64 exec, exec, s[6:7]
	s_cbranch_execnz .LBB1_24520
; %bb.60357:
	s_getpc_b64 s[14:15]
.Lpost_getpc15842:
	s_add_u32 s14, s14, (.LBB1_10182-.Lpost_getpc15842)&4294967295
	s_addc_u32 s15, s15, (.LBB1_10182-.Lpost_getpc15842)>>32
	s_setpc_b64 s[14:15]
.LBB1_24520:
	v_mov_b32_e32 v3, 0
	v_cmp_ne_u16_sdwa s[8:9], v4, v3 src0_sel:BYTE_0 src1_sel:DWORD
	s_andn2_b64 s[4:5], s[4:5], exec
	s_and_b64 s[8:9], s[8:9], exec
	s_or_b64 s[4:5], s[4:5], s[8:9]
	s_or_b64 exec, exec, s[6:7]
	s_and_saveexec_b64 s[6:7], s[4:5]
	s_cbranch_execz .LBB1_33763
; %bb.60359:
	s_getpc_b64 s[14:15]
.Lpost_getpc15843:
	s_add_u32 s14, s14, (.LBB1_10183-.Lpost_getpc15843)&4294967295
	s_addc_u32 s15, s15, (.LBB1_10183-.Lpost_getpc15843)>>32
	s_setpc_b64 s[14:15]
.LBB1_33763:
	s_getpc_b64 s[14:15]
.Lpost_getpc2545:
	s_add_u32 s14, s14, (.LBB1_10184-.Lpost_getpc2545)&4294967295
	s_addc_u32 s15, s15, (.LBB1_10184-.Lpost_getpc2545)>>32
	s_setpc_b64 s[14:15]
.LBB1_24521:
	s_movk_i32 s4, 0x80
	v_cmp_eq_u16_sdwa s[12:13], v3, s4 src0_sel:BYTE_0 src1_sel:DWORD
	s_mov_b64 s[4:5], -1
                                        ; implicit-def: $sgpr10
	s_and_saveexec_b64 s[8:9], s[12:13]
; %bb.24522:
	s_mov_b32 s10, 0x7f800001
	s_xor_b64 s[4:5], exec, -1
; %bb.24523:
	s_or_b64 exec, exec, s[8:9]
	s_and_b64 s[4:5], s[4:5], exec
	s_or_saveexec_b64 s[6:7], s[6:7]
	v_mov_b32_e32 v2, s10
	s_xor_b64 exec, exec, s[6:7]
	s_cbranch_execnz .LBB1_24524
; %bb.60361:
	s_getpc_b64 s[14:15]
.Lpost_getpc15844:
	s_add_u32 s14, s14, (.LBB1_10186-.Lpost_getpc15844)&4294967295
	s_addc_u32 s15, s15, (.LBB1_10186-.Lpost_getpc15844)>>32
	s_setpc_b64 s[14:15]
.LBB1_24524:
	v_mov_b32_e32 v2, 0
	v_cmp_ne_u16_sdwa s[8:9], v3, v2 src0_sel:BYTE_0 src1_sel:DWORD
	s_andn2_b64 s[4:5], s[4:5], exec
	s_and_b64 s[8:9], s[8:9], exec
	s_or_b64 s[4:5], s[4:5], s[8:9]
	s_or_b64 exec, exec, s[6:7]
	s_and_saveexec_b64 s[6:7], s[4:5]
	s_cbranch_execz .LBB1_33765
; %bb.60363:
	s_getpc_b64 s[14:15]
.Lpost_getpc15845:
	s_add_u32 s14, s14, (.LBB1_10187-.Lpost_getpc15845)&4294967295
	s_addc_u32 s15, s15, (.LBB1_10187-.Lpost_getpc15845)>>32
	s_setpc_b64 s[14:15]
.LBB1_33765:
	s_getpc_b64 s[14:15]
.Lpost_getpc2546:
	s_add_u32 s14, s14, (.LBB1_10188-.Lpost_getpc2546)&4294967295
	s_addc_u32 s15, s15, (.LBB1_10188-.Lpost_getpc2546)>>32
	s_setpc_b64 s[14:15]
.LBB1_24525:
	s_movk_i32 s4, 0x80
	v_cmp_eq_u16_sdwa s[12:13], v3, s4 src0_sel:BYTE_0 src1_sel:DWORD
	s_mov_b64 s[4:5], -1
                                        ; implicit-def: $sgpr10
	s_and_saveexec_b64 s[8:9], s[12:13]
; %bb.24526:
	s_mov_b32 s10, 0x7f800001
	s_xor_b64 s[4:5], exec, -1
; %bb.24527:
	s_or_b64 exec, exec, s[8:9]
	s_and_b64 s[4:5], s[4:5], exec
	s_or_saveexec_b64 s[6:7], s[6:7]
	v_mov_b32_e32 v6, s10
	s_xor_b64 exec, exec, s[6:7]
	s_cbranch_execnz .LBB1_24528
; %bb.60365:
	s_getpc_b64 s[14:15]
.Lpost_getpc15846:
	s_add_u32 s14, s14, (.LBB1_10190-.Lpost_getpc15846)&4294967295
	s_addc_u32 s15, s15, (.LBB1_10190-.Lpost_getpc15846)>>32
	s_setpc_b64 s[14:15]
.LBB1_24528:
	v_mov_b32_e32 v6, 0
	v_cmp_ne_u16_sdwa s[8:9], v3, v6 src0_sel:BYTE_0 src1_sel:DWORD
	s_andn2_b64 s[4:5], s[4:5], exec
	s_and_b64 s[8:9], s[8:9], exec
	s_or_b64 s[4:5], s[4:5], s[8:9]
	s_or_b64 exec, exec, s[6:7]
	s_and_saveexec_b64 s[6:7], s[4:5]
	s_cbranch_execz .LBB1_33767
; %bb.60367:
	s_getpc_b64 s[14:15]
.Lpost_getpc15847:
	s_add_u32 s14, s14, (.LBB1_10191-.Lpost_getpc15847)&4294967295
	s_addc_u32 s15, s15, (.LBB1_10191-.Lpost_getpc15847)>>32
	s_setpc_b64 s[14:15]
.LBB1_33767:
	s_getpc_b64 s[14:15]
.Lpost_getpc2547:
	s_add_u32 s14, s14, (.LBB1_10192-.Lpost_getpc2547)&4294967295
	s_addc_u32 s15, s15, (.LBB1_10192-.Lpost_getpc2547)>>32
	s_setpc_b64 s[14:15]
.LBB1_24529:
	s_movk_i32 s4, 0x80
	v_cmp_eq_u16_e32 vcc, s4, v3
	s_mov_b64 s[4:5], -1
                                        ; implicit-def: $sgpr10
	s_and_saveexec_b64 s[8:9], vcc
; %bb.24530:
	s_mov_b32 s10, 0x7f800001
	s_xor_b64 s[4:5], exec, -1
; %bb.24531:
	s_or_b64 exec, exec, s[8:9]
	s_and_b64 s[4:5], s[4:5], exec
                                        ; implicit-def: $vgpr3
	s_or_saveexec_b64 s[6:7], s[6:7]
	v_mov_b32_e32 v2, s10
	s_xor_b64 exec, exec, s[6:7]
	s_cbranch_execnz .LBB1_24532
; %bb.60369:
	s_getpc_b64 s[14:15]
.Lpost_getpc15848:
	s_add_u32 s14, s14, (.LBB1_10194-.Lpost_getpc15848)&4294967295
	s_addc_u32 s15, s15, (.LBB1_10194-.Lpost_getpc15848)>>32
	s_setpc_b64 s[14:15]
.LBB1_24532:
	v_cmp_ne_u16_e32 vcc, 0, v3
	s_andn2_b64 s[4:5], s[4:5], exec
	s_and_b64 s[8:9], vcc, exec
	v_mov_b32_e32 v2, 0
	s_or_b64 s[4:5], s[4:5], s[8:9]
	s_or_b64 exec, exec, s[6:7]
	s_and_saveexec_b64 s[6:7], s[4:5]
	s_cbranch_execz .LBB1_33769
; %bb.60371:
	s_getpc_b64 s[14:15]
.Lpost_getpc15849:
	s_add_u32 s14, s14, (.LBB1_10195-.Lpost_getpc15849)&4294967295
	s_addc_u32 s15, s15, (.LBB1_10195-.Lpost_getpc15849)>>32
	s_setpc_b64 s[14:15]
.LBB1_33769:
	s_getpc_b64 s[14:15]
.Lpost_getpc2548:
	s_add_u32 s14, s14, (.LBB1_10196-.Lpost_getpc2548)&4294967295
	s_addc_u32 s15, s15, (.LBB1_10196-.Lpost_getpc2548)>>32
	s_setpc_b64 s[14:15]
.LBB1_24533:
	s_movk_i32 s4, 0x80
	v_cmp_eq_u16_e32 vcc, s4, v3
	s_mov_b64 s[4:5], -1
                                        ; implicit-def: $sgpr10
	s_and_saveexec_b64 s[8:9], vcc
; %bb.24534:
	s_mov_b32 s10, 0x7f800001
	s_xor_b64 s[4:5], exec, -1
; %bb.24535:
	s_or_b64 exec, exec, s[8:9]
	s_and_b64 s[4:5], s[4:5], exec
                                        ; implicit-def: $vgpr3
	s_or_saveexec_b64 s[6:7], s[6:7]
	v_mov_b32_e32 v6, s10
	s_xor_b64 exec, exec, s[6:7]
	s_cbranch_execnz .LBB1_24536
; %bb.60373:
	s_getpc_b64 s[14:15]
.Lpost_getpc15850:
	s_add_u32 s14, s14, (.LBB1_10198-.Lpost_getpc15850)&4294967295
	s_addc_u32 s15, s15, (.LBB1_10198-.Lpost_getpc15850)>>32
	s_setpc_b64 s[14:15]
.LBB1_24536:
	v_cmp_ne_u16_e32 vcc, 0, v3
	s_andn2_b64 s[4:5], s[4:5], exec
	s_and_b64 s[8:9], vcc, exec
	v_mov_b32_e32 v6, 0
	s_or_b64 s[4:5], s[4:5], s[8:9]
	s_or_b64 exec, exec, s[6:7]
	s_and_saveexec_b64 s[6:7], s[4:5]
	s_cbranch_execz .LBB1_33771
; %bb.60375:
	s_getpc_b64 s[14:15]
.Lpost_getpc15851:
	s_add_u32 s14, s14, (.LBB1_10199-.Lpost_getpc15851)&4294967295
	s_addc_u32 s15, s15, (.LBB1_10199-.Lpost_getpc15851)>>32
	s_setpc_b64 s[14:15]
.LBB1_33771:
	s_getpc_b64 s[14:15]
.Lpost_getpc2549:
	s_add_u32 s14, s14, (.LBB1_10200-.Lpost_getpc2549)&4294967295
	s_addc_u32 s15, s15, (.LBB1_10200-.Lpost_getpc2549)>>32
	s_setpc_b64 s[14:15]
.LBB1_24537:
	s_movk_i32 s4, 0x80
	v_cmp_eq_u16_sdwa s[12:13], v8, s4 src0_sel:BYTE_3 src1_sel:DWORD
	s_mov_b64 s[4:5], -1
                                        ; implicit-def: $sgpr10
	s_and_saveexec_b64 s[8:9], s[12:13]
; %bb.24538:
	s_mov_b32 s10, 0x7f800001
	s_xor_b64 s[4:5], exec, -1
; %bb.24539:
	s_or_b64 exec, exec, s[8:9]
	s_and_b64 s[4:5], s[4:5], exec
	s_or_saveexec_b64 s[6:7], s[6:7]
	v_mov_b32_e32 v2, s10
	s_xor_b64 exec, exec, s[6:7]
	s_cbranch_execnz .LBB1_24540
; %bb.60377:
	s_getpc_b64 s[14:15]
.Lpost_getpc15852:
	s_add_u32 s14, s14, (.LBB1_10202-.Lpost_getpc15852)&4294967295
	s_addc_u32 s15, s15, (.LBB1_10202-.Lpost_getpc15852)>>32
	s_setpc_b64 s[14:15]
.LBB1_24540:
	v_mov_b32_e32 v2, 0
	v_cmp_ne_u16_sdwa s[8:9], v8, v2 src0_sel:BYTE_3 src1_sel:DWORD
	s_andn2_b64 s[4:5], s[4:5], exec
	s_and_b64 s[8:9], s[8:9], exec
	s_or_b64 s[4:5], s[4:5], s[8:9]
	s_or_b64 exec, exec, s[6:7]
	s_and_saveexec_b64 s[6:7], s[4:5]
	s_cbranch_execz .LBB1_33773
; %bb.60379:
	s_getpc_b64 s[14:15]
.Lpost_getpc15853:
	s_add_u32 s14, s14, (.LBB1_10203-.Lpost_getpc15853)&4294967295
	s_addc_u32 s15, s15, (.LBB1_10203-.Lpost_getpc15853)>>32
	s_setpc_b64 s[14:15]
.LBB1_33773:
	s_getpc_b64 s[14:15]
.Lpost_getpc2550:
	s_add_u32 s14, s14, (.LBB1_10204-.Lpost_getpc2550)&4294967295
	s_addc_u32 s15, s15, (.LBB1_10204-.Lpost_getpc2550)>>32
	s_setpc_b64 s[14:15]
.LBB1_24541:
	s_movk_i32 s4, 0x80
	v_cmp_eq_u16_sdwa s[12:13], v4, s4 src0_sel:BYTE_3 src1_sel:DWORD
	s_mov_b64 s[4:5], -1
                                        ; implicit-def: $sgpr10
	s_and_saveexec_b64 s[8:9], s[12:13]
; %bb.24542:
	s_mov_b32 s10, 0x7f800001
	s_xor_b64 s[4:5], exec, -1
; %bb.24543:
	s_or_b64 exec, exec, s[8:9]
	s_and_b64 s[4:5], s[4:5], exec
	s_or_saveexec_b64 s[6:7], s[6:7]
	v_mov_b32_e32 v3, s10
	s_xor_b64 exec, exec, s[6:7]
	s_cbranch_execnz .LBB1_24544
; %bb.60381:
	s_getpc_b64 s[14:15]
.Lpost_getpc15854:
	s_add_u32 s14, s14, (.LBB1_10206-.Lpost_getpc15854)&4294967295
	s_addc_u32 s15, s15, (.LBB1_10206-.Lpost_getpc15854)>>32
	s_setpc_b64 s[14:15]
.LBB1_24544:
	v_mov_b32_e32 v3, 0
	v_cmp_ne_u16_sdwa s[8:9], v4, v3 src0_sel:BYTE_3 src1_sel:DWORD
	s_andn2_b64 s[4:5], s[4:5], exec
	s_and_b64 s[8:9], s[8:9], exec
	s_or_b64 s[4:5], s[4:5], s[8:9]
	s_or_b64 exec, exec, s[6:7]
	s_and_saveexec_b64 s[6:7], s[4:5]
	s_cbranch_execz .LBB1_33775
; %bb.60383:
	s_getpc_b64 s[14:15]
.Lpost_getpc15855:
	s_add_u32 s14, s14, (.LBB1_10207-.Lpost_getpc15855)&4294967295
	s_addc_u32 s15, s15, (.LBB1_10207-.Lpost_getpc15855)>>32
	s_setpc_b64 s[14:15]
.LBB1_33775:
	s_getpc_b64 s[14:15]
.Lpost_getpc2551:
	s_add_u32 s14, s14, (.LBB1_10208-.Lpost_getpc2551)&4294967295
	s_addc_u32 s15, s15, (.LBB1_10208-.Lpost_getpc2551)>>32
	s_setpc_b64 s[14:15]
.LBB1_24545:
	s_movk_i32 s4, 0x80
	v_cmp_eq_u16_sdwa s[12:13], v9, s4 src0_sel:BYTE_0 src1_sel:DWORD
	s_mov_b64 s[4:5], -1
                                        ; implicit-def: $sgpr10
	s_and_saveexec_b64 s[8:9], s[12:13]
; %bb.24546:
	s_mov_b32 s10, 0x7f800001
	s_xor_b64 s[4:5], exec, -1
; %bb.24547:
	s_or_b64 exec, exec, s[8:9]
	s_and_b64 s[4:5], s[4:5], exec
	s_or_saveexec_b64 s[6:7], s[6:7]
	v_mov_b32_e32 v2, s10
	s_xor_b64 exec, exec, s[6:7]
	s_cbranch_execnz .LBB1_24548
; %bb.60385:
	s_getpc_b64 s[14:15]
.Lpost_getpc15856:
	s_add_u32 s14, s14, (.LBB1_10210-.Lpost_getpc15856)&4294967295
	s_addc_u32 s15, s15, (.LBB1_10210-.Lpost_getpc15856)>>32
	s_setpc_b64 s[14:15]
.LBB1_24548:
	v_mov_b32_e32 v2, 0
	v_cmp_ne_u16_sdwa s[8:9], v9, v2 src0_sel:BYTE_0 src1_sel:DWORD
	s_andn2_b64 s[4:5], s[4:5], exec
	s_and_b64 s[8:9], s[8:9], exec
	s_or_b64 s[4:5], s[4:5], s[8:9]
	s_or_b64 exec, exec, s[6:7]
	s_and_saveexec_b64 s[6:7], s[4:5]
	s_cbranch_execz .LBB1_33777
; %bb.60387:
	s_getpc_b64 s[14:15]
.Lpost_getpc15857:
	s_add_u32 s14, s14, (.LBB1_10211-.Lpost_getpc15857)&4294967295
	s_addc_u32 s15, s15, (.LBB1_10211-.Lpost_getpc15857)>>32
	s_setpc_b64 s[14:15]
.LBB1_33777:
	s_getpc_b64 s[14:15]
.Lpost_getpc2552:
	s_add_u32 s14, s14, (.LBB1_10212-.Lpost_getpc2552)&4294967295
	s_addc_u32 s15, s15, (.LBB1_10212-.Lpost_getpc2552)>>32
	s_setpc_b64 s[14:15]
.LBB1_24549:
	s_movk_i32 s4, 0x80
	v_cmp_eq_u16_sdwa s[12:13], v5, s4 src0_sel:BYTE_0 src1_sel:DWORD
	s_mov_b64 s[4:5], -1
                                        ; implicit-def: $sgpr10
	s_and_saveexec_b64 s[8:9], s[12:13]
; %bb.24550:
	s_mov_b32 s10, 0x7f800001
	s_xor_b64 s[4:5], exec, -1
; %bb.24551:
	s_or_b64 exec, exec, s[8:9]
	s_and_b64 s[4:5], s[4:5], exec
	s_or_saveexec_b64 s[6:7], s[6:7]
	v_mov_b32_e32 v3, s10
	s_xor_b64 exec, exec, s[6:7]
	s_cbranch_execnz .LBB1_24552
; %bb.60389:
	s_getpc_b64 s[14:15]
.Lpost_getpc15858:
	s_add_u32 s14, s14, (.LBB1_10214-.Lpost_getpc15858)&4294967295
	s_addc_u32 s15, s15, (.LBB1_10214-.Lpost_getpc15858)>>32
	s_setpc_b64 s[14:15]
.LBB1_24552:
	v_mov_b32_e32 v3, 0
	v_cmp_ne_u16_sdwa s[8:9], v5, v3 src0_sel:BYTE_0 src1_sel:DWORD
	s_andn2_b64 s[4:5], s[4:5], exec
	s_and_b64 s[8:9], s[8:9], exec
	s_or_b64 s[4:5], s[4:5], s[8:9]
	s_or_b64 exec, exec, s[6:7]
	s_and_saveexec_b64 s[6:7], s[4:5]
	s_cbranch_execz .LBB1_33779
; %bb.60391:
	s_getpc_b64 s[14:15]
.Lpost_getpc15859:
	s_add_u32 s14, s14, (.LBB1_10215-.Lpost_getpc15859)&4294967295
	s_addc_u32 s15, s15, (.LBB1_10215-.Lpost_getpc15859)>>32
	s_setpc_b64 s[14:15]
.LBB1_33779:
	s_getpc_b64 s[14:15]
.Lpost_getpc2553:
	s_add_u32 s14, s14, (.LBB1_10216-.Lpost_getpc2553)&4294967295
	s_addc_u32 s15, s15, (.LBB1_10216-.Lpost_getpc2553)>>32
	s_setpc_b64 s[14:15]
.LBB1_24553:
	s_movk_i32 s4, 0x80
	v_cmp_eq_u16_sdwa s[12:13], v3, s4 src0_sel:BYTE_0 src1_sel:DWORD
	s_mov_b64 s[4:5], -1
                                        ; implicit-def: $sgpr10
	s_and_saveexec_b64 s[8:9], s[12:13]
; %bb.24554:
	s_mov_b32 s10, 0x7f800001
	s_xor_b64 s[4:5], exec, -1
; %bb.24555:
	s_or_b64 exec, exec, s[8:9]
	s_and_b64 s[4:5], s[4:5], exec
	s_or_saveexec_b64 s[6:7], s[6:7]
	v_mov_b32_e32 v2, s10
	s_xor_b64 exec, exec, s[6:7]
	s_cbranch_execnz .LBB1_24556
; %bb.60393:
	s_getpc_b64 s[14:15]
.Lpost_getpc15860:
	s_add_u32 s14, s14, (.LBB1_10218-.Lpost_getpc15860)&4294967295
	s_addc_u32 s15, s15, (.LBB1_10218-.Lpost_getpc15860)>>32
	s_setpc_b64 s[14:15]
.LBB1_24556:
	v_mov_b32_e32 v2, 0
	v_cmp_ne_u16_sdwa s[8:9], v3, v2 src0_sel:BYTE_0 src1_sel:DWORD
	s_andn2_b64 s[4:5], s[4:5], exec
	s_and_b64 s[8:9], s[8:9], exec
	s_or_b64 s[4:5], s[4:5], s[8:9]
	s_or_b64 exec, exec, s[6:7]
	s_and_saveexec_b64 s[6:7], s[4:5]
	s_cbranch_execz .LBB1_33781
; %bb.60395:
	s_getpc_b64 s[14:15]
.Lpost_getpc15861:
	s_add_u32 s14, s14, (.LBB1_10219-.Lpost_getpc15861)&4294967295
	s_addc_u32 s15, s15, (.LBB1_10219-.Lpost_getpc15861)>>32
	s_setpc_b64 s[14:15]
.LBB1_33781:
	s_getpc_b64 s[14:15]
.Lpost_getpc2554:
	s_add_u32 s14, s14, (.LBB1_10220-.Lpost_getpc2554)&4294967295
	s_addc_u32 s15, s15, (.LBB1_10220-.Lpost_getpc2554)>>32
	s_setpc_b64 s[14:15]
.LBB1_24557:
	s_movk_i32 s4, 0x80
	v_cmp_eq_u16_sdwa s[12:13], v3, s4 src0_sel:BYTE_0 src1_sel:DWORD
	s_mov_b64 s[4:5], -1
                                        ; implicit-def: $sgpr10
	s_and_saveexec_b64 s[8:9], s[12:13]
; %bb.24558:
	s_mov_b32 s10, 0x7f800001
	s_xor_b64 s[4:5], exec, -1
; %bb.24559:
	s_or_b64 exec, exec, s[8:9]
	s_and_b64 s[4:5], s[4:5], exec
	s_or_saveexec_b64 s[6:7], s[6:7]
	v_mov_b32_e32 v4, s10
	s_xor_b64 exec, exec, s[6:7]
	s_cbranch_execnz .LBB1_24560
; %bb.60397:
	s_getpc_b64 s[14:15]
.Lpost_getpc15862:
	s_add_u32 s14, s14, (.LBB1_10222-.Lpost_getpc15862)&4294967295
	s_addc_u32 s15, s15, (.LBB1_10222-.Lpost_getpc15862)>>32
	s_setpc_b64 s[14:15]
.LBB1_24560:
	v_mov_b32_e32 v4, 0
	v_cmp_ne_u16_sdwa s[8:9], v3, v4 src0_sel:BYTE_0 src1_sel:DWORD
	s_andn2_b64 s[4:5], s[4:5], exec
	s_and_b64 s[8:9], s[8:9], exec
	s_or_b64 s[4:5], s[4:5], s[8:9]
	s_or_b64 exec, exec, s[6:7]
	s_and_saveexec_b64 s[6:7], s[4:5]
	s_cbranch_execz .LBB1_33783
; %bb.60399:
	s_getpc_b64 s[14:15]
.Lpost_getpc15863:
	s_add_u32 s14, s14, (.LBB1_10223-.Lpost_getpc15863)&4294967295
	s_addc_u32 s15, s15, (.LBB1_10223-.Lpost_getpc15863)>>32
	s_setpc_b64 s[14:15]
.LBB1_33783:
	s_getpc_b64 s[14:15]
.Lpost_getpc2555:
	s_add_u32 s14, s14, (.LBB1_10224-.Lpost_getpc2555)&4294967295
	s_addc_u32 s15, s15, (.LBB1_10224-.Lpost_getpc2555)>>32
	s_setpc_b64 s[14:15]
.LBB1_24561:
	s_movk_i32 s4, 0x80
	v_cmp_eq_u16_e32 vcc, s4, v3
	s_mov_b64 s[4:5], -1
                                        ; implicit-def: $sgpr10
	s_and_saveexec_b64 s[8:9], vcc
; %bb.24562:
	s_mov_b32 s10, 0x7f800001
	s_xor_b64 s[4:5], exec, -1
; %bb.24563:
	s_or_b64 exec, exec, s[8:9]
	s_and_b64 s[4:5], s[4:5], exec
                                        ; implicit-def: $vgpr3
	s_or_saveexec_b64 s[6:7], s[6:7]
	v_mov_b32_e32 v2, s10
	s_xor_b64 exec, exec, s[6:7]
	s_cbranch_execnz .LBB1_24564
; %bb.60401:
	s_getpc_b64 s[14:15]
.Lpost_getpc15864:
	s_add_u32 s14, s14, (.LBB1_10226-.Lpost_getpc15864)&4294967295
	s_addc_u32 s15, s15, (.LBB1_10226-.Lpost_getpc15864)>>32
	s_setpc_b64 s[14:15]
.LBB1_24564:
	v_cmp_ne_u16_e32 vcc, 0, v3
	s_andn2_b64 s[4:5], s[4:5], exec
	s_and_b64 s[8:9], vcc, exec
	v_mov_b32_e32 v2, 0
	s_or_b64 s[4:5], s[4:5], s[8:9]
	s_or_b64 exec, exec, s[6:7]
	s_and_saveexec_b64 s[6:7], s[4:5]
	s_cbranch_execz .LBB1_33785
; %bb.60403:
	s_getpc_b64 s[14:15]
.Lpost_getpc15865:
	s_add_u32 s14, s14, (.LBB1_10227-.Lpost_getpc15865)&4294967295
	s_addc_u32 s15, s15, (.LBB1_10227-.Lpost_getpc15865)>>32
	s_setpc_b64 s[14:15]
.LBB1_33785:
	s_getpc_b64 s[14:15]
.Lpost_getpc2556:
	s_add_u32 s14, s14, (.LBB1_10228-.Lpost_getpc2556)&4294967295
	s_addc_u32 s15, s15, (.LBB1_10228-.Lpost_getpc2556)>>32
	s_setpc_b64 s[14:15]
.LBB1_24565:
	s_movk_i32 s4, 0x80
	v_cmp_eq_u16_e32 vcc, s4, v3
	s_mov_b64 s[4:5], -1
                                        ; implicit-def: $sgpr10
	s_and_saveexec_b64 s[8:9], vcc
; %bb.24566:
	s_mov_b32 s10, 0x7f800001
	s_xor_b64 s[4:5], exec, -1
; %bb.24567:
	s_or_b64 exec, exec, s[8:9]
	s_and_b64 s[4:5], s[4:5], exec
                                        ; implicit-def: $vgpr3
	s_or_saveexec_b64 s[6:7], s[6:7]
	v_mov_b32_e32 v4, s10
	s_xor_b64 exec, exec, s[6:7]
	s_cbranch_execnz .LBB1_24568
; %bb.60405:
	s_getpc_b64 s[14:15]
.Lpost_getpc15866:
	s_add_u32 s14, s14, (.LBB1_10230-.Lpost_getpc15866)&4294967295
	s_addc_u32 s15, s15, (.LBB1_10230-.Lpost_getpc15866)>>32
	s_setpc_b64 s[14:15]
.LBB1_24568:
	v_cmp_ne_u16_e32 vcc, 0, v3
	s_andn2_b64 s[4:5], s[4:5], exec
	s_and_b64 s[8:9], vcc, exec
	v_mov_b32_e32 v4, 0
	s_or_b64 s[4:5], s[4:5], s[8:9]
	s_or_b64 exec, exec, s[6:7]
	s_and_saveexec_b64 s[6:7], s[4:5]
	s_cbranch_execz .LBB1_33787
; %bb.60407:
	s_getpc_b64 s[14:15]
.Lpost_getpc15867:
	s_add_u32 s14, s14, (.LBB1_10231-.Lpost_getpc15867)&4294967295
	s_addc_u32 s15, s15, (.LBB1_10231-.Lpost_getpc15867)>>32
	s_setpc_b64 s[14:15]
.LBB1_33787:
	s_getpc_b64 s[14:15]
.Lpost_getpc2557:
	s_add_u32 s14, s14, (.LBB1_10232-.Lpost_getpc2557)&4294967295
	s_addc_u32 s15, s15, (.LBB1_10232-.Lpost_getpc2557)>>32
	s_setpc_b64 s[14:15]
.LBB1_24569:
	s_movk_i32 s4, 0x80
	v_cmp_eq_u16_sdwa s[12:13], v9, s4 src0_sel:BYTE_3 src1_sel:DWORD
	s_mov_b64 s[4:5], -1
                                        ; implicit-def: $sgpr10
	s_and_saveexec_b64 s[8:9], s[12:13]
; %bb.24570:
	s_mov_b32 s10, 0x7f800001
	s_xor_b64 s[4:5], exec, -1
; %bb.24571:
	s_or_b64 exec, exec, s[8:9]
	s_and_b64 s[4:5], s[4:5], exec
	s_or_saveexec_b64 s[6:7], s[6:7]
	v_mov_b32_e32 v2, s10
	s_xor_b64 exec, exec, s[6:7]
	s_cbranch_execnz .LBB1_24572
; %bb.60409:
	s_getpc_b64 s[14:15]
.Lpost_getpc15868:
	s_add_u32 s14, s14, (.LBB1_10234-.Lpost_getpc15868)&4294967295
	s_addc_u32 s15, s15, (.LBB1_10234-.Lpost_getpc15868)>>32
	s_setpc_b64 s[14:15]
.LBB1_24572:
	v_mov_b32_e32 v2, 0
	v_cmp_ne_u16_sdwa s[8:9], v9, v2 src0_sel:BYTE_3 src1_sel:DWORD
	s_andn2_b64 s[4:5], s[4:5], exec
	s_and_b64 s[8:9], s[8:9], exec
	s_or_b64 s[4:5], s[4:5], s[8:9]
	s_or_b64 exec, exec, s[6:7]
	s_and_saveexec_b64 s[6:7], s[4:5]
	s_cbranch_execz .LBB1_33789
; %bb.60411:
	s_getpc_b64 s[14:15]
.Lpost_getpc15869:
	s_add_u32 s14, s14, (.LBB1_10235-.Lpost_getpc15869)&4294967295
	s_addc_u32 s15, s15, (.LBB1_10235-.Lpost_getpc15869)>>32
	s_setpc_b64 s[14:15]
.LBB1_33789:
	s_getpc_b64 s[14:15]
.Lpost_getpc2558:
	s_add_u32 s14, s14, (.LBB1_10236-.Lpost_getpc2558)&4294967295
	s_addc_u32 s15, s15, (.LBB1_10236-.Lpost_getpc2558)>>32
	s_setpc_b64 s[14:15]
.LBB1_24573:
	s_movk_i32 s4, 0x80
	v_cmp_eq_u16_sdwa s[12:13], v5, s4 src0_sel:BYTE_3 src1_sel:DWORD
	s_mov_b64 s[4:5], -1
                                        ; implicit-def: $sgpr10
	s_and_saveexec_b64 s[8:9], s[12:13]
; %bb.24574:
	s_mov_b32 s10, 0x7f800001
	s_xor_b64 s[4:5], exec, -1
; %bb.24575:
	s_or_b64 exec, exec, s[8:9]
	s_and_b64 s[4:5], s[4:5], exec
	s_or_saveexec_b64 s[6:7], s[6:7]
	v_mov_b32_e32 v3, s10
	s_xor_b64 exec, exec, s[6:7]
	s_cbranch_execnz .LBB1_24576
; %bb.60413:
	s_getpc_b64 s[14:15]
.Lpost_getpc15870:
	s_add_u32 s14, s14, (.LBB1_10238-.Lpost_getpc15870)&4294967295
	s_addc_u32 s15, s15, (.LBB1_10238-.Lpost_getpc15870)>>32
	s_setpc_b64 s[14:15]
.LBB1_24576:
	v_mov_b32_e32 v3, 0
	v_cmp_ne_u16_sdwa s[8:9], v5, v3 src0_sel:BYTE_3 src1_sel:DWORD
	s_andn2_b64 s[4:5], s[4:5], exec
	s_and_b64 s[8:9], s[8:9], exec
	s_or_b64 s[4:5], s[4:5], s[8:9]
	s_or_b64 exec, exec, s[6:7]
	s_and_saveexec_b64 s[6:7], s[4:5]
	s_cbranch_execz .LBB1_33791
; %bb.60415:
	s_getpc_b64 s[14:15]
.Lpost_getpc15871:
	s_add_u32 s14, s14, (.LBB1_10239-.Lpost_getpc15871)&4294967295
	s_addc_u32 s15, s15, (.LBB1_10239-.Lpost_getpc15871)>>32
	s_setpc_b64 s[14:15]
.LBB1_33791:
	s_getpc_b64 s[14:15]
.Lpost_getpc2559:
	s_add_u32 s14, s14, (.LBB1_10240-.Lpost_getpc2559)&4294967295
	s_addc_u32 s15, s15, (.LBB1_10240-.Lpost_getpc2559)>>32
	s_setpc_b64 s[14:15]
.LBB1_24577:
	s_movk_i32 s4, 0x80
	v_cmp_eq_u16_sdwa s[12:13], v6, s4 src0_sel:BYTE_0 src1_sel:DWORD
	s_mov_b64 s[4:5], -1
                                        ; implicit-def: $sgpr10
	s_and_saveexec_b64 s[8:9], s[12:13]
; %bb.24578:
	s_mov_b32 s10, 0x7f800001
	s_xor_b64 s[4:5], exec, -1
; %bb.24579:
	s_or_b64 exec, exec, s[8:9]
	s_and_b64 s[4:5], s[4:5], exec
	s_or_saveexec_b64 s[6:7], s[6:7]
	v_mov_b32_e32 v12, s10
	s_xor_b64 exec, exec, s[6:7]
	s_cbranch_execnz .LBB1_24580
; %bb.60417:
	s_getpc_b64 s[14:15]
.Lpost_getpc15872:
	s_add_u32 s14, s14, (.LBB1_10242-.Lpost_getpc15872)&4294967295
	s_addc_u32 s15, s15, (.LBB1_10242-.Lpost_getpc15872)>>32
	s_setpc_b64 s[14:15]
.LBB1_24580:
	v_mov_b32_e32 v12, 0
	v_cmp_ne_u16_sdwa s[8:9], v6, v12 src0_sel:BYTE_0 src1_sel:DWORD
	s_andn2_b64 s[4:5], s[4:5], exec
	s_and_b64 s[8:9], s[8:9], exec
	s_or_b64 s[4:5], s[4:5], s[8:9]
	s_or_b64 exec, exec, s[6:7]
	s_and_saveexec_b64 s[6:7], s[4:5]
	s_cbranch_execz .LBB1_33793
; %bb.60419:
	s_getpc_b64 s[14:15]
.Lpost_getpc15873:
	s_add_u32 s14, s14, (.LBB1_10243-.Lpost_getpc15873)&4294967295
	s_addc_u32 s15, s15, (.LBB1_10243-.Lpost_getpc15873)>>32
	s_setpc_b64 s[14:15]
.LBB1_33793:
	s_getpc_b64 s[14:15]
.Lpost_getpc2560:
	s_add_u32 s14, s14, (.LBB1_10244-.Lpost_getpc2560)&4294967295
	s_addc_u32 s15, s15, (.LBB1_10244-.Lpost_getpc2560)>>32
	s_setpc_b64 s[14:15]
.LBB1_24581:
	s_movk_i32 s4, 0x80
	v_cmp_eq_u16_sdwa s[12:13], v2, s4 src0_sel:BYTE_0 src1_sel:DWORD
	s_mov_b64 s[4:5], -1
                                        ; implicit-def: $sgpr10
	s_and_saveexec_b64 s[8:9], s[12:13]
; %bb.24582:
	s_mov_b32 s10, 0x7f800001
	s_xor_b64 s[4:5], exec, -1
; %bb.24583:
	s_or_b64 exec, exec, s[8:9]
	s_and_b64 s[4:5], s[4:5], exec
	s_or_saveexec_b64 s[6:7], s[6:7]
	v_mov_b32_e32 v13, s10
	s_xor_b64 exec, exec, s[6:7]
	s_cbranch_execnz .LBB1_24584
; %bb.60421:
	s_getpc_b64 s[14:15]
.Lpost_getpc15874:
	s_add_u32 s14, s14, (.LBB1_10246-.Lpost_getpc15874)&4294967295
	s_addc_u32 s15, s15, (.LBB1_10246-.Lpost_getpc15874)>>32
	s_setpc_b64 s[14:15]
.LBB1_24584:
	v_mov_b32_e32 v13, 0
	v_cmp_ne_u16_sdwa s[8:9], v2, v13 src0_sel:BYTE_0 src1_sel:DWORD
	s_andn2_b64 s[4:5], s[4:5], exec
	s_and_b64 s[8:9], s[8:9], exec
	s_or_b64 s[4:5], s[4:5], s[8:9]
	s_or_b64 exec, exec, s[6:7]
	s_and_saveexec_b64 s[6:7], s[4:5]
	s_cbranch_execz .LBB1_33795
; %bb.60423:
	s_getpc_b64 s[14:15]
.Lpost_getpc15875:
	s_add_u32 s14, s14, (.LBB1_10247-.Lpost_getpc15875)&4294967295
	s_addc_u32 s15, s15, (.LBB1_10247-.Lpost_getpc15875)>>32
	s_setpc_b64 s[14:15]
.LBB1_33795:
	s_getpc_b64 s[14:15]
.Lpost_getpc2561:
	s_add_u32 s14, s14, (.LBB1_10248-.Lpost_getpc2561)&4294967295
	s_addc_u32 s15, s15, (.LBB1_10248-.Lpost_getpc2561)>>32
	s_setpc_b64 s[14:15]
.LBB1_24585:
	s_movk_i32 s4, 0x80
	v_cmp_eq_u16_sdwa s[12:13], v13, s4 src0_sel:BYTE_0 src1_sel:DWORD
	s_mov_b64 s[4:5], -1
                                        ; implicit-def: $sgpr10
	s_and_saveexec_b64 s[8:9], s[12:13]
; %bb.24586:
	s_mov_b32 s10, 0x7f800001
	s_xor_b64 s[4:5], exec, -1
; %bb.24587:
	s_or_b64 exec, exec, s[8:9]
	s_and_b64 s[4:5], s[4:5], exec
	s_or_saveexec_b64 s[6:7], s[6:7]
	v_mov_b32_e32 v12, s10
	s_xor_b64 exec, exec, s[6:7]
	s_cbranch_execnz .LBB1_24588
; %bb.60425:
	s_getpc_b64 s[14:15]
.Lpost_getpc15876:
	s_add_u32 s14, s14, (.LBB1_10250-.Lpost_getpc15876)&4294967295
	s_addc_u32 s15, s15, (.LBB1_10250-.Lpost_getpc15876)>>32
	s_setpc_b64 s[14:15]
.LBB1_24588:
	v_mov_b32_e32 v12, 0
	v_cmp_ne_u16_sdwa s[8:9], v13, v12 src0_sel:BYTE_0 src1_sel:DWORD
	s_andn2_b64 s[4:5], s[4:5], exec
	s_and_b64 s[8:9], s[8:9], exec
	s_or_b64 s[4:5], s[4:5], s[8:9]
	s_or_b64 exec, exec, s[6:7]
	s_and_saveexec_b64 s[6:7], s[4:5]
	s_cbranch_execz .LBB1_33797
; %bb.60427:
	s_getpc_b64 s[14:15]
.Lpost_getpc15877:
	s_add_u32 s14, s14, (.LBB1_10251-.Lpost_getpc15877)&4294967295
	s_addc_u32 s15, s15, (.LBB1_10251-.Lpost_getpc15877)>>32
	s_setpc_b64 s[14:15]
.LBB1_33797:
	s_getpc_b64 s[14:15]
.Lpost_getpc2562:
	s_add_u32 s14, s14, (.LBB1_10252-.Lpost_getpc2562)&4294967295
	s_addc_u32 s15, s15, (.LBB1_10252-.Lpost_getpc2562)>>32
	s_setpc_b64 s[14:15]
.LBB1_24589:
	s_movk_i32 s4, 0x80
	v_cmp_eq_u16_sdwa s[12:13], v13, s4 src0_sel:BYTE_0 src1_sel:DWORD
	s_mov_b64 s[4:5], -1
                                        ; implicit-def: $sgpr10
	s_and_saveexec_b64 s[8:9], s[12:13]
; %bb.24590:
	s_mov_b32 s10, 0x7f800001
	s_xor_b64 s[4:5], exec, -1
; %bb.24591:
	s_or_b64 exec, exec, s[8:9]
	s_and_b64 s[4:5], s[4:5], exec
	s_or_saveexec_b64 s[6:7], s[6:7]
	v_mov_b32_e32 v14, s10
	s_xor_b64 exec, exec, s[6:7]
	s_cbranch_execnz .LBB1_24592
; %bb.60429:
	s_getpc_b64 s[14:15]
.Lpost_getpc15878:
	s_add_u32 s14, s14, (.LBB1_10254-.Lpost_getpc15878)&4294967295
	s_addc_u32 s15, s15, (.LBB1_10254-.Lpost_getpc15878)>>32
	s_setpc_b64 s[14:15]
.LBB1_24592:
	v_mov_b32_e32 v14, 0
	v_cmp_ne_u16_sdwa s[8:9], v13, v14 src0_sel:BYTE_0 src1_sel:DWORD
	s_andn2_b64 s[4:5], s[4:5], exec
	s_and_b64 s[8:9], s[8:9], exec
	s_or_b64 s[4:5], s[4:5], s[8:9]
	s_or_b64 exec, exec, s[6:7]
	s_and_saveexec_b64 s[6:7], s[4:5]
	s_cbranch_execz .LBB1_33799
; %bb.60431:
	s_getpc_b64 s[14:15]
.Lpost_getpc15879:
	s_add_u32 s14, s14, (.LBB1_10255-.Lpost_getpc15879)&4294967295
	s_addc_u32 s15, s15, (.LBB1_10255-.Lpost_getpc15879)>>32
	s_setpc_b64 s[14:15]
.LBB1_33799:
	s_getpc_b64 s[14:15]
.Lpost_getpc2563:
	s_add_u32 s14, s14, (.LBB1_10256-.Lpost_getpc2563)&4294967295
	s_addc_u32 s15, s15, (.LBB1_10256-.Lpost_getpc2563)>>32
	s_setpc_b64 s[14:15]
.LBB1_24593:
	s_movk_i32 s4, 0x80
	v_cmp_eq_u16_e32 vcc, s4, v13
	s_mov_b64 s[4:5], -1
                                        ; implicit-def: $sgpr10
	s_and_saveexec_b64 s[8:9], vcc
; %bb.24594:
	s_mov_b32 s10, 0x7f800001
	s_xor_b64 s[4:5], exec, -1
; %bb.24595:
	s_or_b64 exec, exec, s[8:9]
	s_and_b64 s[4:5], s[4:5], exec
                                        ; implicit-def: $vgpr13
	s_or_saveexec_b64 s[6:7], s[6:7]
	v_mov_b32_e32 v12, s10
	s_xor_b64 exec, exec, s[6:7]
	s_cbranch_execnz .LBB1_24596
; %bb.60433:
	s_getpc_b64 s[14:15]
.Lpost_getpc15880:
	s_add_u32 s14, s14, (.LBB1_10258-.Lpost_getpc15880)&4294967295
	s_addc_u32 s15, s15, (.LBB1_10258-.Lpost_getpc15880)>>32
	s_setpc_b64 s[14:15]
.LBB1_24596:
	v_cmp_ne_u16_e32 vcc, 0, v13
	s_andn2_b64 s[4:5], s[4:5], exec
	s_and_b64 s[8:9], vcc, exec
	v_mov_b32_e32 v12, 0
	s_or_b64 s[4:5], s[4:5], s[8:9]
	s_or_b64 exec, exec, s[6:7]
	s_and_saveexec_b64 s[6:7], s[4:5]
	s_cbranch_execz .LBB1_33801
; %bb.60435:
	s_getpc_b64 s[14:15]
.Lpost_getpc15881:
	s_add_u32 s14, s14, (.LBB1_10259-.Lpost_getpc15881)&4294967295
	s_addc_u32 s15, s15, (.LBB1_10259-.Lpost_getpc15881)>>32
	s_setpc_b64 s[14:15]
.LBB1_33801:
	s_getpc_b64 s[14:15]
.Lpost_getpc2564:
	s_add_u32 s14, s14, (.LBB1_10260-.Lpost_getpc2564)&4294967295
	s_addc_u32 s15, s15, (.LBB1_10260-.Lpost_getpc2564)>>32
	s_setpc_b64 s[14:15]
.LBB1_24597:
	s_movk_i32 s4, 0x80
	v_cmp_eq_u16_e32 vcc, s4, v13
	s_mov_b64 s[4:5], -1
                                        ; implicit-def: $sgpr10
	s_and_saveexec_b64 s[8:9], vcc
; %bb.24598:
	s_mov_b32 s10, 0x7f800001
	s_xor_b64 s[4:5], exec, -1
; %bb.24599:
	s_or_b64 exec, exec, s[8:9]
	s_and_b64 s[4:5], s[4:5], exec
                                        ; implicit-def: $vgpr13
	s_or_saveexec_b64 s[6:7], s[6:7]
	v_mov_b32_e32 v14, s10
	s_xor_b64 exec, exec, s[6:7]
	s_cbranch_execnz .LBB1_24600
; %bb.60437:
	s_getpc_b64 s[14:15]
.Lpost_getpc15882:
	s_add_u32 s14, s14, (.LBB1_10262-.Lpost_getpc15882)&4294967295
	s_addc_u32 s15, s15, (.LBB1_10262-.Lpost_getpc15882)>>32
	s_setpc_b64 s[14:15]
.LBB1_24600:
	v_cmp_ne_u16_e32 vcc, 0, v13
	s_andn2_b64 s[4:5], s[4:5], exec
	s_and_b64 s[8:9], vcc, exec
	v_mov_b32_e32 v14, 0
	s_or_b64 s[4:5], s[4:5], s[8:9]
	s_or_b64 exec, exec, s[6:7]
	s_and_saveexec_b64 s[6:7], s[4:5]
	s_cbranch_execz .LBB1_33803
; %bb.60439:
	s_getpc_b64 s[14:15]
.Lpost_getpc15883:
	s_add_u32 s14, s14, (.LBB1_10263-.Lpost_getpc15883)&4294967295
	s_addc_u32 s15, s15, (.LBB1_10263-.Lpost_getpc15883)>>32
	s_setpc_b64 s[14:15]
.LBB1_33803:
	s_getpc_b64 s[14:15]
.Lpost_getpc2565:
	s_add_u32 s14, s14, (.LBB1_10264-.Lpost_getpc2565)&4294967295
	s_addc_u32 s15, s15, (.LBB1_10264-.Lpost_getpc2565)>>32
	s_setpc_b64 s[14:15]
.LBB1_24601:
	s_movk_i32 s4, 0x80
	v_cmp_eq_u16_sdwa s[12:13], v6, s4 src0_sel:BYTE_3 src1_sel:DWORD
	s_mov_b64 s[4:5], -1
                                        ; implicit-def: $sgpr10
	s_and_saveexec_b64 s[8:9], s[12:13]
; %bb.24602:
	s_mov_b32 s10, 0x7f800001
	s_xor_b64 s[4:5], exec, -1
; %bb.24603:
	s_or_b64 exec, exec, s[8:9]
	s_and_b64 s[4:5], s[4:5], exec
	s_or_saveexec_b64 s[6:7], s[6:7]
	v_mov_b32_e32 v12, s10
	s_xor_b64 exec, exec, s[6:7]
	s_cbranch_execnz .LBB1_24604
; %bb.60441:
	s_getpc_b64 s[14:15]
.Lpost_getpc15884:
	s_add_u32 s14, s14, (.LBB1_10266-.Lpost_getpc15884)&4294967295
	s_addc_u32 s15, s15, (.LBB1_10266-.Lpost_getpc15884)>>32
	s_setpc_b64 s[14:15]
.LBB1_24604:
	v_mov_b32_e32 v12, 0
	v_cmp_ne_u16_sdwa s[8:9], v6, v12 src0_sel:BYTE_3 src1_sel:DWORD
	s_andn2_b64 s[4:5], s[4:5], exec
	s_and_b64 s[8:9], s[8:9], exec
	s_or_b64 s[4:5], s[4:5], s[8:9]
	s_or_b64 exec, exec, s[6:7]
	s_and_saveexec_b64 s[6:7], s[4:5]
	s_cbranch_execz .LBB1_33805
; %bb.60443:
	s_getpc_b64 s[14:15]
.Lpost_getpc15885:
	s_add_u32 s14, s14, (.LBB1_10267-.Lpost_getpc15885)&4294967295
	s_addc_u32 s15, s15, (.LBB1_10267-.Lpost_getpc15885)>>32
	s_setpc_b64 s[14:15]
.LBB1_33805:
	s_getpc_b64 s[14:15]
.Lpost_getpc2566:
	s_add_u32 s14, s14, (.LBB1_10268-.Lpost_getpc2566)&4294967295
	s_addc_u32 s15, s15, (.LBB1_10268-.Lpost_getpc2566)>>32
	s_setpc_b64 s[14:15]
.LBB1_24605:
	s_movk_i32 s4, 0x80
	v_cmp_eq_u16_sdwa s[12:13], v2, s4 src0_sel:BYTE_3 src1_sel:DWORD
	s_mov_b64 s[4:5], -1
                                        ; implicit-def: $sgpr10
	s_and_saveexec_b64 s[8:9], s[12:13]
; %bb.24606:
	s_mov_b32 s10, 0x7f800001
	s_xor_b64 s[4:5], exec, -1
; %bb.24607:
	s_or_b64 exec, exec, s[8:9]
	s_and_b64 s[4:5], s[4:5], exec
	s_or_saveexec_b64 s[6:7], s[6:7]
	v_mov_b32_e32 v6, s10
	s_xor_b64 exec, exec, s[6:7]
	s_cbranch_execnz .LBB1_24608
; %bb.60445:
	s_getpc_b64 s[14:15]
.Lpost_getpc15886:
	s_add_u32 s14, s14, (.LBB1_10270-.Lpost_getpc15886)&4294967295
	s_addc_u32 s15, s15, (.LBB1_10270-.Lpost_getpc15886)>>32
	s_setpc_b64 s[14:15]
.LBB1_24608:
	v_mov_b32_e32 v6, 0
	v_cmp_ne_u16_sdwa s[8:9], v2, v6 src0_sel:BYTE_3 src1_sel:DWORD
	s_andn2_b64 s[4:5], s[4:5], exec
	s_and_b64 s[8:9], s[8:9], exec
	s_or_b64 s[4:5], s[4:5], s[8:9]
	s_or_b64 exec, exec, s[6:7]
	s_and_saveexec_b64 s[6:7], s[4:5]
	s_cbranch_execz .LBB1_33807
; %bb.60447:
	s_getpc_b64 s[14:15]
.Lpost_getpc15887:
	s_add_u32 s14, s14, (.LBB1_10271-.Lpost_getpc15887)&4294967295
	s_addc_u32 s15, s15, (.LBB1_10271-.Lpost_getpc15887)>>32
	s_setpc_b64 s[14:15]
.LBB1_33807:
	s_getpc_b64 s[14:15]
.Lpost_getpc2567:
	s_add_u32 s14, s14, (.LBB1_10272-.Lpost_getpc2567)&4294967295
	s_addc_u32 s15, s15, (.LBB1_10272-.Lpost_getpc2567)>>32
	s_setpc_b64 s[14:15]
.LBB1_24609:
	s_movk_i32 s4, 0x80
	v_cmp_eq_u16_sdwa s[12:13], v7, s4 src0_sel:BYTE_0 src1_sel:DWORD
	s_mov_b64 s[4:5], -1
                                        ; implicit-def: $sgpr10
	s_and_saveexec_b64 s[8:9], s[12:13]
; %bb.24610:
	s_mov_b32 s10, 0x7f800001
	s_xor_b64 s[4:5], exec, -1
; %bb.24611:
	s_or_b64 exec, exec, s[8:9]
	s_and_b64 s[4:5], s[4:5], exec
	s_or_saveexec_b64 s[6:7], s[6:7]
	v_mov_b32_e32 v2, s10
	s_xor_b64 exec, exec, s[6:7]
	s_cbranch_execnz .LBB1_24612
; %bb.60449:
	s_getpc_b64 s[14:15]
.Lpost_getpc15888:
	s_add_u32 s14, s14, (.LBB1_10274-.Lpost_getpc15888)&4294967295
	s_addc_u32 s15, s15, (.LBB1_10274-.Lpost_getpc15888)>>32
	s_setpc_b64 s[14:15]
.LBB1_24612:
	v_mov_b32_e32 v2, 0
	v_cmp_ne_u16_sdwa s[8:9], v7, v2 src0_sel:BYTE_0 src1_sel:DWORD
	s_andn2_b64 s[4:5], s[4:5], exec
	s_and_b64 s[8:9], s[8:9], exec
	s_or_b64 s[4:5], s[4:5], s[8:9]
	s_or_b64 exec, exec, s[6:7]
	s_and_saveexec_b64 s[6:7], s[4:5]
	s_cbranch_execz .LBB1_33809
; %bb.60451:
	s_getpc_b64 s[14:15]
.Lpost_getpc15889:
	s_add_u32 s14, s14, (.LBB1_10275-.Lpost_getpc15889)&4294967295
	s_addc_u32 s15, s15, (.LBB1_10275-.Lpost_getpc15889)>>32
	s_setpc_b64 s[14:15]
.LBB1_33809:
	s_getpc_b64 s[14:15]
.Lpost_getpc2568:
	s_add_u32 s14, s14, (.LBB1_10276-.Lpost_getpc2568)&4294967295
	s_addc_u32 s15, s15, (.LBB1_10276-.Lpost_getpc2568)>>32
	s_setpc_b64 s[14:15]
.LBB1_24613:
	s_movk_i32 s4, 0x80
	v_cmp_eq_u16_sdwa s[12:13], v3, s4 src0_sel:BYTE_0 src1_sel:DWORD
	s_mov_b64 s[4:5], -1
                                        ; implicit-def: $sgpr10
	s_and_saveexec_b64 s[8:9], s[12:13]
; %bb.24614:
	s_mov_b32 s10, 0x7f800001
	s_xor_b64 s[4:5], exec, -1
; %bb.24615:
	s_or_b64 exec, exec, s[8:9]
	s_and_b64 s[4:5], s[4:5], exec
	s_or_saveexec_b64 s[6:7], s[6:7]
	v_mov_b32_e32 v6, s10
	s_xor_b64 exec, exec, s[6:7]
	s_cbranch_execnz .LBB1_24616
; %bb.60453:
	s_getpc_b64 s[14:15]
.Lpost_getpc15890:
	s_add_u32 s14, s14, (.LBB1_10278-.Lpost_getpc15890)&4294967295
	s_addc_u32 s15, s15, (.LBB1_10278-.Lpost_getpc15890)>>32
	s_setpc_b64 s[14:15]
.LBB1_24616:
	v_mov_b32_e32 v6, 0
	v_cmp_ne_u16_sdwa s[8:9], v3, v6 src0_sel:BYTE_0 src1_sel:DWORD
	s_andn2_b64 s[4:5], s[4:5], exec
	s_and_b64 s[8:9], s[8:9], exec
	s_or_b64 s[4:5], s[4:5], s[8:9]
	s_or_b64 exec, exec, s[6:7]
	s_and_saveexec_b64 s[6:7], s[4:5]
	s_cbranch_execz .LBB1_33811
; %bb.60455:
	s_getpc_b64 s[14:15]
.Lpost_getpc15891:
	s_add_u32 s14, s14, (.LBB1_10279-.Lpost_getpc15891)&4294967295
	s_addc_u32 s15, s15, (.LBB1_10279-.Lpost_getpc15891)>>32
	s_setpc_b64 s[14:15]
.LBB1_33811:
	s_getpc_b64 s[14:15]
.Lpost_getpc2569:
	s_add_u32 s14, s14, (.LBB1_10280-.Lpost_getpc2569)&4294967295
	s_addc_u32 s15, s15, (.LBB1_10280-.Lpost_getpc2569)>>32
	s_setpc_b64 s[14:15]
.LBB1_24617:
	s_movk_i32 s4, 0x80
	v_cmp_eq_u16_sdwa s[12:13], v6, s4 src0_sel:BYTE_0 src1_sel:DWORD
	s_mov_b64 s[4:5], -1
                                        ; implicit-def: $sgpr10
	s_and_saveexec_b64 s[8:9], s[12:13]
; %bb.24618:
	s_mov_b32 s10, 0x7f800001
	s_xor_b64 s[4:5], exec, -1
; %bb.24619:
	s_or_b64 exec, exec, s[8:9]
	s_and_b64 s[4:5], s[4:5], exec
	s_or_saveexec_b64 s[6:7], s[6:7]
	v_mov_b32_e32 v2, s10
	s_xor_b64 exec, exec, s[6:7]
	s_cbranch_execnz .LBB1_24620
; %bb.60457:
	s_getpc_b64 s[14:15]
.Lpost_getpc15892:
	s_add_u32 s14, s14, (.LBB1_10282-.Lpost_getpc15892)&4294967295
	s_addc_u32 s15, s15, (.LBB1_10282-.Lpost_getpc15892)>>32
	s_setpc_b64 s[14:15]
.LBB1_24620:
	v_mov_b32_e32 v2, 0
	v_cmp_ne_u16_sdwa s[8:9], v6, v2 src0_sel:BYTE_0 src1_sel:DWORD
	s_andn2_b64 s[4:5], s[4:5], exec
	s_and_b64 s[8:9], s[8:9], exec
	s_or_b64 s[4:5], s[4:5], s[8:9]
	s_or_b64 exec, exec, s[6:7]
	s_and_saveexec_b64 s[6:7], s[4:5]
	s_cbranch_execz .LBB1_33813
; %bb.60459:
	s_getpc_b64 s[14:15]
.Lpost_getpc15893:
	s_add_u32 s14, s14, (.LBB1_10283-.Lpost_getpc15893)&4294967295
	s_addc_u32 s15, s15, (.LBB1_10283-.Lpost_getpc15893)>>32
	s_setpc_b64 s[14:15]
.LBB1_33813:
	s_getpc_b64 s[14:15]
.Lpost_getpc2570:
	s_add_u32 s14, s14, (.LBB1_10284-.Lpost_getpc2570)&4294967295
	s_addc_u32 s15, s15, (.LBB1_10284-.Lpost_getpc2570)>>32
	s_setpc_b64 s[14:15]
.LBB1_24621:
	s_movk_i32 s4, 0x80
	v_cmp_eq_u16_sdwa s[12:13], v6, s4 src0_sel:BYTE_0 src1_sel:DWORD
	s_mov_b64 s[4:5], -1
                                        ; implicit-def: $sgpr10
	s_and_saveexec_b64 s[8:9], s[12:13]
; %bb.24622:
	s_mov_b32 s10, 0x7f800001
	s_xor_b64 s[4:5], exec, -1
; %bb.24623:
	s_or_b64 exec, exec, s[8:9]
	s_and_b64 s[4:5], s[4:5], exec
	s_or_saveexec_b64 s[6:7], s[6:7]
	v_mov_b32_e32 v12, s10
	s_xor_b64 exec, exec, s[6:7]
	s_cbranch_execnz .LBB1_24624
; %bb.60461:
	s_getpc_b64 s[14:15]
.Lpost_getpc15894:
	s_add_u32 s14, s14, (.LBB1_10286-.Lpost_getpc15894)&4294967295
	s_addc_u32 s15, s15, (.LBB1_10286-.Lpost_getpc15894)>>32
	s_setpc_b64 s[14:15]
.LBB1_24624:
	v_mov_b32_e32 v12, 0
	v_cmp_ne_u16_sdwa s[8:9], v6, v12 src0_sel:BYTE_0 src1_sel:DWORD
	s_andn2_b64 s[4:5], s[4:5], exec
	s_and_b64 s[8:9], s[8:9], exec
	s_or_b64 s[4:5], s[4:5], s[8:9]
	s_or_b64 exec, exec, s[6:7]
	s_and_saveexec_b64 s[6:7], s[4:5]
	s_cbranch_execz .LBB1_33815
; %bb.60463:
	s_getpc_b64 s[14:15]
.Lpost_getpc15895:
	s_add_u32 s14, s14, (.LBB1_10287-.Lpost_getpc15895)&4294967295
	s_addc_u32 s15, s15, (.LBB1_10287-.Lpost_getpc15895)>>32
	s_setpc_b64 s[14:15]
.LBB1_33815:
	s_getpc_b64 s[14:15]
.Lpost_getpc2571:
	s_add_u32 s14, s14, (.LBB1_10288-.Lpost_getpc2571)&4294967295
	s_addc_u32 s15, s15, (.LBB1_10288-.Lpost_getpc2571)>>32
	s_setpc_b64 s[14:15]
.LBB1_24625:
	s_movk_i32 s4, 0x80
	v_cmp_eq_u16_e32 vcc, s4, v6
	s_mov_b64 s[4:5], -1
                                        ; implicit-def: $sgpr10
	s_and_saveexec_b64 s[8:9], vcc
; %bb.24626:
	s_mov_b32 s10, 0x7f800001
	s_xor_b64 s[4:5], exec, -1
; %bb.24627:
	s_or_b64 exec, exec, s[8:9]
	s_and_b64 s[4:5], s[4:5], exec
                                        ; implicit-def: $vgpr6
	s_or_saveexec_b64 s[6:7], s[6:7]
	v_mov_b32_e32 v2, s10
	s_xor_b64 exec, exec, s[6:7]
	s_cbranch_execnz .LBB1_24628
; %bb.60465:
	s_getpc_b64 s[14:15]
.Lpost_getpc15896:
	s_add_u32 s14, s14, (.LBB1_10290-.Lpost_getpc15896)&4294967295
	s_addc_u32 s15, s15, (.LBB1_10290-.Lpost_getpc15896)>>32
	s_setpc_b64 s[14:15]
.LBB1_24628:
	v_cmp_ne_u16_e32 vcc, 0, v6
	s_andn2_b64 s[4:5], s[4:5], exec
	s_and_b64 s[8:9], vcc, exec
	v_mov_b32_e32 v2, 0
	s_or_b64 s[4:5], s[4:5], s[8:9]
	s_or_b64 exec, exec, s[6:7]
	s_and_saveexec_b64 s[6:7], s[4:5]
	s_cbranch_execz .LBB1_33817
; %bb.60467:
	s_getpc_b64 s[14:15]
.Lpost_getpc15897:
	s_add_u32 s14, s14, (.LBB1_10291-.Lpost_getpc15897)&4294967295
	s_addc_u32 s15, s15, (.LBB1_10291-.Lpost_getpc15897)>>32
	s_setpc_b64 s[14:15]
.LBB1_33817:
	s_getpc_b64 s[14:15]
.Lpost_getpc2572:
	s_add_u32 s14, s14, (.LBB1_10292-.Lpost_getpc2572)&4294967295
	s_addc_u32 s15, s15, (.LBB1_10292-.Lpost_getpc2572)>>32
	s_setpc_b64 s[14:15]
.LBB1_24629:
	s_movk_i32 s4, 0x80
	v_cmp_eq_u16_e32 vcc, s4, v6
	s_mov_b64 s[4:5], -1
                                        ; implicit-def: $sgpr10
	s_and_saveexec_b64 s[8:9], vcc
; %bb.24630:
	s_mov_b32 s10, 0x7f800001
	s_xor_b64 s[4:5], exec, -1
; %bb.24631:
	s_or_b64 exec, exec, s[8:9]
	s_and_b64 s[4:5], s[4:5], exec
                                        ; implicit-def: $vgpr6
	s_or_saveexec_b64 s[6:7], s[6:7]
	v_mov_b32_e32 v12, s10
	s_xor_b64 exec, exec, s[6:7]
	s_cbranch_execnz .LBB1_24632
; %bb.60469:
	s_getpc_b64 s[14:15]
.Lpost_getpc15898:
	s_add_u32 s14, s14, (.LBB1_10294-.Lpost_getpc15898)&4294967295
	s_addc_u32 s15, s15, (.LBB1_10294-.Lpost_getpc15898)>>32
	s_setpc_b64 s[14:15]
.LBB1_24632:
	v_cmp_ne_u16_e32 vcc, 0, v6
	s_andn2_b64 s[4:5], s[4:5], exec
	s_and_b64 s[8:9], vcc, exec
	v_mov_b32_e32 v12, 0
	s_or_b64 s[4:5], s[4:5], s[8:9]
	s_or_b64 exec, exec, s[6:7]
	s_and_saveexec_b64 s[6:7], s[4:5]
	s_cbranch_execz .LBB1_33819
; %bb.60471:
	s_getpc_b64 s[14:15]
.Lpost_getpc15899:
	s_add_u32 s14, s14, (.LBB1_10295-.Lpost_getpc15899)&4294967295
	s_addc_u32 s15, s15, (.LBB1_10295-.Lpost_getpc15899)>>32
	s_setpc_b64 s[14:15]
.LBB1_33819:
	s_getpc_b64 s[14:15]
.Lpost_getpc2573:
	s_add_u32 s14, s14, (.LBB1_10296-.Lpost_getpc2573)&4294967295
	s_addc_u32 s15, s15, (.LBB1_10296-.Lpost_getpc2573)>>32
	s_setpc_b64 s[14:15]
.LBB1_24633:
	s_movk_i32 s4, 0x80
	v_cmp_eq_u16_sdwa s[12:13], v7, s4 src0_sel:BYTE_3 src1_sel:DWORD
	s_mov_b64 s[4:5], -1
                                        ; implicit-def: $sgpr10
	s_and_saveexec_b64 s[8:9], s[12:13]
; %bb.24634:
	s_mov_b32 s10, 0x7f800001
	s_xor_b64 s[4:5], exec, -1
; %bb.24635:
	s_or_b64 exec, exec, s[8:9]
	s_and_b64 s[4:5], s[4:5], exec
	s_or_saveexec_b64 s[6:7], s[6:7]
	v_mov_b32_e32 v2, s10
	s_xor_b64 exec, exec, s[6:7]
	s_cbranch_execnz .LBB1_24636
; %bb.60473:
	s_getpc_b64 s[14:15]
.Lpost_getpc15900:
	s_add_u32 s14, s14, (.LBB1_10298-.Lpost_getpc15900)&4294967295
	s_addc_u32 s15, s15, (.LBB1_10298-.Lpost_getpc15900)>>32
	s_setpc_b64 s[14:15]
.LBB1_24636:
	v_mov_b32_e32 v2, 0
	v_cmp_ne_u16_sdwa s[8:9], v7, v2 src0_sel:BYTE_3 src1_sel:DWORD
	s_andn2_b64 s[4:5], s[4:5], exec
	s_and_b64 s[8:9], s[8:9], exec
	s_or_b64 s[4:5], s[4:5], s[8:9]
	s_or_b64 exec, exec, s[6:7]
	s_and_saveexec_b64 s[6:7], s[4:5]
	s_cbranch_execz .LBB1_33821
; %bb.60475:
	s_getpc_b64 s[14:15]
.Lpost_getpc15901:
	s_add_u32 s14, s14, (.LBB1_10299-.Lpost_getpc15901)&4294967295
	s_addc_u32 s15, s15, (.LBB1_10299-.Lpost_getpc15901)>>32
	s_setpc_b64 s[14:15]
.LBB1_33821:
	s_getpc_b64 s[14:15]
.Lpost_getpc2574:
	s_add_u32 s14, s14, (.LBB1_10300-.Lpost_getpc2574)&4294967295
	s_addc_u32 s15, s15, (.LBB1_10300-.Lpost_getpc2574)>>32
	s_setpc_b64 s[14:15]
.LBB1_24637:
	s_movk_i32 s4, 0x80
	v_cmp_eq_u16_sdwa s[12:13], v3, s4 src0_sel:BYTE_3 src1_sel:DWORD
	s_mov_b64 s[4:5], -1
                                        ; implicit-def: $sgpr10
	s_and_saveexec_b64 s[8:9], s[12:13]
; %bb.24638:
	s_mov_b32 s10, 0x7f800001
	s_xor_b64 s[4:5], exec, -1
; %bb.24639:
	s_or_b64 exec, exec, s[8:9]
	s_and_b64 s[4:5], s[4:5], exec
	s_or_saveexec_b64 s[6:7], s[6:7]
	v_mov_b32_e32 v6, s10
	s_xor_b64 exec, exec, s[6:7]
	s_cbranch_execnz .LBB1_24640
; %bb.60477:
	s_getpc_b64 s[14:15]
.Lpost_getpc15902:
	s_add_u32 s14, s14, (.LBB1_10302-.Lpost_getpc15902)&4294967295
	s_addc_u32 s15, s15, (.LBB1_10302-.Lpost_getpc15902)>>32
	s_setpc_b64 s[14:15]
.LBB1_24640:
	v_mov_b32_e32 v6, 0
	v_cmp_ne_u16_sdwa s[8:9], v3, v6 src0_sel:BYTE_3 src1_sel:DWORD
	s_andn2_b64 s[4:5], s[4:5], exec
	s_and_b64 s[8:9], s[8:9], exec
	s_or_b64 s[4:5], s[4:5], s[8:9]
	s_or_b64 exec, exec, s[6:7]
	s_and_saveexec_b64 s[6:7], s[4:5]
	s_cbranch_execz .LBB1_33823
; %bb.60479:
	s_getpc_b64 s[14:15]
.Lpost_getpc15903:
	s_add_u32 s14, s14, (.LBB1_10303-.Lpost_getpc15903)&4294967295
	s_addc_u32 s15, s15, (.LBB1_10303-.Lpost_getpc15903)>>32
	s_setpc_b64 s[14:15]
.LBB1_33823:
	s_getpc_b64 s[14:15]
.Lpost_getpc2575:
	s_add_u32 s14, s14, (.LBB1_10304-.Lpost_getpc2575)&4294967295
	s_addc_u32 s15, s15, (.LBB1_10304-.Lpost_getpc2575)>>32
	s_setpc_b64 s[14:15]
.LBB1_24641:
	s_movk_i32 s4, 0x80
	v_cmp_eq_u16_sdwa s[12:13], v8, s4 src0_sel:BYTE_0 src1_sel:DWORD
	s_mov_b64 s[4:5], -1
                                        ; implicit-def: $sgpr10
	s_and_saveexec_b64 s[8:9], s[12:13]
; %bb.24642:
	s_mov_b32 s10, 0x7f800001
	s_xor_b64 s[4:5], exec, -1
; %bb.24643:
	s_or_b64 exec, exec, s[8:9]
	s_and_b64 s[4:5], s[4:5], exec
	s_or_saveexec_b64 s[6:7], s[6:7]
	v_mov_b32_e32 v2, s10
	s_xor_b64 exec, exec, s[6:7]
	s_cbranch_execnz .LBB1_24644
; %bb.60481:
	s_getpc_b64 s[14:15]
.Lpost_getpc15904:
	s_add_u32 s14, s14, (.LBB1_10306-.Lpost_getpc15904)&4294967295
	s_addc_u32 s15, s15, (.LBB1_10306-.Lpost_getpc15904)>>32
	s_setpc_b64 s[14:15]
.LBB1_24644:
	v_mov_b32_e32 v2, 0
	v_cmp_ne_u16_sdwa s[8:9], v8, v2 src0_sel:BYTE_0 src1_sel:DWORD
	s_andn2_b64 s[4:5], s[4:5], exec
	s_and_b64 s[8:9], s[8:9], exec
	s_or_b64 s[4:5], s[4:5], s[8:9]
	s_or_b64 exec, exec, s[6:7]
	s_and_saveexec_b64 s[6:7], s[4:5]
	s_cbranch_execz .LBB1_33825
; %bb.60483:
	s_getpc_b64 s[14:15]
.Lpost_getpc15905:
	s_add_u32 s14, s14, (.LBB1_10307-.Lpost_getpc15905)&4294967295
	s_addc_u32 s15, s15, (.LBB1_10307-.Lpost_getpc15905)>>32
	s_setpc_b64 s[14:15]
.LBB1_33825:
	s_getpc_b64 s[14:15]
.Lpost_getpc2576:
	s_add_u32 s14, s14, (.LBB1_10308-.Lpost_getpc2576)&4294967295
	s_addc_u32 s15, s15, (.LBB1_10308-.Lpost_getpc2576)>>32
	s_setpc_b64 s[14:15]
.LBB1_24645:
	s_movk_i32 s4, 0x80
	v_cmp_eq_u16_sdwa s[12:13], v4, s4 src0_sel:BYTE_0 src1_sel:DWORD
	s_mov_b64 s[4:5], -1
                                        ; implicit-def: $sgpr10
	s_and_saveexec_b64 s[8:9], s[12:13]
; %bb.24646:
	s_mov_b32 s10, 0x7f800001
	s_xor_b64 s[4:5], exec, -1
; %bb.24647:
	s_or_b64 exec, exec, s[8:9]
	s_and_b64 s[4:5], s[4:5], exec
	s_or_saveexec_b64 s[6:7], s[6:7]
	v_mov_b32_e32 v3, s10
	s_xor_b64 exec, exec, s[6:7]
	s_cbranch_execnz .LBB1_24648
; %bb.60485:
	s_getpc_b64 s[14:15]
.Lpost_getpc15906:
	s_add_u32 s14, s14, (.LBB1_10310-.Lpost_getpc15906)&4294967295
	s_addc_u32 s15, s15, (.LBB1_10310-.Lpost_getpc15906)>>32
	s_setpc_b64 s[14:15]
.LBB1_24648:
	v_mov_b32_e32 v3, 0
	v_cmp_ne_u16_sdwa s[8:9], v4, v3 src0_sel:BYTE_0 src1_sel:DWORD
	s_andn2_b64 s[4:5], s[4:5], exec
	s_and_b64 s[8:9], s[8:9], exec
	s_or_b64 s[4:5], s[4:5], s[8:9]
	s_or_b64 exec, exec, s[6:7]
	s_and_saveexec_b64 s[6:7], s[4:5]
	s_cbranch_execz .LBB1_33827
; %bb.60487:
	s_getpc_b64 s[14:15]
.Lpost_getpc15907:
	s_add_u32 s14, s14, (.LBB1_10311-.Lpost_getpc15907)&4294967295
	s_addc_u32 s15, s15, (.LBB1_10311-.Lpost_getpc15907)>>32
	s_setpc_b64 s[14:15]
.LBB1_33827:
	s_getpc_b64 s[14:15]
.Lpost_getpc2577:
	s_add_u32 s14, s14, (.LBB1_10312-.Lpost_getpc2577)&4294967295
	s_addc_u32 s15, s15, (.LBB1_10312-.Lpost_getpc2577)>>32
	s_setpc_b64 s[14:15]
.LBB1_24649:
	s_movk_i32 s4, 0x80
	v_cmp_eq_u16_sdwa s[12:13], v3, s4 src0_sel:BYTE_0 src1_sel:DWORD
	s_mov_b64 s[4:5], -1
                                        ; implicit-def: $sgpr10
	s_and_saveexec_b64 s[8:9], s[12:13]
; %bb.24650:
	s_mov_b32 s10, 0x7f800001
	s_xor_b64 s[4:5], exec, -1
; %bb.24651:
	s_or_b64 exec, exec, s[8:9]
	s_and_b64 s[4:5], s[4:5], exec
	s_or_saveexec_b64 s[6:7], s[6:7]
	v_mov_b32_e32 v2, s10
	s_xor_b64 exec, exec, s[6:7]
	s_cbranch_execnz .LBB1_24652
; %bb.60489:
	s_getpc_b64 s[14:15]
.Lpost_getpc15908:
	s_add_u32 s14, s14, (.LBB1_10314-.Lpost_getpc15908)&4294967295
	s_addc_u32 s15, s15, (.LBB1_10314-.Lpost_getpc15908)>>32
	s_setpc_b64 s[14:15]
.LBB1_24652:
	v_mov_b32_e32 v2, 0
	v_cmp_ne_u16_sdwa s[8:9], v3, v2 src0_sel:BYTE_0 src1_sel:DWORD
	s_andn2_b64 s[4:5], s[4:5], exec
	s_and_b64 s[8:9], s[8:9], exec
	s_or_b64 s[4:5], s[4:5], s[8:9]
	s_or_b64 exec, exec, s[6:7]
	s_and_saveexec_b64 s[6:7], s[4:5]
	s_cbranch_execz .LBB1_33829
; %bb.60491:
	s_getpc_b64 s[14:15]
.Lpost_getpc15909:
	s_add_u32 s14, s14, (.LBB1_10315-.Lpost_getpc15909)&4294967295
	s_addc_u32 s15, s15, (.LBB1_10315-.Lpost_getpc15909)>>32
	s_setpc_b64 s[14:15]
.LBB1_33829:
	s_getpc_b64 s[14:15]
.Lpost_getpc2578:
	s_add_u32 s14, s14, (.LBB1_10316-.Lpost_getpc2578)&4294967295
	s_addc_u32 s15, s15, (.LBB1_10316-.Lpost_getpc2578)>>32
	s_setpc_b64 s[14:15]
.LBB1_24653:
	s_movk_i32 s4, 0x80
	v_cmp_eq_u16_sdwa s[12:13], v3, s4 src0_sel:BYTE_0 src1_sel:DWORD
	s_mov_b64 s[4:5], -1
                                        ; implicit-def: $sgpr10
	s_and_saveexec_b64 s[8:9], s[12:13]
; %bb.24654:
	s_mov_b32 s10, 0x7f800001
	s_xor_b64 s[4:5], exec, -1
; %bb.24655:
	s_or_b64 exec, exec, s[8:9]
	s_and_b64 s[4:5], s[4:5], exec
	s_or_saveexec_b64 s[6:7], s[6:7]
	v_mov_b32_e32 v6, s10
	s_xor_b64 exec, exec, s[6:7]
	s_cbranch_execnz .LBB1_24656
; %bb.60493:
	s_getpc_b64 s[14:15]
.Lpost_getpc15910:
	s_add_u32 s14, s14, (.LBB1_10318-.Lpost_getpc15910)&4294967295
	s_addc_u32 s15, s15, (.LBB1_10318-.Lpost_getpc15910)>>32
	s_setpc_b64 s[14:15]
.LBB1_24656:
	v_mov_b32_e32 v6, 0
	v_cmp_ne_u16_sdwa s[8:9], v3, v6 src0_sel:BYTE_0 src1_sel:DWORD
	s_andn2_b64 s[4:5], s[4:5], exec
	s_and_b64 s[8:9], s[8:9], exec
	s_or_b64 s[4:5], s[4:5], s[8:9]
	s_or_b64 exec, exec, s[6:7]
	s_and_saveexec_b64 s[6:7], s[4:5]
	s_cbranch_execz .LBB1_33831
; %bb.60495:
	s_getpc_b64 s[14:15]
.Lpost_getpc15911:
	s_add_u32 s14, s14, (.LBB1_10319-.Lpost_getpc15911)&4294967295
	s_addc_u32 s15, s15, (.LBB1_10319-.Lpost_getpc15911)>>32
	s_setpc_b64 s[14:15]
.LBB1_33831:
	s_getpc_b64 s[14:15]
.Lpost_getpc2579:
	s_add_u32 s14, s14, (.LBB1_10320-.Lpost_getpc2579)&4294967295
	s_addc_u32 s15, s15, (.LBB1_10320-.Lpost_getpc2579)>>32
	s_setpc_b64 s[14:15]
.LBB1_24657:
	s_movk_i32 s4, 0x80
	v_cmp_eq_u16_e32 vcc, s4, v3
	s_mov_b64 s[4:5], -1
                                        ; implicit-def: $sgpr10
	s_and_saveexec_b64 s[8:9], vcc
; %bb.24658:
	s_mov_b32 s10, 0x7f800001
	s_xor_b64 s[4:5], exec, -1
; %bb.24659:
	s_or_b64 exec, exec, s[8:9]
	s_and_b64 s[4:5], s[4:5], exec
                                        ; implicit-def: $vgpr3
	s_or_saveexec_b64 s[6:7], s[6:7]
	v_mov_b32_e32 v2, s10
	s_xor_b64 exec, exec, s[6:7]
	s_cbranch_execnz .LBB1_24660
; %bb.60497:
	s_getpc_b64 s[14:15]
.Lpost_getpc15912:
	s_add_u32 s14, s14, (.LBB1_10322-.Lpost_getpc15912)&4294967295
	s_addc_u32 s15, s15, (.LBB1_10322-.Lpost_getpc15912)>>32
	s_setpc_b64 s[14:15]
.LBB1_24660:
	v_cmp_ne_u16_e32 vcc, 0, v3
	s_andn2_b64 s[4:5], s[4:5], exec
	s_and_b64 s[8:9], vcc, exec
	v_mov_b32_e32 v2, 0
	s_or_b64 s[4:5], s[4:5], s[8:9]
	s_or_b64 exec, exec, s[6:7]
	s_and_saveexec_b64 s[6:7], s[4:5]
	s_cbranch_execz .LBB1_33833
; %bb.60499:
	s_getpc_b64 s[14:15]
.Lpost_getpc15913:
	s_add_u32 s14, s14, (.LBB1_10323-.Lpost_getpc15913)&4294967295
	s_addc_u32 s15, s15, (.LBB1_10323-.Lpost_getpc15913)>>32
	s_setpc_b64 s[14:15]
.LBB1_33833:
	s_getpc_b64 s[14:15]
.Lpost_getpc2580:
	s_add_u32 s14, s14, (.LBB1_10324-.Lpost_getpc2580)&4294967295
	s_addc_u32 s15, s15, (.LBB1_10324-.Lpost_getpc2580)>>32
	s_setpc_b64 s[14:15]
.LBB1_24661:
	s_movk_i32 s4, 0x80
	v_cmp_eq_u16_e32 vcc, s4, v3
	s_mov_b64 s[4:5], -1
                                        ; implicit-def: $sgpr10
	s_and_saveexec_b64 s[8:9], vcc
; %bb.24662:
	s_mov_b32 s10, 0x7f800001
	s_xor_b64 s[4:5], exec, -1
; %bb.24663:
	s_or_b64 exec, exec, s[8:9]
	s_and_b64 s[4:5], s[4:5], exec
                                        ; implicit-def: $vgpr3
	s_or_saveexec_b64 s[6:7], s[6:7]
	v_mov_b32_e32 v6, s10
	s_xor_b64 exec, exec, s[6:7]
	s_cbranch_execnz .LBB1_24664
; %bb.60501:
	s_getpc_b64 s[14:15]
.Lpost_getpc15914:
	s_add_u32 s14, s14, (.LBB1_10326-.Lpost_getpc15914)&4294967295
	s_addc_u32 s15, s15, (.LBB1_10326-.Lpost_getpc15914)>>32
	s_setpc_b64 s[14:15]
.LBB1_24664:
	v_cmp_ne_u16_e32 vcc, 0, v3
	s_andn2_b64 s[4:5], s[4:5], exec
	s_and_b64 s[8:9], vcc, exec
	v_mov_b32_e32 v6, 0
	s_or_b64 s[4:5], s[4:5], s[8:9]
	s_or_b64 exec, exec, s[6:7]
	s_and_saveexec_b64 s[6:7], s[4:5]
	s_cbranch_execz .LBB1_33835
; %bb.60503:
	s_getpc_b64 s[14:15]
.Lpost_getpc15915:
	s_add_u32 s14, s14, (.LBB1_10327-.Lpost_getpc15915)&4294967295
	s_addc_u32 s15, s15, (.LBB1_10327-.Lpost_getpc15915)>>32
	s_setpc_b64 s[14:15]
.LBB1_33835:
	s_getpc_b64 s[14:15]
.Lpost_getpc2581:
	s_add_u32 s14, s14, (.LBB1_10328-.Lpost_getpc2581)&4294967295
	s_addc_u32 s15, s15, (.LBB1_10328-.Lpost_getpc2581)>>32
	s_setpc_b64 s[14:15]
.LBB1_24665:
	s_movk_i32 s4, 0x80
	v_cmp_eq_u16_sdwa s[12:13], v8, s4 src0_sel:BYTE_3 src1_sel:DWORD
	s_mov_b64 s[4:5], -1
                                        ; implicit-def: $sgpr10
	s_and_saveexec_b64 s[8:9], s[12:13]
; %bb.24666:
	s_mov_b32 s10, 0x7f800001
	s_xor_b64 s[4:5], exec, -1
; %bb.24667:
	s_or_b64 exec, exec, s[8:9]
	s_and_b64 s[4:5], s[4:5], exec
	s_or_saveexec_b64 s[6:7], s[6:7]
	v_mov_b32_e32 v2, s10
	s_xor_b64 exec, exec, s[6:7]
	s_cbranch_execnz .LBB1_24668
; %bb.60505:
	s_getpc_b64 s[14:15]
.Lpost_getpc15916:
	s_add_u32 s14, s14, (.LBB1_10330-.Lpost_getpc15916)&4294967295
	s_addc_u32 s15, s15, (.LBB1_10330-.Lpost_getpc15916)>>32
	s_setpc_b64 s[14:15]
.LBB1_24668:
	v_mov_b32_e32 v2, 0
	v_cmp_ne_u16_sdwa s[8:9], v8, v2 src0_sel:BYTE_3 src1_sel:DWORD
	s_andn2_b64 s[4:5], s[4:5], exec
	s_and_b64 s[8:9], s[8:9], exec
	s_or_b64 s[4:5], s[4:5], s[8:9]
	s_or_b64 exec, exec, s[6:7]
	s_and_saveexec_b64 s[6:7], s[4:5]
	s_cbranch_execz .LBB1_33837
; %bb.60507:
	s_getpc_b64 s[14:15]
.Lpost_getpc15917:
	s_add_u32 s14, s14, (.LBB1_10331-.Lpost_getpc15917)&4294967295
	s_addc_u32 s15, s15, (.LBB1_10331-.Lpost_getpc15917)>>32
	s_setpc_b64 s[14:15]
.LBB1_33837:
	s_getpc_b64 s[14:15]
.Lpost_getpc2582:
	s_add_u32 s14, s14, (.LBB1_10332-.Lpost_getpc2582)&4294967295
	s_addc_u32 s15, s15, (.LBB1_10332-.Lpost_getpc2582)>>32
	s_setpc_b64 s[14:15]
.LBB1_24669:
	s_movk_i32 s4, 0x80
	v_cmp_eq_u16_sdwa s[12:13], v4, s4 src0_sel:BYTE_3 src1_sel:DWORD
	s_mov_b64 s[4:5], -1
                                        ; implicit-def: $sgpr10
	s_and_saveexec_b64 s[8:9], s[12:13]
; %bb.24670:
	s_mov_b32 s10, 0x7f800001
	s_xor_b64 s[4:5], exec, -1
; %bb.24671:
	s_or_b64 exec, exec, s[8:9]
	s_and_b64 s[4:5], s[4:5], exec
	s_or_saveexec_b64 s[6:7], s[6:7]
	v_mov_b32_e32 v3, s10
	s_xor_b64 exec, exec, s[6:7]
	s_cbranch_execnz .LBB1_24672
; %bb.60509:
	s_getpc_b64 s[14:15]
.Lpost_getpc15918:
	s_add_u32 s14, s14, (.LBB1_10334-.Lpost_getpc15918)&4294967295
	s_addc_u32 s15, s15, (.LBB1_10334-.Lpost_getpc15918)>>32
	s_setpc_b64 s[14:15]
.LBB1_24672:
	v_mov_b32_e32 v3, 0
	v_cmp_ne_u16_sdwa s[8:9], v4, v3 src0_sel:BYTE_3 src1_sel:DWORD
	s_andn2_b64 s[4:5], s[4:5], exec
	s_and_b64 s[8:9], s[8:9], exec
	s_or_b64 s[4:5], s[4:5], s[8:9]
	s_or_b64 exec, exec, s[6:7]
	s_and_saveexec_b64 s[6:7], s[4:5]
	s_cbranch_execz .LBB1_33839
; %bb.60511:
	s_getpc_b64 s[14:15]
.Lpost_getpc15919:
	s_add_u32 s14, s14, (.LBB1_10335-.Lpost_getpc15919)&4294967295
	s_addc_u32 s15, s15, (.LBB1_10335-.Lpost_getpc15919)>>32
	s_setpc_b64 s[14:15]
.LBB1_33839:
	s_getpc_b64 s[14:15]
.Lpost_getpc2583:
	s_add_u32 s14, s14, (.LBB1_10336-.Lpost_getpc2583)&4294967295
	s_addc_u32 s15, s15, (.LBB1_10336-.Lpost_getpc2583)>>32
	s_setpc_b64 s[14:15]
.LBB1_24673:
	s_movk_i32 s4, 0x80
	v_cmp_eq_u16_sdwa s[12:13], v9, s4 src0_sel:BYTE_0 src1_sel:DWORD
	s_mov_b64 s[4:5], -1
                                        ; implicit-def: $sgpr10
	s_and_saveexec_b64 s[8:9], s[12:13]
; %bb.24674:
	s_mov_b32 s10, 0x7f800001
	s_xor_b64 s[4:5], exec, -1
; %bb.24675:
	s_or_b64 exec, exec, s[8:9]
	s_and_b64 s[4:5], s[4:5], exec
	s_or_saveexec_b64 s[6:7], s[6:7]
	v_mov_b32_e32 v2, s10
	s_xor_b64 exec, exec, s[6:7]
	s_cbranch_execnz .LBB1_24676
; %bb.60513:
	s_getpc_b64 s[14:15]
.Lpost_getpc15920:
	s_add_u32 s14, s14, (.LBB1_10338-.Lpost_getpc15920)&4294967295
	s_addc_u32 s15, s15, (.LBB1_10338-.Lpost_getpc15920)>>32
	s_setpc_b64 s[14:15]
.LBB1_24676:
	v_mov_b32_e32 v2, 0
	v_cmp_ne_u16_sdwa s[8:9], v9, v2 src0_sel:BYTE_0 src1_sel:DWORD
	s_andn2_b64 s[4:5], s[4:5], exec
	s_and_b64 s[8:9], s[8:9], exec
	s_or_b64 s[4:5], s[4:5], s[8:9]
	s_or_b64 exec, exec, s[6:7]
	s_and_saveexec_b64 s[6:7], s[4:5]
	s_cbranch_execz .LBB1_33841
; %bb.60515:
	s_getpc_b64 s[14:15]
.Lpost_getpc15921:
	s_add_u32 s14, s14, (.LBB1_10339-.Lpost_getpc15921)&4294967295
	s_addc_u32 s15, s15, (.LBB1_10339-.Lpost_getpc15921)>>32
	s_setpc_b64 s[14:15]
.LBB1_33841:
	s_getpc_b64 s[14:15]
.Lpost_getpc2584:
	s_add_u32 s14, s14, (.LBB1_10340-.Lpost_getpc2584)&4294967295
	s_addc_u32 s15, s15, (.LBB1_10340-.Lpost_getpc2584)>>32
	s_setpc_b64 s[14:15]
.LBB1_24677:
	s_movk_i32 s4, 0x80
	v_cmp_eq_u16_sdwa s[12:13], v5, s4 src0_sel:BYTE_0 src1_sel:DWORD
	s_mov_b64 s[4:5], -1
                                        ; implicit-def: $sgpr10
	s_and_saveexec_b64 s[8:9], s[12:13]
; %bb.24678:
	s_mov_b32 s10, 0x7f800001
	s_xor_b64 s[4:5], exec, -1
; %bb.24679:
	s_or_b64 exec, exec, s[8:9]
	s_and_b64 s[4:5], s[4:5], exec
	s_or_saveexec_b64 s[6:7], s[6:7]
	v_mov_b32_e32 v3, s10
	s_xor_b64 exec, exec, s[6:7]
	s_cbranch_execnz .LBB1_24680
; %bb.60517:
	s_getpc_b64 s[14:15]
.Lpost_getpc15922:
	s_add_u32 s14, s14, (.LBB1_10342-.Lpost_getpc15922)&4294967295
	s_addc_u32 s15, s15, (.LBB1_10342-.Lpost_getpc15922)>>32
	s_setpc_b64 s[14:15]
.LBB1_24680:
	v_mov_b32_e32 v3, 0
	v_cmp_ne_u16_sdwa s[8:9], v5, v3 src0_sel:BYTE_0 src1_sel:DWORD
	s_andn2_b64 s[4:5], s[4:5], exec
	s_and_b64 s[8:9], s[8:9], exec
	s_or_b64 s[4:5], s[4:5], s[8:9]
	s_or_b64 exec, exec, s[6:7]
	s_and_saveexec_b64 s[6:7], s[4:5]
	s_cbranch_execz .LBB1_33843
; %bb.60519:
	s_getpc_b64 s[14:15]
.Lpost_getpc15923:
	s_add_u32 s14, s14, (.LBB1_10343-.Lpost_getpc15923)&4294967295
	s_addc_u32 s15, s15, (.LBB1_10343-.Lpost_getpc15923)>>32
	s_setpc_b64 s[14:15]
.LBB1_33843:
	s_getpc_b64 s[14:15]
.Lpost_getpc2585:
	s_add_u32 s14, s14, (.LBB1_10344-.Lpost_getpc2585)&4294967295
	s_addc_u32 s15, s15, (.LBB1_10344-.Lpost_getpc2585)>>32
	s_setpc_b64 s[14:15]
.LBB1_24681:
	s_movk_i32 s4, 0x80
	v_cmp_eq_u16_sdwa s[12:13], v3, s4 src0_sel:BYTE_0 src1_sel:DWORD
	s_mov_b64 s[4:5], -1
                                        ; implicit-def: $sgpr10
	s_and_saveexec_b64 s[8:9], s[12:13]
; %bb.24682:
	s_mov_b32 s10, 0x7f800001
	s_xor_b64 s[4:5], exec, -1
; %bb.24683:
	s_or_b64 exec, exec, s[8:9]
	s_and_b64 s[4:5], s[4:5], exec
	s_or_saveexec_b64 s[6:7], s[6:7]
	v_mov_b32_e32 v2, s10
	s_xor_b64 exec, exec, s[6:7]
	s_cbranch_execnz .LBB1_24684
; %bb.60521:
	s_getpc_b64 s[14:15]
.Lpost_getpc15924:
	s_add_u32 s14, s14, (.LBB1_10346-.Lpost_getpc15924)&4294967295
	s_addc_u32 s15, s15, (.LBB1_10346-.Lpost_getpc15924)>>32
	s_setpc_b64 s[14:15]
.LBB1_24684:
	v_mov_b32_e32 v2, 0
	v_cmp_ne_u16_sdwa s[8:9], v3, v2 src0_sel:BYTE_0 src1_sel:DWORD
	s_andn2_b64 s[4:5], s[4:5], exec
	s_and_b64 s[8:9], s[8:9], exec
	s_or_b64 s[4:5], s[4:5], s[8:9]
	s_or_b64 exec, exec, s[6:7]
	s_and_saveexec_b64 s[6:7], s[4:5]
	s_cbranch_execz .LBB1_33845
; %bb.60523:
	s_getpc_b64 s[14:15]
.Lpost_getpc15925:
	s_add_u32 s14, s14, (.LBB1_10347-.Lpost_getpc15925)&4294967295
	s_addc_u32 s15, s15, (.LBB1_10347-.Lpost_getpc15925)>>32
	s_setpc_b64 s[14:15]
.LBB1_33845:
	s_getpc_b64 s[14:15]
.Lpost_getpc2586:
	s_add_u32 s14, s14, (.LBB1_10348-.Lpost_getpc2586)&4294967295
	s_addc_u32 s15, s15, (.LBB1_10348-.Lpost_getpc2586)>>32
	s_setpc_b64 s[14:15]
.LBB1_24685:
	s_movk_i32 s4, 0x80
	v_cmp_eq_u16_sdwa s[12:13], v3, s4 src0_sel:BYTE_0 src1_sel:DWORD
	s_mov_b64 s[4:5], -1
                                        ; implicit-def: $sgpr10
	s_and_saveexec_b64 s[8:9], s[12:13]
; %bb.24686:
	s_mov_b32 s10, 0x7f800001
	s_xor_b64 s[4:5], exec, -1
; %bb.24687:
	s_or_b64 exec, exec, s[8:9]
	s_and_b64 s[4:5], s[4:5], exec
	s_or_saveexec_b64 s[6:7], s[6:7]
	v_mov_b32_e32 v4, s10
	s_xor_b64 exec, exec, s[6:7]
	s_cbranch_execnz .LBB1_24688
; %bb.60525:
	s_getpc_b64 s[14:15]
.Lpost_getpc15926:
	s_add_u32 s14, s14, (.LBB1_10350-.Lpost_getpc15926)&4294967295
	s_addc_u32 s15, s15, (.LBB1_10350-.Lpost_getpc15926)>>32
	s_setpc_b64 s[14:15]
.LBB1_24688:
	v_mov_b32_e32 v4, 0
	v_cmp_ne_u16_sdwa s[8:9], v3, v4 src0_sel:BYTE_0 src1_sel:DWORD
	s_andn2_b64 s[4:5], s[4:5], exec
	s_and_b64 s[8:9], s[8:9], exec
	s_or_b64 s[4:5], s[4:5], s[8:9]
	s_or_b64 exec, exec, s[6:7]
	s_and_saveexec_b64 s[6:7], s[4:5]
	s_cbranch_execz .LBB1_33847
; %bb.60527:
	s_getpc_b64 s[14:15]
.Lpost_getpc15927:
	s_add_u32 s14, s14, (.LBB1_10351-.Lpost_getpc15927)&4294967295
	s_addc_u32 s15, s15, (.LBB1_10351-.Lpost_getpc15927)>>32
	s_setpc_b64 s[14:15]
.LBB1_33847:
	s_getpc_b64 s[14:15]
.Lpost_getpc2587:
	s_add_u32 s14, s14, (.LBB1_10352-.Lpost_getpc2587)&4294967295
	s_addc_u32 s15, s15, (.LBB1_10352-.Lpost_getpc2587)>>32
	s_setpc_b64 s[14:15]
.LBB1_24689:
	s_movk_i32 s4, 0x80
	v_cmp_eq_u16_e32 vcc, s4, v3
	s_mov_b64 s[4:5], -1
                                        ; implicit-def: $sgpr10
	s_and_saveexec_b64 s[8:9], vcc
; %bb.24690:
	s_mov_b32 s10, 0x7f800001
	s_xor_b64 s[4:5], exec, -1
; %bb.24691:
	s_or_b64 exec, exec, s[8:9]
	s_and_b64 s[4:5], s[4:5], exec
                                        ; implicit-def: $vgpr3
	s_or_saveexec_b64 s[6:7], s[6:7]
	v_mov_b32_e32 v2, s10
	s_xor_b64 exec, exec, s[6:7]
	s_cbranch_execnz .LBB1_24692
; %bb.60529:
	s_getpc_b64 s[14:15]
.Lpost_getpc15928:
	s_add_u32 s14, s14, (.LBB1_10354-.Lpost_getpc15928)&4294967295
	s_addc_u32 s15, s15, (.LBB1_10354-.Lpost_getpc15928)>>32
	s_setpc_b64 s[14:15]
.LBB1_24692:
	v_cmp_ne_u16_e32 vcc, 0, v3
	s_andn2_b64 s[4:5], s[4:5], exec
	s_and_b64 s[8:9], vcc, exec
	v_mov_b32_e32 v2, 0
	s_or_b64 s[4:5], s[4:5], s[8:9]
	s_or_b64 exec, exec, s[6:7]
	s_and_saveexec_b64 s[6:7], s[4:5]
	s_cbranch_execz .LBB1_33849
; %bb.60531:
	s_getpc_b64 s[14:15]
.Lpost_getpc15929:
	s_add_u32 s14, s14, (.LBB1_10355-.Lpost_getpc15929)&4294967295
	s_addc_u32 s15, s15, (.LBB1_10355-.Lpost_getpc15929)>>32
	s_setpc_b64 s[14:15]
.LBB1_33849:
	s_getpc_b64 s[14:15]
.Lpost_getpc2588:
	s_add_u32 s14, s14, (.LBB1_10356-.Lpost_getpc2588)&4294967295
	s_addc_u32 s15, s15, (.LBB1_10356-.Lpost_getpc2588)>>32
	s_setpc_b64 s[14:15]
.LBB1_24693:
	s_movk_i32 s4, 0x80
	v_cmp_eq_u16_e32 vcc, s4, v3
	s_mov_b64 s[4:5], -1
                                        ; implicit-def: $sgpr10
	s_and_saveexec_b64 s[8:9], vcc
; %bb.24694:
	s_mov_b32 s10, 0x7f800001
	s_xor_b64 s[4:5], exec, -1
; %bb.24695:
	s_or_b64 exec, exec, s[8:9]
	s_and_b64 s[4:5], s[4:5], exec
                                        ; implicit-def: $vgpr3
	s_or_saveexec_b64 s[6:7], s[6:7]
	v_mov_b32_e32 v4, s10
	s_xor_b64 exec, exec, s[6:7]
	s_cbranch_execnz .LBB1_24696
; %bb.60533:
	s_getpc_b64 s[14:15]
.Lpost_getpc15930:
	s_add_u32 s14, s14, (.LBB1_10358-.Lpost_getpc15930)&4294967295
	s_addc_u32 s15, s15, (.LBB1_10358-.Lpost_getpc15930)>>32
	s_setpc_b64 s[14:15]
.LBB1_24696:
	v_cmp_ne_u16_e32 vcc, 0, v3
	s_andn2_b64 s[4:5], s[4:5], exec
	s_and_b64 s[8:9], vcc, exec
	v_mov_b32_e32 v4, 0
	s_or_b64 s[4:5], s[4:5], s[8:9]
	s_or_b64 exec, exec, s[6:7]
	s_and_saveexec_b64 s[6:7], s[4:5]
	s_cbranch_execz .LBB1_33851
; %bb.60535:
	s_getpc_b64 s[14:15]
.Lpost_getpc15931:
	s_add_u32 s14, s14, (.LBB1_10359-.Lpost_getpc15931)&4294967295
	s_addc_u32 s15, s15, (.LBB1_10359-.Lpost_getpc15931)>>32
	s_setpc_b64 s[14:15]
.LBB1_33851:
	s_getpc_b64 s[14:15]
.Lpost_getpc2589:
	s_add_u32 s14, s14, (.LBB1_10360-.Lpost_getpc2589)&4294967295
	s_addc_u32 s15, s15, (.LBB1_10360-.Lpost_getpc2589)>>32
	s_setpc_b64 s[14:15]
.LBB1_24697:
	s_movk_i32 s4, 0x80
	v_cmp_eq_u16_sdwa s[12:13], v9, s4 src0_sel:BYTE_3 src1_sel:DWORD
	s_mov_b64 s[4:5], -1
                                        ; implicit-def: $sgpr10
	s_and_saveexec_b64 s[8:9], s[12:13]
; %bb.24698:
	s_mov_b32 s10, 0x7f800001
	s_xor_b64 s[4:5], exec, -1
; %bb.24699:
	s_or_b64 exec, exec, s[8:9]
	s_and_b64 s[4:5], s[4:5], exec
	s_or_saveexec_b64 s[6:7], s[6:7]
	v_mov_b32_e32 v2, s10
	s_xor_b64 exec, exec, s[6:7]
	s_cbranch_execnz .LBB1_24700
; %bb.60537:
	s_getpc_b64 s[14:15]
.Lpost_getpc15932:
	s_add_u32 s14, s14, (.LBB1_10362-.Lpost_getpc15932)&4294967295
	s_addc_u32 s15, s15, (.LBB1_10362-.Lpost_getpc15932)>>32
	s_setpc_b64 s[14:15]
.LBB1_24700:
	v_mov_b32_e32 v2, 0
	v_cmp_ne_u16_sdwa s[8:9], v9, v2 src0_sel:BYTE_3 src1_sel:DWORD
	s_andn2_b64 s[4:5], s[4:5], exec
	s_and_b64 s[8:9], s[8:9], exec
	s_or_b64 s[4:5], s[4:5], s[8:9]
	s_or_b64 exec, exec, s[6:7]
	s_and_saveexec_b64 s[6:7], s[4:5]
	s_cbranch_execz .LBB1_33853
; %bb.60539:
	s_getpc_b64 s[14:15]
.Lpost_getpc15933:
	s_add_u32 s14, s14, (.LBB1_10363-.Lpost_getpc15933)&4294967295
	s_addc_u32 s15, s15, (.LBB1_10363-.Lpost_getpc15933)>>32
	s_setpc_b64 s[14:15]
.LBB1_33853:
	s_getpc_b64 s[14:15]
.Lpost_getpc2590:
	s_add_u32 s14, s14, (.LBB1_10364-.Lpost_getpc2590)&4294967295
	s_addc_u32 s15, s15, (.LBB1_10364-.Lpost_getpc2590)>>32
	s_setpc_b64 s[14:15]
.LBB1_24701:
	s_movk_i32 s4, 0x80
	v_cmp_eq_u16_sdwa s[12:13], v5, s4 src0_sel:BYTE_3 src1_sel:DWORD
	s_mov_b64 s[4:5], -1
                                        ; implicit-def: $sgpr10
	s_and_saveexec_b64 s[8:9], s[12:13]
; %bb.24702:
	s_mov_b32 s10, 0x7f800001
	s_xor_b64 s[4:5], exec, -1
; %bb.24703:
	s_or_b64 exec, exec, s[8:9]
	s_and_b64 s[4:5], s[4:5], exec
	s_or_saveexec_b64 s[6:7], s[6:7]
	v_mov_b32_e32 v3, s10
	s_xor_b64 exec, exec, s[6:7]
	s_cbranch_execnz .LBB1_24704
; %bb.60541:
	s_getpc_b64 s[14:15]
.Lpost_getpc15934:
	s_add_u32 s14, s14, (.LBB1_10366-.Lpost_getpc15934)&4294967295
	s_addc_u32 s15, s15, (.LBB1_10366-.Lpost_getpc15934)>>32
	s_setpc_b64 s[14:15]
.LBB1_24704:
	v_mov_b32_e32 v3, 0
	v_cmp_ne_u16_sdwa s[8:9], v5, v3 src0_sel:BYTE_3 src1_sel:DWORD
	s_andn2_b64 s[4:5], s[4:5], exec
	s_and_b64 s[8:9], s[8:9], exec
	s_or_b64 s[4:5], s[4:5], s[8:9]
	s_or_b64 exec, exec, s[6:7]
	s_and_saveexec_b64 s[6:7], s[4:5]
	s_cbranch_execz .LBB1_33855
; %bb.60543:
	s_getpc_b64 s[14:15]
.Lpost_getpc15935:
	s_add_u32 s14, s14, (.LBB1_10367-.Lpost_getpc15935)&4294967295
	s_addc_u32 s15, s15, (.LBB1_10367-.Lpost_getpc15935)>>32
	s_setpc_b64 s[14:15]
.LBB1_33855:
	s_getpc_b64 s[14:15]
.Lpost_getpc2591:
	s_add_u32 s14, s14, (.LBB1_10368-.Lpost_getpc2591)&4294967295
	s_addc_u32 s15, s15, (.LBB1_10368-.Lpost_getpc2591)>>32
	s_setpc_b64 s[14:15]
.LBB1_24705:
	s_movk_i32 s4, 0x80
	v_cmp_eq_u16_sdwa s[12:13], v6, s4 src0_sel:BYTE_0 src1_sel:DWORD
	s_mov_b64 s[4:5], -1
                                        ; implicit-def: $sgpr10
	s_and_saveexec_b64 s[8:9], s[12:13]
; %bb.24706:
	s_mov_b32 s10, 0x7f800001
	s_xor_b64 s[4:5], exec, -1
; %bb.24707:
	s_or_b64 exec, exec, s[8:9]
	s_and_b64 s[4:5], s[4:5], exec
	s_or_saveexec_b64 s[6:7], s[6:7]
	v_mov_b32_e32 v12, s10
	s_xor_b64 exec, exec, s[6:7]
	s_cbranch_execnz .LBB1_24708
; %bb.60545:
	s_getpc_b64 s[14:15]
.Lpost_getpc15936:
	s_add_u32 s14, s14, (.LBB1_10370-.Lpost_getpc15936)&4294967295
	s_addc_u32 s15, s15, (.LBB1_10370-.Lpost_getpc15936)>>32
	s_setpc_b64 s[14:15]
.LBB1_24708:
	v_mov_b32_e32 v12, 0
	v_cmp_ne_u16_sdwa s[8:9], v6, v12 src0_sel:BYTE_0 src1_sel:DWORD
	s_andn2_b64 s[4:5], s[4:5], exec
	s_and_b64 s[8:9], s[8:9], exec
	s_or_b64 s[4:5], s[4:5], s[8:9]
	s_or_b64 exec, exec, s[6:7]
	s_and_saveexec_b64 s[6:7], s[4:5]
	s_cbranch_execz .LBB1_33857
; %bb.60547:
	s_getpc_b64 s[14:15]
.Lpost_getpc15937:
	s_add_u32 s14, s14, (.LBB1_10371-.Lpost_getpc15937)&4294967295
	s_addc_u32 s15, s15, (.LBB1_10371-.Lpost_getpc15937)>>32
	s_setpc_b64 s[14:15]
.LBB1_33857:
	s_getpc_b64 s[14:15]
.Lpost_getpc2592:
	s_add_u32 s14, s14, (.LBB1_10372-.Lpost_getpc2592)&4294967295
	s_addc_u32 s15, s15, (.LBB1_10372-.Lpost_getpc2592)>>32
	s_setpc_b64 s[14:15]
.LBB1_24709:
	s_movk_i32 s4, 0x80
	v_cmp_eq_u16_sdwa s[12:13], v2, s4 src0_sel:BYTE_0 src1_sel:DWORD
	s_mov_b64 s[4:5], -1
                                        ; implicit-def: $sgpr10
	s_and_saveexec_b64 s[8:9], s[12:13]
; %bb.24710:
	s_mov_b32 s10, 0x7f800001
	s_xor_b64 s[4:5], exec, -1
; %bb.24711:
	s_or_b64 exec, exec, s[8:9]
	s_and_b64 s[4:5], s[4:5], exec
	s_or_saveexec_b64 s[6:7], s[6:7]
	v_mov_b32_e32 v13, s10
	s_xor_b64 exec, exec, s[6:7]
	s_cbranch_execnz .LBB1_24712
; %bb.60549:
	s_getpc_b64 s[14:15]
.Lpost_getpc15938:
	s_add_u32 s14, s14, (.LBB1_10374-.Lpost_getpc15938)&4294967295
	s_addc_u32 s15, s15, (.LBB1_10374-.Lpost_getpc15938)>>32
	s_setpc_b64 s[14:15]
.LBB1_24712:
	v_mov_b32_e32 v13, 0
	v_cmp_ne_u16_sdwa s[8:9], v2, v13 src0_sel:BYTE_0 src1_sel:DWORD
	s_andn2_b64 s[4:5], s[4:5], exec
	s_and_b64 s[8:9], s[8:9], exec
	s_or_b64 s[4:5], s[4:5], s[8:9]
	s_or_b64 exec, exec, s[6:7]
	s_and_saveexec_b64 s[6:7], s[4:5]
	s_cbranch_execz .LBB1_33859
; %bb.60551:
	s_getpc_b64 s[14:15]
.Lpost_getpc15939:
	s_add_u32 s14, s14, (.LBB1_10375-.Lpost_getpc15939)&4294967295
	s_addc_u32 s15, s15, (.LBB1_10375-.Lpost_getpc15939)>>32
	s_setpc_b64 s[14:15]
.LBB1_33859:
	s_getpc_b64 s[14:15]
.Lpost_getpc2593:
	s_add_u32 s14, s14, (.LBB1_10376-.Lpost_getpc2593)&4294967295
	s_addc_u32 s15, s15, (.LBB1_10376-.Lpost_getpc2593)>>32
	s_setpc_b64 s[14:15]
.LBB1_24713:
	s_movk_i32 s4, 0x80
	v_cmp_eq_u16_sdwa s[12:13], v13, s4 src0_sel:BYTE_0 src1_sel:DWORD
	s_mov_b64 s[4:5], -1
                                        ; implicit-def: $sgpr10
	s_and_saveexec_b64 s[8:9], s[12:13]
; %bb.24714:
	s_mov_b32 s10, 0x7f800001
	s_xor_b64 s[4:5], exec, -1
; %bb.24715:
	s_or_b64 exec, exec, s[8:9]
	s_and_b64 s[4:5], s[4:5], exec
	s_or_saveexec_b64 s[6:7], s[6:7]
	v_mov_b32_e32 v12, s10
	s_xor_b64 exec, exec, s[6:7]
	s_cbranch_execnz .LBB1_24716
; %bb.60553:
	s_getpc_b64 s[14:15]
.Lpost_getpc15940:
	s_add_u32 s14, s14, (.LBB1_10378-.Lpost_getpc15940)&4294967295
	s_addc_u32 s15, s15, (.LBB1_10378-.Lpost_getpc15940)>>32
	s_setpc_b64 s[14:15]
.LBB1_24716:
	v_mov_b32_e32 v12, 0
	v_cmp_ne_u16_sdwa s[8:9], v13, v12 src0_sel:BYTE_0 src1_sel:DWORD
	s_andn2_b64 s[4:5], s[4:5], exec
	s_and_b64 s[8:9], s[8:9], exec
	s_or_b64 s[4:5], s[4:5], s[8:9]
	s_or_b64 exec, exec, s[6:7]
	s_and_saveexec_b64 s[6:7], s[4:5]
	s_cbranch_execz .LBB1_33861
; %bb.60555:
	s_getpc_b64 s[14:15]
.Lpost_getpc15941:
	s_add_u32 s14, s14, (.LBB1_10379-.Lpost_getpc15941)&4294967295
	s_addc_u32 s15, s15, (.LBB1_10379-.Lpost_getpc15941)>>32
	s_setpc_b64 s[14:15]
.LBB1_33861:
	s_getpc_b64 s[14:15]
.Lpost_getpc2594:
	s_add_u32 s14, s14, (.LBB1_10380-.Lpost_getpc2594)&4294967295
	s_addc_u32 s15, s15, (.LBB1_10380-.Lpost_getpc2594)>>32
	s_setpc_b64 s[14:15]
.LBB1_24717:
	s_movk_i32 s4, 0x80
	v_cmp_eq_u16_sdwa s[12:13], v13, s4 src0_sel:BYTE_0 src1_sel:DWORD
	s_mov_b64 s[4:5], -1
                                        ; implicit-def: $sgpr10
	s_and_saveexec_b64 s[8:9], s[12:13]
; %bb.24718:
	s_mov_b32 s10, 0x7f800001
	s_xor_b64 s[4:5], exec, -1
; %bb.24719:
	s_or_b64 exec, exec, s[8:9]
	s_and_b64 s[4:5], s[4:5], exec
	s_or_saveexec_b64 s[6:7], s[6:7]
	v_mov_b32_e32 v14, s10
	s_xor_b64 exec, exec, s[6:7]
	s_cbranch_execnz .LBB1_24720
; %bb.60557:
	s_getpc_b64 s[14:15]
.Lpost_getpc15942:
	s_add_u32 s14, s14, (.LBB1_10382-.Lpost_getpc15942)&4294967295
	s_addc_u32 s15, s15, (.LBB1_10382-.Lpost_getpc15942)>>32
	s_setpc_b64 s[14:15]
.LBB1_24720:
	v_mov_b32_e32 v14, 0
	v_cmp_ne_u16_sdwa s[8:9], v13, v14 src0_sel:BYTE_0 src1_sel:DWORD
	s_andn2_b64 s[4:5], s[4:5], exec
	s_and_b64 s[8:9], s[8:9], exec
	s_or_b64 s[4:5], s[4:5], s[8:9]
	s_or_b64 exec, exec, s[6:7]
	s_and_saveexec_b64 s[6:7], s[4:5]
	s_cbranch_execz .LBB1_33863
; %bb.60559:
	s_getpc_b64 s[14:15]
.Lpost_getpc15943:
	s_add_u32 s14, s14, (.LBB1_10383-.Lpost_getpc15943)&4294967295
	s_addc_u32 s15, s15, (.LBB1_10383-.Lpost_getpc15943)>>32
	s_setpc_b64 s[14:15]
.LBB1_33863:
	s_getpc_b64 s[14:15]
.Lpost_getpc2595:
	s_add_u32 s14, s14, (.LBB1_10384-.Lpost_getpc2595)&4294967295
	s_addc_u32 s15, s15, (.LBB1_10384-.Lpost_getpc2595)>>32
	s_setpc_b64 s[14:15]
.LBB1_24721:
	s_movk_i32 s4, 0x80
	v_cmp_eq_u16_e32 vcc, s4, v13
	s_mov_b64 s[4:5], -1
                                        ; implicit-def: $sgpr10
	s_and_saveexec_b64 s[8:9], vcc
; %bb.24722:
	s_mov_b32 s10, 0x7f800001
	s_xor_b64 s[4:5], exec, -1
; %bb.24723:
	s_or_b64 exec, exec, s[8:9]
	s_and_b64 s[4:5], s[4:5], exec
                                        ; implicit-def: $vgpr13
	s_or_saveexec_b64 s[6:7], s[6:7]
	v_mov_b32_e32 v12, s10
	s_xor_b64 exec, exec, s[6:7]
	s_cbranch_execnz .LBB1_24724
; %bb.60561:
	s_getpc_b64 s[14:15]
.Lpost_getpc15944:
	s_add_u32 s14, s14, (.LBB1_10386-.Lpost_getpc15944)&4294967295
	s_addc_u32 s15, s15, (.LBB1_10386-.Lpost_getpc15944)>>32
	s_setpc_b64 s[14:15]
.LBB1_24724:
	v_cmp_ne_u16_e32 vcc, 0, v13
	s_andn2_b64 s[4:5], s[4:5], exec
	s_and_b64 s[8:9], vcc, exec
	v_mov_b32_e32 v12, 0
	s_or_b64 s[4:5], s[4:5], s[8:9]
	s_or_b64 exec, exec, s[6:7]
	s_and_saveexec_b64 s[6:7], s[4:5]
	s_cbranch_execz .LBB1_33865
; %bb.60563:
	s_getpc_b64 s[14:15]
.Lpost_getpc15945:
	s_add_u32 s14, s14, (.LBB1_10387-.Lpost_getpc15945)&4294967295
	s_addc_u32 s15, s15, (.LBB1_10387-.Lpost_getpc15945)>>32
	s_setpc_b64 s[14:15]
.LBB1_33865:
	s_getpc_b64 s[14:15]
.Lpost_getpc2596:
	s_add_u32 s14, s14, (.LBB1_10388-.Lpost_getpc2596)&4294967295
	s_addc_u32 s15, s15, (.LBB1_10388-.Lpost_getpc2596)>>32
	s_setpc_b64 s[14:15]
.LBB1_24725:
	s_movk_i32 s4, 0x80
	v_cmp_eq_u16_e32 vcc, s4, v13
	s_mov_b64 s[4:5], -1
                                        ; implicit-def: $sgpr10
	s_and_saveexec_b64 s[8:9], vcc
; %bb.24726:
	s_mov_b32 s10, 0x7f800001
	s_xor_b64 s[4:5], exec, -1
; %bb.24727:
	s_or_b64 exec, exec, s[8:9]
	s_and_b64 s[4:5], s[4:5], exec
                                        ; implicit-def: $vgpr13
	s_or_saveexec_b64 s[6:7], s[6:7]
	v_mov_b32_e32 v14, s10
	s_xor_b64 exec, exec, s[6:7]
	s_cbranch_execnz .LBB1_24728
; %bb.60565:
	s_getpc_b64 s[14:15]
.Lpost_getpc15946:
	s_add_u32 s14, s14, (.LBB1_10390-.Lpost_getpc15946)&4294967295
	s_addc_u32 s15, s15, (.LBB1_10390-.Lpost_getpc15946)>>32
	s_setpc_b64 s[14:15]
.LBB1_24728:
	v_cmp_ne_u16_e32 vcc, 0, v13
	s_andn2_b64 s[4:5], s[4:5], exec
	s_and_b64 s[8:9], vcc, exec
	v_mov_b32_e32 v14, 0
	s_or_b64 s[4:5], s[4:5], s[8:9]
	s_or_b64 exec, exec, s[6:7]
	s_and_saveexec_b64 s[6:7], s[4:5]
	s_cbranch_execz .LBB1_33867
; %bb.60567:
	s_getpc_b64 s[14:15]
.Lpost_getpc15947:
	s_add_u32 s14, s14, (.LBB1_10391-.Lpost_getpc15947)&4294967295
	s_addc_u32 s15, s15, (.LBB1_10391-.Lpost_getpc15947)>>32
	s_setpc_b64 s[14:15]
.LBB1_33867:
	s_getpc_b64 s[14:15]
.Lpost_getpc2597:
	s_add_u32 s14, s14, (.LBB1_10392-.Lpost_getpc2597)&4294967295
	s_addc_u32 s15, s15, (.LBB1_10392-.Lpost_getpc2597)>>32
	s_setpc_b64 s[14:15]
.LBB1_24729:
	s_movk_i32 s4, 0x80
	v_cmp_eq_u16_sdwa s[12:13], v6, s4 src0_sel:BYTE_3 src1_sel:DWORD
	s_mov_b64 s[4:5], -1
                                        ; implicit-def: $sgpr10
	s_and_saveexec_b64 s[8:9], s[12:13]
; %bb.24730:
	s_mov_b32 s10, 0x7f800001
	s_xor_b64 s[4:5], exec, -1
; %bb.24731:
	s_or_b64 exec, exec, s[8:9]
	s_and_b64 s[4:5], s[4:5], exec
	s_or_saveexec_b64 s[6:7], s[6:7]
	v_mov_b32_e32 v12, s10
	s_xor_b64 exec, exec, s[6:7]
	s_cbranch_execnz .LBB1_24732
; %bb.60569:
	s_getpc_b64 s[14:15]
.Lpost_getpc15948:
	s_add_u32 s14, s14, (.LBB1_10394-.Lpost_getpc15948)&4294967295
	s_addc_u32 s15, s15, (.LBB1_10394-.Lpost_getpc15948)>>32
	s_setpc_b64 s[14:15]
.LBB1_24732:
	v_mov_b32_e32 v12, 0
	v_cmp_ne_u16_sdwa s[8:9], v6, v12 src0_sel:BYTE_3 src1_sel:DWORD
	s_andn2_b64 s[4:5], s[4:5], exec
	s_and_b64 s[8:9], s[8:9], exec
	s_or_b64 s[4:5], s[4:5], s[8:9]
	s_or_b64 exec, exec, s[6:7]
	s_and_saveexec_b64 s[6:7], s[4:5]
	s_cbranch_execz .LBB1_33869
; %bb.60571:
	s_getpc_b64 s[14:15]
.Lpost_getpc15949:
	s_add_u32 s14, s14, (.LBB1_10395-.Lpost_getpc15949)&4294967295
	s_addc_u32 s15, s15, (.LBB1_10395-.Lpost_getpc15949)>>32
	s_setpc_b64 s[14:15]
.LBB1_33869:
	s_getpc_b64 s[14:15]
.Lpost_getpc2598:
	s_add_u32 s14, s14, (.LBB1_10396-.Lpost_getpc2598)&4294967295
	s_addc_u32 s15, s15, (.LBB1_10396-.Lpost_getpc2598)>>32
	s_setpc_b64 s[14:15]
.LBB1_24733:
	s_movk_i32 s4, 0x80
	v_cmp_eq_u16_sdwa s[12:13], v2, s4 src0_sel:BYTE_3 src1_sel:DWORD
	s_mov_b64 s[4:5], -1
                                        ; implicit-def: $sgpr10
	s_and_saveexec_b64 s[8:9], s[12:13]
; %bb.24734:
	s_mov_b32 s10, 0x7f800001
	s_xor_b64 s[4:5], exec, -1
; %bb.24735:
	s_or_b64 exec, exec, s[8:9]
	s_and_b64 s[4:5], s[4:5], exec
	s_or_saveexec_b64 s[6:7], s[6:7]
	v_mov_b32_e32 v6, s10
	s_xor_b64 exec, exec, s[6:7]
	s_cbranch_execnz .LBB1_24736
; %bb.60573:
	s_getpc_b64 s[14:15]
.Lpost_getpc15950:
	s_add_u32 s14, s14, (.LBB1_10398-.Lpost_getpc15950)&4294967295
	s_addc_u32 s15, s15, (.LBB1_10398-.Lpost_getpc15950)>>32
	s_setpc_b64 s[14:15]
.LBB1_24736:
	v_mov_b32_e32 v6, 0
	v_cmp_ne_u16_sdwa s[8:9], v2, v6 src0_sel:BYTE_3 src1_sel:DWORD
	s_andn2_b64 s[4:5], s[4:5], exec
	s_and_b64 s[8:9], s[8:9], exec
	s_or_b64 s[4:5], s[4:5], s[8:9]
	s_or_b64 exec, exec, s[6:7]
	s_and_saveexec_b64 s[6:7], s[4:5]
	s_cbranch_execz .LBB1_33871
; %bb.60575:
	s_getpc_b64 s[14:15]
.Lpost_getpc15951:
	s_add_u32 s14, s14, (.LBB1_10399-.Lpost_getpc15951)&4294967295
	s_addc_u32 s15, s15, (.LBB1_10399-.Lpost_getpc15951)>>32
	s_setpc_b64 s[14:15]
.LBB1_33871:
	s_getpc_b64 s[14:15]
.Lpost_getpc2599:
	s_add_u32 s14, s14, (.LBB1_10400-.Lpost_getpc2599)&4294967295
	s_addc_u32 s15, s15, (.LBB1_10400-.Lpost_getpc2599)>>32
	s_setpc_b64 s[14:15]
.LBB1_24737:
	s_movk_i32 s4, 0x80
	v_cmp_eq_u16_sdwa s[12:13], v7, s4 src0_sel:BYTE_0 src1_sel:DWORD
	s_mov_b64 s[4:5], -1
                                        ; implicit-def: $sgpr10
	s_and_saveexec_b64 s[8:9], s[12:13]
; %bb.24738:
	s_mov_b32 s10, 0x7f800001
	s_xor_b64 s[4:5], exec, -1
; %bb.24739:
	s_or_b64 exec, exec, s[8:9]
	s_and_b64 s[4:5], s[4:5], exec
	s_or_saveexec_b64 s[6:7], s[6:7]
	v_mov_b32_e32 v2, s10
	s_xor_b64 exec, exec, s[6:7]
	s_cbranch_execnz .LBB1_24740
; %bb.60577:
	s_getpc_b64 s[14:15]
.Lpost_getpc15952:
	s_add_u32 s14, s14, (.LBB1_10402-.Lpost_getpc15952)&4294967295
	s_addc_u32 s15, s15, (.LBB1_10402-.Lpost_getpc15952)>>32
	s_setpc_b64 s[14:15]
.LBB1_24740:
	v_mov_b32_e32 v2, 0
	v_cmp_ne_u16_sdwa s[8:9], v7, v2 src0_sel:BYTE_0 src1_sel:DWORD
	s_andn2_b64 s[4:5], s[4:5], exec
	s_and_b64 s[8:9], s[8:9], exec
	s_or_b64 s[4:5], s[4:5], s[8:9]
	s_or_b64 exec, exec, s[6:7]
	s_and_saveexec_b64 s[6:7], s[4:5]
	s_cbranch_execz .LBB1_33873
; %bb.60579:
	s_getpc_b64 s[14:15]
.Lpost_getpc15953:
	s_add_u32 s14, s14, (.LBB1_10403-.Lpost_getpc15953)&4294967295
	s_addc_u32 s15, s15, (.LBB1_10403-.Lpost_getpc15953)>>32
	s_setpc_b64 s[14:15]
.LBB1_33873:
	s_getpc_b64 s[14:15]
.Lpost_getpc2600:
	s_add_u32 s14, s14, (.LBB1_10404-.Lpost_getpc2600)&4294967295
	s_addc_u32 s15, s15, (.LBB1_10404-.Lpost_getpc2600)>>32
	s_setpc_b64 s[14:15]
.LBB1_24741:
	s_movk_i32 s4, 0x80
	v_cmp_eq_u16_sdwa s[12:13], v3, s4 src0_sel:BYTE_0 src1_sel:DWORD
	s_mov_b64 s[4:5], -1
                                        ; implicit-def: $sgpr10
	s_and_saveexec_b64 s[8:9], s[12:13]
; %bb.24742:
	s_mov_b32 s10, 0x7f800001
	s_xor_b64 s[4:5], exec, -1
; %bb.24743:
	s_or_b64 exec, exec, s[8:9]
	s_and_b64 s[4:5], s[4:5], exec
	s_or_saveexec_b64 s[6:7], s[6:7]
	v_mov_b32_e32 v6, s10
	s_xor_b64 exec, exec, s[6:7]
	s_cbranch_execnz .LBB1_24744
; %bb.60581:
	s_getpc_b64 s[14:15]
.Lpost_getpc15954:
	s_add_u32 s14, s14, (.LBB1_10406-.Lpost_getpc15954)&4294967295
	s_addc_u32 s15, s15, (.LBB1_10406-.Lpost_getpc15954)>>32
	s_setpc_b64 s[14:15]
.LBB1_24744:
	v_mov_b32_e32 v6, 0
	v_cmp_ne_u16_sdwa s[8:9], v3, v6 src0_sel:BYTE_0 src1_sel:DWORD
	s_andn2_b64 s[4:5], s[4:5], exec
	s_and_b64 s[8:9], s[8:9], exec
	s_or_b64 s[4:5], s[4:5], s[8:9]
	s_or_b64 exec, exec, s[6:7]
	s_and_saveexec_b64 s[6:7], s[4:5]
	s_cbranch_execz .LBB1_33875
; %bb.60583:
	s_getpc_b64 s[14:15]
.Lpost_getpc15955:
	s_add_u32 s14, s14, (.LBB1_10407-.Lpost_getpc15955)&4294967295
	s_addc_u32 s15, s15, (.LBB1_10407-.Lpost_getpc15955)>>32
	s_setpc_b64 s[14:15]
.LBB1_33875:
	s_getpc_b64 s[14:15]
.Lpost_getpc2601:
	s_add_u32 s14, s14, (.LBB1_10408-.Lpost_getpc2601)&4294967295
	s_addc_u32 s15, s15, (.LBB1_10408-.Lpost_getpc2601)>>32
	s_setpc_b64 s[14:15]
.LBB1_24745:
	s_movk_i32 s4, 0x80
	v_cmp_eq_u16_sdwa s[12:13], v6, s4 src0_sel:BYTE_0 src1_sel:DWORD
	s_mov_b64 s[4:5], -1
                                        ; implicit-def: $sgpr10
	s_and_saveexec_b64 s[8:9], s[12:13]
; %bb.24746:
	s_mov_b32 s10, 0x7f800001
	s_xor_b64 s[4:5], exec, -1
; %bb.24747:
	s_or_b64 exec, exec, s[8:9]
	s_and_b64 s[4:5], s[4:5], exec
	s_or_saveexec_b64 s[6:7], s[6:7]
	v_mov_b32_e32 v2, s10
	s_xor_b64 exec, exec, s[6:7]
	s_cbranch_execnz .LBB1_24748
; %bb.60585:
	s_getpc_b64 s[14:15]
.Lpost_getpc15956:
	s_add_u32 s14, s14, (.LBB1_10410-.Lpost_getpc15956)&4294967295
	s_addc_u32 s15, s15, (.LBB1_10410-.Lpost_getpc15956)>>32
	s_setpc_b64 s[14:15]
.LBB1_24748:
	v_mov_b32_e32 v2, 0
	v_cmp_ne_u16_sdwa s[8:9], v6, v2 src0_sel:BYTE_0 src1_sel:DWORD
	s_andn2_b64 s[4:5], s[4:5], exec
	s_and_b64 s[8:9], s[8:9], exec
	s_or_b64 s[4:5], s[4:5], s[8:9]
	s_or_b64 exec, exec, s[6:7]
	s_and_saveexec_b64 s[6:7], s[4:5]
	s_cbranch_execz .LBB1_33877
; %bb.60587:
	s_getpc_b64 s[14:15]
.Lpost_getpc15957:
	s_add_u32 s14, s14, (.LBB1_10411-.Lpost_getpc15957)&4294967295
	s_addc_u32 s15, s15, (.LBB1_10411-.Lpost_getpc15957)>>32
	s_setpc_b64 s[14:15]
.LBB1_33877:
	s_getpc_b64 s[14:15]
.Lpost_getpc2602:
	s_add_u32 s14, s14, (.LBB1_10412-.Lpost_getpc2602)&4294967295
	s_addc_u32 s15, s15, (.LBB1_10412-.Lpost_getpc2602)>>32
	s_setpc_b64 s[14:15]
.LBB1_24749:
	s_movk_i32 s4, 0x80
	v_cmp_eq_u16_sdwa s[12:13], v6, s4 src0_sel:BYTE_0 src1_sel:DWORD
	s_mov_b64 s[4:5], -1
                                        ; implicit-def: $sgpr10
	s_and_saveexec_b64 s[8:9], s[12:13]
; %bb.24750:
	s_mov_b32 s10, 0x7f800001
	s_xor_b64 s[4:5], exec, -1
; %bb.24751:
	s_or_b64 exec, exec, s[8:9]
	s_and_b64 s[4:5], s[4:5], exec
	s_or_saveexec_b64 s[6:7], s[6:7]
	v_mov_b32_e32 v12, s10
	s_xor_b64 exec, exec, s[6:7]
	s_cbranch_execnz .LBB1_24752
; %bb.60589:
	s_getpc_b64 s[14:15]
.Lpost_getpc15958:
	s_add_u32 s14, s14, (.LBB1_10414-.Lpost_getpc15958)&4294967295
	s_addc_u32 s15, s15, (.LBB1_10414-.Lpost_getpc15958)>>32
	s_setpc_b64 s[14:15]
.LBB1_24752:
	v_mov_b32_e32 v12, 0
	v_cmp_ne_u16_sdwa s[8:9], v6, v12 src0_sel:BYTE_0 src1_sel:DWORD
	s_andn2_b64 s[4:5], s[4:5], exec
	s_and_b64 s[8:9], s[8:9], exec
	s_or_b64 s[4:5], s[4:5], s[8:9]
	s_or_b64 exec, exec, s[6:7]
	s_and_saveexec_b64 s[6:7], s[4:5]
	s_cbranch_execz .LBB1_33879
; %bb.60591:
	s_getpc_b64 s[14:15]
.Lpost_getpc15959:
	s_add_u32 s14, s14, (.LBB1_10415-.Lpost_getpc15959)&4294967295
	s_addc_u32 s15, s15, (.LBB1_10415-.Lpost_getpc15959)>>32
	s_setpc_b64 s[14:15]
.LBB1_33879:
	s_getpc_b64 s[14:15]
.Lpost_getpc2603:
	s_add_u32 s14, s14, (.LBB1_10416-.Lpost_getpc2603)&4294967295
	s_addc_u32 s15, s15, (.LBB1_10416-.Lpost_getpc2603)>>32
	s_setpc_b64 s[14:15]
.LBB1_24753:
	s_movk_i32 s4, 0x80
	v_cmp_eq_u16_e32 vcc, s4, v6
	s_mov_b64 s[4:5], -1
                                        ; implicit-def: $sgpr10
	s_and_saveexec_b64 s[8:9], vcc
; %bb.24754:
	s_mov_b32 s10, 0x7f800001
	s_xor_b64 s[4:5], exec, -1
; %bb.24755:
	s_or_b64 exec, exec, s[8:9]
	s_and_b64 s[4:5], s[4:5], exec
                                        ; implicit-def: $vgpr6
	s_or_saveexec_b64 s[6:7], s[6:7]
	v_mov_b32_e32 v2, s10
	s_xor_b64 exec, exec, s[6:7]
	s_cbranch_execnz .LBB1_24756
; %bb.60593:
	s_getpc_b64 s[14:15]
.Lpost_getpc15960:
	s_add_u32 s14, s14, (.LBB1_10418-.Lpost_getpc15960)&4294967295
	s_addc_u32 s15, s15, (.LBB1_10418-.Lpost_getpc15960)>>32
	s_setpc_b64 s[14:15]
.LBB1_24756:
	v_cmp_ne_u16_e32 vcc, 0, v6
	s_andn2_b64 s[4:5], s[4:5], exec
	s_and_b64 s[8:9], vcc, exec
	v_mov_b32_e32 v2, 0
	s_or_b64 s[4:5], s[4:5], s[8:9]
	s_or_b64 exec, exec, s[6:7]
	s_and_saveexec_b64 s[6:7], s[4:5]
	s_cbranch_execz .LBB1_33881
; %bb.60595:
	s_getpc_b64 s[14:15]
.Lpost_getpc15961:
	s_add_u32 s14, s14, (.LBB1_10419-.Lpost_getpc15961)&4294967295
	s_addc_u32 s15, s15, (.LBB1_10419-.Lpost_getpc15961)>>32
	s_setpc_b64 s[14:15]
.LBB1_33881:
	s_getpc_b64 s[14:15]
.Lpost_getpc2604:
	s_add_u32 s14, s14, (.LBB1_10420-.Lpost_getpc2604)&4294967295
	s_addc_u32 s15, s15, (.LBB1_10420-.Lpost_getpc2604)>>32
	s_setpc_b64 s[14:15]
.LBB1_24757:
	s_movk_i32 s4, 0x80
	v_cmp_eq_u16_e32 vcc, s4, v6
	s_mov_b64 s[4:5], -1
                                        ; implicit-def: $sgpr10
	s_and_saveexec_b64 s[8:9], vcc
; %bb.24758:
	s_mov_b32 s10, 0x7f800001
	s_xor_b64 s[4:5], exec, -1
; %bb.24759:
	s_or_b64 exec, exec, s[8:9]
	s_and_b64 s[4:5], s[4:5], exec
                                        ; implicit-def: $vgpr6
	s_or_saveexec_b64 s[6:7], s[6:7]
	v_mov_b32_e32 v12, s10
	s_xor_b64 exec, exec, s[6:7]
	s_cbranch_execnz .LBB1_24760
; %bb.60597:
	s_getpc_b64 s[14:15]
.Lpost_getpc15962:
	s_add_u32 s14, s14, (.LBB1_10422-.Lpost_getpc15962)&4294967295
	s_addc_u32 s15, s15, (.LBB1_10422-.Lpost_getpc15962)>>32
	s_setpc_b64 s[14:15]
.LBB1_24760:
	v_cmp_ne_u16_e32 vcc, 0, v6
	s_andn2_b64 s[4:5], s[4:5], exec
	s_and_b64 s[8:9], vcc, exec
	v_mov_b32_e32 v12, 0
	s_or_b64 s[4:5], s[4:5], s[8:9]
	s_or_b64 exec, exec, s[6:7]
	s_and_saveexec_b64 s[6:7], s[4:5]
	s_cbranch_execz .LBB1_33883
; %bb.60599:
	s_getpc_b64 s[14:15]
.Lpost_getpc15963:
	s_add_u32 s14, s14, (.LBB1_10423-.Lpost_getpc15963)&4294967295
	s_addc_u32 s15, s15, (.LBB1_10423-.Lpost_getpc15963)>>32
	s_setpc_b64 s[14:15]
.LBB1_33883:
	s_getpc_b64 s[14:15]
.Lpost_getpc2605:
	s_add_u32 s14, s14, (.LBB1_10424-.Lpost_getpc2605)&4294967295
	s_addc_u32 s15, s15, (.LBB1_10424-.Lpost_getpc2605)>>32
	s_setpc_b64 s[14:15]
.LBB1_24761:
	s_movk_i32 s4, 0x80
	v_cmp_eq_u16_sdwa s[12:13], v7, s4 src0_sel:BYTE_3 src1_sel:DWORD
	s_mov_b64 s[4:5], -1
                                        ; implicit-def: $sgpr10
	s_and_saveexec_b64 s[8:9], s[12:13]
; %bb.24762:
	s_mov_b32 s10, 0x7f800001
	s_xor_b64 s[4:5], exec, -1
; %bb.24763:
	s_or_b64 exec, exec, s[8:9]
	s_and_b64 s[4:5], s[4:5], exec
	s_or_saveexec_b64 s[6:7], s[6:7]
	v_mov_b32_e32 v2, s10
	s_xor_b64 exec, exec, s[6:7]
	s_cbranch_execnz .LBB1_24764
; %bb.60601:
	s_getpc_b64 s[14:15]
.Lpost_getpc15964:
	s_add_u32 s14, s14, (.LBB1_10426-.Lpost_getpc15964)&4294967295
	s_addc_u32 s15, s15, (.LBB1_10426-.Lpost_getpc15964)>>32
	s_setpc_b64 s[14:15]
.LBB1_24764:
	v_mov_b32_e32 v2, 0
	v_cmp_ne_u16_sdwa s[8:9], v7, v2 src0_sel:BYTE_3 src1_sel:DWORD
	s_andn2_b64 s[4:5], s[4:5], exec
	s_and_b64 s[8:9], s[8:9], exec
	s_or_b64 s[4:5], s[4:5], s[8:9]
	s_or_b64 exec, exec, s[6:7]
	s_and_saveexec_b64 s[6:7], s[4:5]
	s_cbranch_execz .LBB1_33885
; %bb.60603:
	s_getpc_b64 s[14:15]
.Lpost_getpc15965:
	s_add_u32 s14, s14, (.LBB1_10427-.Lpost_getpc15965)&4294967295
	s_addc_u32 s15, s15, (.LBB1_10427-.Lpost_getpc15965)>>32
	s_setpc_b64 s[14:15]
.LBB1_33885:
	s_getpc_b64 s[14:15]
.Lpost_getpc2606:
	s_add_u32 s14, s14, (.LBB1_10428-.Lpost_getpc2606)&4294967295
	s_addc_u32 s15, s15, (.LBB1_10428-.Lpost_getpc2606)>>32
	s_setpc_b64 s[14:15]
.LBB1_24765:
	s_movk_i32 s4, 0x80
	v_cmp_eq_u16_sdwa s[12:13], v3, s4 src0_sel:BYTE_3 src1_sel:DWORD
	s_mov_b64 s[4:5], -1
                                        ; implicit-def: $sgpr10
	s_and_saveexec_b64 s[8:9], s[12:13]
; %bb.24766:
	s_mov_b32 s10, 0x7f800001
	s_xor_b64 s[4:5], exec, -1
; %bb.24767:
	s_or_b64 exec, exec, s[8:9]
	s_and_b64 s[4:5], s[4:5], exec
	s_or_saveexec_b64 s[6:7], s[6:7]
	v_mov_b32_e32 v6, s10
	s_xor_b64 exec, exec, s[6:7]
	s_cbranch_execnz .LBB1_24768
; %bb.60605:
	s_getpc_b64 s[14:15]
.Lpost_getpc15966:
	s_add_u32 s14, s14, (.LBB1_10430-.Lpost_getpc15966)&4294967295
	s_addc_u32 s15, s15, (.LBB1_10430-.Lpost_getpc15966)>>32
	s_setpc_b64 s[14:15]
.LBB1_24768:
	v_mov_b32_e32 v6, 0
	v_cmp_ne_u16_sdwa s[8:9], v3, v6 src0_sel:BYTE_3 src1_sel:DWORD
	s_andn2_b64 s[4:5], s[4:5], exec
	s_and_b64 s[8:9], s[8:9], exec
	s_or_b64 s[4:5], s[4:5], s[8:9]
	s_or_b64 exec, exec, s[6:7]
	s_and_saveexec_b64 s[6:7], s[4:5]
	s_cbranch_execz .LBB1_33887
; %bb.60607:
	s_getpc_b64 s[14:15]
.Lpost_getpc15967:
	s_add_u32 s14, s14, (.LBB1_10431-.Lpost_getpc15967)&4294967295
	s_addc_u32 s15, s15, (.LBB1_10431-.Lpost_getpc15967)>>32
	s_setpc_b64 s[14:15]
.LBB1_33887:
	s_getpc_b64 s[14:15]
.Lpost_getpc2607:
	s_add_u32 s14, s14, (.LBB1_10432-.Lpost_getpc2607)&4294967295
	s_addc_u32 s15, s15, (.LBB1_10432-.Lpost_getpc2607)>>32
	s_setpc_b64 s[14:15]
.LBB1_24769:
	s_movk_i32 s4, 0x80
	v_cmp_eq_u16_sdwa s[12:13], v8, s4 src0_sel:BYTE_0 src1_sel:DWORD
	s_mov_b64 s[4:5], -1
                                        ; implicit-def: $sgpr10
	s_and_saveexec_b64 s[8:9], s[12:13]
; %bb.24770:
	s_mov_b32 s10, 0x7f800001
	s_xor_b64 s[4:5], exec, -1
; %bb.24771:
	s_or_b64 exec, exec, s[8:9]
	s_and_b64 s[4:5], s[4:5], exec
	s_or_saveexec_b64 s[6:7], s[6:7]
	v_mov_b32_e32 v2, s10
	s_xor_b64 exec, exec, s[6:7]
	s_cbranch_execnz .LBB1_24772
; %bb.60609:
	s_getpc_b64 s[14:15]
.Lpost_getpc15968:
	s_add_u32 s14, s14, (.LBB1_10434-.Lpost_getpc15968)&4294967295
	s_addc_u32 s15, s15, (.LBB1_10434-.Lpost_getpc15968)>>32
	s_setpc_b64 s[14:15]
.LBB1_24772:
	v_mov_b32_e32 v2, 0
	v_cmp_ne_u16_sdwa s[8:9], v8, v2 src0_sel:BYTE_0 src1_sel:DWORD
	s_andn2_b64 s[4:5], s[4:5], exec
	s_and_b64 s[8:9], s[8:9], exec
	s_or_b64 s[4:5], s[4:5], s[8:9]
	s_or_b64 exec, exec, s[6:7]
	s_and_saveexec_b64 s[6:7], s[4:5]
	s_cbranch_execz .LBB1_33889
; %bb.60611:
	s_getpc_b64 s[14:15]
.Lpost_getpc15969:
	s_add_u32 s14, s14, (.LBB1_10435-.Lpost_getpc15969)&4294967295
	s_addc_u32 s15, s15, (.LBB1_10435-.Lpost_getpc15969)>>32
	s_setpc_b64 s[14:15]
.LBB1_33889:
	s_getpc_b64 s[14:15]
.Lpost_getpc2608:
	s_add_u32 s14, s14, (.LBB1_10436-.Lpost_getpc2608)&4294967295
	s_addc_u32 s15, s15, (.LBB1_10436-.Lpost_getpc2608)>>32
	s_setpc_b64 s[14:15]
.LBB1_24773:
	s_movk_i32 s4, 0x80
	v_cmp_eq_u16_sdwa s[12:13], v4, s4 src0_sel:BYTE_0 src1_sel:DWORD
	s_mov_b64 s[4:5], -1
                                        ; implicit-def: $sgpr10
	s_and_saveexec_b64 s[8:9], s[12:13]
; %bb.24774:
	s_mov_b32 s10, 0x7f800001
	s_xor_b64 s[4:5], exec, -1
; %bb.24775:
	s_or_b64 exec, exec, s[8:9]
	s_and_b64 s[4:5], s[4:5], exec
	s_or_saveexec_b64 s[6:7], s[6:7]
	v_mov_b32_e32 v3, s10
	s_xor_b64 exec, exec, s[6:7]
	s_cbranch_execnz .LBB1_24776
; %bb.60613:
	s_getpc_b64 s[14:15]
.Lpost_getpc15970:
	s_add_u32 s14, s14, (.LBB1_10438-.Lpost_getpc15970)&4294967295
	s_addc_u32 s15, s15, (.LBB1_10438-.Lpost_getpc15970)>>32
	s_setpc_b64 s[14:15]
.LBB1_24776:
	v_mov_b32_e32 v3, 0
	v_cmp_ne_u16_sdwa s[8:9], v4, v3 src0_sel:BYTE_0 src1_sel:DWORD
	s_andn2_b64 s[4:5], s[4:5], exec
	s_and_b64 s[8:9], s[8:9], exec
	s_or_b64 s[4:5], s[4:5], s[8:9]
	s_or_b64 exec, exec, s[6:7]
	s_and_saveexec_b64 s[6:7], s[4:5]
	s_cbranch_execz .LBB1_33891
; %bb.60615:
	s_getpc_b64 s[14:15]
.Lpost_getpc15971:
	s_add_u32 s14, s14, (.LBB1_10439-.Lpost_getpc15971)&4294967295
	s_addc_u32 s15, s15, (.LBB1_10439-.Lpost_getpc15971)>>32
	s_setpc_b64 s[14:15]
.LBB1_33891:
	s_getpc_b64 s[14:15]
.Lpost_getpc2609:
	s_add_u32 s14, s14, (.LBB1_10440-.Lpost_getpc2609)&4294967295
	s_addc_u32 s15, s15, (.LBB1_10440-.Lpost_getpc2609)>>32
	s_setpc_b64 s[14:15]
.LBB1_24777:
	s_movk_i32 s4, 0x80
	v_cmp_eq_u16_sdwa s[12:13], v3, s4 src0_sel:BYTE_0 src1_sel:DWORD
	s_mov_b64 s[4:5], -1
                                        ; implicit-def: $sgpr10
	s_and_saveexec_b64 s[8:9], s[12:13]
; %bb.24778:
	s_mov_b32 s10, 0x7f800001
	s_xor_b64 s[4:5], exec, -1
; %bb.24779:
	s_or_b64 exec, exec, s[8:9]
	s_and_b64 s[4:5], s[4:5], exec
	s_or_saveexec_b64 s[6:7], s[6:7]
	v_mov_b32_e32 v2, s10
	s_xor_b64 exec, exec, s[6:7]
	s_cbranch_execnz .LBB1_24780
; %bb.60617:
	s_getpc_b64 s[14:15]
.Lpost_getpc15972:
	s_add_u32 s14, s14, (.LBB1_10442-.Lpost_getpc15972)&4294967295
	s_addc_u32 s15, s15, (.LBB1_10442-.Lpost_getpc15972)>>32
	s_setpc_b64 s[14:15]
.LBB1_24780:
	v_mov_b32_e32 v2, 0
	v_cmp_ne_u16_sdwa s[8:9], v3, v2 src0_sel:BYTE_0 src1_sel:DWORD
	s_andn2_b64 s[4:5], s[4:5], exec
	s_and_b64 s[8:9], s[8:9], exec
	s_or_b64 s[4:5], s[4:5], s[8:9]
	s_or_b64 exec, exec, s[6:7]
	s_and_saveexec_b64 s[6:7], s[4:5]
	s_cbranch_execz .LBB1_33893
; %bb.60619:
	s_getpc_b64 s[14:15]
.Lpost_getpc15973:
	s_add_u32 s14, s14, (.LBB1_10443-.Lpost_getpc15973)&4294967295
	s_addc_u32 s15, s15, (.LBB1_10443-.Lpost_getpc15973)>>32
	s_setpc_b64 s[14:15]
.LBB1_33893:
	s_getpc_b64 s[14:15]
.Lpost_getpc2610:
	s_add_u32 s14, s14, (.LBB1_10444-.Lpost_getpc2610)&4294967295
	s_addc_u32 s15, s15, (.LBB1_10444-.Lpost_getpc2610)>>32
	s_setpc_b64 s[14:15]
.LBB1_24781:
	s_movk_i32 s4, 0x80
	v_cmp_eq_u16_sdwa s[12:13], v3, s4 src0_sel:BYTE_0 src1_sel:DWORD
	s_mov_b64 s[4:5], -1
                                        ; implicit-def: $sgpr10
	s_and_saveexec_b64 s[8:9], s[12:13]
; %bb.24782:
	s_mov_b32 s10, 0x7f800001
	s_xor_b64 s[4:5], exec, -1
; %bb.24783:
	s_or_b64 exec, exec, s[8:9]
	s_and_b64 s[4:5], s[4:5], exec
	s_or_saveexec_b64 s[6:7], s[6:7]
	v_mov_b32_e32 v6, s10
	s_xor_b64 exec, exec, s[6:7]
	s_cbranch_execnz .LBB1_24784
; %bb.60621:
	s_getpc_b64 s[14:15]
.Lpost_getpc15974:
	s_add_u32 s14, s14, (.LBB1_10446-.Lpost_getpc15974)&4294967295
	s_addc_u32 s15, s15, (.LBB1_10446-.Lpost_getpc15974)>>32
	s_setpc_b64 s[14:15]
.LBB1_24784:
	v_mov_b32_e32 v6, 0
	v_cmp_ne_u16_sdwa s[8:9], v3, v6 src0_sel:BYTE_0 src1_sel:DWORD
	s_andn2_b64 s[4:5], s[4:5], exec
	s_and_b64 s[8:9], s[8:9], exec
	s_or_b64 s[4:5], s[4:5], s[8:9]
	s_or_b64 exec, exec, s[6:7]
	s_and_saveexec_b64 s[6:7], s[4:5]
	s_cbranch_execz .LBB1_33895
; %bb.60623:
	s_getpc_b64 s[14:15]
.Lpost_getpc15975:
	s_add_u32 s14, s14, (.LBB1_10447-.Lpost_getpc15975)&4294967295
	s_addc_u32 s15, s15, (.LBB1_10447-.Lpost_getpc15975)>>32
	s_setpc_b64 s[14:15]
.LBB1_33895:
	s_getpc_b64 s[14:15]
.Lpost_getpc2611:
	s_add_u32 s14, s14, (.LBB1_10448-.Lpost_getpc2611)&4294967295
	s_addc_u32 s15, s15, (.LBB1_10448-.Lpost_getpc2611)>>32
	s_setpc_b64 s[14:15]
.LBB1_24785:
	s_movk_i32 s4, 0x80
	v_cmp_eq_u16_e32 vcc, s4, v3
	s_mov_b64 s[4:5], -1
                                        ; implicit-def: $sgpr10
	s_and_saveexec_b64 s[8:9], vcc
; %bb.24786:
	s_mov_b32 s10, 0x7f800001
	s_xor_b64 s[4:5], exec, -1
; %bb.24787:
	s_or_b64 exec, exec, s[8:9]
	s_and_b64 s[4:5], s[4:5], exec
                                        ; implicit-def: $vgpr3
	s_or_saveexec_b64 s[6:7], s[6:7]
	v_mov_b32_e32 v2, s10
	s_xor_b64 exec, exec, s[6:7]
	s_cbranch_execnz .LBB1_24788
; %bb.60625:
	s_getpc_b64 s[14:15]
.Lpost_getpc15976:
	s_add_u32 s14, s14, (.LBB1_10450-.Lpost_getpc15976)&4294967295
	s_addc_u32 s15, s15, (.LBB1_10450-.Lpost_getpc15976)>>32
	s_setpc_b64 s[14:15]
.LBB1_24788:
	v_cmp_ne_u16_e32 vcc, 0, v3
	s_andn2_b64 s[4:5], s[4:5], exec
	s_and_b64 s[8:9], vcc, exec
	v_mov_b32_e32 v2, 0
	s_or_b64 s[4:5], s[4:5], s[8:9]
	s_or_b64 exec, exec, s[6:7]
	s_and_saveexec_b64 s[6:7], s[4:5]
	s_cbranch_execz .LBB1_33897
; %bb.60627:
	s_getpc_b64 s[14:15]
.Lpost_getpc15977:
	s_add_u32 s14, s14, (.LBB1_10451-.Lpost_getpc15977)&4294967295
	s_addc_u32 s15, s15, (.LBB1_10451-.Lpost_getpc15977)>>32
	s_setpc_b64 s[14:15]
.LBB1_33897:
	s_getpc_b64 s[14:15]
.Lpost_getpc2612:
	s_add_u32 s14, s14, (.LBB1_10452-.Lpost_getpc2612)&4294967295
	s_addc_u32 s15, s15, (.LBB1_10452-.Lpost_getpc2612)>>32
	s_setpc_b64 s[14:15]
.LBB1_24789:
	s_movk_i32 s4, 0x80
	v_cmp_eq_u16_e32 vcc, s4, v3
	s_mov_b64 s[4:5], -1
                                        ; implicit-def: $sgpr10
	s_and_saveexec_b64 s[8:9], vcc
; %bb.24790:
	s_mov_b32 s10, 0x7f800001
	s_xor_b64 s[4:5], exec, -1
; %bb.24791:
	s_or_b64 exec, exec, s[8:9]
	s_and_b64 s[4:5], s[4:5], exec
                                        ; implicit-def: $vgpr3
	s_or_saveexec_b64 s[6:7], s[6:7]
	v_mov_b32_e32 v6, s10
	s_xor_b64 exec, exec, s[6:7]
	s_cbranch_execnz .LBB1_24792
; %bb.60629:
	s_getpc_b64 s[14:15]
.Lpost_getpc15978:
	s_add_u32 s14, s14, (.LBB1_10454-.Lpost_getpc15978)&4294967295
	s_addc_u32 s15, s15, (.LBB1_10454-.Lpost_getpc15978)>>32
	s_setpc_b64 s[14:15]
.LBB1_24792:
	v_cmp_ne_u16_e32 vcc, 0, v3
	s_andn2_b64 s[4:5], s[4:5], exec
	s_and_b64 s[8:9], vcc, exec
	v_mov_b32_e32 v6, 0
	s_or_b64 s[4:5], s[4:5], s[8:9]
	s_or_b64 exec, exec, s[6:7]
	s_and_saveexec_b64 s[6:7], s[4:5]
	s_cbranch_execz .LBB1_33899
; %bb.60631:
	s_getpc_b64 s[14:15]
.Lpost_getpc15979:
	s_add_u32 s14, s14, (.LBB1_10455-.Lpost_getpc15979)&4294967295
	s_addc_u32 s15, s15, (.LBB1_10455-.Lpost_getpc15979)>>32
	s_setpc_b64 s[14:15]
.LBB1_33899:
	s_getpc_b64 s[14:15]
.Lpost_getpc2613:
	s_add_u32 s14, s14, (.LBB1_10456-.Lpost_getpc2613)&4294967295
	s_addc_u32 s15, s15, (.LBB1_10456-.Lpost_getpc2613)>>32
	s_setpc_b64 s[14:15]
.LBB1_24793:
	s_movk_i32 s4, 0x80
	v_cmp_eq_u16_sdwa s[12:13], v8, s4 src0_sel:BYTE_3 src1_sel:DWORD
	s_mov_b64 s[4:5], -1
                                        ; implicit-def: $sgpr10
	s_and_saveexec_b64 s[8:9], s[12:13]
; %bb.24794:
	s_mov_b32 s10, 0x7f800001
	s_xor_b64 s[4:5], exec, -1
; %bb.24795:
	s_or_b64 exec, exec, s[8:9]
	s_and_b64 s[4:5], s[4:5], exec
	s_or_saveexec_b64 s[6:7], s[6:7]
	v_mov_b32_e32 v2, s10
	s_xor_b64 exec, exec, s[6:7]
	s_cbranch_execnz .LBB1_24796
; %bb.60633:
	s_getpc_b64 s[14:15]
.Lpost_getpc15980:
	s_add_u32 s14, s14, (.LBB1_10458-.Lpost_getpc15980)&4294967295
	s_addc_u32 s15, s15, (.LBB1_10458-.Lpost_getpc15980)>>32
	s_setpc_b64 s[14:15]
.LBB1_24796:
	v_mov_b32_e32 v2, 0
	v_cmp_ne_u16_sdwa s[8:9], v8, v2 src0_sel:BYTE_3 src1_sel:DWORD
	s_andn2_b64 s[4:5], s[4:5], exec
	s_and_b64 s[8:9], s[8:9], exec
	s_or_b64 s[4:5], s[4:5], s[8:9]
	s_or_b64 exec, exec, s[6:7]
	s_and_saveexec_b64 s[6:7], s[4:5]
	s_cbranch_execz .LBB1_33901
; %bb.60635:
	s_getpc_b64 s[14:15]
.Lpost_getpc15981:
	s_add_u32 s14, s14, (.LBB1_10459-.Lpost_getpc15981)&4294967295
	s_addc_u32 s15, s15, (.LBB1_10459-.Lpost_getpc15981)>>32
	s_setpc_b64 s[14:15]
.LBB1_33901:
	s_getpc_b64 s[14:15]
.Lpost_getpc2614:
	s_add_u32 s14, s14, (.LBB1_10460-.Lpost_getpc2614)&4294967295
	s_addc_u32 s15, s15, (.LBB1_10460-.Lpost_getpc2614)>>32
	s_setpc_b64 s[14:15]
.LBB1_24797:
	s_movk_i32 s4, 0x80
	v_cmp_eq_u16_sdwa s[12:13], v4, s4 src0_sel:BYTE_3 src1_sel:DWORD
	s_mov_b64 s[4:5], -1
                                        ; implicit-def: $sgpr10
	s_and_saveexec_b64 s[8:9], s[12:13]
; %bb.24798:
	s_mov_b32 s10, 0x7f800001
	s_xor_b64 s[4:5], exec, -1
; %bb.24799:
	s_or_b64 exec, exec, s[8:9]
	s_and_b64 s[4:5], s[4:5], exec
	s_or_saveexec_b64 s[6:7], s[6:7]
	v_mov_b32_e32 v3, s10
	s_xor_b64 exec, exec, s[6:7]
	s_cbranch_execnz .LBB1_24800
; %bb.60637:
	s_getpc_b64 s[14:15]
.Lpost_getpc15982:
	s_add_u32 s14, s14, (.LBB1_10462-.Lpost_getpc15982)&4294967295
	s_addc_u32 s15, s15, (.LBB1_10462-.Lpost_getpc15982)>>32
	s_setpc_b64 s[14:15]
.LBB1_24800:
	v_mov_b32_e32 v3, 0
	v_cmp_ne_u16_sdwa s[8:9], v4, v3 src0_sel:BYTE_3 src1_sel:DWORD
	s_andn2_b64 s[4:5], s[4:5], exec
	s_and_b64 s[8:9], s[8:9], exec
	s_or_b64 s[4:5], s[4:5], s[8:9]
	s_or_b64 exec, exec, s[6:7]
	s_and_saveexec_b64 s[6:7], s[4:5]
	s_cbranch_execz .LBB1_33903
; %bb.60639:
	s_getpc_b64 s[14:15]
.Lpost_getpc15983:
	s_add_u32 s14, s14, (.LBB1_10463-.Lpost_getpc15983)&4294967295
	s_addc_u32 s15, s15, (.LBB1_10463-.Lpost_getpc15983)>>32
	s_setpc_b64 s[14:15]
.LBB1_33903:
	s_getpc_b64 s[14:15]
.Lpost_getpc2615:
	s_add_u32 s14, s14, (.LBB1_10464-.Lpost_getpc2615)&4294967295
	s_addc_u32 s15, s15, (.LBB1_10464-.Lpost_getpc2615)>>32
	s_setpc_b64 s[14:15]
.LBB1_24801:
	s_movk_i32 s4, 0x80
	v_cmp_eq_u16_sdwa s[12:13], v9, s4 src0_sel:BYTE_0 src1_sel:DWORD
	s_mov_b64 s[4:5], -1
                                        ; implicit-def: $sgpr10
	s_and_saveexec_b64 s[8:9], s[12:13]
; %bb.24802:
	s_mov_b32 s10, 0x7f800001
	s_xor_b64 s[4:5], exec, -1
; %bb.24803:
	s_or_b64 exec, exec, s[8:9]
	s_and_b64 s[4:5], s[4:5], exec
	s_or_saveexec_b64 s[6:7], s[6:7]
	v_mov_b32_e32 v2, s10
	s_xor_b64 exec, exec, s[6:7]
	s_cbranch_execnz .LBB1_24804
; %bb.60641:
	s_getpc_b64 s[14:15]
.Lpost_getpc15984:
	s_add_u32 s14, s14, (.LBB1_10466-.Lpost_getpc15984)&4294967295
	s_addc_u32 s15, s15, (.LBB1_10466-.Lpost_getpc15984)>>32
	s_setpc_b64 s[14:15]
.LBB1_24804:
	v_mov_b32_e32 v2, 0
	v_cmp_ne_u16_sdwa s[8:9], v9, v2 src0_sel:BYTE_0 src1_sel:DWORD
	s_andn2_b64 s[4:5], s[4:5], exec
	s_and_b64 s[8:9], s[8:9], exec
	s_or_b64 s[4:5], s[4:5], s[8:9]
	s_or_b64 exec, exec, s[6:7]
	s_and_saveexec_b64 s[6:7], s[4:5]
	s_cbranch_execz .LBB1_33905
; %bb.60643:
	s_getpc_b64 s[14:15]
.Lpost_getpc15985:
	s_add_u32 s14, s14, (.LBB1_10467-.Lpost_getpc15985)&4294967295
	s_addc_u32 s15, s15, (.LBB1_10467-.Lpost_getpc15985)>>32
	s_setpc_b64 s[14:15]
.LBB1_33905:
	s_getpc_b64 s[14:15]
.Lpost_getpc2616:
	s_add_u32 s14, s14, (.LBB1_10468-.Lpost_getpc2616)&4294967295
	s_addc_u32 s15, s15, (.LBB1_10468-.Lpost_getpc2616)>>32
	s_setpc_b64 s[14:15]
.LBB1_24805:
	s_movk_i32 s4, 0x80
	v_cmp_eq_u16_sdwa s[12:13], v5, s4 src0_sel:BYTE_0 src1_sel:DWORD
	s_mov_b64 s[4:5], -1
                                        ; implicit-def: $sgpr10
	s_and_saveexec_b64 s[8:9], s[12:13]
; %bb.24806:
	s_mov_b32 s10, 0x7f800001
	s_xor_b64 s[4:5], exec, -1
; %bb.24807:
	s_or_b64 exec, exec, s[8:9]
	s_and_b64 s[4:5], s[4:5], exec
	s_or_saveexec_b64 s[6:7], s[6:7]
	v_mov_b32_e32 v3, s10
	s_xor_b64 exec, exec, s[6:7]
	s_cbranch_execnz .LBB1_24808
; %bb.60645:
	s_getpc_b64 s[14:15]
.Lpost_getpc15986:
	s_add_u32 s14, s14, (.LBB1_10470-.Lpost_getpc15986)&4294967295
	s_addc_u32 s15, s15, (.LBB1_10470-.Lpost_getpc15986)>>32
	s_setpc_b64 s[14:15]
.LBB1_24808:
	v_mov_b32_e32 v3, 0
	v_cmp_ne_u16_sdwa s[8:9], v5, v3 src0_sel:BYTE_0 src1_sel:DWORD
	s_andn2_b64 s[4:5], s[4:5], exec
	s_and_b64 s[8:9], s[8:9], exec
	s_or_b64 s[4:5], s[4:5], s[8:9]
	s_or_b64 exec, exec, s[6:7]
	s_and_saveexec_b64 s[6:7], s[4:5]
	s_cbranch_execz .LBB1_33907
; %bb.60647:
	s_getpc_b64 s[14:15]
.Lpost_getpc15987:
	s_add_u32 s14, s14, (.LBB1_10471-.Lpost_getpc15987)&4294967295
	s_addc_u32 s15, s15, (.LBB1_10471-.Lpost_getpc15987)>>32
	s_setpc_b64 s[14:15]
.LBB1_33907:
	s_getpc_b64 s[14:15]
.Lpost_getpc2617:
	s_add_u32 s14, s14, (.LBB1_10472-.Lpost_getpc2617)&4294967295
	s_addc_u32 s15, s15, (.LBB1_10472-.Lpost_getpc2617)>>32
	s_setpc_b64 s[14:15]
.LBB1_24809:
	s_movk_i32 s4, 0x80
	v_cmp_eq_u16_sdwa s[12:13], v3, s4 src0_sel:BYTE_0 src1_sel:DWORD
	s_mov_b64 s[4:5], -1
                                        ; implicit-def: $sgpr10
	s_and_saveexec_b64 s[8:9], s[12:13]
; %bb.24810:
	s_mov_b32 s10, 0x7f800001
	s_xor_b64 s[4:5], exec, -1
; %bb.24811:
	s_or_b64 exec, exec, s[8:9]
	s_and_b64 s[4:5], s[4:5], exec
	s_or_saveexec_b64 s[6:7], s[6:7]
	v_mov_b32_e32 v2, s10
	s_xor_b64 exec, exec, s[6:7]
	s_cbranch_execnz .LBB1_24812
; %bb.60649:
	s_getpc_b64 s[14:15]
.Lpost_getpc15988:
	s_add_u32 s14, s14, (.LBB1_10474-.Lpost_getpc15988)&4294967295
	s_addc_u32 s15, s15, (.LBB1_10474-.Lpost_getpc15988)>>32
	s_setpc_b64 s[14:15]
.LBB1_24812:
	v_mov_b32_e32 v2, 0
	v_cmp_ne_u16_sdwa s[8:9], v3, v2 src0_sel:BYTE_0 src1_sel:DWORD
	s_andn2_b64 s[4:5], s[4:5], exec
	s_and_b64 s[8:9], s[8:9], exec
	s_or_b64 s[4:5], s[4:5], s[8:9]
	s_or_b64 exec, exec, s[6:7]
	s_and_saveexec_b64 s[6:7], s[4:5]
	s_cbranch_execz .LBB1_33909
; %bb.60651:
	s_getpc_b64 s[14:15]
.Lpost_getpc15989:
	s_add_u32 s14, s14, (.LBB1_10475-.Lpost_getpc15989)&4294967295
	s_addc_u32 s15, s15, (.LBB1_10475-.Lpost_getpc15989)>>32
	s_setpc_b64 s[14:15]
.LBB1_33909:
	s_getpc_b64 s[14:15]
.Lpost_getpc2618:
	s_add_u32 s14, s14, (.LBB1_10476-.Lpost_getpc2618)&4294967295
	s_addc_u32 s15, s15, (.LBB1_10476-.Lpost_getpc2618)>>32
	s_setpc_b64 s[14:15]
.LBB1_24813:
	s_movk_i32 s4, 0x80
	v_cmp_eq_u16_sdwa s[12:13], v3, s4 src0_sel:BYTE_0 src1_sel:DWORD
	s_mov_b64 s[4:5], -1
                                        ; implicit-def: $sgpr10
	s_and_saveexec_b64 s[8:9], s[12:13]
; %bb.24814:
	s_mov_b32 s10, 0x7f800001
	s_xor_b64 s[4:5], exec, -1
; %bb.24815:
	s_or_b64 exec, exec, s[8:9]
	s_and_b64 s[4:5], s[4:5], exec
	s_or_saveexec_b64 s[6:7], s[6:7]
	v_mov_b32_e32 v4, s10
	s_xor_b64 exec, exec, s[6:7]
	s_cbranch_execnz .LBB1_24816
; %bb.60653:
	s_getpc_b64 s[14:15]
.Lpost_getpc15990:
	s_add_u32 s14, s14, (.LBB1_10478-.Lpost_getpc15990)&4294967295
	s_addc_u32 s15, s15, (.LBB1_10478-.Lpost_getpc15990)>>32
	s_setpc_b64 s[14:15]
.LBB1_24816:
	v_mov_b32_e32 v4, 0
	v_cmp_ne_u16_sdwa s[8:9], v3, v4 src0_sel:BYTE_0 src1_sel:DWORD
	s_andn2_b64 s[4:5], s[4:5], exec
	s_and_b64 s[8:9], s[8:9], exec
	s_or_b64 s[4:5], s[4:5], s[8:9]
	s_or_b64 exec, exec, s[6:7]
	s_and_saveexec_b64 s[6:7], s[4:5]
	s_cbranch_execz .LBB1_33911
; %bb.60655:
	s_getpc_b64 s[14:15]
.Lpost_getpc15991:
	s_add_u32 s14, s14, (.LBB1_10479-.Lpost_getpc15991)&4294967295
	s_addc_u32 s15, s15, (.LBB1_10479-.Lpost_getpc15991)>>32
	s_setpc_b64 s[14:15]
.LBB1_33911:
	s_getpc_b64 s[14:15]
.Lpost_getpc2619:
	s_add_u32 s14, s14, (.LBB1_10480-.Lpost_getpc2619)&4294967295
	s_addc_u32 s15, s15, (.LBB1_10480-.Lpost_getpc2619)>>32
	s_setpc_b64 s[14:15]
.LBB1_24817:
	s_movk_i32 s4, 0x80
	v_cmp_eq_u16_e32 vcc, s4, v3
	s_mov_b64 s[4:5], -1
                                        ; implicit-def: $sgpr10
	s_and_saveexec_b64 s[8:9], vcc
; %bb.24818:
	s_mov_b32 s10, 0x7f800001
	s_xor_b64 s[4:5], exec, -1
; %bb.24819:
	s_or_b64 exec, exec, s[8:9]
	s_and_b64 s[4:5], s[4:5], exec
                                        ; implicit-def: $vgpr3
	s_or_saveexec_b64 s[6:7], s[6:7]
	v_mov_b32_e32 v2, s10
	s_xor_b64 exec, exec, s[6:7]
	s_cbranch_execnz .LBB1_24820
; %bb.60657:
	s_getpc_b64 s[14:15]
.Lpost_getpc15992:
	s_add_u32 s14, s14, (.LBB1_10482-.Lpost_getpc15992)&4294967295
	s_addc_u32 s15, s15, (.LBB1_10482-.Lpost_getpc15992)>>32
	s_setpc_b64 s[14:15]
.LBB1_24820:
	v_cmp_ne_u16_e32 vcc, 0, v3
	s_andn2_b64 s[4:5], s[4:5], exec
	s_and_b64 s[8:9], vcc, exec
	v_mov_b32_e32 v2, 0
	s_or_b64 s[4:5], s[4:5], s[8:9]
	s_or_b64 exec, exec, s[6:7]
	s_and_saveexec_b64 s[6:7], s[4:5]
	s_cbranch_execz .LBB1_33913
; %bb.60659:
	s_getpc_b64 s[14:15]
.Lpost_getpc15993:
	s_add_u32 s14, s14, (.LBB1_10483-.Lpost_getpc15993)&4294967295
	s_addc_u32 s15, s15, (.LBB1_10483-.Lpost_getpc15993)>>32
	s_setpc_b64 s[14:15]
.LBB1_33913:
	s_getpc_b64 s[14:15]
.Lpost_getpc2620:
	s_add_u32 s14, s14, (.LBB1_10484-.Lpost_getpc2620)&4294967295
	s_addc_u32 s15, s15, (.LBB1_10484-.Lpost_getpc2620)>>32
	s_setpc_b64 s[14:15]
.LBB1_24821:
	s_movk_i32 s4, 0x80
	v_cmp_eq_u16_e32 vcc, s4, v3
	s_mov_b64 s[4:5], -1
                                        ; implicit-def: $sgpr10
	s_and_saveexec_b64 s[8:9], vcc
; %bb.24822:
	s_mov_b32 s10, 0x7f800001
	s_xor_b64 s[4:5], exec, -1
; %bb.24823:
	s_or_b64 exec, exec, s[8:9]
	s_and_b64 s[4:5], s[4:5], exec
                                        ; implicit-def: $vgpr3
	s_or_saveexec_b64 s[6:7], s[6:7]
	v_mov_b32_e32 v4, s10
	s_xor_b64 exec, exec, s[6:7]
	s_cbranch_execnz .LBB1_24824
; %bb.60661:
	s_getpc_b64 s[14:15]
.Lpost_getpc15994:
	s_add_u32 s14, s14, (.LBB1_10486-.Lpost_getpc15994)&4294967295
	s_addc_u32 s15, s15, (.LBB1_10486-.Lpost_getpc15994)>>32
	s_setpc_b64 s[14:15]
.LBB1_24824:
	v_cmp_ne_u16_e32 vcc, 0, v3
	s_andn2_b64 s[4:5], s[4:5], exec
	s_and_b64 s[8:9], vcc, exec
	v_mov_b32_e32 v4, 0
	s_or_b64 s[4:5], s[4:5], s[8:9]
	s_or_b64 exec, exec, s[6:7]
	s_and_saveexec_b64 s[6:7], s[4:5]
	s_cbranch_execz .LBB1_33915
; %bb.60663:
	s_getpc_b64 s[14:15]
.Lpost_getpc15995:
	s_add_u32 s14, s14, (.LBB1_10487-.Lpost_getpc15995)&4294967295
	s_addc_u32 s15, s15, (.LBB1_10487-.Lpost_getpc15995)>>32
	s_setpc_b64 s[14:15]
.LBB1_33915:
	s_getpc_b64 s[14:15]
.Lpost_getpc2621:
	s_add_u32 s14, s14, (.LBB1_10488-.Lpost_getpc2621)&4294967295
	s_addc_u32 s15, s15, (.LBB1_10488-.Lpost_getpc2621)>>32
	s_setpc_b64 s[14:15]
.LBB1_24825:
	s_movk_i32 s4, 0x80
	v_cmp_eq_u16_sdwa s[12:13], v9, s4 src0_sel:BYTE_3 src1_sel:DWORD
	s_mov_b64 s[4:5], -1
                                        ; implicit-def: $sgpr10
	s_and_saveexec_b64 s[8:9], s[12:13]
; %bb.24826:
	s_mov_b32 s10, 0x7f800001
	s_xor_b64 s[4:5], exec, -1
; %bb.24827:
	s_or_b64 exec, exec, s[8:9]
	s_and_b64 s[4:5], s[4:5], exec
	s_or_saveexec_b64 s[6:7], s[6:7]
	v_mov_b32_e32 v2, s10
	s_xor_b64 exec, exec, s[6:7]
	s_cbranch_execnz .LBB1_24828
; %bb.60665:
	s_getpc_b64 s[14:15]
.Lpost_getpc15996:
	s_add_u32 s14, s14, (.LBB1_10490-.Lpost_getpc15996)&4294967295
	s_addc_u32 s15, s15, (.LBB1_10490-.Lpost_getpc15996)>>32
	s_setpc_b64 s[14:15]
.LBB1_24828:
	v_mov_b32_e32 v2, 0
	v_cmp_ne_u16_sdwa s[8:9], v9, v2 src0_sel:BYTE_3 src1_sel:DWORD
	s_andn2_b64 s[4:5], s[4:5], exec
	s_and_b64 s[8:9], s[8:9], exec
	s_or_b64 s[4:5], s[4:5], s[8:9]
	s_or_b64 exec, exec, s[6:7]
	s_and_saveexec_b64 s[6:7], s[4:5]
	s_cbranch_execz .LBB1_33917
; %bb.60667:
	s_getpc_b64 s[14:15]
.Lpost_getpc15997:
	s_add_u32 s14, s14, (.LBB1_10491-.Lpost_getpc15997)&4294967295
	s_addc_u32 s15, s15, (.LBB1_10491-.Lpost_getpc15997)>>32
	s_setpc_b64 s[14:15]
.LBB1_33917:
	s_getpc_b64 s[14:15]
.Lpost_getpc2622:
	s_add_u32 s14, s14, (.LBB1_10492-.Lpost_getpc2622)&4294967295
	s_addc_u32 s15, s15, (.LBB1_10492-.Lpost_getpc2622)>>32
	s_setpc_b64 s[14:15]
.LBB1_24829:
	s_movk_i32 s4, 0x80
	v_cmp_eq_u16_sdwa s[12:13], v5, s4 src0_sel:BYTE_3 src1_sel:DWORD
	s_mov_b64 s[4:5], -1
                                        ; implicit-def: $sgpr10
	s_and_saveexec_b64 s[8:9], s[12:13]
; %bb.24830:
	s_mov_b32 s10, 0x7f800001
	s_xor_b64 s[4:5], exec, -1
; %bb.24831:
	s_or_b64 exec, exec, s[8:9]
	s_and_b64 s[4:5], s[4:5], exec
	s_or_saveexec_b64 s[6:7], s[6:7]
	v_mov_b32_e32 v3, s10
	s_xor_b64 exec, exec, s[6:7]
	s_cbranch_execnz .LBB1_24832
; %bb.60669:
	s_getpc_b64 s[14:15]
.Lpost_getpc15998:
	s_add_u32 s14, s14, (.LBB1_10494-.Lpost_getpc15998)&4294967295
	s_addc_u32 s15, s15, (.LBB1_10494-.Lpost_getpc15998)>>32
	s_setpc_b64 s[14:15]
.LBB1_24832:
	v_mov_b32_e32 v3, 0
	v_cmp_ne_u16_sdwa s[8:9], v5, v3 src0_sel:BYTE_3 src1_sel:DWORD
	s_andn2_b64 s[4:5], s[4:5], exec
	s_and_b64 s[8:9], s[8:9], exec
	s_or_b64 s[4:5], s[4:5], s[8:9]
	s_or_b64 exec, exec, s[6:7]
	s_and_saveexec_b64 s[6:7], s[4:5]
	s_cbranch_execz .LBB1_33919
; %bb.60671:
	s_getpc_b64 s[14:15]
.Lpost_getpc15999:
	s_add_u32 s14, s14, (.LBB1_10495-.Lpost_getpc15999)&4294967295
	s_addc_u32 s15, s15, (.LBB1_10495-.Lpost_getpc15999)>>32
	s_setpc_b64 s[14:15]
.LBB1_33919:
	s_getpc_b64 s[14:15]
.Lpost_getpc2623:
	s_add_u32 s14, s14, (.LBB1_10496-.Lpost_getpc2623)&4294967295
	s_addc_u32 s15, s15, (.LBB1_10496-.Lpost_getpc2623)>>32
	s_setpc_b64 s[14:15]
.LBB1_24833:
	s_movk_i32 s4, 0x80
	v_cmp_eq_u16_sdwa s[12:13], v6, s4 src0_sel:BYTE_0 src1_sel:DWORD
	s_mov_b64 s[4:5], -1
                                        ; implicit-def: $sgpr10
	s_and_saveexec_b64 s[8:9], s[12:13]
; %bb.24834:
	s_mov_b32 s10, 0x7f800001
	s_xor_b64 s[4:5], exec, -1
; %bb.24835:
	s_or_b64 exec, exec, s[8:9]
	s_and_b64 s[4:5], s[4:5], exec
	s_or_saveexec_b64 s[6:7], s[6:7]
	v_mov_b32_e32 v12, s10
	s_xor_b64 exec, exec, s[6:7]
	s_cbranch_execnz .LBB1_24836
; %bb.60673:
	s_getpc_b64 s[14:15]
.Lpost_getpc16000:
	s_add_u32 s14, s14, (.LBB1_10498-.Lpost_getpc16000)&4294967295
	s_addc_u32 s15, s15, (.LBB1_10498-.Lpost_getpc16000)>>32
	s_setpc_b64 s[14:15]
.LBB1_24836:
	v_mov_b32_e32 v12, 0
	v_cmp_ne_u16_sdwa s[8:9], v6, v12 src0_sel:BYTE_0 src1_sel:DWORD
	s_andn2_b64 s[4:5], s[4:5], exec
	s_and_b64 s[8:9], s[8:9], exec
	s_or_b64 s[4:5], s[4:5], s[8:9]
	s_or_b64 exec, exec, s[6:7]
	s_and_saveexec_b64 s[6:7], s[4:5]
	s_cbranch_execz .LBB1_33921
; %bb.60675:
	s_getpc_b64 s[14:15]
.Lpost_getpc16001:
	s_add_u32 s14, s14, (.LBB1_10499-.Lpost_getpc16001)&4294967295
	s_addc_u32 s15, s15, (.LBB1_10499-.Lpost_getpc16001)>>32
	s_setpc_b64 s[14:15]
.LBB1_33921:
	s_getpc_b64 s[14:15]
.Lpost_getpc2624:
	s_add_u32 s14, s14, (.LBB1_10500-.Lpost_getpc2624)&4294967295
	s_addc_u32 s15, s15, (.LBB1_10500-.Lpost_getpc2624)>>32
	s_setpc_b64 s[14:15]
.LBB1_24837:
	s_movk_i32 s4, 0x80
	v_cmp_eq_u16_sdwa s[12:13], v2, s4 src0_sel:BYTE_0 src1_sel:DWORD
	s_mov_b64 s[4:5], -1
                                        ; implicit-def: $sgpr10
	s_and_saveexec_b64 s[8:9], s[12:13]
; %bb.24838:
	s_mov_b32 s10, 0x7f800001
	s_xor_b64 s[4:5], exec, -1
; %bb.24839:
	s_or_b64 exec, exec, s[8:9]
	s_and_b64 s[4:5], s[4:5], exec
	s_or_saveexec_b64 s[6:7], s[6:7]
	v_mov_b32_e32 v13, s10
	s_xor_b64 exec, exec, s[6:7]
	s_cbranch_execnz .LBB1_24840
; %bb.60677:
	s_getpc_b64 s[14:15]
.Lpost_getpc16002:
	s_add_u32 s14, s14, (.LBB1_10502-.Lpost_getpc16002)&4294967295
	s_addc_u32 s15, s15, (.LBB1_10502-.Lpost_getpc16002)>>32
	s_setpc_b64 s[14:15]
.LBB1_24840:
	v_mov_b32_e32 v13, 0
	v_cmp_ne_u16_sdwa s[8:9], v2, v13 src0_sel:BYTE_0 src1_sel:DWORD
	s_andn2_b64 s[4:5], s[4:5], exec
	s_and_b64 s[8:9], s[8:9], exec
	s_or_b64 s[4:5], s[4:5], s[8:9]
	s_or_b64 exec, exec, s[6:7]
	s_and_saveexec_b64 s[6:7], s[4:5]
	s_cbranch_execz .LBB1_33923
; %bb.60679:
	s_getpc_b64 s[14:15]
.Lpost_getpc16003:
	s_add_u32 s14, s14, (.LBB1_10503-.Lpost_getpc16003)&4294967295
	s_addc_u32 s15, s15, (.LBB1_10503-.Lpost_getpc16003)>>32
	s_setpc_b64 s[14:15]
.LBB1_33923:
	s_getpc_b64 s[14:15]
.Lpost_getpc2625:
	s_add_u32 s14, s14, (.LBB1_10504-.Lpost_getpc2625)&4294967295
	s_addc_u32 s15, s15, (.LBB1_10504-.Lpost_getpc2625)>>32
	s_setpc_b64 s[14:15]
.LBB1_24841:
	s_movk_i32 s4, 0x80
	v_cmp_eq_u16_sdwa s[12:13], v13, s4 src0_sel:BYTE_0 src1_sel:DWORD
	s_mov_b64 s[4:5], -1
                                        ; implicit-def: $sgpr10
	s_and_saveexec_b64 s[8:9], s[12:13]
; %bb.24842:
	s_mov_b32 s10, 0x7f800001
	s_xor_b64 s[4:5], exec, -1
; %bb.24843:
	s_or_b64 exec, exec, s[8:9]
	s_and_b64 s[4:5], s[4:5], exec
	s_or_saveexec_b64 s[6:7], s[6:7]
	v_mov_b32_e32 v12, s10
	s_xor_b64 exec, exec, s[6:7]
	s_cbranch_execnz .LBB1_24844
; %bb.60681:
	s_getpc_b64 s[14:15]
.Lpost_getpc16004:
	s_add_u32 s14, s14, (.LBB1_10506-.Lpost_getpc16004)&4294967295
	s_addc_u32 s15, s15, (.LBB1_10506-.Lpost_getpc16004)>>32
	s_setpc_b64 s[14:15]
.LBB1_24844:
	v_mov_b32_e32 v12, 0
	v_cmp_ne_u16_sdwa s[8:9], v13, v12 src0_sel:BYTE_0 src1_sel:DWORD
	s_andn2_b64 s[4:5], s[4:5], exec
	s_and_b64 s[8:9], s[8:9], exec
	s_or_b64 s[4:5], s[4:5], s[8:9]
	s_or_b64 exec, exec, s[6:7]
	s_and_saveexec_b64 s[6:7], s[4:5]
	s_cbranch_execz .LBB1_33925
; %bb.60683:
	s_getpc_b64 s[14:15]
.Lpost_getpc16005:
	s_add_u32 s14, s14, (.LBB1_10507-.Lpost_getpc16005)&4294967295
	s_addc_u32 s15, s15, (.LBB1_10507-.Lpost_getpc16005)>>32
	s_setpc_b64 s[14:15]
.LBB1_33925:
	s_getpc_b64 s[14:15]
.Lpost_getpc2626:
	s_add_u32 s14, s14, (.LBB1_10508-.Lpost_getpc2626)&4294967295
	s_addc_u32 s15, s15, (.LBB1_10508-.Lpost_getpc2626)>>32
	s_setpc_b64 s[14:15]
.LBB1_24845:
	s_movk_i32 s4, 0x80
	v_cmp_eq_u16_sdwa s[12:13], v13, s4 src0_sel:BYTE_0 src1_sel:DWORD
	s_mov_b64 s[4:5], -1
                                        ; implicit-def: $sgpr10
	s_and_saveexec_b64 s[8:9], s[12:13]
; %bb.24846:
	s_mov_b32 s10, 0x7f800001
	s_xor_b64 s[4:5], exec, -1
; %bb.24847:
	s_or_b64 exec, exec, s[8:9]
	s_and_b64 s[4:5], s[4:5], exec
	s_or_saveexec_b64 s[6:7], s[6:7]
	v_mov_b32_e32 v14, s10
	s_xor_b64 exec, exec, s[6:7]
	s_cbranch_execnz .LBB1_24848
; %bb.60685:
	s_getpc_b64 s[14:15]
.Lpost_getpc16006:
	s_add_u32 s14, s14, (.LBB1_10510-.Lpost_getpc16006)&4294967295
	s_addc_u32 s15, s15, (.LBB1_10510-.Lpost_getpc16006)>>32
	s_setpc_b64 s[14:15]
.LBB1_24848:
	v_mov_b32_e32 v14, 0
	v_cmp_ne_u16_sdwa s[8:9], v13, v14 src0_sel:BYTE_0 src1_sel:DWORD
	s_andn2_b64 s[4:5], s[4:5], exec
	s_and_b64 s[8:9], s[8:9], exec
	s_or_b64 s[4:5], s[4:5], s[8:9]
	s_or_b64 exec, exec, s[6:7]
	s_and_saveexec_b64 s[6:7], s[4:5]
	s_cbranch_execz .LBB1_33927
; %bb.60687:
	s_getpc_b64 s[14:15]
.Lpost_getpc16007:
	s_add_u32 s14, s14, (.LBB1_10511-.Lpost_getpc16007)&4294967295
	s_addc_u32 s15, s15, (.LBB1_10511-.Lpost_getpc16007)>>32
	s_setpc_b64 s[14:15]
.LBB1_33927:
	s_getpc_b64 s[14:15]
.Lpost_getpc2627:
	s_add_u32 s14, s14, (.LBB1_10512-.Lpost_getpc2627)&4294967295
	s_addc_u32 s15, s15, (.LBB1_10512-.Lpost_getpc2627)>>32
	s_setpc_b64 s[14:15]
.LBB1_24849:
	s_movk_i32 s4, 0x80
	v_cmp_eq_u16_e32 vcc, s4, v13
	s_mov_b64 s[4:5], -1
                                        ; implicit-def: $sgpr10
	s_and_saveexec_b64 s[8:9], vcc
; %bb.24850:
	s_mov_b32 s10, 0x7f800001
	s_xor_b64 s[4:5], exec, -1
; %bb.24851:
	s_or_b64 exec, exec, s[8:9]
	s_and_b64 s[4:5], s[4:5], exec
                                        ; implicit-def: $vgpr13
	s_or_saveexec_b64 s[6:7], s[6:7]
	v_mov_b32_e32 v12, s10
	s_xor_b64 exec, exec, s[6:7]
	s_cbranch_execnz .LBB1_24852
; %bb.60689:
	s_getpc_b64 s[14:15]
.Lpost_getpc16008:
	s_add_u32 s14, s14, (.LBB1_10514-.Lpost_getpc16008)&4294967295
	s_addc_u32 s15, s15, (.LBB1_10514-.Lpost_getpc16008)>>32
	s_setpc_b64 s[14:15]
.LBB1_24852:
	v_cmp_ne_u16_e32 vcc, 0, v13
	s_andn2_b64 s[4:5], s[4:5], exec
	s_and_b64 s[8:9], vcc, exec
	v_mov_b32_e32 v12, 0
	s_or_b64 s[4:5], s[4:5], s[8:9]
	s_or_b64 exec, exec, s[6:7]
	s_and_saveexec_b64 s[6:7], s[4:5]
	s_cbranch_execz .LBB1_33929
; %bb.60691:
	s_getpc_b64 s[14:15]
.Lpost_getpc16009:
	s_add_u32 s14, s14, (.LBB1_10515-.Lpost_getpc16009)&4294967295
	s_addc_u32 s15, s15, (.LBB1_10515-.Lpost_getpc16009)>>32
	s_setpc_b64 s[14:15]
.LBB1_33929:
	s_getpc_b64 s[14:15]
.Lpost_getpc2628:
	s_add_u32 s14, s14, (.LBB1_10516-.Lpost_getpc2628)&4294967295
	s_addc_u32 s15, s15, (.LBB1_10516-.Lpost_getpc2628)>>32
	s_setpc_b64 s[14:15]
.LBB1_24853:
	s_movk_i32 s4, 0x80
	v_cmp_eq_u16_e32 vcc, s4, v13
	s_mov_b64 s[4:5], -1
                                        ; implicit-def: $sgpr10
	s_and_saveexec_b64 s[8:9], vcc
; %bb.24854:
	s_mov_b32 s10, 0x7f800001
	s_xor_b64 s[4:5], exec, -1
; %bb.24855:
	s_or_b64 exec, exec, s[8:9]
	s_and_b64 s[4:5], s[4:5], exec
                                        ; implicit-def: $vgpr13
	s_or_saveexec_b64 s[6:7], s[6:7]
	v_mov_b32_e32 v14, s10
	s_xor_b64 exec, exec, s[6:7]
	s_cbranch_execnz .LBB1_24856
; %bb.60693:
	s_getpc_b64 s[14:15]
.Lpost_getpc16010:
	s_add_u32 s14, s14, (.LBB1_10518-.Lpost_getpc16010)&4294967295
	s_addc_u32 s15, s15, (.LBB1_10518-.Lpost_getpc16010)>>32
	s_setpc_b64 s[14:15]
.LBB1_24856:
	v_cmp_ne_u16_e32 vcc, 0, v13
	s_andn2_b64 s[4:5], s[4:5], exec
	s_and_b64 s[8:9], vcc, exec
	v_mov_b32_e32 v14, 0
	s_or_b64 s[4:5], s[4:5], s[8:9]
	s_or_b64 exec, exec, s[6:7]
	s_and_saveexec_b64 s[6:7], s[4:5]
	s_cbranch_execz .LBB1_33931
; %bb.60695:
	s_getpc_b64 s[14:15]
.Lpost_getpc16011:
	s_add_u32 s14, s14, (.LBB1_10519-.Lpost_getpc16011)&4294967295
	s_addc_u32 s15, s15, (.LBB1_10519-.Lpost_getpc16011)>>32
	s_setpc_b64 s[14:15]
.LBB1_33931:
	s_getpc_b64 s[14:15]
.Lpost_getpc2629:
	s_add_u32 s14, s14, (.LBB1_10520-.Lpost_getpc2629)&4294967295
	s_addc_u32 s15, s15, (.LBB1_10520-.Lpost_getpc2629)>>32
	s_setpc_b64 s[14:15]
.LBB1_24857:
	s_movk_i32 s4, 0x80
	v_cmp_eq_u16_sdwa s[12:13], v6, s4 src0_sel:BYTE_3 src1_sel:DWORD
	s_mov_b64 s[4:5], -1
                                        ; implicit-def: $sgpr10
	s_and_saveexec_b64 s[8:9], s[12:13]
; %bb.24858:
	s_mov_b32 s10, 0x7f800001
	s_xor_b64 s[4:5], exec, -1
; %bb.24859:
	s_or_b64 exec, exec, s[8:9]
	s_and_b64 s[4:5], s[4:5], exec
	s_or_saveexec_b64 s[6:7], s[6:7]
	v_mov_b32_e32 v12, s10
	s_xor_b64 exec, exec, s[6:7]
	s_cbranch_execnz .LBB1_24860
; %bb.60697:
	s_getpc_b64 s[14:15]
.Lpost_getpc16012:
	s_add_u32 s14, s14, (.LBB1_10522-.Lpost_getpc16012)&4294967295
	s_addc_u32 s15, s15, (.LBB1_10522-.Lpost_getpc16012)>>32
	s_setpc_b64 s[14:15]
.LBB1_24860:
	v_mov_b32_e32 v12, 0
	v_cmp_ne_u16_sdwa s[8:9], v6, v12 src0_sel:BYTE_3 src1_sel:DWORD
	s_andn2_b64 s[4:5], s[4:5], exec
	s_and_b64 s[8:9], s[8:9], exec
	s_or_b64 s[4:5], s[4:5], s[8:9]
	s_or_b64 exec, exec, s[6:7]
	s_and_saveexec_b64 s[6:7], s[4:5]
	s_cbranch_execz .LBB1_33933
; %bb.60699:
	s_getpc_b64 s[14:15]
.Lpost_getpc16013:
	s_add_u32 s14, s14, (.LBB1_10523-.Lpost_getpc16013)&4294967295
	s_addc_u32 s15, s15, (.LBB1_10523-.Lpost_getpc16013)>>32
	s_setpc_b64 s[14:15]
.LBB1_33933:
	s_getpc_b64 s[14:15]
.Lpost_getpc2630:
	s_add_u32 s14, s14, (.LBB1_10524-.Lpost_getpc2630)&4294967295
	s_addc_u32 s15, s15, (.LBB1_10524-.Lpost_getpc2630)>>32
	s_setpc_b64 s[14:15]
.LBB1_24861:
	s_movk_i32 s4, 0x80
	v_cmp_eq_u16_sdwa s[12:13], v2, s4 src0_sel:BYTE_3 src1_sel:DWORD
	s_mov_b64 s[4:5], -1
                                        ; implicit-def: $sgpr10
	s_and_saveexec_b64 s[8:9], s[12:13]
; %bb.24862:
	s_mov_b32 s10, 0x7f800001
	s_xor_b64 s[4:5], exec, -1
; %bb.24863:
	s_or_b64 exec, exec, s[8:9]
	s_and_b64 s[4:5], s[4:5], exec
	s_or_saveexec_b64 s[6:7], s[6:7]
	v_mov_b32_e32 v6, s10
	s_xor_b64 exec, exec, s[6:7]
	s_cbranch_execnz .LBB1_24864
; %bb.60701:
	s_getpc_b64 s[14:15]
.Lpost_getpc16014:
	s_add_u32 s14, s14, (.LBB1_10526-.Lpost_getpc16014)&4294967295
	s_addc_u32 s15, s15, (.LBB1_10526-.Lpost_getpc16014)>>32
	s_setpc_b64 s[14:15]
.LBB1_24864:
	v_mov_b32_e32 v6, 0
	v_cmp_ne_u16_sdwa s[8:9], v2, v6 src0_sel:BYTE_3 src1_sel:DWORD
	s_andn2_b64 s[4:5], s[4:5], exec
	s_and_b64 s[8:9], s[8:9], exec
	s_or_b64 s[4:5], s[4:5], s[8:9]
	s_or_b64 exec, exec, s[6:7]
	s_and_saveexec_b64 s[6:7], s[4:5]
	s_cbranch_execz .LBB1_33935
; %bb.60703:
	s_getpc_b64 s[14:15]
.Lpost_getpc16015:
	s_add_u32 s14, s14, (.LBB1_10527-.Lpost_getpc16015)&4294967295
	s_addc_u32 s15, s15, (.LBB1_10527-.Lpost_getpc16015)>>32
	s_setpc_b64 s[14:15]
.LBB1_33935:
	s_getpc_b64 s[14:15]
.Lpost_getpc2631:
	s_add_u32 s14, s14, (.LBB1_10528-.Lpost_getpc2631)&4294967295
	s_addc_u32 s15, s15, (.LBB1_10528-.Lpost_getpc2631)>>32
	s_setpc_b64 s[14:15]
.LBB1_24865:
	s_movk_i32 s4, 0x80
	v_cmp_eq_u16_sdwa s[12:13], v7, s4 src0_sel:BYTE_0 src1_sel:DWORD
	s_mov_b64 s[4:5], -1
                                        ; implicit-def: $sgpr10
	s_and_saveexec_b64 s[8:9], s[12:13]
; %bb.24866:
	s_mov_b32 s10, 0x7f800001
	s_xor_b64 s[4:5], exec, -1
; %bb.24867:
	s_or_b64 exec, exec, s[8:9]
	s_and_b64 s[4:5], s[4:5], exec
	s_or_saveexec_b64 s[6:7], s[6:7]
	v_mov_b32_e32 v2, s10
	s_xor_b64 exec, exec, s[6:7]
	s_cbranch_execnz .LBB1_24868
; %bb.60705:
	s_getpc_b64 s[14:15]
.Lpost_getpc16016:
	s_add_u32 s14, s14, (.LBB1_10530-.Lpost_getpc16016)&4294967295
	s_addc_u32 s15, s15, (.LBB1_10530-.Lpost_getpc16016)>>32
	s_setpc_b64 s[14:15]
.LBB1_24868:
	v_mov_b32_e32 v2, 0
	v_cmp_ne_u16_sdwa s[8:9], v7, v2 src0_sel:BYTE_0 src1_sel:DWORD
	s_andn2_b64 s[4:5], s[4:5], exec
	s_and_b64 s[8:9], s[8:9], exec
	s_or_b64 s[4:5], s[4:5], s[8:9]
	s_or_b64 exec, exec, s[6:7]
	s_and_saveexec_b64 s[6:7], s[4:5]
	s_cbranch_execz .LBB1_33937
; %bb.60707:
	s_getpc_b64 s[14:15]
.Lpost_getpc16017:
	s_add_u32 s14, s14, (.LBB1_10531-.Lpost_getpc16017)&4294967295
	s_addc_u32 s15, s15, (.LBB1_10531-.Lpost_getpc16017)>>32
	s_setpc_b64 s[14:15]
.LBB1_33937:
	s_getpc_b64 s[14:15]
.Lpost_getpc2632:
	s_add_u32 s14, s14, (.LBB1_10532-.Lpost_getpc2632)&4294967295
	s_addc_u32 s15, s15, (.LBB1_10532-.Lpost_getpc2632)>>32
	s_setpc_b64 s[14:15]
.LBB1_24869:
	s_movk_i32 s4, 0x80
	v_cmp_eq_u16_sdwa s[12:13], v3, s4 src0_sel:BYTE_0 src1_sel:DWORD
	s_mov_b64 s[4:5], -1
                                        ; implicit-def: $sgpr10
	s_and_saveexec_b64 s[8:9], s[12:13]
; %bb.24870:
	s_mov_b32 s10, 0x7f800001
	s_xor_b64 s[4:5], exec, -1
; %bb.24871:
	s_or_b64 exec, exec, s[8:9]
	s_and_b64 s[4:5], s[4:5], exec
	s_or_saveexec_b64 s[6:7], s[6:7]
	v_mov_b32_e32 v6, s10
	s_xor_b64 exec, exec, s[6:7]
	s_cbranch_execnz .LBB1_24872
; %bb.60709:
	s_getpc_b64 s[14:15]
.Lpost_getpc16018:
	s_add_u32 s14, s14, (.LBB1_10534-.Lpost_getpc16018)&4294967295
	s_addc_u32 s15, s15, (.LBB1_10534-.Lpost_getpc16018)>>32
	s_setpc_b64 s[14:15]
.LBB1_24872:
	v_mov_b32_e32 v6, 0
	v_cmp_ne_u16_sdwa s[8:9], v3, v6 src0_sel:BYTE_0 src1_sel:DWORD
	s_andn2_b64 s[4:5], s[4:5], exec
	s_and_b64 s[8:9], s[8:9], exec
	s_or_b64 s[4:5], s[4:5], s[8:9]
	s_or_b64 exec, exec, s[6:7]
	s_and_saveexec_b64 s[6:7], s[4:5]
	s_cbranch_execz .LBB1_33939
; %bb.60711:
	s_getpc_b64 s[14:15]
.Lpost_getpc16019:
	s_add_u32 s14, s14, (.LBB1_10535-.Lpost_getpc16019)&4294967295
	s_addc_u32 s15, s15, (.LBB1_10535-.Lpost_getpc16019)>>32
	s_setpc_b64 s[14:15]
.LBB1_33939:
	s_getpc_b64 s[14:15]
.Lpost_getpc2633:
	s_add_u32 s14, s14, (.LBB1_10536-.Lpost_getpc2633)&4294967295
	s_addc_u32 s15, s15, (.LBB1_10536-.Lpost_getpc2633)>>32
	s_setpc_b64 s[14:15]
.LBB1_24873:
	s_movk_i32 s4, 0x80
	v_cmp_eq_u16_sdwa s[12:13], v6, s4 src0_sel:BYTE_0 src1_sel:DWORD
	s_mov_b64 s[4:5], -1
                                        ; implicit-def: $sgpr10
	s_and_saveexec_b64 s[8:9], s[12:13]
; %bb.24874:
	s_mov_b32 s10, 0x7f800001
	s_xor_b64 s[4:5], exec, -1
; %bb.24875:
	s_or_b64 exec, exec, s[8:9]
	s_and_b64 s[4:5], s[4:5], exec
	s_or_saveexec_b64 s[6:7], s[6:7]
	v_mov_b32_e32 v2, s10
	s_xor_b64 exec, exec, s[6:7]
	s_cbranch_execnz .LBB1_24876
; %bb.60713:
	s_getpc_b64 s[14:15]
.Lpost_getpc16020:
	s_add_u32 s14, s14, (.LBB1_10538-.Lpost_getpc16020)&4294967295
	s_addc_u32 s15, s15, (.LBB1_10538-.Lpost_getpc16020)>>32
	s_setpc_b64 s[14:15]
.LBB1_24876:
	v_mov_b32_e32 v2, 0
	v_cmp_ne_u16_sdwa s[8:9], v6, v2 src0_sel:BYTE_0 src1_sel:DWORD
	s_andn2_b64 s[4:5], s[4:5], exec
	s_and_b64 s[8:9], s[8:9], exec
	s_or_b64 s[4:5], s[4:5], s[8:9]
	s_or_b64 exec, exec, s[6:7]
	s_and_saveexec_b64 s[6:7], s[4:5]
	s_cbranch_execz .LBB1_33941
; %bb.60715:
	s_getpc_b64 s[14:15]
.Lpost_getpc16021:
	s_add_u32 s14, s14, (.LBB1_10539-.Lpost_getpc16021)&4294967295
	s_addc_u32 s15, s15, (.LBB1_10539-.Lpost_getpc16021)>>32
	s_setpc_b64 s[14:15]
.LBB1_33941:
	s_getpc_b64 s[14:15]
.Lpost_getpc2634:
	s_add_u32 s14, s14, (.LBB1_10540-.Lpost_getpc2634)&4294967295
	s_addc_u32 s15, s15, (.LBB1_10540-.Lpost_getpc2634)>>32
	s_setpc_b64 s[14:15]
.LBB1_24877:
	s_movk_i32 s4, 0x80
	v_cmp_eq_u16_sdwa s[12:13], v6, s4 src0_sel:BYTE_0 src1_sel:DWORD
	s_mov_b64 s[4:5], -1
                                        ; implicit-def: $sgpr10
	s_and_saveexec_b64 s[8:9], s[12:13]
; %bb.24878:
	s_mov_b32 s10, 0x7f800001
	s_xor_b64 s[4:5], exec, -1
; %bb.24879:
	s_or_b64 exec, exec, s[8:9]
	s_and_b64 s[4:5], s[4:5], exec
	s_or_saveexec_b64 s[6:7], s[6:7]
	v_mov_b32_e32 v12, s10
	s_xor_b64 exec, exec, s[6:7]
	s_cbranch_execnz .LBB1_24880
; %bb.60717:
	s_getpc_b64 s[14:15]
.Lpost_getpc16022:
	s_add_u32 s14, s14, (.LBB1_10542-.Lpost_getpc16022)&4294967295
	s_addc_u32 s15, s15, (.LBB1_10542-.Lpost_getpc16022)>>32
	s_setpc_b64 s[14:15]
.LBB1_24880:
	v_mov_b32_e32 v12, 0
	v_cmp_ne_u16_sdwa s[8:9], v6, v12 src0_sel:BYTE_0 src1_sel:DWORD
	s_andn2_b64 s[4:5], s[4:5], exec
	s_and_b64 s[8:9], s[8:9], exec
	s_or_b64 s[4:5], s[4:5], s[8:9]
	s_or_b64 exec, exec, s[6:7]
	s_and_saveexec_b64 s[6:7], s[4:5]
	s_cbranch_execz .LBB1_33943
; %bb.60719:
	s_getpc_b64 s[14:15]
.Lpost_getpc16023:
	s_add_u32 s14, s14, (.LBB1_10543-.Lpost_getpc16023)&4294967295
	s_addc_u32 s15, s15, (.LBB1_10543-.Lpost_getpc16023)>>32
	s_setpc_b64 s[14:15]
.LBB1_33943:
	s_getpc_b64 s[14:15]
.Lpost_getpc2635:
	s_add_u32 s14, s14, (.LBB1_10544-.Lpost_getpc2635)&4294967295
	s_addc_u32 s15, s15, (.LBB1_10544-.Lpost_getpc2635)>>32
	s_setpc_b64 s[14:15]
.LBB1_24881:
	s_movk_i32 s4, 0x80
	v_cmp_eq_u16_e32 vcc, s4, v6
	s_mov_b64 s[4:5], -1
                                        ; implicit-def: $sgpr10
	s_and_saveexec_b64 s[8:9], vcc
; %bb.24882:
	s_mov_b32 s10, 0x7f800001
	s_xor_b64 s[4:5], exec, -1
; %bb.24883:
	s_or_b64 exec, exec, s[8:9]
	s_and_b64 s[4:5], s[4:5], exec
                                        ; implicit-def: $vgpr6
	s_or_saveexec_b64 s[6:7], s[6:7]
	v_mov_b32_e32 v2, s10
	s_xor_b64 exec, exec, s[6:7]
	s_cbranch_execnz .LBB1_24884
; %bb.60721:
	s_getpc_b64 s[14:15]
.Lpost_getpc16024:
	s_add_u32 s14, s14, (.LBB1_10546-.Lpost_getpc16024)&4294967295
	s_addc_u32 s15, s15, (.LBB1_10546-.Lpost_getpc16024)>>32
	s_setpc_b64 s[14:15]
.LBB1_24884:
	v_cmp_ne_u16_e32 vcc, 0, v6
	s_andn2_b64 s[4:5], s[4:5], exec
	s_and_b64 s[8:9], vcc, exec
	v_mov_b32_e32 v2, 0
	s_or_b64 s[4:5], s[4:5], s[8:9]
	s_or_b64 exec, exec, s[6:7]
	s_and_saveexec_b64 s[6:7], s[4:5]
	s_cbranch_execz .LBB1_33945
; %bb.60723:
	s_getpc_b64 s[14:15]
.Lpost_getpc16025:
	s_add_u32 s14, s14, (.LBB1_10547-.Lpost_getpc16025)&4294967295
	s_addc_u32 s15, s15, (.LBB1_10547-.Lpost_getpc16025)>>32
	s_setpc_b64 s[14:15]
.LBB1_33945:
	s_getpc_b64 s[14:15]
.Lpost_getpc2636:
	s_add_u32 s14, s14, (.LBB1_10548-.Lpost_getpc2636)&4294967295
	s_addc_u32 s15, s15, (.LBB1_10548-.Lpost_getpc2636)>>32
	s_setpc_b64 s[14:15]
.LBB1_24885:
	s_movk_i32 s4, 0x80
	v_cmp_eq_u16_e32 vcc, s4, v6
	s_mov_b64 s[4:5], -1
                                        ; implicit-def: $sgpr10
	s_and_saveexec_b64 s[8:9], vcc
; %bb.24886:
	s_mov_b32 s10, 0x7f800001
	s_xor_b64 s[4:5], exec, -1
; %bb.24887:
	s_or_b64 exec, exec, s[8:9]
	s_and_b64 s[4:5], s[4:5], exec
                                        ; implicit-def: $vgpr6
	s_or_saveexec_b64 s[6:7], s[6:7]
	v_mov_b32_e32 v12, s10
	s_xor_b64 exec, exec, s[6:7]
	s_cbranch_execnz .LBB1_24888
; %bb.60725:
	s_getpc_b64 s[14:15]
.Lpost_getpc16026:
	s_add_u32 s14, s14, (.LBB1_10550-.Lpost_getpc16026)&4294967295
	s_addc_u32 s15, s15, (.LBB1_10550-.Lpost_getpc16026)>>32
	s_setpc_b64 s[14:15]
.LBB1_24888:
	v_cmp_ne_u16_e32 vcc, 0, v6
	s_andn2_b64 s[4:5], s[4:5], exec
	s_and_b64 s[8:9], vcc, exec
	v_mov_b32_e32 v12, 0
	s_or_b64 s[4:5], s[4:5], s[8:9]
	s_or_b64 exec, exec, s[6:7]
	s_and_saveexec_b64 s[6:7], s[4:5]
	s_cbranch_execz .LBB1_33947
; %bb.60727:
	s_getpc_b64 s[14:15]
.Lpost_getpc16027:
	s_add_u32 s14, s14, (.LBB1_10551-.Lpost_getpc16027)&4294967295
	s_addc_u32 s15, s15, (.LBB1_10551-.Lpost_getpc16027)>>32
	s_setpc_b64 s[14:15]
.LBB1_33947:
	s_getpc_b64 s[14:15]
.Lpost_getpc2637:
	s_add_u32 s14, s14, (.LBB1_10552-.Lpost_getpc2637)&4294967295
	s_addc_u32 s15, s15, (.LBB1_10552-.Lpost_getpc2637)>>32
	s_setpc_b64 s[14:15]
.LBB1_24889:
	s_movk_i32 s4, 0x80
	v_cmp_eq_u16_sdwa s[12:13], v7, s4 src0_sel:BYTE_3 src1_sel:DWORD
	s_mov_b64 s[4:5], -1
                                        ; implicit-def: $sgpr10
	s_and_saveexec_b64 s[8:9], s[12:13]
; %bb.24890:
	s_mov_b32 s10, 0x7f800001
	s_xor_b64 s[4:5], exec, -1
; %bb.24891:
	s_or_b64 exec, exec, s[8:9]
	s_and_b64 s[4:5], s[4:5], exec
	s_or_saveexec_b64 s[6:7], s[6:7]
	v_mov_b32_e32 v2, s10
	s_xor_b64 exec, exec, s[6:7]
	s_cbranch_execnz .LBB1_24892
; %bb.60729:
	s_getpc_b64 s[14:15]
.Lpost_getpc16028:
	s_add_u32 s14, s14, (.LBB1_10554-.Lpost_getpc16028)&4294967295
	s_addc_u32 s15, s15, (.LBB1_10554-.Lpost_getpc16028)>>32
	s_setpc_b64 s[14:15]
.LBB1_24892:
	v_mov_b32_e32 v2, 0
	v_cmp_ne_u16_sdwa s[8:9], v7, v2 src0_sel:BYTE_3 src1_sel:DWORD
	s_andn2_b64 s[4:5], s[4:5], exec
	s_and_b64 s[8:9], s[8:9], exec
	s_or_b64 s[4:5], s[4:5], s[8:9]
	s_or_b64 exec, exec, s[6:7]
	s_and_saveexec_b64 s[6:7], s[4:5]
	s_cbranch_execz .LBB1_33949
; %bb.60731:
	s_getpc_b64 s[14:15]
.Lpost_getpc16029:
	s_add_u32 s14, s14, (.LBB1_10555-.Lpost_getpc16029)&4294967295
	s_addc_u32 s15, s15, (.LBB1_10555-.Lpost_getpc16029)>>32
	s_setpc_b64 s[14:15]
.LBB1_33949:
	s_getpc_b64 s[14:15]
.Lpost_getpc2638:
	s_add_u32 s14, s14, (.LBB1_10556-.Lpost_getpc2638)&4294967295
	s_addc_u32 s15, s15, (.LBB1_10556-.Lpost_getpc2638)>>32
	s_setpc_b64 s[14:15]
.LBB1_24893:
	s_movk_i32 s4, 0x80
	v_cmp_eq_u16_sdwa s[12:13], v3, s4 src0_sel:BYTE_3 src1_sel:DWORD
	s_mov_b64 s[4:5], -1
                                        ; implicit-def: $sgpr10
	s_and_saveexec_b64 s[8:9], s[12:13]
; %bb.24894:
	s_mov_b32 s10, 0x7f800001
	s_xor_b64 s[4:5], exec, -1
; %bb.24895:
	s_or_b64 exec, exec, s[8:9]
	s_and_b64 s[4:5], s[4:5], exec
	s_or_saveexec_b64 s[6:7], s[6:7]
	v_mov_b32_e32 v6, s10
	s_xor_b64 exec, exec, s[6:7]
	s_cbranch_execnz .LBB1_24896
; %bb.60733:
	s_getpc_b64 s[14:15]
.Lpost_getpc16030:
	s_add_u32 s14, s14, (.LBB1_10558-.Lpost_getpc16030)&4294967295
	s_addc_u32 s15, s15, (.LBB1_10558-.Lpost_getpc16030)>>32
	s_setpc_b64 s[14:15]
.LBB1_24896:
	v_mov_b32_e32 v6, 0
	v_cmp_ne_u16_sdwa s[8:9], v3, v6 src0_sel:BYTE_3 src1_sel:DWORD
	s_andn2_b64 s[4:5], s[4:5], exec
	s_and_b64 s[8:9], s[8:9], exec
	s_or_b64 s[4:5], s[4:5], s[8:9]
	s_or_b64 exec, exec, s[6:7]
	s_and_saveexec_b64 s[6:7], s[4:5]
	s_cbranch_execz .LBB1_33951
; %bb.60735:
	s_getpc_b64 s[14:15]
.Lpost_getpc16031:
	s_add_u32 s14, s14, (.LBB1_10559-.Lpost_getpc16031)&4294967295
	s_addc_u32 s15, s15, (.LBB1_10559-.Lpost_getpc16031)>>32
	s_setpc_b64 s[14:15]
.LBB1_33951:
	s_getpc_b64 s[14:15]
.Lpost_getpc2639:
	s_add_u32 s14, s14, (.LBB1_10560-.Lpost_getpc2639)&4294967295
	s_addc_u32 s15, s15, (.LBB1_10560-.Lpost_getpc2639)>>32
	s_setpc_b64 s[14:15]
.LBB1_24897:
	s_movk_i32 s4, 0x80
	v_cmp_eq_u16_sdwa s[12:13], v8, s4 src0_sel:BYTE_0 src1_sel:DWORD
	s_mov_b64 s[4:5], -1
                                        ; implicit-def: $sgpr10
	s_and_saveexec_b64 s[8:9], s[12:13]
; %bb.24898:
	s_mov_b32 s10, 0x7f800001
	s_xor_b64 s[4:5], exec, -1
; %bb.24899:
	s_or_b64 exec, exec, s[8:9]
	s_and_b64 s[4:5], s[4:5], exec
	s_or_saveexec_b64 s[6:7], s[6:7]
	v_mov_b32_e32 v2, s10
	s_xor_b64 exec, exec, s[6:7]
	s_cbranch_execnz .LBB1_24900
; %bb.60737:
	s_getpc_b64 s[14:15]
.Lpost_getpc16032:
	s_add_u32 s14, s14, (.LBB1_10562-.Lpost_getpc16032)&4294967295
	s_addc_u32 s15, s15, (.LBB1_10562-.Lpost_getpc16032)>>32
	s_setpc_b64 s[14:15]
.LBB1_24900:
	v_mov_b32_e32 v2, 0
	v_cmp_ne_u16_sdwa s[8:9], v8, v2 src0_sel:BYTE_0 src1_sel:DWORD
	s_andn2_b64 s[4:5], s[4:5], exec
	s_and_b64 s[8:9], s[8:9], exec
	s_or_b64 s[4:5], s[4:5], s[8:9]
	s_or_b64 exec, exec, s[6:7]
	s_and_saveexec_b64 s[6:7], s[4:5]
	s_cbranch_execz .LBB1_33953
; %bb.60739:
	s_getpc_b64 s[14:15]
.Lpost_getpc16033:
	s_add_u32 s14, s14, (.LBB1_10563-.Lpost_getpc16033)&4294967295
	s_addc_u32 s15, s15, (.LBB1_10563-.Lpost_getpc16033)>>32
	s_setpc_b64 s[14:15]
.LBB1_33953:
	s_getpc_b64 s[14:15]
.Lpost_getpc2640:
	s_add_u32 s14, s14, (.LBB1_10564-.Lpost_getpc2640)&4294967295
	s_addc_u32 s15, s15, (.LBB1_10564-.Lpost_getpc2640)>>32
	s_setpc_b64 s[14:15]
.LBB1_24901:
	s_movk_i32 s4, 0x80
	v_cmp_eq_u16_sdwa s[12:13], v4, s4 src0_sel:BYTE_0 src1_sel:DWORD
	s_mov_b64 s[4:5], -1
                                        ; implicit-def: $sgpr10
	s_and_saveexec_b64 s[8:9], s[12:13]
; %bb.24902:
	s_mov_b32 s10, 0x7f800001
	s_xor_b64 s[4:5], exec, -1
; %bb.24903:
	s_or_b64 exec, exec, s[8:9]
	s_and_b64 s[4:5], s[4:5], exec
	s_or_saveexec_b64 s[6:7], s[6:7]
	v_mov_b32_e32 v3, s10
	s_xor_b64 exec, exec, s[6:7]
	s_cbranch_execnz .LBB1_24904
; %bb.60741:
	s_getpc_b64 s[14:15]
.Lpost_getpc16034:
	s_add_u32 s14, s14, (.LBB1_10566-.Lpost_getpc16034)&4294967295
	s_addc_u32 s15, s15, (.LBB1_10566-.Lpost_getpc16034)>>32
	s_setpc_b64 s[14:15]
.LBB1_24904:
	v_mov_b32_e32 v3, 0
	v_cmp_ne_u16_sdwa s[8:9], v4, v3 src0_sel:BYTE_0 src1_sel:DWORD
	s_andn2_b64 s[4:5], s[4:5], exec
	s_and_b64 s[8:9], s[8:9], exec
	s_or_b64 s[4:5], s[4:5], s[8:9]
	s_or_b64 exec, exec, s[6:7]
	s_and_saveexec_b64 s[6:7], s[4:5]
	s_cbranch_execz .LBB1_33955
; %bb.60743:
	s_getpc_b64 s[14:15]
.Lpost_getpc16035:
	s_add_u32 s14, s14, (.LBB1_10567-.Lpost_getpc16035)&4294967295
	s_addc_u32 s15, s15, (.LBB1_10567-.Lpost_getpc16035)>>32
	s_setpc_b64 s[14:15]
.LBB1_33955:
	s_getpc_b64 s[14:15]
.Lpost_getpc2641:
	s_add_u32 s14, s14, (.LBB1_10568-.Lpost_getpc2641)&4294967295
	s_addc_u32 s15, s15, (.LBB1_10568-.Lpost_getpc2641)>>32
	s_setpc_b64 s[14:15]
.LBB1_24905:
	s_movk_i32 s4, 0x80
	v_cmp_eq_u16_sdwa s[12:13], v3, s4 src0_sel:BYTE_0 src1_sel:DWORD
	s_mov_b64 s[4:5], -1
                                        ; implicit-def: $sgpr10
	s_and_saveexec_b64 s[8:9], s[12:13]
; %bb.24906:
	s_mov_b32 s10, 0x7f800001
	s_xor_b64 s[4:5], exec, -1
; %bb.24907:
	s_or_b64 exec, exec, s[8:9]
	s_and_b64 s[4:5], s[4:5], exec
	s_or_saveexec_b64 s[6:7], s[6:7]
	v_mov_b32_e32 v2, s10
	s_xor_b64 exec, exec, s[6:7]
	s_cbranch_execnz .LBB1_24908
; %bb.60745:
	s_getpc_b64 s[14:15]
.Lpost_getpc16036:
	s_add_u32 s14, s14, (.LBB1_10570-.Lpost_getpc16036)&4294967295
	s_addc_u32 s15, s15, (.LBB1_10570-.Lpost_getpc16036)>>32
	s_setpc_b64 s[14:15]
.LBB1_24908:
	v_mov_b32_e32 v2, 0
	v_cmp_ne_u16_sdwa s[8:9], v3, v2 src0_sel:BYTE_0 src1_sel:DWORD
	s_andn2_b64 s[4:5], s[4:5], exec
	s_and_b64 s[8:9], s[8:9], exec
	s_or_b64 s[4:5], s[4:5], s[8:9]
	s_or_b64 exec, exec, s[6:7]
	s_and_saveexec_b64 s[6:7], s[4:5]
	s_cbranch_execz .LBB1_33957
; %bb.60747:
	s_getpc_b64 s[14:15]
.Lpost_getpc16037:
	s_add_u32 s14, s14, (.LBB1_10571-.Lpost_getpc16037)&4294967295
	s_addc_u32 s15, s15, (.LBB1_10571-.Lpost_getpc16037)>>32
	s_setpc_b64 s[14:15]
.LBB1_33957:
	s_getpc_b64 s[14:15]
.Lpost_getpc2642:
	s_add_u32 s14, s14, (.LBB1_10572-.Lpost_getpc2642)&4294967295
	s_addc_u32 s15, s15, (.LBB1_10572-.Lpost_getpc2642)>>32
	s_setpc_b64 s[14:15]
.LBB1_24909:
	s_movk_i32 s4, 0x80
	v_cmp_eq_u16_sdwa s[12:13], v3, s4 src0_sel:BYTE_0 src1_sel:DWORD
	s_mov_b64 s[4:5], -1
                                        ; implicit-def: $sgpr10
	s_and_saveexec_b64 s[8:9], s[12:13]
; %bb.24910:
	s_mov_b32 s10, 0x7f800001
	s_xor_b64 s[4:5], exec, -1
; %bb.24911:
	s_or_b64 exec, exec, s[8:9]
	s_and_b64 s[4:5], s[4:5], exec
	s_or_saveexec_b64 s[6:7], s[6:7]
	v_mov_b32_e32 v6, s10
	s_xor_b64 exec, exec, s[6:7]
	s_cbranch_execnz .LBB1_24912
; %bb.60749:
	s_getpc_b64 s[14:15]
.Lpost_getpc16038:
	s_add_u32 s14, s14, (.LBB1_10574-.Lpost_getpc16038)&4294967295
	s_addc_u32 s15, s15, (.LBB1_10574-.Lpost_getpc16038)>>32
	s_setpc_b64 s[14:15]
.LBB1_24912:
	v_mov_b32_e32 v6, 0
	v_cmp_ne_u16_sdwa s[8:9], v3, v6 src0_sel:BYTE_0 src1_sel:DWORD
	s_andn2_b64 s[4:5], s[4:5], exec
	s_and_b64 s[8:9], s[8:9], exec
	s_or_b64 s[4:5], s[4:5], s[8:9]
	s_or_b64 exec, exec, s[6:7]
	s_and_saveexec_b64 s[6:7], s[4:5]
	s_cbranch_execz .LBB1_33959
; %bb.60751:
	s_getpc_b64 s[14:15]
.Lpost_getpc16039:
	s_add_u32 s14, s14, (.LBB1_10575-.Lpost_getpc16039)&4294967295
	s_addc_u32 s15, s15, (.LBB1_10575-.Lpost_getpc16039)>>32
	s_setpc_b64 s[14:15]
.LBB1_33959:
	s_getpc_b64 s[14:15]
.Lpost_getpc2643:
	s_add_u32 s14, s14, (.LBB1_10576-.Lpost_getpc2643)&4294967295
	s_addc_u32 s15, s15, (.LBB1_10576-.Lpost_getpc2643)>>32
	s_setpc_b64 s[14:15]
.LBB1_24913:
	s_movk_i32 s4, 0x80
	v_cmp_eq_u16_e32 vcc, s4, v3
	s_mov_b64 s[4:5], -1
                                        ; implicit-def: $sgpr10
	s_and_saveexec_b64 s[8:9], vcc
; %bb.24914:
	s_mov_b32 s10, 0x7f800001
	s_xor_b64 s[4:5], exec, -1
; %bb.24915:
	s_or_b64 exec, exec, s[8:9]
	s_and_b64 s[4:5], s[4:5], exec
                                        ; implicit-def: $vgpr3
	s_or_saveexec_b64 s[6:7], s[6:7]
	v_mov_b32_e32 v2, s10
	s_xor_b64 exec, exec, s[6:7]
	s_cbranch_execnz .LBB1_24916
; %bb.60753:
	s_getpc_b64 s[14:15]
.Lpost_getpc16040:
	s_add_u32 s14, s14, (.LBB1_10578-.Lpost_getpc16040)&4294967295
	s_addc_u32 s15, s15, (.LBB1_10578-.Lpost_getpc16040)>>32
	s_setpc_b64 s[14:15]
.LBB1_24916:
	v_cmp_ne_u16_e32 vcc, 0, v3
	s_andn2_b64 s[4:5], s[4:5], exec
	s_and_b64 s[8:9], vcc, exec
	v_mov_b32_e32 v2, 0
	s_or_b64 s[4:5], s[4:5], s[8:9]
	s_or_b64 exec, exec, s[6:7]
	s_and_saveexec_b64 s[6:7], s[4:5]
	s_cbranch_execz .LBB1_33961
; %bb.60755:
	s_getpc_b64 s[14:15]
.Lpost_getpc16041:
	s_add_u32 s14, s14, (.LBB1_10579-.Lpost_getpc16041)&4294967295
	s_addc_u32 s15, s15, (.LBB1_10579-.Lpost_getpc16041)>>32
	s_setpc_b64 s[14:15]
.LBB1_33961:
	s_getpc_b64 s[14:15]
.Lpost_getpc2644:
	s_add_u32 s14, s14, (.LBB1_10580-.Lpost_getpc2644)&4294967295
	s_addc_u32 s15, s15, (.LBB1_10580-.Lpost_getpc2644)>>32
	s_setpc_b64 s[14:15]
.LBB1_24917:
	s_movk_i32 s4, 0x80
	v_cmp_eq_u16_e32 vcc, s4, v3
	s_mov_b64 s[4:5], -1
                                        ; implicit-def: $sgpr10
	s_and_saveexec_b64 s[8:9], vcc
; %bb.24918:
	s_mov_b32 s10, 0x7f800001
	s_xor_b64 s[4:5], exec, -1
; %bb.24919:
	s_or_b64 exec, exec, s[8:9]
	s_and_b64 s[4:5], s[4:5], exec
                                        ; implicit-def: $vgpr3
	s_or_saveexec_b64 s[6:7], s[6:7]
	v_mov_b32_e32 v6, s10
	s_xor_b64 exec, exec, s[6:7]
	s_cbranch_execnz .LBB1_24920
; %bb.60757:
	s_getpc_b64 s[14:15]
.Lpost_getpc16042:
	s_add_u32 s14, s14, (.LBB1_10582-.Lpost_getpc16042)&4294967295
	s_addc_u32 s15, s15, (.LBB1_10582-.Lpost_getpc16042)>>32
	s_setpc_b64 s[14:15]
.LBB1_24920:
	v_cmp_ne_u16_e32 vcc, 0, v3
	s_andn2_b64 s[4:5], s[4:5], exec
	s_and_b64 s[8:9], vcc, exec
	v_mov_b32_e32 v6, 0
	s_or_b64 s[4:5], s[4:5], s[8:9]
	s_or_b64 exec, exec, s[6:7]
	s_and_saveexec_b64 s[6:7], s[4:5]
	s_cbranch_execz .LBB1_33963
; %bb.60759:
	s_getpc_b64 s[14:15]
.Lpost_getpc16043:
	s_add_u32 s14, s14, (.LBB1_10583-.Lpost_getpc16043)&4294967295
	s_addc_u32 s15, s15, (.LBB1_10583-.Lpost_getpc16043)>>32
	s_setpc_b64 s[14:15]
.LBB1_33963:
	s_getpc_b64 s[14:15]
.Lpost_getpc2645:
	s_add_u32 s14, s14, (.LBB1_10584-.Lpost_getpc2645)&4294967295
	s_addc_u32 s15, s15, (.LBB1_10584-.Lpost_getpc2645)>>32
	s_setpc_b64 s[14:15]
.LBB1_24921:
	s_movk_i32 s4, 0x80
	v_cmp_eq_u16_sdwa s[12:13], v8, s4 src0_sel:BYTE_3 src1_sel:DWORD
	s_mov_b64 s[4:5], -1
                                        ; implicit-def: $sgpr10
	s_and_saveexec_b64 s[8:9], s[12:13]
; %bb.24922:
	s_mov_b32 s10, 0x7f800001
	s_xor_b64 s[4:5], exec, -1
; %bb.24923:
	s_or_b64 exec, exec, s[8:9]
	s_and_b64 s[4:5], s[4:5], exec
	s_or_saveexec_b64 s[6:7], s[6:7]
	v_mov_b32_e32 v2, s10
	s_xor_b64 exec, exec, s[6:7]
	s_cbranch_execnz .LBB1_24924
; %bb.60761:
	s_getpc_b64 s[14:15]
.Lpost_getpc16044:
	s_add_u32 s14, s14, (.LBB1_10586-.Lpost_getpc16044)&4294967295
	s_addc_u32 s15, s15, (.LBB1_10586-.Lpost_getpc16044)>>32
	s_setpc_b64 s[14:15]
.LBB1_24924:
	v_mov_b32_e32 v2, 0
	v_cmp_ne_u16_sdwa s[8:9], v8, v2 src0_sel:BYTE_3 src1_sel:DWORD
	s_andn2_b64 s[4:5], s[4:5], exec
	s_and_b64 s[8:9], s[8:9], exec
	s_or_b64 s[4:5], s[4:5], s[8:9]
	s_or_b64 exec, exec, s[6:7]
	s_and_saveexec_b64 s[6:7], s[4:5]
	s_cbranch_execz .LBB1_33965
; %bb.60763:
	s_getpc_b64 s[14:15]
.Lpost_getpc16045:
	s_add_u32 s14, s14, (.LBB1_10587-.Lpost_getpc16045)&4294967295
	s_addc_u32 s15, s15, (.LBB1_10587-.Lpost_getpc16045)>>32
	s_setpc_b64 s[14:15]
.LBB1_33965:
	s_getpc_b64 s[14:15]
.Lpost_getpc2646:
	s_add_u32 s14, s14, (.LBB1_10588-.Lpost_getpc2646)&4294967295
	s_addc_u32 s15, s15, (.LBB1_10588-.Lpost_getpc2646)>>32
	s_setpc_b64 s[14:15]
.LBB1_24925:
	s_movk_i32 s4, 0x80
	v_cmp_eq_u16_sdwa s[12:13], v4, s4 src0_sel:BYTE_3 src1_sel:DWORD
	s_mov_b64 s[4:5], -1
                                        ; implicit-def: $sgpr10
	s_and_saveexec_b64 s[8:9], s[12:13]
; %bb.24926:
	s_mov_b32 s10, 0x7f800001
	s_xor_b64 s[4:5], exec, -1
; %bb.24927:
	s_or_b64 exec, exec, s[8:9]
	s_and_b64 s[4:5], s[4:5], exec
	s_or_saveexec_b64 s[6:7], s[6:7]
	v_mov_b32_e32 v3, s10
	s_xor_b64 exec, exec, s[6:7]
	s_cbranch_execnz .LBB1_24928
; %bb.60765:
	s_getpc_b64 s[14:15]
.Lpost_getpc16046:
	s_add_u32 s14, s14, (.LBB1_10590-.Lpost_getpc16046)&4294967295
	s_addc_u32 s15, s15, (.LBB1_10590-.Lpost_getpc16046)>>32
	s_setpc_b64 s[14:15]
.LBB1_24928:
	v_mov_b32_e32 v3, 0
	v_cmp_ne_u16_sdwa s[8:9], v4, v3 src0_sel:BYTE_3 src1_sel:DWORD
	s_andn2_b64 s[4:5], s[4:5], exec
	s_and_b64 s[8:9], s[8:9], exec
	s_or_b64 s[4:5], s[4:5], s[8:9]
	s_or_b64 exec, exec, s[6:7]
	s_and_saveexec_b64 s[6:7], s[4:5]
	s_cbranch_execz .LBB1_33967
; %bb.60767:
	s_getpc_b64 s[14:15]
.Lpost_getpc16047:
	s_add_u32 s14, s14, (.LBB1_10591-.Lpost_getpc16047)&4294967295
	s_addc_u32 s15, s15, (.LBB1_10591-.Lpost_getpc16047)>>32
	s_setpc_b64 s[14:15]
.LBB1_33967:
	s_getpc_b64 s[14:15]
.Lpost_getpc2647:
	s_add_u32 s14, s14, (.LBB1_10592-.Lpost_getpc2647)&4294967295
	s_addc_u32 s15, s15, (.LBB1_10592-.Lpost_getpc2647)>>32
	s_setpc_b64 s[14:15]
.LBB1_24929:
	s_movk_i32 s4, 0x80
	v_cmp_eq_u16_sdwa s[12:13], v9, s4 src0_sel:BYTE_0 src1_sel:DWORD
	s_mov_b64 s[4:5], -1
                                        ; implicit-def: $sgpr10
	s_and_saveexec_b64 s[8:9], s[12:13]
; %bb.24930:
	s_mov_b32 s10, 0x7f800001
	s_xor_b64 s[4:5], exec, -1
; %bb.24931:
	s_or_b64 exec, exec, s[8:9]
	s_and_b64 s[4:5], s[4:5], exec
	s_or_saveexec_b64 s[6:7], s[6:7]
	v_mov_b32_e32 v2, s10
	s_xor_b64 exec, exec, s[6:7]
	s_cbranch_execnz .LBB1_24932
; %bb.60769:
	s_getpc_b64 s[14:15]
.Lpost_getpc16048:
	s_add_u32 s14, s14, (.LBB1_10594-.Lpost_getpc16048)&4294967295
	s_addc_u32 s15, s15, (.LBB1_10594-.Lpost_getpc16048)>>32
	s_setpc_b64 s[14:15]
.LBB1_24932:
	v_mov_b32_e32 v2, 0
	v_cmp_ne_u16_sdwa s[8:9], v9, v2 src0_sel:BYTE_0 src1_sel:DWORD
	s_andn2_b64 s[4:5], s[4:5], exec
	s_and_b64 s[8:9], s[8:9], exec
	s_or_b64 s[4:5], s[4:5], s[8:9]
	s_or_b64 exec, exec, s[6:7]
	s_and_saveexec_b64 s[6:7], s[4:5]
	s_cbranch_execz .LBB1_33969
; %bb.60771:
	s_getpc_b64 s[14:15]
.Lpost_getpc16049:
	s_add_u32 s14, s14, (.LBB1_10595-.Lpost_getpc16049)&4294967295
	s_addc_u32 s15, s15, (.LBB1_10595-.Lpost_getpc16049)>>32
	s_setpc_b64 s[14:15]
.LBB1_33969:
	s_getpc_b64 s[14:15]
.Lpost_getpc2648:
	s_add_u32 s14, s14, (.LBB1_10596-.Lpost_getpc2648)&4294967295
	s_addc_u32 s15, s15, (.LBB1_10596-.Lpost_getpc2648)>>32
	s_setpc_b64 s[14:15]
.LBB1_24933:
	s_movk_i32 s4, 0x80
	v_cmp_eq_u16_sdwa s[12:13], v5, s4 src0_sel:BYTE_0 src1_sel:DWORD
	s_mov_b64 s[4:5], -1
                                        ; implicit-def: $sgpr10
	s_and_saveexec_b64 s[8:9], s[12:13]
; %bb.24934:
	s_mov_b32 s10, 0x7f800001
	s_xor_b64 s[4:5], exec, -1
; %bb.24935:
	s_or_b64 exec, exec, s[8:9]
	s_and_b64 s[4:5], s[4:5], exec
	s_or_saveexec_b64 s[6:7], s[6:7]
	v_mov_b32_e32 v3, s10
	s_xor_b64 exec, exec, s[6:7]
	s_cbranch_execnz .LBB1_24936
; %bb.60773:
	s_getpc_b64 s[14:15]
.Lpost_getpc16050:
	s_add_u32 s14, s14, (.LBB1_10598-.Lpost_getpc16050)&4294967295
	s_addc_u32 s15, s15, (.LBB1_10598-.Lpost_getpc16050)>>32
	s_setpc_b64 s[14:15]
.LBB1_24936:
	v_mov_b32_e32 v3, 0
	v_cmp_ne_u16_sdwa s[8:9], v5, v3 src0_sel:BYTE_0 src1_sel:DWORD
	s_andn2_b64 s[4:5], s[4:5], exec
	s_and_b64 s[8:9], s[8:9], exec
	s_or_b64 s[4:5], s[4:5], s[8:9]
	s_or_b64 exec, exec, s[6:7]
	s_and_saveexec_b64 s[6:7], s[4:5]
	s_cbranch_execz .LBB1_33971
; %bb.60775:
	s_getpc_b64 s[14:15]
.Lpost_getpc16051:
	s_add_u32 s14, s14, (.LBB1_10599-.Lpost_getpc16051)&4294967295
	s_addc_u32 s15, s15, (.LBB1_10599-.Lpost_getpc16051)>>32
	s_setpc_b64 s[14:15]
.LBB1_33971:
	s_getpc_b64 s[14:15]
.Lpost_getpc2649:
	s_add_u32 s14, s14, (.LBB1_10600-.Lpost_getpc2649)&4294967295
	s_addc_u32 s15, s15, (.LBB1_10600-.Lpost_getpc2649)>>32
	s_setpc_b64 s[14:15]
.LBB1_24937:
	s_movk_i32 s4, 0x80
	v_cmp_eq_u16_sdwa s[12:13], v3, s4 src0_sel:BYTE_0 src1_sel:DWORD
	s_mov_b64 s[4:5], -1
                                        ; implicit-def: $sgpr10
	s_and_saveexec_b64 s[8:9], s[12:13]
; %bb.24938:
	s_mov_b32 s10, 0x7f800001
	s_xor_b64 s[4:5], exec, -1
; %bb.24939:
	s_or_b64 exec, exec, s[8:9]
	s_and_b64 s[4:5], s[4:5], exec
	s_or_saveexec_b64 s[6:7], s[6:7]
	v_mov_b32_e32 v2, s10
	s_xor_b64 exec, exec, s[6:7]
	s_cbranch_execnz .LBB1_24940
; %bb.60777:
	s_getpc_b64 s[14:15]
.Lpost_getpc16052:
	s_add_u32 s14, s14, (.LBB1_10602-.Lpost_getpc16052)&4294967295
	s_addc_u32 s15, s15, (.LBB1_10602-.Lpost_getpc16052)>>32
	s_setpc_b64 s[14:15]
.LBB1_24940:
	v_mov_b32_e32 v2, 0
	v_cmp_ne_u16_sdwa s[8:9], v3, v2 src0_sel:BYTE_0 src1_sel:DWORD
	s_andn2_b64 s[4:5], s[4:5], exec
	s_and_b64 s[8:9], s[8:9], exec
	s_or_b64 s[4:5], s[4:5], s[8:9]
	s_or_b64 exec, exec, s[6:7]
	s_and_saveexec_b64 s[6:7], s[4:5]
	s_cbranch_execz .LBB1_33973
; %bb.60779:
	s_getpc_b64 s[14:15]
.Lpost_getpc16053:
	s_add_u32 s14, s14, (.LBB1_10603-.Lpost_getpc16053)&4294967295
	s_addc_u32 s15, s15, (.LBB1_10603-.Lpost_getpc16053)>>32
	s_setpc_b64 s[14:15]
.LBB1_33973:
	s_getpc_b64 s[14:15]
.Lpost_getpc2650:
	s_add_u32 s14, s14, (.LBB1_10604-.Lpost_getpc2650)&4294967295
	s_addc_u32 s15, s15, (.LBB1_10604-.Lpost_getpc2650)>>32
	s_setpc_b64 s[14:15]
.LBB1_24941:
	s_movk_i32 s4, 0x80
	v_cmp_eq_u16_sdwa s[12:13], v3, s4 src0_sel:BYTE_0 src1_sel:DWORD
	s_mov_b64 s[4:5], -1
                                        ; implicit-def: $sgpr10
	s_and_saveexec_b64 s[8:9], s[12:13]
; %bb.24942:
	s_mov_b32 s10, 0x7f800001
	s_xor_b64 s[4:5], exec, -1
; %bb.24943:
	s_or_b64 exec, exec, s[8:9]
	s_and_b64 s[4:5], s[4:5], exec
	s_or_saveexec_b64 s[6:7], s[6:7]
	v_mov_b32_e32 v4, s10
	s_xor_b64 exec, exec, s[6:7]
	s_cbranch_execnz .LBB1_24944
; %bb.60781:
	s_getpc_b64 s[14:15]
.Lpost_getpc16054:
	s_add_u32 s14, s14, (.LBB1_10606-.Lpost_getpc16054)&4294967295
	s_addc_u32 s15, s15, (.LBB1_10606-.Lpost_getpc16054)>>32
	s_setpc_b64 s[14:15]
.LBB1_24944:
	v_mov_b32_e32 v4, 0
	v_cmp_ne_u16_sdwa s[8:9], v3, v4 src0_sel:BYTE_0 src1_sel:DWORD
	s_andn2_b64 s[4:5], s[4:5], exec
	s_and_b64 s[8:9], s[8:9], exec
	s_or_b64 s[4:5], s[4:5], s[8:9]
	s_or_b64 exec, exec, s[6:7]
	s_and_saveexec_b64 s[6:7], s[4:5]
	s_cbranch_execz .LBB1_33975
; %bb.60783:
	s_getpc_b64 s[14:15]
.Lpost_getpc16055:
	s_add_u32 s14, s14, (.LBB1_10607-.Lpost_getpc16055)&4294967295
	s_addc_u32 s15, s15, (.LBB1_10607-.Lpost_getpc16055)>>32
	s_setpc_b64 s[14:15]
.LBB1_33975:
	s_getpc_b64 s[14:15]
.Lpost_getpc2651:
	s_add_u32 s14, s14, (.LBB1_10608-.Lpost_getpc2651)&4294967295
	s_addc_u32 s15, s15, (.LBB1_10608-.Lpost_getpc2651)>>32
	s_setpc_b64 s[14:15]
.LBB1_24945:
	s_movk_i32 s4, 0x80
	v_cmp_eq_u16_e32 vcc, s4, v3
	s_mov_b64 s[4:5], -1
                                        ; implicit-def: $sgpr10
	s_and_saveexec_b64 s[8:9], vcc
; %bb.24946:
	s_mov_b32 s10, 0x7f800001
	s_xor_b64 s[4:5], exec, -1
; %bb.24947:
	s_or_b64 exec, exec, s[8:9]
	s_and_b64 s[4:5], s[4:5], exec
                                        ; implicit-def: $vgpr3
	s_or_saveexec_b64 s[6:7], s[6:7]
	v_mov_b32_e32 v2, s10
	s_xor_b64 exec, exec, s[6:7]
	s_cbranch_execnz .LBB1_24948
; %bb.60785:
	s_getpc_b64 s[14:15]
.Lpost_getpc16056:
	s_add_u32 s14, s14, (.LBB1_10610-.Lpost_getpc16056)&4294967295
	s_addc_u32 s15, s15, (.LBB1_10610-.Lpost_getpc16056)>>32
	s_setpc_b64 s[14:15]
.LBB1_24948:
	v_cmp_ne_u16_e32 vcc, 0, v3
	s_andn2_b64 s[4:5], s[4:5], exec
	s_and_b64 s[8:9], vcc, exec
	v_mov_b32_e32 v2, 0
	s_or_b64 s[4:5], s[4:5], s[8:9]
	s_or_b64 exec, exec, s[6:7]
	s_and_saveexec_b64 s[6:7], s[4:5]
	s_cbranch_execz .LBB1_33977
; %bb.60787:
	s_getpc_b64 s[14:15]
.Lpost_getpc16057:
	s_add_u32 s14, s14, (.LBB1_10611-.Lpost_getpc16057)&4294967295
	s_addc_u32 s15, s15, (.LBB1_10611-.Lpost_getpc16057)>>32
	s_setpc_b64 s[14:15]
.LBB1_33977:
	s_getpc_b64 s[14:15]
.Lpost_getpc2652:
	s_add_u32 s14, s14, (.LBB1_10612-.Lpost_getpc2652)&4294967295
	s_addc_u32 s15, s15, (.LBB1_10612-.Lpost_getpc2652)>>32
	s_setpc_b64 s[14:15]
.LBB1_24949:
	s_movk_i32 s4, 0x80
	v_cmp_eq_u16_e32 vcc, s4, v3
	s_mov_b64 s[4:5], -1
                                        ; implicit-def: $sgpr10
	s_and_saveexec_b64 s[8:9], vcc
; %bb.24950:
	s_mov_b32 s10, 0x7f800001
	s_xor_b64 s[4:5], exec, -1
; %bb.24951:
	s_or_b64 exec, exec, s[8:9]
	s_and_b64 s[4:5], s[4:5], exec
                                        ; implicit-def: $vgpr3
	s_or_saveexec_b64 s[6:7], s[6:7]
	v_mov_b32_e32 v4, s10
	s_xor_b64 exec, exec, s[6:7]
	s_cbranch_execnz .LBB1_24952
; %bb.60789:
	s_getpc_b64 s[14:15]
.Lpost_getpc16058:
	s_add_u32 s14, s14, (.LBB1_10614-.Lpost_getpc16058)&4294967295
	s_addc_u32 s15, s15, (.LBB1_10614-.Lpost_getpc16058)>>32
	s_setpc_b64 s[14:15]
.LBB1_24952:
	v_cmp_ne_u16_e32 vcc, 0, v3
	s_andn2_b64 s[4:5], s[4:5], exec
	s_and_b64 s[8:9], vcc, exec
	v_mov_b32_e32 v4, 0
	s_or_b64 s[4:5], s[4:5], s[8:9]
	s_or_b64 exec, exec, s[6:7]
	s_and_saveexec_b64 s[6:7], s[4:5]
	s_cbranch_execz .LBB1_33979
; %bb.60791:
	s_getpc_b64 s[14:15]
.Lpost_getpc16059:
	s_add_u32 s14, s14, (.LBB1_10615-.Lpost_getpc16059)&4294967295
	s_addc_u32 s15, s15, (.LBB1_10615-.Lpost_getpc16059)>>32
	s_setpc_b64 s[14:15]
.LBB1_33979:
	s_getpc_b64 s[14:15]
.Lpost_getpc2653:
	s_add_u32 s14, s14, (.LBB1_10616-.Lpost_getpc2653)&4294967295
	s_addc_u32 s15, s15, (.LBB1_10616-.Lpost_getpc2653)>>32
	s_setpc_b64 s[14:15]
.LBB1_24953:
	s_movk_i32 s4, 0x80
	v_cmp_eq_u16_sdwa s[12:13], v9, s4 src0_sel:BYTE_3 src1_sel:DWORD
	s_mov_b64 s[4:5], -1
                                        ; implicit-def: $sgpr10
	s_and_saveexec_b64 s[8:9], s[12:13]
; %bb.24954:
	s_mov_b32 s10, 0x7f800001
	s_xor_b64 s[4:5], exec, -1
; %bb.24955:
	s_or_b64 exec, exec, s[8:9]
	s_and_b64 s[4:5], s[4:5], exec
	s_or_saveexec_b64 s[6:7], s[6:7]
	v_mov_b32_e32 v2, s10
	s_xor_b64 exec, exec, s[6:7]
	s_cbranch_execnz .LBB1_24956
; %bb.60793:
	s_getpc_b64 s[14:15]
.Lpost_getpc16060:
	s_add_u32 s14, s14, (.LBB1_10618-.Lpost_getpc16060)&4294967295
	s_addc_u32 s15, s15, (.LBB1_10618-.Lpost_getpc16060)>>32
	s_setpc_b64 s[14:15]
.LBB1_24956:
	v_mov_b32_e32 v2, 0
	v_cmp_ne_u16_sdwa s[8:9], v9, v2 src0_sel:BYTE_3 src1_sel:DWORD
	s_andn2_b64 s[4:5], s[4:5], exec
	s_and_b64 s[8:9], s[8:9], exec
	s_or_b64 s[4:5], s[4:5], s[8:9]
	s_or_b64 exec, exec, s[6:7]
	s_and_saveexec_b64 s[6:7], s[4:5]
	s_cbranch_execz .LBB1_33981
; %bb.60795:
	s_getpc_b64 s[14:15]
.Lpost_getpc16061:
	s_add_u32 s14, s14, (.LBB1_10619-.Lpost_getpc16061)&4294967295
	s_addc_u32 s15, s15, (.LBB1_10619-.Lpost_getpc16061)>>32
	s_setpc_b64 s[14:15]
.LBB1_33981:
	s_getpc_b64 s[14:15]
.Lpost_getpc2654:
	s_add_u32 s14, s14, (.LBB1_10620-.Lpost_getpc2654)&4294967295
	s_addc_u32 s15, s15, (.LBB1_10620-.Lpost_getpc2654)>>32
	s_setpc_b64 s[14:15]
.LBB1_24957:
	s_movk_i32 s4, 0x80
	v_cmp_eq_u16_sdwa s[12:13], v5, s4 src0_sel:BYTE_3 src1_sel:DWORD
	s_mov_b64 s[4:5], -1
                                        ; implicit-def: $sgpr10
	s_and_saveexec_b64 s[8:9], s[12:13]
; %bb.24958:
	s_mov_b32 s10, 0x7f800001
	s_xor_b64 s[4:5], exec, -1
; %bb.24959:
	s_or_b64 exec, exec, s[8:9]
	s_and_b64 s[4:5], s[4:5], exec
	s_or_saveexec_b64 s[6:7], s[6:7]
	v_mov_b32_e32 v3, s10
	s_xor_b64 exec, exec, s[6:7]
	s_cbranch_execnz .LBB1_24960
; %bb.60797:
	s_getpc_b64 s[14:15]
.Lpost_getpc16062:
	s_add_u32 s14, s14, (.LBB1_10622-.Lpost_getpc16062)&4294967295
	s_addc_u32 s15, s15, (.LBB1_10622-.Lpost_getpc16062)>>32
	s_setpc_b64 s[14:15]
.LBB1_24960:
	v_mov_b32_e32 v3, 0
	v_cmp_ne_u16_sdwa s[8:9], v5, v3 src0_sel:BYTE_3 src1_sel:DWORD
	s_andn2_b64 s[4:5], s[4:5], exec
	s_and_b64 s[8:9], s[8:9], exec
	s_or_b64 s[4:5], s[4:5], s[8:9]
	s_or_b64 exec, exec, s[6:7]
	s_and_saveexec_b64 s[6:7], s[4:5]
	s_cbranch_execz .LBB1_33983
; %bb.60799:
	s_getpc_b64 s[14:15]
.Lpost_getpc16063:
	s_add_u32 s14, s14, (.LBB1_10623-.Lpost_getpc16063)&4294967295
	s_addc_u32 s15, s15, (.LBB1_10623-.Lpost_getpc16063)>>32
	s_setpc_b64 s[14:15]
.LBB1_33983:
	s_getpc_b64 s[14:15]
.Lpost_getpc2655:
	s_add_u32 s14, s14, (.LBB1_10624-.Lpost_getpc2655)&4294967295
	s_addc_u32 s15, s15, (.LBB1_10624-.Lpost_getpc2655)>>32
	s_setpc_b64 s[14:15]
.LBB1_24961:
	s_movk_i32 s4, 0x80
	v_cmp_eq_u16_sdwa s[12:13], v6, s4 src0_sel:BYTE_0 src1_sel:DWORD
	s_mov_b64 s[4:5], -1
                                        ; implicit-def: $sgpr10
	s_and_saveexec_b64 s[8:9], s[12:13]
; %bb.24962:
	s_mov_b32 s10, 0x7f800001
	s_xor_b64 s[4:5], exec, -1
; %bb.24963:
	s_or_b64 exec, exec, s[8:9]
	s_and_b64 s[4:5], s[4:5], exec
	s_or_saveexec_b64 s[6:7], s[6:7]
	v_mov_b32_e32 v12, s10
	s_xor_b64 exec, exec, s[6:7]
	s_cbranch_execnz .LBB1_24964
; %bb.60801:
	s_getpc_b64 s[14:15]
.Lpost_getpc16064:
	s_add_u32 s14, s14, (.LBB1_10626-.Lpost_getpc16064)&4294967295
	s_addc_u32 s15, s15, (.LBB1_10626-.Lpost_getpc16064)>>32
	s_setpc_b64 s[14:15]
.LBB1_24964:
	v_mov_b32_e32 v12, 0
	v_cmp_ne_u16_sdwa s[8:9], v6, v12 src0_sel:BYTE_0 src1_sel:DWORD
	s_andn2_b64 s[4:5], s[4:5], exec
	s_and_b64 s[8:9], s[8:9], exec
	s_or_b64 s[4:5], s[4:5], s[8:9]
	s_or_b64 exec, exec, s[6:7]
	s_and_saveexec_b64 s[6:7], s[4:5]
	s_cbranch_execz .LBB1_33985
; %bb.60803:
	s_getpc_b64 s[14:15]
.Lpost_getpc16065:
	s_add_u32 s14, s14, (.LBB1_10627-.Lpost_getpc16065)&4294967295
	s_addc_u32 s15, s15, (.LBB1_10627-.Lpost_getpc16065)>>32
	s_setpc_b64 s[14:15]
.LBB1_33985:
	s_getpc_b64 s[14:15]
.Lpost_getpc2656:
	s_add_u32 s14, s14, (.LBB1_10628-.Lpost_getpc2656)&4294967295
	s_addc_u32 s15, s15, (.LBB1_10628-.Lpost_getpc2656)>>32
	s_setpc_b64 s[14:15]
.LBB1_24965:
	s_movk_i32 s4, 0x80
	v_cmp_eq_u16_sdwa s[12:13], v2, s4 src0_sel:BYTE_0 src1_sel:DWORD
	s_mov_b64 s[4:5], -1
                                        ; implicit-def: $sgpr10
	s_and_saveexec_b64 s[8:9], s[12:13]
; %bb.24966:
	s_mov_b32 s10, 0x7f800001
	s_xor_b64 s[4:5], exec, -1
; %bb.24967:
	s_or_b64 exec, exec, s[8:9]
	s_and_b64 s[4:5], s[4:5], exec
	s_or_saveexec_b64 s[6:7], s[6:7]
	v_mov_b32_e32 v13, s10
	s_xor_b64 exec, exec, s[6:7]
	s_cbranch_execnz .LBB1_24968
; %bb.60805:
	s_getpc_b64 s[14:15]
.Lpost_getpc16066:
	s_add_u32 s14, s14, (.LBB1_10630-.Lpost_getpc16066)&4294967295
	s_addc_u32 s15, s15, (.LBB1_10630-.Lpost_getpc16066)>>32
	s_setpc_b64 s[14:15]
.LBB1_24968:
	v_mov_b32_e32 v13, 0
	v_cmp_ne_u16_sdwa s[8:9], v2, v13 src0_sel:BYTE_0 src1_sel:DWORD
	s_andn2_b64 s[4:5], s[4:5], exec
	s_and_b64 s[8:9], s[8:9], exec
	s_or_b64 s[4:5], s[4:5], s[8:9]
	s_or_b64 exec, exec, s[6:7]
	s_and_saveexec_b64 s[6:7], s[4:5]
	s_cbranch_execz .LBB1_33987
; %bb.60807:
	s_getpc_b64 s[14:15]
.Lpost_getpc16067:
	s_add_u32 s14, s14, (.LBB1_10631-.Lpost_getpc16067)&4294967295
	s_addc_u32 s15, s15, (.LBB1_10631-.Lpost_getpc16067)>>32
	s_setpc_b64 s[14:15]
.LBB1_33987:
	s_getpc_b64 s[14:15]
.Lpost_getpc2657:
	s_add_u32 s14, s14, (.LBB1_10632-.Lpost_getpc2657)&4294967295
	s_addc_u32 s15, s15, (.LBB1_10632-.Lpost_getpc2657)>>32
	s_setpc_b64 s[14:15]
.LBB1_24969:
	s_movk_i32 s4, 0x80
	v_cmp_eq_u16_sdwa s[12:13], v13, s4 src0_sel:BYTE_0 src1_sel:DWORD
	s_mov_b64 s[4:5], -1
                                        ; implicit-def: $sgpr10
	s_and_saveexec_b64 s[8:9], s[12:13]
; %bb.24970:
	s_mov_b32 s10, 0x7f800001
	s_xor_b64 s[4:5], exec, -1
; %bb.24971:
	s_or_b64 exec, exec, s[8:9]
	s_and_b64 s[4:5], s[4:5], exec
	s_or_saveexec_b64 s[6:7], s[6:7]
	v_mov_b32_e32 v12, s10
	s_xor_b64 exec, exec, s[6:7]
	s_cbranch_execnz .LBB1_24972
; %bb.60809:
	s_getpc_b64 s[14:15]
.Lpost_getpc16068:
	s_add_u32 s14, s14, (.LBB1_10634-.Lpost_getpc16068)&4294967295
	s_addc_u32 s15, s15, (.LBB1_10634-.Lpost_getpc16068)>>32
	s_setpc_b64 s[14:15]
.LBB1_24972:
	v_mov_b32_e32 v12, 0
	v_cmp_ne_u16_sdwa s[8:9], v13, v12 src0_sel:BYTE_0 src1_sel:DWORD
	s_andn2_b64 s[4:5], s[4:5], exec
	s_and_b64 s[8:9], s[8:9], exec
	s_or_b64 s[4:5], s[4:5], s[8:9]
	s_or_b64 exec, exec, s[6:7]
	s_and_saveexec_b64 s[6:7], s[4:5]
	s_cbranch_execz .LBB1_33989
; %bb.60811:
	s_getpc_b64 s[14:15]
.Lpost_getpc16069:
	s_add_u32 s14, s14, (.LBB1_10635-.Lpost_getpc16069)&4294967295
	s_addc_u32 s15, s15, (.LBB1_10635-.Lpost_getpc16069)>>32
	s_setpc_b64 s[14:15]
.LBB1_33989:
	s_getpc_b64 s[14:15]
.Lpost_getpc2658:
	s_add_u32 s14, s14, (.LBB1_10636-.Lpost_getpc2658)&4294967295
	s_addc_u32 s15, s15, (.LBB1_10636-.Lpost_getpc2658)>>32
	s_setpc_b64 s[14:15]
.LBB1_24973:
	s_movk_i32 s4, 0x80
	v_cmp_eq_u16_sdwa s[12:13], v13, s4 src0_sel:BYTE_0 src1_sel:DWORD
	s_mov_b64 s[4:5], -1
                                        ; implicit-def: $sgpr10
	s_and_saveexec_b64 s[8:9], s[12:13]
; %bb.24974:
	s_mov_b32 s10, 0x7f800001
	s_xor_b64 s[4:5], exec, -1
; %bb.24975:
	s_or_b64 exec, exec, s[8:9]
	s_and_b64 s[4:5], s[4:5], exec
	s_or_saveexec_b64 s[6:7], s[6:7]
	v_mov_b32_e32 v14, s10
	s_xor_b64 exec, exec, s[6:7]
	s_cbranch_execnz .LBB1_24976
; %bb.60813:
	s_getpc_b64 s[14:15]
.Lpost_getpc16070:
	s_add_u32 s14, s14, (.LBB1_10638-.Lpost_getpc16070)&4294967295
	s_addc_u32 s15, s15, (.LBB1_10638-.Lpost_getpc16070)>>32
	s_setpc_b64 s[14:15]
.LBB1_24976:
	v_mov_b32_e32 v14, 0
	v_cmp_ne_u16_sdwa s[8:9], v13, v14 src0_sel:BYTE_0 src1_sel:DWORD
	s_andn2_b64 s[4:5], s[4:5], exec
	s_and_b64 s[8:9], s[8:9], exec
	s_or_b64 s[4:5], s[4:5], s[8:9]
	s_or_b64 exec, exec, s[6:7]
	s_and_saveexec_b64 s[6:7], s[4:5]
	s_cbranch_execz .LBB1_33991
; %bb.60815:
	s_getpc_b64 s[14:15]
.Lpost_getpc16071:
	s_add_u32 s14, s14, (.LBB1_10639-.Lpost_getpc16071)&4294967295
	s_addc_u32 s15, s15, (.LBB1_10639-.Lpost_getpc16071)>>32
	s_setpc_b64 s[14:15]
.LBB1_33991:
	s_getpc_b64 s[14:15]
.Lpost_getpc2659:
	s_add_u32 s14, s14, (.LBB1_10640-.Lpost_getpc2659)&4294967295
	s_addc_u32 s15, s15, (.LBB1_10640-.Lpost_getpc2659)>>32
	s_setpc_b64 s[14:15]
.LBB1_24977:
	s_movk_i32 s4, 0x80
	v_cmp_eq_u16_e32 vcc, s4, v13
	s_mov_b64 s[4:5], -1
                                        ; implicit-def: $sgpr10
	s_and_saveexec_b64 s[8:9], vcc
; %bb.24978:
	s_mov_b32 s10, 0x7f800001
	s_xor_b64 s[4:5], exec, -1
; %bb.24979:
	s_or_b64 exec, exec, s[8:9]
	s_and_b64 s[4:5], s[4:5], exec
                                        ; implicit-def: $vgpr13
	s_or_saveexec_b64 s[6:7], s[6:7]
	v_mov_b32_e32 v12, s10
	s_xor_b64 exec, exec, s[6:7]
	s_cbranch_execnz .LBB1_24980
; %bb.60817:
	s_getpc_b64 s[14:15]
.Lpost_getpc16072:
	s_add_u32 s14, s14, (.LBB1_10642-.Lpost_getpc16072)&4294967295
	s_addc_u32 s15, s15, (.LBB1_10642-.Lpost_getpc16072)>>32
	s_setpc_b64 s[14:15]
.LBB1_24980:
	v_cmp_ne_u16_e32 vcc, 0, v13
	s_andn2_b64 s[4:5], s[4:5], exec
	s_and_b64 s[8:9], vcc, exec
	v_mov_b32_e32 v12, 0
	s_or_b64 s[4:5], s[4:5], s[8:9]
	s_or_b64 exec, exec, s[6:7]
	s_and_saveexec_b64 s[6:7], s[4:5]
	s_cbranch_execz .LBB1_33993
; %bb.60819:
	s_getpc_b64 s[14:15]
.Lpost_getpc16073:
	s_add_u32 s14, s14, (.LBB1_10643-.Lpost_getpc16073)&4294967295
	s_addc_u32 s15, s15, (.LBB1_10643-.Lpost_getpc16073)>>32
	s_setpc_b64 s[14:15]
.LBB1_33993:
	s_getpc_b64 s[14:15]
.Lpost_getpc2660:
	s_add_u32 s14, s14, (.LBB1_10644-.Lpost_getpc2660)&4294967295
	s_addc_u32 s15, s15, (.LBB1_10644-.Lpost_getpc2660)>>32
	s_setpc_b64 s[14:15]
.LBB1_24981:
	s_movk_i32 s4, 0x80
	v_cmp_eq_u16_e32 vcc, s4, v13
	s_mov_b64 s[4:5], -1
                                        ; implicit-def: $sgpr10
	s_and_saveexec_b64 s[8:9], vcc
; %bb.24982:
	s_mov_b32 s10, 0x7f800001
	s_xor_b64 s[4:5], exec, -1
; %bb.24983:
	s_or_b64 exec, exec, s[8:9]
	s_and_b64 s[4:5], s[4:5], exec
                                        ; implicit-def: $vgpr13
	s_or_saveexec_b64 s[6:7], s[6:7]
	v_mov_b32_e32 v14, s10
	s_xor_b64 exec, exec, s[6:7]
	s_cbranch_execnz .LBB1_24984
; %bb.60821:
	s_getpc_b64 s[14:15]
.Lpost_getpc16074:
	s_add_u32 s14, s14, (.LBB1_10646-.Lpost_getpc16074)&4294967295
	s_addc_u32 s15, s15, (.LBB1_10646-.Lpost_getpc16074)>>32
	s_setpc_b64 s[14:15]
.LBB1_24984:
	v_cmp_ne_u16_e32 vcc, 0, v13
	s_andn2_b64 s[4:5], s[4:5], exec
	s_and_b64 s[8:9], vcc, exec
	v_mov_b32_e32 v14, 0
	s_or_b64 s[4:5], s[4:5], s[8:9]
	s_or_b64 exec, exec, s[6:7]
	s_and_saveexec_b64 s[6:7], s[4:5]
	s_cbranch_execz .LBB1_33995
; %bb.60823:
	s_getpc_b64 s[14:15]
.Lpost_getpc16075:
	s_add_u32 s14, s14, (.LBB1_10647-.Lpost_getpc16075)&4294967295
	s_addc_u32 s15, s15, (.LBB1_10647-.Lpost_getpc16075)>>32
	s_setpc_b64 s[14:15]
.LBB1_33995:
	s_getpc_b64 s[14:15]
.Lpost_getpc2661:
	s_add_u32 s14, s14, (.LBB1_10648-.Lpost_getpc2661)&4294967295
	s_addc_u32 s15, s15, (.LBB1_10648-.Lpost_getpc2661)>>32
	s_setpc_b64 s[14:15]
.LBB1_24985:
	s_movk_i32 s4, 0x80
	v_cmp_eq_u16_sdwa s[12:13], v6, s4 src0_sel:BYTE_3 src1_sel:DWORD
	s_mov_b64 s[4:5], -1
                                        ; implicit-def: $sgpr10
	s_and_saveexec_b64 s[8:9], s[12:13]
; %bb.24986:
	s_mov_b32 s10, 0x7f800001
	s_xor_b64 s[4:5], exec, -1
; %bb.24987:
	s_or_b64 exec, exec, s[8:9]
	s_and_b64 s[4:5], s[4:5], exec
	s_or_saveexec_b64 s[6:7], s[6:7]
	v_mov_b32_e32 v12, s10
	s_xor_b64 exec, exec, s[6:7]
	s_cbranch_execnz .LBB1_24988
; %bb.60825:
	s_getpc_b64 s[14:15]
.Lpost_getpc16076:
	s_add_u32 s14, s14, (.LBB1_10650-.Lpost_getpc16076)&4294967295
	s_addc_u32 s15, s15, (.LBB1_10650-.Lpost_getpc16076)>>32
	s_setpc_b64 s[14:15]
.LBB1_24988:
	v_mov_b32_e32 v12, 0
	v_cmp_ne_u16_sdwa s[8:9], v6, v12 src0_sel:BYTE_3 src1_sel:DWORD
	s_andn2_b64 s[4:5], s[4:5], exec
	s_and_b64 s[8:9], s[8:9], exec
	s_or_b64 s[4:5], s[4:5], s[8:9]
	s_or_b64 exec, exec, s[6:7]
	s_and_saveexec_b64 s[6:7], s[4:5]
	s_cbranch_execz .LBB1_33997
; %bb.60827:
	s_getpc_b64 s[14:15]
.Lpost_getpc16077:
	s_add_u32 s14, s14, (.LBB1_10651-.Lpost_getpc16077)&4294967295
	s_addc_u32 s15, s15, (.LBB1_10651-.Lpost_getpc16077)>>32
	s_setpc_b64 s[14:15]
.LBB1_33997:
	s_getpc_b64 s[14:15]
.Lpost_getpc2662:
	s_add_u32 s14, s14, (.LBB1_10652-.Lpost_getpc2662)&4294967295
	s_addc_u32 s15, s15, (.LBB1_10652-.Lpost_getpc2662)>>32
	s_setpc_b64 s[14:15]
.LBB1_24989:
	s_movk_i32 s4, 0x80
	v_cmp_eq_u16_sdwa s[12:13], v2, s4 src0_sel:BYTE_3 src1_sel:DWORD
	s_mov_b64 s[4:5], -1
                                        ; implicit-def: $sgpr10
	s_and_saveexec_b64 s[8:9], s[12:13]
; %bb.24990:
	s_mov_b32 s10, 0x7f800001
	s_xor_b64 s[4:5], exec, -1
; %bb.24991:
	s_or_b64 exec, exec, s[8:9]
	s_and_b64 s[4:5], s[4:5], exec
	s_or_saveexec_b64 s[6:7], s[6:7]
	v_mov_b32_e32 v6, s10
	s_xor_b64 exec, exec, s[6:7]
	s_cbranch_execnz .LBB1_24992
; %bb.60829:
	s_getpc_b64 s[14:15]
.Lpost_getpc16078:
	s_add_u32 s14, s14, (.LBB1_10654-.Lpost_getpc16078)&4294967295
	s_addc_u32 s15, s15, (.LBB1_10654-.Lpost_getpc16078)>>32
	s_setpc_b64 s[14:15]
.LBB1_24992:
	v_mov_b32_e32 v6, 0
	v_cmp_ne_u16_sdwa s[8:9], v2, v6 src0_sel:BYTE_3 src1_sel:DWORD
	s_andn2_b64 s[4:5], s[4:5], exec
	s_and_b64 s[8:9], s[8:9], exec
	s_or_b64 s[4:5], s[4:5], s[8:9]
	s_or_b64 exec, exec, s[6:7]
	s_and_saveexec_b64 s[6:7], s[4:5]
	s_cbranch_execz .LBB1_33999
; %bb.60831:
	s_getpc_b64 s[14:15]
.Lpost_getpc16079:
	s_add_u32 s14, s14, (.LBB1_10655-.Lpost_getpc16079)&4294967295
	s_addc_u32 s15, s15, (.LBB1_10655-.Lpost_getpc16079)>>32
	s_setpc_b64 s[14:15]
.LBB1_33999:
	s_getpc_b64 s[14:15]
.Lpost_getpc2663:
	s_add_u32 s14, s14, (.LBB1_10656-.Lpost_getpc2663)&4294967295
	s_addc_u32 s15, s15, (.LBB1_10656-.Lpost_getpc2663)>>32
	s_setpc_b64 s[14:15]
.LBB1_24993:
	s_movk_i32 s4, 0x80
	v_cmp_eq_u16_sdwa s[12:13], v7, s4 src0_sel:BYTE_0 src1_sel:DWORD
	s_mov_b64 s[4:5], -1
                                        ; implicit-def: $sgpr10
	s_and_saveexec_b64 s[8:9], s[12:13]
; %bb.24994:
	s_mov_b32 s10, 0x7f800001
	s_xor_b64 s[4:5], exec, -1
; %bb.24995:
	s_or_b64 exec, exec, s[8:9]
	s_and_b64 s[4:5], s[4:5], exec
	s_or_saveexec_b64 s[6:7], s[6:7]
	v_mov_b32_e32 v2, s10
	s_xor_b64 exec, exec, s[6:7]
	s_cbranch_execnz .LBB1_24996
; %bb.60833:
	s_getpc_b64 s[14:15]
.Lpost_getpc16080:
	s_add_u32 s14, s14, (.LBB1_10658-.Lpost_getpc16080)&4294967295
	s_addc_u32 s15, s15, (.LBB1_10658-.Lpost_getpc16080)>>32
	s_setpc_b64 s[14:15]
.LBB1_24996:
	v_mov_b32_e32 v2, 0
	v_cmp_ne_u16_sdwa s[8:9], v7, v2 src0_sel:BYTE_0 src1_sel:DWORD
	s_andn2_b64 s[4:5], s[4:5], exec
	s_and_b64 s[8:9], s[8:9], exec
	s_or_b64 s[4:5], s[4:5], s[8:9]
	s_or_b64 exec, exec, s[6:7]
	s_and_saveexec_b64 s[6:7], s[4:5]
	s_cbranch_execz .LBB1_34001
; %bb.60835:
	s_getpc_b64 s[14:15]
.Lpost_getpc16081:
	s_add_u32 s14, s14, (.LBB1_10659-.Lpost_getpc16081)&4294967295
	s_addc_u32 s15, s15, (.LBB1_10659-.Lpost_getpc16081)>>32
	s_setpc_b64 s[14:15]
.LBB1_34001:
	s_getpc_b64 s[14:15]
.Lpost_getpc2664:
	s_add_u32 s14, s14, (.LBB1_10660-.Lpost_getpc2664)&4294967295
	s_addc_u32 s15, s15, (.LBB1_10660-.Lpost_getpc2664)>>32
	s_setpc_b64 s[14:15]
.LBB1_24997:
	s_movk_i32 s4, 0x80
	v_cmp_eq_u16_sdwa s[12:13], v3, s4 src0_sel:BYTE_0 src1_sel:DWORD
	s_mov_b64 s[4:5], -1
                                        ; implicit-def: $sgpr10
	s_and_saveexec_b64 s[8:9], s[12:13]
; %bb.24998:
	s_mov_b32 s10, 0x7f800001
	s_xor_b64 s[4:5], exec, -1
; %bb.24999:
	s_or_b64 exec, exec, s[8:9]
	s_and_b64 s[4:5], s[4:5], exec
	s_or_saveexec_b64 s[6:7], s[6:7]
	v_mov_b32_e32 v6, s10
	s_xor_b64 exec, exec, s[6:7]
	s_cbranch_execnz .LBB1_25000
; %bb.60837:
	s_getpc_b64 s[14:15]
.Lpost_getpc16082:
	s_add_u32 s14, s14, (.LBB1_10662-.Lpost_getpc16082)&4294967295
	s_addc_u32 s15, s15, (.LBB1_10662-.Lpost_getpc16082)>>32
	s_setpc_b64 s[14:15]
.LBB1_25000:
	v_mov_b32_e32 v6, 0
	v_cmp_ne_u16_sdwa s[8:9], v3, v6 src0_sel:BYTE_0 src1_sel:DWORD
	s_andn2_b64 s[4:5], s[4:5], exec
	s_and_b64 s[8:9], s[8:9], exec
	s_or_b64 s[4:5], s[4:5], s[8:9]
	s_or_b64 exec, exec, s[6:7]
	s_and_saveexec_b64 s[6:7], s[4:5]
	s_cbranch_execz .LBB1_34003
; %bb.60839:
	s_getpc_b64 s[14:15]
.Lpost_getpc16083:
	s_add_u32 s14, s14, (.LBB1_10663-.Lpost_getpc16083)&4294967295
	s_addc_u32 s15, s15, (.LBB1_10663-.Lpost_getpc16083)>>32
	s_setpc_b64 s[14:15]
.LBB1_34003:
	s_getpc_b64 s[14:15]
.Lpost_getpc2665:
	s_add_u32 s14, s14, (.LBB1_10664-.Lpost_getpc2665)&4294967295
	s_addc_u32 s15, s15, (.LBB1_10664-.Lpost_getpc2665)>>32
	s_setpc_b64 s[14:15]
.LBB1_25001:
	s_movk_i32 s4, 0x80
	v_cmp_eq_u16_sdwa s[12:13], v6, s4 src0_sel:BYTE_0 src1_sel:DWORD
	s_mov_b64 s[4:5], -1
                                        ; implicit-def: $sgpr10
	s_and_saveexec_b64 s[8:9], s[12:13]
; %bb.25002:
	s_mov_b32 s10, 0x7f800001
	s_xor_b64 s[4:5], exec, -1
; %bb.25003:
	s_or_b64 exec, exec, s[8:9]
	s_and_b64 s[4:5], s[4:5], exec
	s_or_saveexec_b64 s[6:7], s[6:7]
	v_mov_b32_e32 v2, s10
	s_xor_b64 exec, exec, s[6:7]
	s_cbranch_execnz .LBB1_25004
; %bb.60841:
	s_getpc_b64 s[14:15]
.Lpost_getpc16084:
	s_add_u32 s14, s14, (.LBB1_10666-.Lpost_getpc16084)&4294967295
	s_addc_u32 s15, s15, (.LBB1_10666-.Lpost_getpc16084)>>32
	s_setpc_b64 s[14:15]
.LBB1_25004:
	v_mov_b32_e32 v2, 0
	v_cmp_ne_u16_sdwa s[8:9], v6, v2 src0_sel:BYTE_0 src1_sel:DWORD
	s_andn2_b64 s[4:5], s[4:5], exec
	s_and_b64 s[8:9], s[8:9], exec
	s_or_b64 s[4:5], s[4:5], s[8:9]
	s_or_b64 exec, exec, s[6:7]
	s_and_saveexec_b64 s[6:7], s[4:5]
	s_cbranch_execz .LBB1_34005
; %bb.60843:
	s_getpc_b64 s[14:15]
.Lpost_getpc16085:
	s_add_u32 s14, s14, (.LBB1_10667-.Lpost_getpc16085)&4294967295
	s_addc_u32 s15, s15, (.LBB1_10667-.Lpost_getpc16085)>>32
	s_setpc_b64 s[14:15]
.LBB1_34005:
	s_getpc_b64 s[14:15]
.Lpost_getpc2666:
	s_add_u32 s14, s14, (.LBB1_10668-.Lpost_getpc2666)&4294967295
	s_addc_u32 s15, s15, (.LBB1_10668-.Lpost_getpc2666)>>32
	s_setpc_b64 s[14:15]
.LBB1_25005:
	s_movk_i32 s4, 0x80
	v_cmp_eq_u16_sdwa s[12:13], v6, s4 src0_sel:BYTE_0 src1_sel:DWORD
	s_mov_b64 s[4:5], -1
                                        ; implicit-def: $sgpr10
	s_and_saveexec_b64 s[8:9], s[12:13]
; %bb.25006:
	s_mov_b32 s10, 0x7f800001
	s_xor_b64 s[4:5], exec, -1
; %bb.25007:
	s_or_b64 exec, exec, s[8:9]
	s_and_b64 s[4:5], s[4:5], exec
	s_or_saveexec_b64 s[6:7], s[6:7]
	v_mov_b32_e32 v12, s10
	s_xor_b64 exec, exec, s[6:7]
	s_cbranch_execnz .LBB1_25008
; %bb.60845:
	s_getpc_b64 s[14:15]
.Lpost_getpc16086:
	s_add_u32 s14, s14, (.LBB1_10670-.Lpost_getpc16086)&4294967295
	s_addc_u32 s15, s15, (.LBB1_10670-.Lpost_getpc16086)>>32
	s_setpc_b64 s[14:15]
.LBB1_25008:
	v_mov_b32_e32 v12, 0
	v_cmp_ne_u16_sdwa s[8:9], v6, v12 src0_sel:BYTE_0 src1_sel:DWORD
	s_andn2_b64 s[4:5], s[4:5], exec
	s_and_b64 s[8:9], s[8:9], exec
	s_or_b64 s[4:5], s[4:5], s[8:9]
	s_or_b64 exec, exec, s[6:7]
	s_and_saveexec_b64 s[6:7], s[4:5]
	s_cbranch_execz .LBB1_34007
; %bb.60847:
	s_getpc_b64 s[14:15]
.Lpost_getpc16087:
	s_add_u32 s14, s14, (.LBB1_10671-.Lpost_getpc16087)&4294967295
	s_addc_u32 s15, s15, (.LBB1_10671-.Lpost_getpc16087)>>32
	s_setpc_b64 s[14:15]
.LBB1_34007:
	s_getpc_b64 s[14:15]
.Lpost_getpc2667:
	s_add_u32 s14, s14, (.LBB1_10672-.Lpost_getpc2667)&4294967295
	s_addc_u32 s15, s15, (.LBB1_10672-.Lpost_getpc2667)>>32
	s_setpc_b64 s[14:15]
.LBB1_25009:
	s_movk_i32 s4, 0x80
	v_cmp_eq_u16_e32 vcc, s4, v6
	s_mov_b64 s[4:5], -1
                                        ; implicit-def: $sgpr10
	s_and_saveexec_b64 s[8:9], vcc
; %bb.25010:
	s_mov_b32 s10, 0x7f800001
	s_xor_b64 s[4:5], exec, -1
; %bb.25011:
	s_or_b64 exec, exec, s[8:9]
	s_and_b64 s[4:5], s[4:5], exec
                                        ; implicit-def: $vgpr6
	s_or_saveexec_b64 s[6:7], s[6:7]
	v_mov_b32_e32 v2, s10
	s_xor_b64 exec, exec, s[6:7]
	s_cbranch_execnz .LBB1_25012
; %bb.60849:
	s_getpc_b64 s[14:15]
.Lpost_getpc16088:
	s_add_u32 s14, s14, (.LBB1_10674-.Lpost_getpc16088)&4294967295
	s_addc_u32 s15, s15, (.LBB1_10674-.Lpost_getpc16088)>>32
	s_setpc_b64 s[14:15]
.LBB1_25012:
	v_cmp_ne_u16_e32 vcc, 0, v6
	s_andn2_b64 s[4:5], s[4:5], exec
	s_and_b64 s[8:9], vcc, exec
	v_mov_b32_e32 v2, 0
	s_or_b64 s[4:5], s[4:5], s[8:9]
	s_or_b64 exec, exec, s[6:7]
	s_and_saveexec_b64 s[6:7], s[4:5]
	s_cbranch_execz .LBB1_34009
; %bb.60851:
	s_getpc_b64 s[14:15]
.Lpost_getpc16089:
	s_add_u32 s14, s14, (.LBB1_10675-.Lpost_getpc16089)&4294967295
	s_addc_u32 s15, s15, (.LBB1_10675-.Lpost_getpc16089)>>32
	s_setpc_b64 s[14:15]
.LBB1_34009:
	s_getpc_b64 s[14:15]
.Lpost_getpc2668:
	s_add_u32 s14, s14, (.LBB1_10676-.Lpost_getpc2668)&4294967295
	s_addc_u32 s15, s15, (.LBB1_10676-.Lpost_getpc2668)>>32
	s_setpc_b64 s[14:15]
.LBB1_25013:
	s_movk_i32 s4, 0x80
	v_cmp_eq_u16_e32 vcc, s4, v6
	s_mov_b64 s[4:5], -1
                                        ; implicit-def: $sgpr10
	s_and_saveexec_b64 s[8:9], vcc
; %bb.25014:
	s_mov_b32 s10, 0x7f800001
	s_xor_b64 s[4:5], exec, -1
; %bb.25015:
	s_or_b64 exec, exec, s[8:9]
	s_and_b64 s[4:5], s[4:5], exec
                                        ; implicit-def: $vgpr6
	s_or_saveexec_b64 s[6:7], s[6:7]
	v_mov_b32_e32 v12, s10
	s_xor_b64 exec, exec, s[6:7]
	s_cbranch_execnz .LBB1_25016
; %bb.60853:
	s_getpc_b64 s[14:15]
.Lpost_getpc16090:
	s_add_u32 s14, s14, (.LBB1_10678-.Lpost_getpc16090)&4294967295
	s_addc_u32 s15, s15, (.LBB1_10678-.Lpost_getpc16090)>>32
	s_setpc_b64 s[14:15]
.LBB1_25016:
	v_cmp_ne_u16_e32 vcc, 0, v6
	s_andn2_b64 s[4:5], s[4:5], exec
	s_and_b64 s[8:9], vcc, exec
	v_mov_b32_e32 v12, 0
	s_or_b64 s[4:5], s[4:5], s[8:9]
	s_or_b64 exec, exec, s[6:7]
	s_and_saveexec_b64 s[6:7], s[4:5]
	s_cbranch_execz .LBB1_34011
; %bb.60855:
	s_getpc_b64 s[14:15]
.Lpost_getpc16091:
	s_add_u32 s14, s14, (.LBB1_10679-.Lpost_getpc16091)&4294967295
	s_addc_u32 s15, s15, (.LBB1_10679-.Lpost_getpc16091)>>32
	s_setpc_b64 s[14:15]
.LBB1_34011:
	s_getpc_b64 s[14:15]
.Lpost_getpc2669:
	s_add_u32 s14, s14, (.LBB1_10680-.Lpost_getpc2669)&4294967295
	s_addc_u32 s15, s15, (.LBB1_10680-.Lpost_getpc2669)>>32
	s_setpc_b64 s[14:15]
.LBB1_25017:
	s_movk_i32 s4, 0x80
	v_cmp_eq_u16_sdwa s[12:13], v7, s4 src0_sel:BYTE_3 src1_sel:DWORD
	s_mov_b64 s[4:5], -1
                                        ; implicit-def: $sgpr10
	s_and_saveexec_b64 s[8:9], s[12:13]
; %bb.25018:
	s_mov_b32 s10, 0x7f800001
	s_xor_b64 s[4:5], exec, -1
; %bb.25019:
	s_or_b64 exec, exec, s[8:9]
	s_and_b64 s[4:5], s[4:5], exec
	s_or_saveexec_b64 s[6:7], s[6:7]
	v_mov_b32_e32 v2, s10
	s_xor_b64 exec, exec, s[6:7]
	s_cbranch_execnz .LBB1_25020
; %bb.60857:
	s_getpc_b64 s[14:15]
.Lpost_getpc16092:
	s_add_u32 s14, s14, (.LBB1_10682-.Lpost_getpc16092)&4294967295
	s_addc_u32 s15, s15, (.LBB1_10682-.Lpost_getpc16092)>>32
	s_setpc_b64 s[14:15]
.LBB1_25020:
	v_mov_b32_e32 v2, 0
	v_cmp_ne_u16_sdwa s[8:9], v7, v2 src0_sel:BYTE_3 src1_sel:DWORD
	s_andn2_b64 s[4:5], s[4:5], exec
	s_and_b64 s[8:9], s[8:9], exec
	s_or_b64 s[4:5], s[4:5], s[8:9]
	s_or_b64 exec, exec, s[6:7]
	s_and_saveexec_b64 s[6:7], s[4:5]
	s_cbranch_execz .LBB1_34013
; %bb.60859:
	s_getpc_b64 s[14:15]
.Lpost_getpc16093:
	s_add_u32 s14, s14, (.LBB1_10683-.Lpost_getpc16093)&4294967295
	s_addc_u32 s15, s15, (.LBB1_10683-.Lpost_getpc16093)>>32
	s_setpc_b64 s[14:15]
.LBB1_34013:
	s_getpc_b64 s[14:15]
.Lpost_getpc2670:
	s_add_u32 s14, s14, (.LBB1_10684-.Lpost_getpc2670)&4294967295
	s_addc_u32 s15, s15, (.LBB1_10684-.Lpost_getpc2670)>>32
	s_setpc_b64 s[14:15]
.LBB1_25021:
	s_movk_i32 s4, 0x80
	v_cmp_eq_u16_sdwa s[12:13], v3, s4 src0_sel:BYTE_3 src1_sel:DWORD
	s_mov_b64 s[4:5], -1
                                        ; implicit-def: $sgpr10
	s_and_saveexec_b64 s[8:9], s[12:13]
; %bb.25022:
	s_mov_b32 s10, 0x7f800001
	s_xor_b64 s[4:5], exec, -1
; %bb.25023:
	s_or_b64 exec, exec, s[8:9]
	s_and_b64 s[4:5], s[4:5], exec
	s_or_saveexec_b64 s[6:7], s[6:7]
	v_mov_b32_e32 v6, s10
	s_xor_b64 exec, exec, s[6:7]
	s_cbranch_execnz .LBB1_25024
; %bb.60861:
	s_getpc_b64 s[14:15]
.Lpost_getpc16094:
	s_add_u32 s14, s14, (.LBB1_10686-.Lpost_getpc16094)&4294967295
	s_addc_u32 s15, s15, (.LBB1_10686-.Lpost_getpc16094)>>32
	s_setpc_b64 s[14:15]
.LBB1_25024:
	v_mov_b32_e32 v6, 0
	v_cmp_ne_u16_sdwa s[8:9], v3, v6 src0_sel:BYTE_3 src1_sel:DWORD
	s_andn2_b64 s[4:5], s[4:5], exec
	s_and_b64 s[8:9], s[8:9], exec
	s_or_b64 s[4:5], s[4:5], s[8:9]
	s_or_b64 exec, exec, s[6:7]
	s_and_saveexec_b64 s[6:7], s[4:5]
	s_cbranch_execz .LBB1_34015
; %bb.60863:
	s_getpc_b64 s[14:15]
.Lpost_getpc16095:
	s_add_u32 s14, s14, (.LBB1_10687-.Lpost_getpc16095)&4294967295
	s_addc_u32 s15, s15, (.LBB1_10687-.Lpost_getpc16095)>>32
	s_setpc_b64 s[14:15]
.LBB1_34015:
	s_getpc_b64 s[14:15]
.Lpost_getpc2671:
	s_add_u32 s14, s14, (.LBB1_10688-.Lpost_getpc2671)&4294967295
	s_addc_u32 s15, s15, (.LBB1_10688-.Lpost_getpc2671)>>32
	s_setpc_b64 s[14:15]
.LBB1_25025:
	s_movk_i32 s4, 0x80
	v_cmp_eq_u16_sdwa s[12:13], v8, s4 src0_sel:BYTE_0 src1_sel:DWORD
	s_mov_b64 s[4:5], -1
                                        ; implicit-def: $sgpr10
	s_and_saveexec_b64 s[8:9], s[12:13]
; %bb.25026:
	s_mov_b32 s10, 0x7f800001
	s_xor_b64 s[4:5], exec, -1
; %bb.25027:
	s_or_b64 exec, exec, s[8:9]
	s_and_b64 s[4:5], s[4:5], exec
	s_or_saveexec_b64 s[6:7], s[6:7]
	v_mov_b32_e32 v2, s10
	s_xor_b64 exec, exec, s[6:7]
	s_cbranch_execnz .LBB1_25028
; %bb.60865:
	s_getpc_b64 s[14:15]
.Lpost_getpc16096:
	s_add_u32 s14, s14, (.LBB1_10690-.Lpost_getpc16096)&4294967295
	s_addc_u32 s15, s15, (.LBB1_10690-.Lpost_getpc16096)>>32
	s_setpc_b64 s[14:15]
.LBB1_25028:
	v_mov_b32_e32 v2, 0
	v_cmp_ne_u16_sdwa s[8:9], v8, v2 src0_sel:BYTE_0 src1_sel:DWORD
	s_andn2_b64 s[4:5], s[4:5], exec
	s_and_b64 s[8:9], s[8:9], exec
	s_or_b64 s[4:5], s[4:5], s[8:9]
	s_or_b64 exec, exec, s[6:7]
	s_and_saveexec_b64 s[6:7], s[4:5]
	s_cbranch_execz .LBB1_34017
; %bb.60867:
	s_getpc_b64 s[14:15]
.Lpost_getpc16097:
	s_add_u32 s14, s14, (.LBB1_10691-.Lpost_getpc16097)&4294967295
	s_addc_u32 s15, s15, (.LBB1_10691-.Lpost_getpc16097)>>32
	s_setpc_b64 s[14:15]
.LBB1_34017:
	s_getpc_b64 s[14:15]
.Lpost_getpc2672:
	s_add_u32 s14, s14, (.LBB1_10692-.Lpost_getpc2672)&4294967295
	s_addc_u32 s15, s15, (.LBB1_10692-.Lpost_getpc2672)>>32
	s_setpc_b64 s[14:15]
.LBB1_25029:
	s_movk_i32 s4, 0x80
	v_cmp_eq_u16_sdwa s[12:13], v4, s4 src0_sel:BYTE_0 src1_sel:DWORD
	s_mov_b64 s[4:5], -1
                                        ; implicit-def: $sgpr10
	s_and_saveexec_b64 s[8:9], s[12:13]
; %bb.25030:
	s_mov_b32 s10, 0x7f800001
	s_xor_b64 s[4:5], exec, -1
; %bb.25031:
	s_or_b64 exec, exec, s[8:9]
	s_and_b64 s[4:5], s[4:5], exec
	s_or_saveexec_b64 s[6:7], s[6:7]
	v_mov_b32_e32 v3, s10
	s_xor_b64 exec, exec, s[6:7]
	s_cbranch_execnz .LBB1_25032
; %bb.60869:
	s_getpc_b64 s[14:15]
.Lpost_getpc16098:
	s_add_u32 s14, s14, (.LBB1_10694-.Lpost_getpc16098)&4294967295
	s_addc_u32 s15, s15, (.LBB1_10694-.Lpost_getpc16098)>>32
	s_setpc_b64 s[14:15]
.LBB1_25032:
	v_mov_b32_e32 v3, 0
	v_cmp_ne_u16_sdwa s[8:9], v4, v3 src0_sel:BYTE_0 src1_sel:DWORD
	s_andn2_b64 s[4:5], s[4:5], exec
	s_and_b64 s[8:9], s[8:9], exec
	s_or_b64 s[4:5], s[4:5], s[8:9]
	s_or_b64 exec, exec, s[6:7]
	s_and_saveexec_b64 s[6:7], s[4:5]
	s_cbranch_execz .LBB1_34019
; %bb.60871:
	s_getpc_b64 s[14:15]
.Lpost_getpc16099:
	s_add_u32 s14, s14, (.LBB1_10695-.Lpost_getpc16099)&4294967295
	s_addc_u32 s15, s15, (.LBB1_10695-.Lpost_getpc16099)>>32
	s_setpc_b64 s[14:15]
.LBB1_34019:
	s_getpc_b64 s[14:15]
.Lpost_getpc2673:
	s_add_u32 s14, s14, (.LBB1_10696-.Lpost_getpc2673)&4294967295
	s_addc_u32 s15, s15, (.LBB1_10696-.Lpost_getpc2673)>>32
	s_setpc_b64 s[14:15]
.LBB1_25033:
	s_movk_i32 s4, 0x80
	v_cmp_eq_u16_sdwa s[12:13], v3, s4 src0_sel:BYTE_0 src1_sel:DWORD
	s_mov_b64 s[4:5], -1
                                        ; implicit-def: $sgpr10
	s_and_saveexec_b64 s[8:9], s[12:13]
; %bb.25034:
	s_mov_b32 s10, 0x7f800001
	s_xor_b64 s[4:5], exec, -1
; %bb.25035:
	s_or_b64 exec, exec, s[8:9]
	s_and_b64 s[4:5], s[4:5], exec
	s_or_saveexec_b64 s[6:7], s[6:7]
	v_mov_b32_e32 v2, s10
	s_xor_b64 exec, exec, s[6:7]
	s_cbranch_execnz .LBB1_25036
; %bb.60873:
	s_getpc_b64 s[14:15]
.Lpost_getpc16100:
	s_add_u32 s14, s14, (.LBB1_10698-.Lpost_getpc16100)&4294967295
	s_addc_u32 s15, s15, (.LBB1_10698-.Lpost_getpc16100)>>32
	s_setpc_b64 s[14:15]
.LBB1_25036:
	v_mov_b32_e32 v2, 0
	v_cmp_ne_u16_sdwa s[8:9], v3, v2 src0_sel:BYTE_0 src1_sel:DWORD
	s_andn2_b64 s[4:5], s[4:5], exec
	s_and_b64 s[8:9], s[8:9], exec
	s_or_b64 s[4:5], s[4:5], s[8:9]
	s_or_b64 exec, exec, s[6:7]
	s_and_saveexec_b64 s[6:7], s[4:5]
	s_cbranch_execz .LBB1_34021
; %bb.60875:
	s_getpc_b64 s[14:15]
.Lpost_getpc16101:
	s_add_u32 s14, s14, (.LBB1_10699-.Lpost_getpc16101)&4294967295
	s_addc_u32 s15, s15, (.LBB1_10699-.Lpost_getpc16101)>>32
	s_setpc_b64 s[14:15]
.LBB1_34021:
	s_getpc_b64 s[14:15]
.Lpost_getpc2674:
	s_add_u32 s14, s14, (.LBB1_10700-.Lpost_getpc2674)&4294967295
	s_addc_u32 s15, s15, (.LBB1_10700-.Lpost_getpc2674)>>32
	s_setpc_b64 s[14:15]
.LBB1_25037:
	s_movk_i32 s4, 0x80
	v_cmp_eq_u16_sdwa s[12:13], v3, s4 src0_sel:BYTE_0 src1_sel:DWORD
	s_mov_b64 s[4:5], -1
                                        ; implicit-def: $sgpr10
	s_and_saveexec_b64 s[8:9], s[12:13]
; %bb.25038:
	s_mov_b32 s10, 0x7f800001
	s_xor_b64 s[4:5], exec, -1
; %bb.25039:
	s_or_b64 exec, exec, s[8:9]
	s_and_b64 s[4:5], s[4:5], exec
	s_or_saveexec_b64 s[6:7], s[6:7]
	v_mov_b32_e32 v6, s10
	s_xor_b64 exec, exec, s[6:7]
	s_cbranch_execnz .LBB1_25040
; %bb.60877:
	s_getpc_b64 s[14:15]
.Lpost_getpc16102:
	s_add_u32 s14, s14, (.LBB1_10702-.Lpost_getpc16102)&4294967295
	s_addc_u32 s15, s15, (.LBB1_10702-.Lpost_getpc16102)>>32
	s_setpc_b64 s[14:15]
.LBB1_25040:
	v_mov_b32_e32 v6, 0
	v_cmp_ne_u16_sdwa s[8:9], v3, v6 src0_sel:BYTE_0 src1_sel:DWORD
	s_andn2_b64 s[4:5], s[4:5], exec
	s_and_b64 s[8:9], s[8:9], exec
	s_or_b64 s[4:5], s[4:5], s[8:9]
	s_or_b64 exec, exec, s[6:7]
	s_and_saveexec_b64 s[6:7], s[4:5]
	s_cbranch_execz .LBB1_34023
; %bb.60879:
	s_getpc_b64 s[14:15]
.Lpost_getpc16103:
	s_add_u32 s14, s14, (.LBB1_10703-.Lpost_getpc16103)&4294967295
	s_addc_u32 s15, s15, (.LBB1_10703-.Lpost_getpc16103)>>32
	s_setpc_b64 s[14:15]
.LBB1_34023:
	s_getpc_b64 s[14:15]
.Lpost_getpc2675:
	s_add_u32 s14, s14, (.LBB1_10704-.Lpost_getpc2675)&4294967295
	s_addc_u32 s15, s15, (.LBB1_10704-.Lpost_getpc2675)>>32
	s_setpc_b64 s[14:15]
.LBB1_25041:
	s_movk_i32 s4, 0x80
	v_cmp_eq_u16_e32 vcc, s4, v3
	s_mov_b64 s[4:5], -1
                                        ; implicit-def: $sgpr10
	s_and_saveexec_b64 s[8:9], vcc
; %bb.25042:
	s_mov_b32 s10, 0x7f800001
	s_xor_b64 s[4:5], exec, -1
; %bb.25043:
	s_or_b64 exec, exec, s[8:9]
	s_and_b64 s[4:5], s[4:5], exec
                                        ; implicit-def: $vgpr3
	s_or_saveexec_b64 s[6:7], s[6:7]
	v_mov_b32_e32 v2, s10
	s_xor_b64 exec, exec, s[6:7]
	s_cbranch_execnz .LBB1_25044
; %bb.60881:
	s_getpc_b64 s[14:15]
.Lpost_getpc16104:
	s_add_u32 s14, s14, (.LBB1_10706-.Lpost_getpc16104)&4294967295
	s_addc_u32 s15, s15, (.LBB1_10706-.Lpost_getpc16104)>>32
	s_setpc_b64 s[14:15]
.LBB1_25044:
	v_cmp_ne_u16_e32 vcc, 0, v3
	s_andn2_b64 s[4:5], s[4:5], exec
	s_and_b64 s[8:9], vcc, exec
	v_mov_b32_e32 v2, 0
	s_or_b64 s[4:5], s[4:5], s[8:9]
	s_or_b64 exec, exec, s[6:7]
	s_and_saveexec_b64 s[6:7], s[4:5]
	s_cbranch_execz .LBB1_34025
; %bb.60883:
	s_getpc_b64 s[14:15]
.Lpost_getpc16105:
	s_add_u32 s14, s14, (.LBB1_10707-.Lpost_getpc16105)&4294967295
	s_addc_u32 s15, s15, (.LBB1_10707-.Lpost_getpc16105)>>32
	s_setpc_b64 s[14:15]
.LBB1_34025:
	s_getpc_b64 s[14:15]
.Lpost_getpc2676:
	s_add_u32 s14, s14, (.LBB1_10708-.Lpost_getpc2676)&4294967295
	s_addc_u32 s15, s15, (.LBB1_10708-.Lpost_getpc2676)>>32
	s_setpc_b64 s[14:15]
.LBB1_25045:
	s_movk_i32 s4, 0x80
	v_cmp_eq_u16_e32 vcc, s4, v3
	s_mov_b64 s[4:5], -1
                                        ; implicit-def: $sgpr10
	s_and_saveexec_b64 s[8:9], vcc
; %bb.25046:
	s_mov_b32 s10, 0x7f800001
	s_xor_b64 s[4:5], exec, -1
; %bb.25047:
	s_or_b64 exec, exec, s[8:9]
	s_and_b64 s[4:5], s[4:5], exec
                                        ; implicit-def: $vgpr3
	s_or_saveexec_b64 s[6:7], s[6:7]
	v_mov_b32_e32 v6, s10
	s_xor_b64 exec, exec, s[6:7]
	s_cbranch_execnz .LBB1_25048
; %bb.60885:
	s_getpc_b64 s[14:15]
.Lpost_getpc16106:
	s_add_u32 s14, s14, (.LBB1_10710-.Lpost_getpc16106)&4294967295
	s_addc_u32 s15, s15, (.LBB1_10710-.Lpost_getpc16106)>>32
	s_setpc_b64 s[14:15]
.LBB1_25048:
	v_cmp_ne_u16_e32 vcc, 0, v3
	s_andn2_b64 s[4:5], s[4:5], exec
	s_and_b64 s[8:9], vcc, exec
	v_mov_b32_e32 v6, 0
	s_or_b64 s[4:5], s[4:5], s[8:9]
	s_or_b64 exec, exec, s[6:7]
	s_and_saveexec_b64 s[6:7], s[4:5]
	s_cbranch_execz .LBB1_34027
; %bb.60887:
	s_getpc_b64 s[14:15]
.Lpost_getpc16107:
	s_add_u32 s14, s14, (.LBB1_10711-.Lpost_getpc16107)&4294967295
	s_addc_u32 s15, s15, (.LBB1_10711-.Lpost_getpc16107)>>32
	s_setpc_b64 s[14:15]
.LBB1_34027:
	s_getpc_b64 s[14:15]
.Lpost_getpc2677:
	s_add_u32 s14, s14, (.LBB1_10712-.Lpost_getpc2677)&4294967295
	s_addc_u32 s15, s15, (.LBB1_10712-.Lpost_getpc2677)>>32
	s_setpc_b64 s[14:15]
.LBB1_25049:
	s_movk_i32 s4, 0x80
	v_cmp_eq_u16_sdwa s[12:13], v8, s4 src0_sel:BYTE_3 src1_sel:DWORD
	s_mov_b64 s[4:5], -1
                                        ; implicit-def: $sgpr10
	s_and_saveexec_b64 s[8:9], s[12:13]
; %bb.25050:
	s_mov_b32 s10, 0x7f800001
	s_xor_b64 s[4:5], exec, -1
; %bb.25051:
	s_or_b64 exec, exec, s[8:9]
	s_and_b64 s[4:5], s[4:5], exec
	s_or_saveexec_b64 s[6:7], s[6:7]
	v_mov_b32_e32 v2, s10
	s_xor_b64 exec, exec, s[6:7]
	s_cbranch_execnz .LBB1_25052
; %bb.60889:
	s_getpc_b64 s[14:15]
.Lpost_getpc16108:
	s_add_u32 s14, s14, (.LBB1_10714-.Lpost_getpc16108)&4294967295
	s_addc_u32 s15, s15, (.LBB1_10714-.Lpost_getpc16108)>>32
	s_setpc_b64 s[14:15]
.LBB1_25052:
	v_mov_b32_e32 v2, 0
	v_cmp_ne_u16_sdwa s[8:9], v8, v2 src0_sel:BYTE_3 src1_sel:DWORD
	s_andn2_b64 s[4:5], s[4:5], exec
	s_and_b64 s[8:9], s[8:9], exec
	s_or_b64 s[4:5], s[4:5], s[8:9]
	s_or_b64 exec, exec, s[6:7]
	s_and_saveexec_b64 s[6:7], s[4:5]
	s_cbranch_execz .LBB1_34029
; %bb.60891:
	s_getpc_b64 s[14:15]
.Lpost_getpc16109:
	s_add_u32 s14, s14, (.LBB1_10715-.Lpost_getpc16109)&4294967295
	s_addc_u32 s15, s15, (.LBB1_10715-.Lpost_getpc16109)>>32
	s_setpc_b64 s[14:15]
.LBB1_34029:
	s_getpc_b64 s[14:15]
.Lpost_getpc2678:
	s_add_u32 s14, s14, (.LBB1_10716-.Lpost_getpc2678)&4294967295
	s_addc_u32 s15, s15, (.LBB1_10716-.Lpost_getpc2678)>>32
	s_setpc_b64 s[14:15]
.LBB1_25053:
	s_movk_i32 s4, 0x80
	v_cmp_eq_u16_sdwa s[12:13], v4, s4 src0_sel:BYTE_3 src1_sel:DWORD
	s_mov_b64 s[4:5], -1
                                        ; implicit-def: $sgpr10
	s_and_saveexec_b64 s[8:9], s[12:13]
; %bb.25054:
	s_mov_b32 s10, 0x7f800001
	s_xor_b64 s[4:5], exec, -1
; %bb.25055:
	s_or_b64 exec, exec, s[8:9]
	s_and_b64 s[4:5], s[4:5], exec
	s_or_saveexec_b64 s[6:7], s[6:7]
	v_mov_b32_e32 v3, s10
	s_xor_b64 exec, exec, s[6:7]
	s_cbranch_execnz .LBB1_25056
; %bb.60893:
	s_getpc_b64 s[14:15]
.Lpost_getpc16110:
	s_add_u32 s14, s14, (.LBB1_10718-.Lpost_getpc16110)&4294967295
	s_addc_u32 s15, s15, (.LBB1_10718-.Lpost_getpc16110)>>32
	s_setpc_b64 s[14:15]
.LBB1_25056:
	v_mov_b32_e32 v3, 0
	v_cmp_ne_u16_sdwa s[8:9], v4, v3 src0_sel:BYTE_3 src1_sel:DWORD
	s_andn2_b64 s[4:5], s[4:5], exec
	s_and_b64 s[8:9], s[8:9], exec
	s_or_b64 s[4:5], s[4:5], s[8:9]
	s_or_b64 exec, exec, s[6:7]
	s_and_saveexec_b64 s[6:7], s[4:5]
	s_cbranch_execz .LBB1_34031
; %bb.60895:
	s_getpc_b64 s[14:15]
.Lpost_getpc16111:
	s_add_u32 s14, s14, (.LBB1_10719-.Lpost_getpc16111)&4294967295
	s_addc_u32 s15, s15, (.LBB1_10719-.Lpost_getpc16111)>>32
	s_setpc_b64 s[14:15]
.LBB1_34031:
	s_getpc_b64 s[14:15]
.Lpost_getpc2679:
	s_add_u32 s14, s14, (.LBB1_10720-.Lpost_getpc2679)&4294967295
	s_addc_u32 s15, s15, (.LBB1_10720-.Lpost_getpc2679)>>32
	s_setpc_b64 s[14:15]
.LBB1_25057:
	s_movk_i32 s4, 0x80
	v_cmp_eq_u16_sdwa s[12:13], v9, s4 src0_sel:BYTE_0 src1_sel:DWORD
	s_mov_b64 s[4:5], -1
                                        ; implicit-def: $sgpr10
	s_and_saveexec_b64 s[8:9], s[12:13]
; %bb.25058:
	s_mov_b32 s10, 0x7f800001
	s_xor_b64 s[4:5], exec, -1
; %bb.25059:
	s_or_b64 exec, exec, s[8:9]
	s_and_b64 s[4:5], s[4:5], exec
	s_or_saveexec_b64 s[6:7], s[6:7]
	v_mov_b32_e32 v2, s10
	s_xor_b64 exec, exec, s[6:7]
	s_cbranch_execnz .LBB1_25060
; %bb.60897:
	s_getpc_b64 s[14:15]
.Lpost_getpc16112:
	s_add_u32 s14, s14, (.LBB1_10722-.Lpost_getpc16112)&4294967295
	s_addc_u32 s15, s15, (.LBB1_10722-.Lpost_getpc16112)>>32
	s_setpc_b64 s[14:15]
.LBB1_25060:
	v_mov_b32_e32 v2, 0
	v_cmp_ne_u16_sdwa s[8:9], v9, v2 src0_sel:BYTE_0 src1_sel:DWORD
	s_andn2_b64 s[4:5], s[4:5], exec
	s_and_b64 s[8:9], s[8:9], exec
	s_or_b64 s[4:5], s[4:5], s[8:9]
	s_or_b64 exec, exec, s[6:7]
	s_and_saveexec_b64 s[6:7], s[4:5]
	s_cbranch_execz .LBB1_34033
; %bb.60899:
	s_getpc_b64 s[14:15]
.Lpost_getpc16113:
	s_add_u32 s14, s14, (.LBB1_10723-.Lpost_getpc16113)&4294967295
	s_addc_u32 s15, s15, (.LBB1_10723-.Lpost_getpc16113)>>32
	s_setpc_b64 s[14:15]
.LBB1_34033:
	s_getpc_b64 s[14:15]
.Lpost_getpc2680:
	s_add_u32 s14, s14, (.LBB1_10724-.Lpost_getpc2680)&4294967295
	s_addc_u32 s15, s15, (.LBB1_10724-.Lpost_getpc2680)>>32
	s_setpc_b64 s[14:15]
.LBB1_25061:
	s_movk_i32 s4, 0x80
	v_cmp_eq_u16_sdwa s[12:13], v5, s4 src0_sel:BYTE_0 src1_sel:DWORD
	s_mov_b64 s[4:5], -1
                                        ; implicit-def: $sgpr10
	s_and_saveexec_b64 s[8:9], s[12:13]
; %bb.25062:
	s_mov_b32 s10, 0x7f800001
	s_xor_b64 s[4:5], exec, -1
; %bb.25063:
	s_or_b64 exec, exec, s[8:9]
	s_and_b64 s[4:5], s[4:5], exec
	s_or_saveexec_b64 s[6:7], s[6:7]
	v_mov_b32_e32 v3, s10
	s_xor_b64 exec, exec, s[6:7]
	s_cbranch_execnz .LBB1_25064
; %bb.60901:
	s_getpc_b64 s[14:15]
.Lpost_getpc16114:
	s_add_u32 s14, s14, (.LBB1_10726-.Lpost_getpc16114)&4294967295
	s_addc_u32 s15, s15, (.LBB1_10726-.Lpost_getpc16114)>>32
	s_setpc_b64 s[14:15]
.LBB1_25064:
	v_mov_b32_e32 v3, 0
	v_cmp_ne_u16_sdwa s[8:9], v5, v3 src0_sel:BYTE_0 src1_sel:DWORD
	s_andn2_b64 s[4:5], s[4:5], exec
	s_and_b64 s[8:9], s[8:9], exec
	s_or_b64 s[4:5], s[4:5], s[8:9]
	s_or_b64 exec, exec, s[6:7]
	s_and_saveexec_b64 s[6:7], s[4:5]
	s_cbranch_execz .LBB1_34035
; %bb.60903:
	s_getpc_b64 s[14:15]
.Lpost_getpc16115:
	s_add_u32 s14, s14, (.LBB1_10727-.Lpost_getpc16115)&4294967295
	s_addc_u32 s15, s15, (.LBB1_10727-.Lpost_getpc16115)>>32
	s_setpc_b64 s[14:15]
.LBB1_34035:
	s_getpc_b64 s[14:15]
.Lpost_getpc2681:
	s_add_u32 s14, s14, (.LBB1_10728-.Lpost_getpc2681)&4294967295
	s_addc_u32 s15, s15, (.LBB1_10728-.Lpost_getpc2681)>>32
	s_setpc_b64 s[14:15]
.LBB1_25065:
	s_movk_i32 s4, 0x80
	v_cmp_eq_u16_sdwa s[12:13], v3, s4 src0_sel:BYTE_0 src1_sel:DWORD
	s_mov_b64 s[4:5], -1
                                        ; implicit-def: $sgpr10
	s_and_saveexec_b64 s[8:9], s[12:13]
; %bb.25066:
	s_mov_b32 s10, 0x7f800001
	s_xor_b64 s[4:5], exec, -1
; %bb.25067:
	s_or_b64 exec, exec, s[8:9]
	s_and_b64 s[4:5], s[4:5], exec
	s_or_saveexec_b64 s[6:7], s[6:7]
	v_mov_b32_e32 v2, s10
	s_xor_b64 exec, exec, s[6:7]
	s_cbranch_execnz .LBB1_25068
; %bb.60905:
	s_getpc_b64 s[14:15]
.Lpost_getpc16116:
	s_add_u32 s14, s14, (.LBB1_10730-.Lpost_getpc16116)&4294967295
	s_addc_u32 s15, s15, (.LBB1_10730-.Lpost_getpc16116)>>32
	s_setpc_b64 s[14:15]
.LBB1_25068:
	v_mov_b32_e32 v2, 0
	v_cmp_ne_u16_sdwa s[8:9], v3, v2 src0_sel:BYTE_0 src1_sel:DWORD
	s_andn2_b64 s[4:5], s[4:5], exec
	s_and_b64 s[8:9], s[8:9], exec
	s_or_b64 s[4:5], s[4:5], s[8:9]
	s_or_b64 exec, exec, s[6:7]
	s_and_saveexec_b64 s[6:7], s[4:5]
	s_cbranch_execz .LBB1_34037
; %bb.60907:
	s_getpc_b64 s[14:15]
.Lpost_getpc16117:
	s_add_u32 s14, s14, (.LBB1_10731-.Lpost_getpc16117)&4294967295
	s_addc_u32 s15, s15, (.LBB1_10731-.Lpost_getpc16117)>>32
	s_setpc_b64 s[14:15]
.LBB1_34037:
	s_getpc_b64 s[14:15]
.Lpost_getpc2682:
	s_add_u32 s14, s14, (.LBB1_10732-.Lpost_getpc2682)&4294967295
	s_addc_u32 s15, s15, (.LBB1_10732-.Lpost_getpc2682)>>32
	s_setpc_b64 s[14:15]
.LBB1_25069:
	s_movk_i32 s4, 0x80
	v_cmp_eq_u16_sdwa s[12:13], v3, s4 src0_sel:BYTE_0 src1_sel:DWORD
	s_mov_b64 s[4:5], -1
                                        ; implicit-def: $sgpr10
	s_and_saveexec_b64 s[8:9], s[12:13]
; %bb.25070:
	s_mov_b32 s10, 0x7f800001
	s_xor_b64 s[4:5], exec, -1
; %bb.25071:
	s_or_b64 exec, exec, s[8:9]
	s_and_b64 s[4:5], s[4:5], exec
	s_or_saveexec_b64 s[6:7], s[6:7]
	v_mov_b32_e32 v4, s10
	s_xor_b64 exec, exec, s[6:7]
	s_cbranch_execnz .LBB1_25072
; %bb.60909:
	s_getpc_b64 s[14:15]
.Lpost_getpc16118:
	s_add_u32 s14, s14, (.LBB1_10734-.Lpost_getpc16118)&4294967295
	s_addc_u32 s15, s15, (.LBB1_10734-.Lpost_getpc16118)>>32
	s_setpc_b64 s[14:15]
.LBB1_25072:
	v_mov_b32_e32 v4, 0
	v_cmp_ne_u16_sdwa s[8:9], v3, v4 src0_sel:BYTE_0 src1_sel:DWORD
	s_andn2_b64 s[4:5], s[4:5], exec
	s_and_b64 s[8:9], s[8:9], exec
	s_or_b64 s[4:5], s[4:5], s[8:9]
	s_or_b64 exec, exec, s[6:7]
	s_and_saveexec_b64 s[6:7], s[4:5]
	s_cbranch_execz .LBB1_34039
; %bb.60911:
	s_getpc_b64 s[14:15]
.Lpost_getpc16119:
	s_add_u32 s14, s14, (.LBB1_10735-.Lpost_getpc16119)&4294967295
	s_addc_u32 s15, s15, (.LBB1_10735-.Lpost_getpc16119)>>32
	s_setpc_b64 s[14:15]
.LBB1_34039:
	s_getpc_b64 s[14:15]
.Lpost_getpc2683:
	s_add_u32 s14, s14, (.LBB1_10736-.Lpost_getpc2683)&4294967295
	s_addc_u32 s15, s15, (.LBB1_10736-.Lpost_getpc2683)>>32
	s_setpc_b64 s[14:15]
.LBB1_25073:
	s_movk_i32 s4, 0x80
	v_cmp_eq_u16_e32 vcc, s4, v3
	s_mov_b64 s[4:5], -1
                                        ; implicit-def: $sgpr10
	s_and_saveexec_b64 s[8:9], vcc
; %bb.25074:
	s_mov_b32 s10, 0x7f800001
	s_xor_b64 s[4:5], exec, -1
; %bb.25075:
	s_or_b64 exec, exec, s[8:9]
	s_and_b64 s[4:5], s[4:5], exec
                                        ; implicit-def: $vgpr3
	s_or_saveexec_b64 s[6:7], s[6:7]
	v_mov_b32_e32 v2, s10
	s_xor_b64 exec, exec, s[6:7]
	s_cbranch_execnz .LBB1_25076
; %bb.60913:
	s_getpc_b64 s[14:15]
.Lpost_getpc16120:
	s_add_u32 s14, s14, (.LBB1_10738-.Lpost_getpc16120)&4294967295
	s_addc_u32 s15, s15, (.LBB1_10738-.Lpost_getpc16120)>>32
	s_setpc_b64 s[14:15]
.LBB1_25076:
	v_cmp_ne_u16_e32 vcc, 0, v3
	s_andn2_b64 s[4:5], s[4:5], exec
	s_and_b64 s[8:9], vcc, exec
	v_mov_b32_e32 v2, 0
	s_or_b64 s[4:5], s[4:5], s[8:9]
	s_or_b64 exec, exec, s[6:7]
	s_and_saveexec_b64 s[6:7], s[4:5]
	s_cbranch_execz .LBB1_34041
; %bb.60915:
	s_getpc_b64 s[14:15]
.Lpost_getpc16121:
	s_add_u32 s14, s14, (.LBB1_10739-.Lpost_getpc16121)&4294967295
	s_addc_u32 s15, s15, (.LBB1_10739-.Lpost_getpc16121)>>32
	s_setpc_b64 s[14:15]
.LBB1_34041:
	s_getpc_b64 s[14:15]
.Lpost_getpc2684:
	s_add_u32 s14, s14, (.LBB1_10740-.Lpost_getpc2684)&4294967295
	s_addc_u32 s15, s15, (.LBB1_10740-.Lpost_getpc2684)>>32
	s_setpc_b64 s[14:15]
.LBB1_25077:
	s_movk_i32 s4, 0x80
	v_cmp_eq_u16_e32 vcc, s4, v3
	s_mov_b64 s[4:5], -1
                                        ; implicit-def: $sgpr10
	s_and_saveexec_b64 s[8:9], vcc
; %bb.25078:
	s_mov_b32 s10, 0x7f800001
	s_xor_b64 s[4:5], exec, -1
; %bb.25079:
	s_or_b64 exec, exec, s[8:9]
	s_and_b64 s[4:5], s[4:5], exec
                                        ; implicit-def: $vgpr3
	s_or_saveexec_b64 s[6:7], s[6:7]
	v_mov_b32_e32 v4, s10
	s_xor_b64 exec, exec, s[6:7]
	s_cbranch_execnz .LBB1_25080
; %bb.60917:
	s_getpc_b64 s[14:15]
.Lpost_getpc16122:
	s_add_u32 s14, s14, (.LBB1_10742-.Lpost_getpc16122)&4294967295
	s_addc_u32 s15, s15, (.LBB1_10742-.Lpost_getpc16122)>>32
	s_setpc_b64 s[14:15]
.LBB1_25080:
	v_cmp_ne_u16_e32 vcc, 0, v3
	s_andn2_b64 s[4:5], s[4:5], exec
	s_and_b64 s[8:9], vcc, exec
	v_mov_b32_e32 v4, 0
	s_or_b64 s[4:5], s[4:5], s[8:9]
	s_or_b64 exec, exec, s[6:7]
	s_and_saveexec_b64 s[6:7], s[4:5]
	s_cbranch_execz .LBB1_34043
; %bb.60919:
	s_getpc_b64 s[14:15]
.Lpost_getpc16123:
	s_add_u32 s14, s14, (.LBB1_10743-.Lpost_getpc16123)&4294967295
	s_addc_u32 s15, s15, (.LBB1_10743-.Lpost_getpc16123)>>32
	s_setpc_b64 s[14:15]
.LBB1_34043:
	s_getpc_b64 s[14:15]
.Lpost_getpc2685:
	s_add_u32 s14, s14, (.LBB1_10744-.Lpost_getpc2685)&4294967295
	s_addc_u32 s15, s15, (.LBB1_10744-.Lpost_getpc2685)>>32
	s_setpc_b64 s[14:15]
.LBB1_25081:
	s_movk_i32 s4, 0x80
	v_cmp_eq_u16_sdwa s[12:13], v9, s4 src0_sel:BYTE_3 src1_sel:DWORD
	s_mov_b64 s[4:5], -1
                                        ; implicit-def: $sgpr10
	s_and_saveexec_b64 s[8:9], s[12:13]
; %bb.25082:
	s_mov_b32 s10, 0x7f800001
	s_xor_b64 s[4:5], exec, -1
; %bb.25083:
	s_or_b64 exec, exec, s[8:9]
	s_and_b64 s[4:5], s[4:5], exec
	s_or_saveexec_b64 s[6:7], s[6:7]
	v_mov_b32_e32 v2, s10
	s_xor_b64 exec, exec, s[6:7]
	s_cbranch_execnz .LBB1_25084
; %bb.60921:
	s_getpc_b64 s[14:15]
.Lpost_getpc16124:
	s_add_u32 s14, s14, (.LBB1_10746-.Lpost_getpc16124)&4294967295
	s_addc_u32 s15, s15, (.LBB1_10746-.Lpost_getpc16124)>>32
	s_setpc_b64 s[14:15]
.LBB1_25084:
	v_mov_b32_e32 v2, 0
	v_cmp_ne_u16_sdwa s[8:9], v9, v2 src0_sel:BYTE_3 src1_sel:DWORD
	s_andn2_b64 s[4:5], s[4:5], exec
	s_and_b64 s[8:9], s[8:9], exec
	s_or_b64 s[4:5], s[4:5], s[8:9]
	s_or_b64 exec, exec, s[6:7]
	s_and_saveexec_b64 s[6:7], s[4:5]
	s_cbranch_execz .LBB1_34045
; %bb.60923:
	s_getpc_b64 s[14:15]
.Lpost_getpc16125:
	s_add_u32 s14, s14, (.LBB1_10747-.Lpost_getpc16125)&4294967295
	s_addc_u32 s15, s15, (.LBB1_10747-.Lpost_getpc16125)>>32
	s_setpc_b64 s[14:15]
.LBB1_34045:
	s_getpc_b64 s[14:15]
.Lpost_getpc2686:
	s_add_u32 s14, s14, (.LBB1_10748-.Lpost_getpc2686)&4294967295
	s_addc_u32 s15, s15, (.LBB1_10748-.Lpost_getpc2686)>>32
	s_setpc_b64 s[14:15]
.LBB1_25085:
	s_movk_i32 s4, 0x80
	v_cmp_eq_u16_sdwa s[12:13], v5, s4 src0_sel:BYTE_3 src1_sel:DWORD
	s_mov_b64 s[4:5], -1
                                        ; implicit-def: $sgpr10
	s_and_saveexec_b64 s[8:9], s[12:13]
; %bb.25086:
	s_mov_b32 s10, 0x7f800001
	s_xor_b64 s[4:5], exec, -1
; %bb.25087:
	s_or_b64 exec, exec, s[8:9]
	s_and_b64 s[4:5], s[4:5], exec
	s_or_saveexec_b64 s[6:7], s[6:7]
	v_mov_b32_e32 v3, s10
	s_xor_b64 exec, exec, s[6:7]
	s_cbranch_execnz .LBB1_25088
; %bb.60925:
	s_getpc_b64 s[14:15]
.Lpost_getpc16126:
	s_add_u32 s14, s14, (.LBB1_10750-.Lpost_getpc16126)&4294967295
	s_addc_u32 s15, s15, (.LBB1_10750-.Lpost_getpc16126)>>32
	s_setpc_b64 s[14:15]
.LBB1_25088:
	v_mov_b32_e32 v3, 0
	v_cmp_ne_u16_sdwa s[8:9], v5, v3 src0_sel:BYTE_3 src1_sel:DWORD
	s_andn2_b64 s[4:5], s[4:5], exec
	s_and_b64 s[8:9], s[8:9], exec
	s_or_b64 s[4:5], s[4:5], s[8:9]
	s_or_b64 exec, exec, s[6:7]
	s_and_saveexec_b64 s[6:7], s[4:5]
	s_cbranch_execz .LBB1_34047
; %bb.60927:
	s_getpc_b64 s[14:15]
.Lpost_getpc16127:
	s_add_u32 s14, s14, (.LBB1_10751-.Lpost_getpc16127)&4294967295
	s_addc_u32 s15, s15, (.LBB1_10751-.Lpost_getpc16127)>>32
	s_setpc_b64 s[14:15]
.LBB1_34047:
	s_getpc_b64 s[14:15]
.Lpost_getpc2687:
	s_add_u32 s14, s14, (.LBB1_10752-.Lpost_getpc2687)&4294967295
	s_addc_u32 s15, s15, (.LBB1_10752-.Lpost_getpc2687)>>32
	s_setpc_b64 s[14:15]
.LBB1_25089:
	s_movk_i32 s4, 0x80
	v_cmp_eq_u16_sdwa s[12:13], v6, s4 src0_sel:BYTE_0 src1_sel:DWORD
	s_mov_b64 s[4:5], -1
                                        ; implicit-def: $sgpr10
	s_and_saveexec_b64 s[8:9], s[12:13]
; %bb.25090:
	s_mov_b32 s10, 0x7f800001
	s_xor_b64 s[4:5], exec, -1
; %bb.25091:
	s_or_b64 exec, exec, s[8:9]
	s_and_b64 s[4:5], s[4:5], exec
	s_or_saveexec_b64 s[6:7], s[6:7]
	v_mov_b32_e32 v12, s10
	s_xor_b64 exec, exec, s[6:7]
	s_cbranch_execnz .LBB1_25092
; %bb.60929:
	s_getpc_b64 s[14:15]
.Lpost_getpc16128:
	s_add_u32 s14, s14, (.LBB1_10754-.Lpost_getpc16128)&4294967295
	s_addc_u32 s15, s15, (.LBB1_10754-.Lpost_getpc16128)>>32
	s_setpc_b64 s[14:15]
.LBB1_25092:
	v_mov_b32_e32 v12, 0
	v_cmp_ne_u16_sdwa s[8:9], v6, v12 src0_sel:BYTE_0 src1_sel:DWORD
	s_andn2_b64 s[4:5], s[4:5], exec
	s_and_b64 s[8:9], s[8:9], exec
	s_or_b64 s[4:5], s[4:5], s[8:9]
	s_or_b64 exec, exec, s[6:7]
	s_and_saveexec_b64 s[6:7], s[4:5]
	s_cbranch_execz .LBB1_34049
; %bb.60931:
	s_getpc_b64 s[14:15]
.Lpost_getpc16129:
	s_add_u32 s14, s14, (.LBB1_10755-.Lpost_getpc16129)&4294967295
	s_addc_u32 s15, s15, (.LBB1_10755-.Lpost_getpc16129)>>32
	s_setpc_b64 s[14:15]
.LBB1_34049:
	s_getpc_b64 s[14:15]
.Lpost_getpc2688:
	s_add_u32 s14, s14, (.LBB1_10756-.Lpost_getpc2688)&4294967295
	s_addc_u32 s15, s15, (.LBB1_10756-.Lpost_getpc2688)>>32
	s_setpc_b64 s[14:15]
.LBB1_25093:
	s_movk_i32 s4, 0x80
	v_cmp_eq_u16_sdwa s[12:13], v2, s4 src0_sel:BYTE_0 src1_sel:DWORD
	s_mov_b64 s[4:5], -1
                                        ; implicit-def: $sgpr10
	s_and_saveexec_b64 s[8:9], s[12:13]
; %bb.25094:
	s_mov_b32 s10, 0x7f800001
	s_xor_b64 s[4:5], exec, -1
; %bb.25095:
	s_or_b64 exec, exec, s[8:9]
	s_and_b64 s[4:5], s[4:5], exec
	s_or_saveexec_b64 s[6:7], s[6:7]
	v_mov_b32_e32 v13, s10
	s_xor_b64 exec, exec, s[6:7]
	s_cbranch_execnz .LBB1_25096
; %bb.60933:
	s_getpc_b64 s[14:15]
.Lpost_getpc16130:
	s_add_u32 s14, s14, (.LBB1_10758-.Lpost_getpc16130)&4294967295
	s_addc_u32 s15, s15, (.LBB1_10758-.Lpost_getpc16130)>>32
	s_setpc_b64 s[14:15]
.LBB1_25096:
	v_mov_b32_e32 v13, 0
	v_cmp_ne_u16_sdwa s[8:9], v2, v13 src0_sel:BYTE_0 src1_sel:DWORD
	s_andn2_b64 s[4:5], s[4:5], exec
	s_and_b64 s[8:9], s[8:9], exec
	s_or_b64 s[4:5], s[4:5], s[8:9]
	s_or_b64 exec, exec, s[6:7]
	s_and_saveexec_b64 s[6:7], s[4:5]
	s_cbranch_execz .LBB1_34051
; %bb.60935:
	s_getpc_b64 s[14:15]
.Lpost_getpc16131:
	s_add_u32 s14, s14, (.LBB1_10759-.Lpost_getpc16131)&4294967295
	s_addc_u32 s15, s15, (.LBB1_10759-.Lpost_getpc16131)>>32
	s_setpc_b64 s[14:15]
.LBB1_34051:
	s_getpc_b64 s[14:15]
.Lpost_getpc2689:
	s_add_u32 s14, s14, (.LBB1_10760-.Lpost_getpc2689)&4294967295
	s_addc_u32 s15, s15, (.LBB1_10760-.Lpost_getpc2689)>>32
	s_setpc_b64 s[14:15]
.LBB1_25097:
	s_movk_i32 s4, 0x80
	v_cmp_eq_u16_sdwa s[12:13], v13, s4 src0_sel:BYTE_0 src1_sel:DWORD
	s_mov_b64 s[4:5], -1
                                        ; implicit-def: $sgpr10
	s_and_saveexec_b64 s[8:9], s[12:13]
; %bb.25098:
	s_mov_b32 s10, 0x7f800001
	s_xor_b64 s[4:5], exec, -1
; %bb.25099:
	s_or_b64 exec, exec, s[8:9]
	s_and_b64 s[4:5], s[4:5], exec
	s_or_saveexec_b64 s[6:7], s[6:7]
	v_mov_b32_e32 v12, s10
	s_xor_b64 exec, exec, s[6:7]
	s_cbranch_execnz .LBB1_25100
; %bb.60937:
	s_getpc_b64 s[14:15]
.Lpost_getpc16132:
	s_add_u32 s14, s14, (.LBB1_10762-.Lpost_getpc16132)&4294967295
	s_addc_u32 s15, s15, (.LBB1_10762-.Lpost_getpc16132)>>32
	s_setpc_b64 s[14:15]
.LBB1_25100:
	v_mov_b32_e32 v12, 0
	v_cmp_ne_u16_sdwa s[8:9], v13, v12 src0_sel:BYTE_0 src1_sel:DWORD
	s_andn2_b64 s[4:5], s[4:5], exec
	s_and_b64 s[8:9], s[8:9], exec
	s_or_b64 s[4:5], s[4:5], s[8:9]
	s_or_b64 exec, exec, s[6:7]
	s_and_saveexec_b64 s[6:7], s[4:5]
	s_cbranch_execz .LBB1_34053
; %bb.60939:
	s_getpc_b64 s[14:15]
.Lpost_getpc16133:
	s_add_u32 s14, s14, (.LBB1_10763-.Lpost_getpc16133)&4294967295
	s_addc_u32 s15, s15, (.LBB1_10763-.Lpost_getpc16133)>>32
	s_setpc_b64 s[14:15]
.LBB1_34053:
	s_getpc_b64 s[14:15]
.Lpost_getpc2690:
	s_add_u32 s14, s14, (.LBB1_10764-.Lpost_getpc2690)&4294967295
	s_addc_u32 s15, s15, (.LBB1_10764-.Lpost_getpc2690)>>32
	s_setpc_b64 s[14:15]
.LBB1_25101:
	s_movk_i32 s4, 0x80
	v_cmp_eq_u16_sdwa s[12:13], v13, s4 src0_sel:BYTE_0 src1_sel:DWORD
	s_mov_b64 s[4:5], -1
                                        ; implicit-def: $sgpr10
	s_and_saveexec_b64 s[8:9], s[12:13]
; %bb.25102:
	s_mov_b32 s10, 0x7f800001
	s_xor_b64 s[4:5], exec, -1
; %bb.25103:
	s_or_b64 exec, exec, s[8:9]
	s_and_b64 s[4:5], s[4:5], exec
	s_or_saveexec_b64 s[6:7], s[6:7]
	v_mov_b32_e32 v14, s10
	s_xor_b64 exec, exec, s[6:7]
	s_cbranch_execnz .LBB1_25104
; %bb.60941:
	s_getpc_b64 s[14:15]
.Lpost_getpc16134:
	s_add_u32 s14, s14, (.LBB1_10766-.Lpost_getpc16134)&4294967295
	s_addc_u32 s15, s15, (.LBB1_10766-.Lpost_getpc16134)>>32
	s_setpc_b64 s[14:15]
.LBB1_25104:
	v_mov_b32_e32 v14, 0
	v_cmp_ne_u16_sdwa s[8:9], v13, v14 src0_sel:BYTE_0 src1_sel:DWORD
	s_andn2_b64 s[4:5], s[4:5], exec
	s_and_b64 s[8:9], s[8:9], exec
	s_or_b64 s[4:5], s[4:5], s[8:9]
	s_or_b64 exec, exec, s[6:7]
	s_and_saveexec_b64 s[6:7], s[4:5]
	s_cbranch_execz .LBB1_34055
; %bb.60943:
	s_getpc_b64 s[14:15]
.Lpost_getpc16135:
	s_add_u32 s14, s14, (.LBB1_10767-.Lpost_getpc16135)&4294967295
	s_addc_u32 s15, s15, (.LBB1_10767-.Lpost_getpc16135)>>32
	s_setpc_b64 s[14:15]
.LBB1_34055:
	s_getpc_b64 s[14:15]
.Lpost_getpc2691:
	s_add_u32 s14, s14, (.LBB1_10768-.Lpost_getpc2691)&4294967295
	s_addc_u32 s15, s15, (.LBB1_10768-.Lpost_getpc2691)>>32
	s_setpc_b64 s[14:15]
.LBB1_25105:
	s_movk_i32 s4, 0x80
	v_cmp_eq_u16_e32 vcc, s4, v13
	s_mov_b64 s[4:5], -1
                                        ; implicit-def: $sgpr10
	s_and_saveexec_b64 s[8:9], vcc
; %bb.25106:
	s_mov_b32 s10, 0x7f800001
	s_xor_b64 s[4:5], exec, -1
; %bb.25107:
	s_or_b64 exec, exec, s[8:9]
	s_and_b64 s[4:5], s[4:5], exec
                                        ; implicit-def: $vgpr13
	s_or_saveexec_b64 s[6:7], s[6:7]
	v_mov_b32_e32 v12, s10
	s_xor_b64 exec, exec, s[6:7]
	s_cbranch_execnz .LBB1_25108
; %bb.60945:
	s_getpc_b64 s[14:15]
.Lpost_getpc16136:
	s_add_u32 s14, s14, (.LBB1_10770-.Lpost_getpc16136)&4294967295
	s_addc_u32 s15, s15, (.LBB1_10770-.Lpost_getpc16136)>>32
	s_setpc_b64 s[14:15]
.LBB1_25108:
	v_cmp_ne_u16_e32 vcc, 0, v13
	s_andn2_b64 s[4:5], s[4:5], exec
	s_and_b64 s[8:9], vcc, exec
	v_mov_b32_e32 v12, 0
	s_or_b64 s[4:5], s[4:5], s[8:9]
	s_or_b64 exec, exec, s[6:7]
	s_and_saveexec_b64 s[6:7], s[4:5]
	s_cbranch_execz .LBB1_34057
; %bb.60947:
	s_getpc_b64 s[14:15]
.Lpost_getpc16137:
	s_add_u32 s14, s14, (.LBB1_10771-.Lpost_getpc16137)&4294967295
	s_addc_u32 s15, s15, (.LBB1_10771-.Lpost_getpc16137)>>32
	s_setpc_b64 s[14:15]
.LBB1_34057:
	s_getpc_b64 s[14:15]
.Lpost_getpc2692:
	s_add_u32 s14, s14, (.LBB1_10772-.Lpost_getpc2692)&4294967295
	s_addc_u32 s15, s15, (.LBB1_10772-.Lpost_getpc2692)>>32
	s_setpc_b64 s[14:15]
.LBB1_25109:
	s_movk_i32 s4, 0x80
	v_cmp_eq_u16_e32 vcc, s4, v13
	s_mov_b64 s[4:5], -1
                                        ; implicit-def: $sgpr10
	s_and_saveexec_b64 s[8:9], vcc
; %bb.25110:
	s_mov_b32 s10, 0x7f800001
	s_xor_b64 s[4:5], exec, -1
; %bb.25111:
	s_or_b64 exec, exec, s[8:9]
	s_and_b64 s[4:5], s[4:5], exec
                                        ; implicit-def: $vgpr13
	s_or_saveexec_b64 s[6:7], s[6:7]
	v_mov_b32_e32 v14, s10
	s_xor_b64 exec, exec, s[6:7]
	s_cbranch_execnz .LBB1_25112
; %bb.60949:
	s_getpc_b64 s[14:15]
.Lpost_getpc16138:
	s_add_u32 s14, s14, (.LBB1_10774-.Lpost_getpc16138)&4294967295
	s_addc_u32 s15, s15, (.LBB1_10774-.Lpost_getpc16138)>>32
	s_setpc_b64 s[14:15]
.LBB1_25112:
	v_cmp_ne_u16_e32 vcc, 0, v13
	s_andn2_b64 s[4:5], s[4:5], exec
	s_and_b64 s[8:9], vcc, exec
	v_mov_b32_e32 v14, 0
	s_or_b64 s[4:5], s[4:5], s[8:9]
	s_or_b64 exec, exec, s[6:7]
	s_and_saveexec_b64 s[6:7], s[4:5]
	s_cbranch_execz .LBB1_34059
; %bb.60951:
	s_getpc_b64 s[14:15]
.Lpost_getpc16139:
	s_add_u32 s14, s14, (.LBB1_10775-.Lpost_getpc16139)&4294967295
	s_addc_u32 s15, s15, (.LBB1_10775-.Lpost_getpc16139)>>32
	s_setpc_b64 s[14:15]
.LBB1_34059:
	s_getpc_b64 s[14:15]
.Lpost_getpc2693:
	s_add_u32 s14, s14, (.LBB1_10776-.Lpost_getpc2693)&4294967295
	s_addc_u32 s15, s15, (.LBB1_10776-.Lpost_getpc2693)>>32
	s_setpc_b64 s[14:15]
.LBB1_25113:
	s_movk_i32 s4, 0x80
	v_cmp_eq_u16_sdwa s[12:13], v6, s4 src0_sel:BYTE_3 src1_sel:DWORD
	s_mov_b64 s[4:5], -1
                                        ; implicit-def: $sgpr10
	s_and_saveexec_b64 s[8:9], s[12:13]
; %bb.25114:
	s_mov_b32 s10, 0x7f800001
	s_xor_b64 s[4:5], exec, -1
; %bb.25115:
	s_or_b64 exec, exec, s[8:9]
	s_and_b64 s[4:5], s[4:5], exec
	s_or_saveexec_b64 s[6:7], s[6:7]
	v_mov_b32_e32 v12, s10
	s_xor_b64 exec, exec, s[6:7]
	s_cbranch_execnz .LBB1_25116
; %bb.60953:
	s_getpc_b64 s[14:15]
.Lpost_getpc16140:
	s_add_u32 s14, s14, (.LBB1_10778-.Lpost_getpc16140)&4294967295
	s_addc_u32 s15, s15, (.LBB1_10778-.Lpost_getpc16140)>>32
	s_setpc_b64 s[14:15]
.LBB1_25116:
	v_mov_b32_e32 v12, 0
	v_cmp_ne_u16_sdwa s[8:9], v6, v12 src0_sel:BYTE_3 src1_sel:DWORD
	s_andn2_b64 s[4:5], s[4:5], exec
	s_and_b64 s[8:9], s[8:9], exec
	s_or_b64 s[4:5], s[4:5], s[8:9]
	s_or_b64 exec, exec, s[6:7]
	s_and_saveexec_b64 s[6:7], s[4:5]
	s_cbranch_execz .LBB1_34061
; %bb.60955:
	s_getpc_b64 s[14:15]
.Lpost_getpc16141:
	s_add_u32 s14, s14, (.LBB1_10779-.Lpost_getpc16141)&4294967295
	s_addc_u32 s15, s15, (.LBB1_10779-.Lpost_getpc16141)>>32
	s_setpc_b64 s[14:15]
.LBB1_34061:
	s_getpc_b64 s[14:15]
.Lpost_getpc2694:
	s_add_u32 s14, s14, (.LBB1_10780-.Lpost_getpc2694)&4294967295
	s_addc_u32 s15, s15, (.LBB1_10780-.Lpost_getpc2694)>>32
	s_setpc_b64 s[14:15]
.LBB1_25117:
	s_movk_i32 s4, 0x80
	v_cmp_eq_u16_sdwa s[12:13], v2, s4 src0_sel:BYTE_3 src1_sel:DWORD
	s_mov_b64 s[4:5], -1
                                        ; implicit-def: $sgpr10
	s_and_saveexec_b64 s[8:9], s[12:13]
; %bb.25118:
	s_mov_b32 s10, 0x7f800001
	s_xor_b64 s[4:5], exec, -1
; %bb.25119:
	s_or_b64 exec, exec, s[8:9]
	s_and_b64 s[4:5], s[4:5], exec
	s_or_saveexec_b64 s[6:7], s[6:7]
	v_mov_b32_e32 v6, s10
	s_xor_b64 exec, exec, s[6:7]
	s_cbranch_execnz .LBB1_25120
; %bb.60957:
	s_getpc_b64 s[14:15]
.Lpost_getpc16142:
	s_add_u32 s14, s14, (.LBB1_10782-.Lpost_getpc16142)&4294967295
	s_addc_u32 s15, s15, (.LBB1_10782-.Lpost_getpc16142)>>32
	s_setpc_b64 s[14:15]
.LBB1_25120:
	v_mov_b32_e32 v6, 0
	v_cmp_ne_u16_sdwa s[8:9], v2, v6 src0_sel:BYTE_3 src1_sel:DWORD
	s_andn2_b64 s[4:5], s[4:5], exec
	s_and_b64 s[8:9], s[8:9], exec
	s_or_b64 s[4:5], s[4:5], s[8:9]
	s_or_b64 exec, exec, s[6:7]
	s_and_saveexec_b64 s[6:7], s[4:5]
	s_cbranch_execz .LBB1_34063
; %bb.60959:
	s_getpc_b64 s[14:15]
.Lpost_getpc16143:
	s_add_u32 s14, s14, (.LBB1_10783-.Lpost_getpc16143)&4294967295
	s_addc_u32 s15, s15, (.LBB1_10783-.Lpost_getpc16143)>>32
	s_setpc_b64 s[14:15]
.LBB1_34063:
	s_getpc_b64 s[14:15]
.Lpost_getpc2695:
	s_add_u32 s14, s14, (.LBB1_10784-.Lpost_getpc2695)&4294967295
	s_addc_u32 s15, s15, (.LBB1_10784-.Lpost_getpc2695)>>32
	s_setpc_b64 s[14:15]
.LBB1_25121:
	s_movk_i32 s4, 0x80
	v_cmp_eq_u16_sdwa s[12:13], v7, s4 src0_sel:BYTE_0 src1_sel:DWORD
	s_mov_b64 s[4:5], -1
                                        ; implicit-def: $sgpr10
	s_and_saveexec_b64 s[8:9], s[12:13]
; %bb.25122:
	s_mov_b32 s10, 0x7f800001
	s_xor_b64 s[4:5], exec, -1
; %bb.25123:
	s_or_b64 exec, exec, s[8:9]
	s_and_b64 s[4:5], s[4:5], exec
	s_or_saveexec_b64 s[6:7], s[6:7]
	v_mov_b32_e32 v2, s10
	s_xor_b64 exec, exec, s[6:7]
	s_cbranch_execnz .LBB1_25124
; %bb.60961:
	s_getpc_b64 s[14:15]
.Lpost_getpc16144:
	s_add_u32 s14, s14, (.LBB1_10786-.Lpost_getpc16144)&4294967295
	s_addc_u32 s15, s15, (.LBB1_10786-.Lpost_getpc16144)>>32
	s_setpc_b64 s[14:15]
.LBB1_25124:
	v_mov_b32_e32 v2, 0
	v_cmp_ne_u16_sdwa s[8:9], v7, v2 src0_sel:BYTE_0 src1_sel:DWORD
	s_andn2_b64 s[4:5], s[4:5], exec
	s_and_b64 s[8:9], s[8:9], exec
	s_or_b64 s[4:5], s[4:5], s[8:9]
	s_or_b64 exec, exec, s[6:7]
	s_and_saveexec_b64 s[6:7], s[4:5]
	s_cbranch_execz .LBB1_34065
; %bb.60963:
	s_getpc_b64 s[14:15]
.Lpost_getpc16145:
	s_add_u32 s14, s14, (.LBB1_10787-.Lpost_getpc16145)&4294967295
	s_addc_u32 s15, s15, (.LBB1_10787-.Lpost_getpc16145)>>32
	s_setpc_b64 s[14:15]
.LBB1_34065:
	s_getpc_b64 s[14:15]
.Lpost_getpc2696:
	s_add_u32 s14, s14, (.LBB1_10788-.Lpost_getpc2696)&4294967295
	s_addc_u32 s15, s15, (.LBB1_10788-.Lpost_getpc2696)>>32
	s_setpc_b64 s[14:15]
.LBB1_25125:
	s_movk_i32 s4, 0x80
	v_cmp_eq_u16_sdwa s[12:13], v3, s4 src0_sel:BYTE_0 src1_sel:DWORD
	s_mov_b64 s[4:5], -1
                                        ; implicit-def: $sgpr10
	s_and_saveexec_b64 s[8:9], s[12:13]
; %bb.25126:
	s_mov_b32 s10, 0x7f800001
	s_xor_b64 s[4:5], exec, -1
; %bb.25127:
	s_or_b64 exec, exec, s[8:9]
	s_and_b64 s[4:5], s[4:5], exec
	s_or_saveexec_b64 s[6:7], s[6:7]
	v_mov_b32_e32 v6, s10
	s_xor_b64 exec, exec, s[6:7]
	s_cbranch_execnz .LBB1_25128
; %bb.60965:
	s_getpc_b64 s[14:15]
.Lpost_getpc16146:
	s_add_u32 s14, s14, (.LBB1_10790-.Lpost_getpc16146)&4294967295
	s_addc_u32 s15, s15, (.LBB1_10790-.Lpost_getpc16146)>>32
	s_setpc_b64 s[14:15]
.LBB1_25128:
	v_mov_b32_e32 v6, 0
	v_cmp_ne_u16_sdwa s[8:9], v3, v6 src0_sel:BYTE_0 src1_sel:DWORD
	s_andn2_b64 s[4:5], s[4:5], exec
	s_and_b64 s[8:9], s[8:9], exec
	s_or_b64 s[4:5], s[4:5], s[8:9]
	s_or_b64 exec, exec, s[6:7]
	s_and_saveexec_b64 s[6:7], s[4:5]
	s_cbranch_execz .LBB1_34067
; %bb.60967:
	s_getpc_b64 s[14:15]
.Lpost_getpc16147:
	s_add_u32 s14, s14, (.LBB1_10791-.Lpost_getpc16147)&4294967295
	s_addc_u32 s15, s15, (.LBB1_10791-.Lpost_getpc16147)>>32
	s_setpc_b64 s[14:15]
.LBB1_34067:
	s_getpc_b64 s[14:15]
.Lpost_getpc2697:
	s_add_u32 s14, s14, (.LBB1_10792-.Lpost_getpc2697)&4294967295
	s_addc_u32 s15, s15, (.LBB1_10792-.Lpost_getpc2697)>>32
	s_setpc_b64 s[14:15]
.LBB1_25129:
	s_movk_i32 s4, 0x80
	v_cmp_eq_u16_sdwa s[12:13], v6, s4 src0_sel:BYTE_0 src1_sel:DWORD
	s_mov_b64 s[4:5], -1
                                        ; implicit-def: $sgpr10
	s_and_saveexec_b64 s[8:9], s[12:13]
; %bb.25130:
	s_mov_b32 s10, 0x7f800001
	s_xor_b64 s[4:5], exec, -1
; %bb.25131:
	s_or_b64 exec, exec, s[8:9]
	s_and_b64 s[4:5], s[4:5], exec
	s_or_saveexec_b64 s[6:7], s[6:7]
	v_mov_b32_e32 v2, s10
	s_xor_b64 exec, exec, s[6:7]
	s_cbranch_execnz .LBB1_25132
; %bb.60969:
	s_getpc_b64 s[14:15]
.Lpost_getpc16148:
	s_add_u32 s14, s14, (.LBB1_10794-.Lpost_getpc16148)&4294967295
	s_addc_u32 s15, s15, (.LBB1_10794-.Lpost_getpc16148)>>32
	s_setpc_b64 s[14:15]
.LBB1_25132:
	v_mov_b32_e32 v2, 0
	v_cmp_ne_u16_sdwa s[8:9], v6, v2 src0_sel:BYTE_0 src1_sel:DWORD
	s_andn2_b64 s[4:5], s[4:5], exec
	s_and_b64 s[8:9], s[8:9], exec
	s_or_b64 s[4:5], s[4:5], s[8:9]
	s_or_b64 exec, exec, s[6:7]
	s_and_saveexec_b64 s[6:7], s[4:5]
	s_cbranch_execz .LBB1_34069
; %bb.60971:
	s_getpc_b64 s[14:15]
.Lpost_getpc16149:
	s_add_u32 s14, s14, (.LBB1_10795-.Lpost_getpc16149)&4294967295
	s_addc_u32 s15, s15, (.LBB1_10795-.Lpost_getpc16149)>>32
	s_setpc_b64 s[14:15]
.LBB1_34069:
	s_getpc_b64 s[14:15]
.Lpost_getpc2698:
	s_add_u32 s14, s14, (.LBB1_10796-.Lpost_getpc2698)&4294967295
	s_addc_u32 s15, s15, (.LBB1_10796-.Lpost_getpc2698)>>32
	s_setpc_b64 s[14:15]
.LBB1_25133:
	s_movk_i32 s4, 0x80
	v_cmp_eq_u16_sdwa s[12:13], v6, s4 src0_sel:BYTE_0 src1_sel:DWORD
	s_mov_b64 s[4:5], -1
                                        ; implicit-def: $sgpr10
	s_and_saveexec_b64 s[8:9], s[12:13]
; %bb.25134:
	s_mov_b32 s10, 0x7f800001
	s_xor_b64 s[4:5], exec, -1
; %bb.25135:
	s_or_b64 exec, exec, s[8:9]
	s_and_b64 s[4:5], s[4:5], exec
	s_or_saveexec_b64 s[6:7], s[6:7]
	v_mov_b32_e32 v12, s10
	s_xor_b64 exec, exec, s[6:7]
	s_cbranch_execnz .LBB1_25136
; %bb.60973:
	s_getpc_b64 s[14:15]
.Lpost_getpc16150:
	s_add_u32 s14, s14, (.LBB1_10798-.Lpost_getpc16150)&4294967295
	s_addc_u32 s15, s15, (.LBB1_10798-.Lpost_getpc16150)>>32
	s_setpc_b64 s[14:15]
.LBB1_25136:
	v_mov_b32_e32 v12, 0
	v_cmp_ne_u16_sdwa s[8:9], v6, v12 src0_sel:BYTE_0 src1_sel:DWORD
	s_andn2_b64 s[4:5], s[4:5], exec
	s_and_b64 s[8:9], s[8:9], exec
	s_or_b64 s[4:5], s[4:5], s[8:9]
	s_or_b64 exec, exec, s[6:7]
	s_and_saveexec_b64 s[6:7], s[4:5]
	s_cbranch_execz .LBB1_34071
; %bb.60975:
	s_getpc_b64 s[14:15]
.Lpost_getpc16151:
	s_add_u32 s14, s14, (.LBB1_10799-.Lpost_getpc16151)&4294967295
	s_addc_u32 s15, s15, (.LBB1_10799-.Lpost_getpc16151)>>32
	s_setpc_b64 s[14:15]
.LBB1_34071:
	s_getpc_b64 s[14:15]
.Lpost_getpc2699:
	s_add_u32 s14, s14, (.LBB1_10800-.Lpost_getpc2699)&4294967295
	s_addc_u32 s15, s15, (.LBB1_10800-.Lpost_getpc2699)>>32
	s_setpc_b64 s[14:15]
.LBB1_25137:
	s_movk_i32 s4, 0x80
	v_cmp_eq_u16_e32 vcc, s4, v6
	s_mov_b64 s[4:5], -1
                                        ; implicit-def: $sgpr10
	s_and_saveexec_b64 s[8:9], vcc
; %bb.25138:
	s_mov_b32 s10, 0x7f800001
	s_xor_b64 s[4:5], exec, -1
; %bb.25139:
	s_or_b64 exec, exec, s[8:9]
	s_and_b64 s[4:5], s[4:5], exec
                                        ; implicit-def: $vgpr6
	s_or_saveexec_b64 s[6:7], s[6:7]
	v_mov_b32_e32 v2, s10
	s_xor_b64 exec, exec, s[6:7]
	s_cbranch_execnz .LBB1_25140
; %bb.60977:
	s_getpc_b64 s[14:15]
.Lpost_getpc16152:
	s_add_u32 s14, s14, (.LBB1_10802-.Lpost_getpc16152)&4294967295
	s_addc_u32 s15, s15, (.LBB1_10802-.Lpost_getpc16152)>>32
	s_setpc_b64 s[14:15]
.LBB1_25140:
	v_cmp_ne_u16_e32 vcc, 0, v6
	s_andn2_b64 s[4:5], s[4:5], exec
	s_and_b64 s[8:9], vcc, exec
	v_mov_b32_e32 v2, 0
	s_or_b64 s[4:5], s[4:5], s[8:9]
	s_or_b64 exec, exec, s[6:7]
	s_and_saveexec_b64 s[6:7], s[4:5]
	s_cbranch_execz .LBB1_34073
; %bb.60979:
	s_getpc_b64 s[14:15]
.Lpost_getpc16153:
	s_add_u32 s14, s14, (.LBB1_10803-.Lpost_getpc16153)&4294967295
	s_addc_u32 s15, s15, (.LBB1_10803-.Lpost_getpc16153)>>32
	s_setpc_b64 s[14:15]
.LBB1_34073:
	s_getpc_b64 s[14:15]
.Lpost_getpc2700:
	s_add_u32 s14, s14, (.LBB1_10804-.Lpost_getpc2700)&4294967295
	s_addc_u32 s15, s15, (.LBB1_10804-.Lpost_getpc2700)>>32
	s_setpc_b64 s[14:15]
.LBB1_25141:
	s_movk_i32 s4, 0x80
	v_cmp_eq_u16_e32 vcc, s4, v6
	s_mov_b64 s[4:5], -1
                                        ; implicit-def: $sgpr10
	s_and_saveexec_b64 s[8:9], vcc
; %bb.25142:
	s_mov_b32 s10, 0x7f800001
	s_xor_b64 s[4:5], exec, -1
; %bb.25143:
	s_or_b64 exec, exec, s[8:9]
	s_and_b64 s[4:5], s[4:5], exec
                                        ; implicit-def: $vgpr6
	s_or_saveexec_b64 s[6:7], s[6:7]
	v_mov_b32_e32 v12, s10
	s_xor_b64 exec, exec, s[6:7]
	s_cbranch_execnz .LBB1_25144
; %bb.60981:
	s_getpc_b64 s[14:15]
.Lpost_getpc16154:
	s_add_u32 s14, s14, (.LBB1_10806-.Lpost_getpc16154)&4294967295
	s_addc_u32 s15, s15, (.LBB1_10806-.Lpost_getpc16154)>>32
	s_setpc_b64 s[14:15]
.LBB1_25144:
	v_cmp_ne_u16_e32 vcc, 0, v6
	s_andn2_b64 s[4:5], s[4:5], exec
	s_and_b64 s[8:9], vcc, exec
	v_mov_b32_e32 v12, 0
	s_or_b64 s[4:5], s[4:5], s[8:9]
	s_or_b64 exec, exec, s[6:7]
	s_and_saveexec_b64 s[6:7], s[4:5]
	s_cbranch_execz .LBB1_34075
; %bb.60983:
	s_getpc_b64 s[14:15]
.Lpost_getpc16155:
	s_add_u32 s14, s14, (.LBB1_10807-.Lpost_getpc16155)&4294967295
	s_addc_u32 s15, s15, (.LBB1_10807-.Lpost_getpc16155)>>32
	s_setpc_b64 s[14:15]
.LBB1_34075:
	s_getpc_b64 s[14:15]
.Lpost_getpc2701:
	s_add_u32 s14, s14, (.LBB1_10808-.Lpost_getpc2701)&4294967295
	s_addc_u32 s15, s15, (.LBB1_10808-.Lpost_getpc2701)>>32
	s_setpc_b64 s[14:15]
.LBB1_25145:
	s_movk_i32 s4, 0x80
	v_cmp_eq_u16_sdwa s[12:13], v7, s4 src0_sel:BYTE_3 src1_sel:DWORD
	s_mov_b64 s[4:5], -1
                                        ; implicit-def: $sgpr10
	s_and_saveexec_b64 s[8:9], s[12:13]
; %bb.25146:
	s_mov_b32 s10, 0x7f800001
	s_xor_b64 s[4:5], exec, -1
; %bb.25147:
	s_or_b64 exec, exec, s[8:9]
	s_and_b64 s[4:5], s[4:5], exec
	s_or_saveexec_b64 s[6:7], s[6:7]
	v_mov_b32_e32 v2, s10
	s_xor_b64 exec, exec, s[6:7]
	s_cbranch_execnz .LBB1_25148
; %bb.60985:
	s_getpc_b64 s[14:15]
.Lpost_getpc16156:
	s_add_u32 s14, s14, (.LBB1_10810-.Lpost_getpc16156)&4294967295
	s_addc_u32 s15, s15, (.LBB1_10810-.Lpost_getpc16156)>>32
	s_setpc_b64 s[14:15]
.LBB1_25148:
	v_mov_b32_e32 v2, 0
	v_cmp_ne_u16_sdwa s[8:9], v7, v2 src0_sel:BYTE_3 src1_sel:DWORD
	s_andn2_b64 s[4:5], s[4:5], exec
	s_and_b64 s[8:9], s[8:9], exec
	s_or_b64 s[4:5], s[4:5], s[8:9]
	s_or_b64 exec, exec, s[6:7]
	s_and_saveexec_b64 s[6:7], s[4:5]
	s_cbranch_execz .LBB1_34077
; %bb.60987:
	s_getpc_b64 s[14:15]
.Lpost_getpc16157:
	s_add_u32 s14, s14, (.LBB1_10811-.Lpost_getpc16157)&4294967295
	s_addc_u32 s15, s15, (.LBB1_10811-.Lpost_getpc16157)>>32
	s_setpc_b64 s[14:15]
.LBB1_34077:
	s_getpc_b64 s[14:15]
.Lpost_getpc2702:
	s_add_u32 s14, s14, (.LBB1_10812-.Lpost_getpc2702)&4294967295
	s_addc_u32 s15, s15, (.LBB1_10812-.Lpost_getpc2702)>>32
	s_setpc_b64 s[14:15]
.LBB1_25149:
	s_movk_i32 s4, 0x80
	v_cmp_eq_u16_sdwa s[12:13], v3, s4 src0_sel:BYTE_3 src1_sel:DWORD
	s_mov_b64 s[4:5], -1
                                        ; implicit-def: $sgpr10
	s_and_saveexec_b64 s[8:9], s[12:13]
; %bb.25150:
	s_mov_b32 s10, 0x7f800001
	s_xor_b64 s[4:5], exec, -1
; %bb.25151:
	s_or_b64 exec, exec, s[8:9]
	s_and_b64 s[4:5], s[4:5], exec
	s_or_saveexec_b64 s[6:7], s[6:7]
	v_mov_b32_e32 v6, s10
	s_xor_b64 exec, exec, s[6:7]
	s_cbranch_execnz .LBB1_25152
; %bb.60989:
	s_getpc_b64 s[14:15]
.Lpost_getpc16158:
	s_add_u32 s14, s14, (.LBB1_10814-.Lpost_getpc16158)&4294967295
	s_addc_u32 s15, s15, (.LBB1_10814-.Lpost_getpc16158)>>32
	s_setpc_b64 s[14:15]
.LBB1_25152:
	v_mov_b32_e32 v6, 0
	v_cmp_ne_u16_sdwa s[8:9], v3, v6 src0_sel:BYTE_3 src1_sel:DWORD
	s_andn2_b64 s[4:5], s[4:5], exec
	s_and_b64 s[8:9], s[8:9], exec
	s_or_b64 s[4:5], s[4:5], s[8:9]
	s_or_b64 exec, exec, s[6:7]
	s_and_saveexec_b64 s[6:7], s[4:5]
	s_cbranch_execz .LBB1_34079
; %bb.60991:
	s_getpc_b64 s[14:15]
.Lpost_getpc16159:
	s_add_u32 s14, s14, (.LBB1_10815-.Lpost_getpc16159)&4294967295
	s_addc_u32 s15, s15, (.LBB1_10815-.Lpost_getpc16159)>>32
	s_setpc_b64 s[14:15]
.LBB1_34079:
	s_getpc_b64 s[14:15]
.Lpost_getpc2703:
	s_add_u32 s14, s14, (.LBB1_10816-.Lpost_getpc2703)&4294967295
	s_addc_u32 s15, s15, (.LBB1_10816-.Lpost_getpc2703)>>32
	s_setpc_b64 s[14:15]
.LBB1_25153:
	s_movk_i32 s4, 0x80
	v_cmp_eq_u16_sdwa s[12:13], v8, s4 src0_sel:BYTE_0 src1_sel:DWORD
	s_mov_b64 s[4:5], -1
                                        ; implicit-def: $sgpr10
	s_and_saveexec_b64 s[8:9], s[12:13]
; %bb.25154:
	s_mov_b32 s10, 0x7f800001
	s_xor_b64 s[4:5], exec, -1
; %bb.25155:
	s_or_b64 exec, exec, s[8:9]
	s_and_b64 s[4:5], s[4:5], exec
	s_or_saveexec_b64 s[6:7], s[6:7]
	v_mov_b32_e32 v2, s10
	s_xor_b64 exec, exec, s[6:7]
	s_cbranch_execnz .LBB1_25156
; %bb.60993:
	s_getpc_b64 s[14:15]
.Lpost_getpc16160:
	s_add_u32 s14, s14, (.LBB1_10818-.Lpost_getpc16160)&4294967295
	s_addc_u32 s15, s15, (.LBB1_10818-.Lpost_getpc16160)>>32
	s_setpc_b64 s[14:15]
.LBB1_25156:
	v_mov_b32_e32 v2, 0
	v_cmp_ne_u16_sdwa s[8:9], v8, v2 src0_sel:BYTE_0 src1_sel:DWORD
	s_andn2_b64 s[4:5], s[4:5], exec
	s_and_b64 s[8:9], s[8:9], exec
	s_or_b64 s[4:5], s[4:5], s[8:9]
	s_or_b64 exec, exec, s[6:7]
	s_and_saveexec_b64 s[6:7], s[4:5]
	s_cbranch_execz .LBB1_34081
; %bb.60995:
	s_getpc_b64 s[14:15]
.Lpost_getpc16161:
	s_add_u32 s14, s14, (.LBB1_10819-.Lpost_getpc16161)&4294967295
	s_addc_u32 s15, s15, (.LBB1_10819-.Lpost_getpc16161)>>32
	s_setpc_b64 s[14:15]
.LBB1_34081:
	s_getpc_b64 s[14:15]
.Lpost_getpc2704:
	s_add_u32 s14, s14, (.LBB1_10820-.Lpost_getpc2704)&4294967295
	s_addc_u32 s15, s15, (.LBB1_10820-.Lpost_getpc2704)>>32
	s_setpc_b64 s[14:15]
.LBB1_25157:
	s_movk_i32 s4, 0x80
	v_cmp_eq_u16_sdwa s[12:13], v4, s4 src0_sel:BYTE_0 src1_sel:DWORD
	s_mov_b64 s[4:5], -1
                                        ; implicit-def: $sgpr10
	s_and_saveexec_b64 s[8:9], s[12:13]
; %bb.25158:
	s_mov_b32 s10, 0x7f800001
	s_xor_b64 s[4:5], exec, -1
; %bb.25159:
	s_or_b64 exec, exec, s[8:9]
	s_and_b64 s[4:5], s[4:5], exec
	s_or_saveexec_b64 s[6:7], s[6:7]
	v_mov_b32_e32 v3, s10
	s_xor_b64 exec, exec, s[6:7]
	s_cbranch_execnz .LBB1_25160
; %bb.60997:
	s_getpc_b64 s[14:15]
.Lpost_getpc16162:
	s_add_u32 s14, s14, (.LBB1_10822-.Lpost_getpc16162)&4294967295
	s_addc_u32 s15, s15, (.LBB1_10822-.Lpost_getpc16162)>>32
	s_setpc_b64 s[14:15]
.LBB1_25160:
	v_mov_b32_e32 v3, 0
	v_cmp_ne_u16_sdwa s[8:9], v4, v3 src0_sel:BYTE_0 src1_sel:DWORD
	s_andn2_b64 s[4:5], s[4:5], exec
	s_and_b64 s[8:9], s[8:9], exec
	s_or_b64 s[4:5], s[4:5], s[8:9]
	s_or_b64 exec, exec, s[6:7]
	s_and_saveexec_b64 s[6:7], s[4:5]
	s_cbranch_execz .LBB1_34083
; %bb.60999:
	s_getpc_b64 s[14:15]
.Lpost_getpc16163:
	s_add_u32 s14, s14, (.LBB1_10823-.Lpost_getpc16163)&4294967295
	s_addc_u32 s15, s15, (.LBB1_10823-.Lpost_getpc16163)>>32
	s_setpc_b64 s[14:15]
.LBB1_34083:
	s_getpc_b64 s[14:15]
.Lpost_getpc2705:
	s_add_u32 s14, s14, (.LBB1_10824-.Lpost_getpc2705)&4294967295
	s_addc_u32 s15, s15, (.LBB1_10824-.Lpost_getpc2705)>>32
	s_setpc_b64 s[14:15]
.LBB1_25161:
	s_movk_i32 s4, 0x80
	v_cmp_eq_u16_sdwa s[12:13], v3, s4 src0_sel:BYTE_0 src1_sel:DWORD
	s_mov_b64 s[4:5], -1
                                        ; implicit-def: $sgpr10
	s_and_saveexec_b64 s[8:9], s[12:13]
; %bb.25162:
	s_mov_b32 s10, 0x7f800001
	s_xor_b64 s[4:5], exec, -1
; %bb.25163:
	s_or_b64 exec, exec, s[8:9]
	s_and_b64 s[4:5], s[4:5], exec
	s_or_saveexec_b64 s[6:7], s[6:7]
	v_mov_b32_e32 v2, s10
	s_xor_b64 exec, exec, s[6:7]
	s_cbranch_execnz .LBB1_25164
; %bb.61001:
	s_getpc_b64 s[14:15]
.Lpost_getpc16164:
	s_add_u32 s14, s14, (.LBB1_10826-.Lpost_getpc16164)&4294967295
	s_addc_u32 s15, s15, (.LBB1_10826-.Lpost_getpc16164)>>32
	s_setpc_b64 s[14:15]
.LBB1_25164:
	v_mov_b32_e32 v2, 0
	v_cmp_ne_u16_sdwa s[8:9], v3, v2 src0_sel:BYTE_0 src1_sel:DWORD
	s_andn2_b64 s[4:5], s[4:5], exec
	s_and_b64 s[8:9], s[8:9], exec
	s_or_b64 s[4:5], s[4:5], s[8:9]
	s_or_b64 exec, exec, s[6:7]
	s_and_saveexec_b64 s[6:7], s[4:5]
	s_cbranch_execz .LBB1_34085
; %bb.61003:
	s_getpc_b64 s[14:15]
.Lpost_getpc16165:
	s_add_u32 s14, s14, (.LBB1_10827-.Lpost_getpc16165)&4294967295
	s_addc_u32 s15, s15, (.LBB1_10827-.Lpost_getpc16165)>>32
	s_setpc_b64 s[14:15]
.LBB1_34085:
	s_getpc_b64 s[14:15]
.Lpost_getpc2706:
	s_add_u32 s14, s14, (.LBB1_10828-.Lpost_getpc2706)&4294967295
	s_addc_u32 s15, s15, (.LBB1_10828-.Lpost_getpc2706)>>32
	s_setpc_b64 s[14:15]
.LBB1_25165:
	s_movk_i32 s4, 0x80
	v_cmp_eq_u16_sdwa s[12:13], v3, s4 src0_sel:BYTE_0 src1_sel:DWORD
	s_mov_b64 s[4:5], -1
                                        ; implicit-def: $sgpr10
	s_and_saveexec_b64 s[8:9], s[12:13]
; %bb.25166:
	s_mov_b32 s10, 0x7f800001
	s_xor_b64 s[4:5], exec, -1
; %bb.25167:
	s_or_b64 exec, exec, s[8:9]
	s_and_b64 s[4:5], s[4:5], exec
	s_or_saveexec_b64 s[6:7], s[6:7]
	v_mov_b32_e32 v6, s10
	s_xor_b64 exec, exec, s[6:7]
	s_cbranch_execnz .LBB1_25168
; %bb.61005:
	s_getpc_b64 s[14:15]
.Lpost_getpc16166:
	s_add_u32 s14, s14, (.LBB1_10830-.Lpost_getpc16166)&4294967295
	s_addc_u32 s15, s15, (.LBB1_10830-.Lpost_getpc16166)>>32
	s_setpc_b64 s[14:15]
.LBB1_25168:
	v_mov_b32_e32 v6, 0
	v_cmp_ne_u16_sdwa s[8:9], v3, v6 src0_sel:BYTE_0 src1_sel:DWORD
	s_andn2_b64 s[4:5], s[4:5], exec
	s_and_b64 s[8:9], s[8:9], exec
	s_or_b64 s[4:5], s[4:5], s[8:9]
	s_or_b64 exec, exec, s[6:7]
	s_and_saveexec_b64 s[6:7], s[4:5]
	s_cbranch_execz .LBB1_34087
; %bb.61007:
	s_getpc_b64 s[14:15]
.Lpost_getpc16167:
	s_add_u32 s14, s14, (.LBB1_10831-.Lpost_getpc16167)&4294967295
	s_addc_u32 s15, s15, (.LBB1_10831-.Lpost_getpc16167)>>32
	s_setpc_b64 s[14:15]
.LBB1_34087:
	s_getpc_b64 s[14:15]
.Lpost_getpc2707:
	s_add_u32 s14, s14, (.LBB1_10832-.Lpost_getpc2707)&4294967295
	s_addc_u32 s15, s15, (.LBB1_10832-.Lpost_getpc2707)>>32
	s_setpc_b64 s[14:15]
.LBB1_25169:
	s_movk_i32 s4, 0x80
	v_cmp_eq_u16_e32 vcc, s4, v3
	s_mov_b64 s[4:5], -1
                                        ; implicit-def: $sgpr10
	s_and_saveexec_b64 s[8:9], vcc
; %bb.25170:
	s_mov_b32 s10, 0x7f800001
	s_xor_b64 s[4:5], exec, -1
; %bb.25171:
	s_or_b64 exec, exec, s[8:9]
	s_and_b64 s[4:5], s[4:5], exec
                                        ; implicit-def: $vgpr3
	s_or_saveexec_b64 s[6:7], s[6:7]
	v_mov_b32_e32 v2, s10
	s_xor_b64 exec, exec, s[6:7]
	s_cbranch_execnz .LBB1_25172
; %bb.61009:
	s_getpc_b64 s[14:15]
.Lpost_getpc16168:
	s_add_u32 s14, s14, (.LBB1_10834-.Lpost_getpc16168)&4294967295
	s_addc_u32 s15, s15, (.LBB1_10834-.Lpost_getpc16168)>>32
	s_setpc_b64 s[14:15]
.LBB1_25172:
	v_cmp_ne_u16_e32 vcc, 0, v3
	s_andn2_b64 s[4:5], s[4:5], exec
	s_and_b64 s[8:9], vcc, exec
	v_mov_b32_e32 v2, 0
	s_or_b64 s[4:5], s[4:5], s[8:9]
	s_or_b64 exec, exec, s[6:7]
	s_and_saveexec_b64 s[6:7], s[4:5]
	s_cbranch_execz .LBB1_34089
; %bb.61011:
	s_getpc_b64 s[14:15]
.Lpost_getpc16169:
	s_add_u32 s14, s14, (.LBB1_10835-.Lpost_getpc16169)&4294967295
	s_addc_u32 s15, s15, (.LBB1_10835-.Lpost_getpc16169)>>32
	s_setpc_b64 s[14:15]
.LBB1_34089:
	s_getpc_b64 s[14:15]
.Lpost_getpc2708:
	s_add_u32 s14, s14, (.LBB1_10836-.Lpost_getpc2708)&4294967295
	s_addc_u32 s15, s15, (.LBB1_10836-.Lpost_getpc2708)>>32
	s_setpc_b64 s[14:15]
.LBB1_25173:
	s_movk_i32 s4, 0x80
	v_cmp_eq_u16_e32 vcc, s4, v3
	s_mov_b64 s[4:5], -1
                                        ; implicit-def: $sgpr10
	s_and_saveexec_b64 s[8:9], vcc
; %bb.25174:
	s_mov_b32 s10, 0x7f800001
	s_xor_b64 s[4:5], exec, -1
; %bb.25175:
	s_or_b64 exec, exec, s[8:9]
	s_and_b64 s[4:5], s[4:5], exec
                                        ; implicit-def: $vgpr3
	s_or_saveexec_b64 s[6:7], s[6:7]
	v_mov_b32_e32 v6, s10
	s_xor_b64 exec, exec, s[6:7]
	s_cbranch_execnz .LBB1_25176
; %bb.61013:
	s_getpc_b64 s[14:15]
.Lpost_getpc16170:
	s_add_u32 s14, s14, (.LBB1_10838-.Lpost_getpc16170)&4294967295
	s_addc_u32 s15, s15, (.LBB1_10838-.Lpost_getpc16170)>>32
	s_setpc_b64 s[14:15]
.LBB1_25176:
	v_cmp_ne_u16_e32 vcc, 0, v3
	s_andn2_b64 s[4:5], s[4:5], exec
	s_and_b64 s[8:9], vcc, exec
	v_mov_b32_e32 v6, 0
	s_or_b64 s[4:5], s[4:5], s[8:9]
	s_or_b64 exec, exec, s[6:7]
	s_and_saveexec_b64 s[6:7], s[4:5]
	s_cbranch_execz .LBB1_34091
; %bb.61015:
	s_getpc_b64 s[14:15]
.Lpost_getpc16171:
	s_add_u32 s14, s14, (.LBB1_10839-.Lpost_getpc16171)&4294967295
	s_addc_u32 s15, s15, (.LBB1_10839-.Lpost_getpc16171)>>32
	s_setpc_b64 s[14:15]
.LBB1_34091:
	s_getpc_b64 s[14:15]
.Lpost_getpc2709:
	s_add_u32 s14, s14, (.LBB1_10840-.Lpost_getpc2709)&4294967295
	s_addc_u32 s15, s15, (.LBB1_10840-.Lpost_getpc2709)>>32
	s_setpc_b64 s[14:15]
.LBB1_25177:
	s_movk_i32 s4, 0x80
	v_cmp_eq_u16_sdwa s[12:13], v8, s4 src0_sel:BYTE_3 src1_sel:DWORD
	s_mov_b64 s[4:5], -1
                                        ; implicit-def: $sgpr10
	s_and_saveexec_b64 s[8:9], s[12:13]
; %bb.25178:
	s_mov_b32 s10, 0x7f800001
	s_xor_b64 s[4:5], exec, -1
; %bb.25179:
	s_or_b64 exec, exec, s[8:9]
	s_and_b64 s[4:5], s[4:5], exec
	s_or_saveexec_b64 s[6:7], s[6:7]
	v_mov_b32_e32 v2, s10
	s_xor_b64 exec, exec, s[6:7]
	s_cbranch_execnz .LBB1_25180
; %bb.61017:
	s_getpc_b64 s[14:15]
.Lpost_getpc16172:
	s_add_u32 s14, s14, (.LBB1_10842-.Lpost_getpc16172)&4294967295
	s_addc_u32 s15, s15, (.LBB1_10842-.Lpost_getpc16172)>>32
	s_setpc_b64 s[14:15]
.LBB1_25180:
	v_mov_b32_e32 v2, 0
	v_cmp_ne_u16_sdwa s[8:9], v8, v2 src0_sel:BYTE_3 src1_sel:DWORD
	s_andn2_b64 s[4:5], s[4:5], exec
	s_and_b64 s[8:9], s[8:9], exec
	s_or_b64 s[4:5], s[4:5], s[8:9]
	s_or_b64 exec, exec, s[6:7]
	s_and_saveexec_b64 s[6:7], s[4:5]
	s_cbranch_execz .LBB1_34093
; %bb.61019:
	s_getpc_b64 s[14:15]
.Lpost_getpc16173:
	s_add_u32 s14, s14, (.LBB1_10843-.Lpost_getpc16173)&4294967295
	s_addc_u32 s15, s15, (.LBB1_10843-.Lpost_getpc16173)>>32
	s_setpc_b64 s[14:15]
.LBB1_34093:
	s_getpc_b64 s[14:15]
.Lpost_getpc2710:
	s_add_u32 s14, s14, (.LBB1_10844-.Lpost_getpc2710)&4294967295
	s_addc_u32 s15, s15, (.LBB1_10844-.Lpost_getpc2710)>>32
	s_setpc_b64 s[14:15]
.LBB1_25181:
	s_movk_i32 s4, 0x80
	v_cmp_eq_u16_sdwa s[12:13], v4, s4 src0_sel:BYTE_3 src1_sel:DWORD
	s_mov_b64 s[4:5], -1
                                        ; implicit-def: $sgpr10
	s_and_saveexec_b64 s[8:9], s[12:13]
; %bb.25182:
	s_mov_b32 s10, 0x7f800001
	s_xor_b64 s[4:5], exec, -1
; %bb.25183:
	s_or_b64 exec, exec, s[8:9]
	s_and_b64 s[4:5], s[4:5], exec
	s_or_saveexec_b64 s[6:7], s[6:7]
	v_mov_b32_e32 v3, s10
	s_xor_b64 exec, exec, s[6:7]
	s_cbranch_execnz .LBB1_25184
; %bb.61021:
	s_getpc_b64 s[14:15]
.Lpost_getpc16174:
	s_add_u32 s14, s14, (.LBB1_10846-.Lpost_getpc16174)&4294967295
	s_addc_u32 s15, s15, (.LBB1_10846-.Lpost_getpc16174)>>32
	s_setpc_b64 s[14:15]
.LBB1_25184:
	v_mov_b32_e32 v3, 0
	v_cmp_ne_u16_sdwa s[8:9], v4, v3 src0_sel:BYTE_3 src1_sel:DWORD
	s_andn2_b64 s[4:5], s[4:5], exec
	s_and_b64 s[8:9], s[8:9], exec
	s_or_b64 s[4:5], s[4:5], s[8:9]
	s_or_b64 exec, exec, s[6:7]
	s_and_saveexec_b64 s[6:7], s[4:5]
	s_cbranch_execz .LBB1_34095
; %bb.61023:
	s_getpc_b64 s[14:15]
.Lpost_getpc16175:
	s_add_u32 s14, s14, (.LBB1_10847-.Lpost_getpc16175)&4294967295
	s_addc_u32 s15, s15, (.LBB1_10847-.Lpost_getpc16175)>>32
	s_setpc_b64 s[14:15]
.LBB1_34095:
	s_getpc_b64 s[14:15]
.Lpost_getpc2711:
	s_add_u32 s14, s14, (.LBB1_10848-.Lpost_getpc2711)&4294967295
	s_addc_u32 s15, s15, (.LBB1_10848-.Lpost_getpc2711)>>32
	s_setpc_b64 s[14:15]
.LBB1_25185:
	s_movk_i32 s4, 0x80
	v_cmp_eq_u16_sdwa s[12:13], v9, s4 src0_sel:BYTE_0 src1_sel:DWORD
	s_mov_b64 s[4:5], -1
                                        ; implicit-def: $sgpr10
	s_and_saveexec_b64 s[8:9], s[12:13]
; %bb.25186:
	s_mov_b32 s10, 0x7f800001
	s_xor_b64 s[4:5], exec, -1
; %bb.25187:
	s_or_b64 exec, exec, s[8:9]
	s_and_b64 s[4:5], s[4:5], exec
	s_or_saveexec_b64 s[6:7], s[6:7]
	v_mov_b32_e32 v2, s10
	s_xor_b64 exec, exec, s[6:7]
	s_cbranch_execnz .LBB1_25188
; %bb.61025:
	s_getpc_b64 s[14:15]
.Lpost_getpc16176:
	s_add_u32 s14, s14, (.LBB1_10850-.Lpost_getpc16176)&4294967295
	s_addc_u32 s15, s15, (.LBB1_10850-.Lpost_getpc16176)>>32
	s_setpc_b64 s[14:15]
.LBB1_25188:
	v_mov_b32_e32 v2, 0
	v_cmp_ne_u16_sdwa s[8:9], v9, v2 src0_sel:BYTE_0 src1_sel:DWORD
	s_andn2_b64 s[4:5], s[4:5], exec
	s_and_b64 s[8:9], s[8:9], exec
	s_or_b64 s[4:5], s[4:5], s[8:9]
	s_or_b64 exec, exec, s[6:7]
	s_and_saveexec_b64 s[6:7], s[4:5]
	s_cbranch_execz .LBB1_34097
; %bb.61027:
	s_getpc_b64 s[14:15]
.Lpost_getpc16177:
	s_add_u32 s14, s14, (.LBB1_10851-.Lpost_getpc16177)&4294967295
	s_addc_u32 s15, s15, (.LBB1_10851-.Lpost_getpc16177)>>32
	s_setpc_b64 s[14:15]
.LBB1_34097:
	s_getpc_b64 s[14:15]
.Lpost_getpc2712:
	s_add_u32 s14, s14, (.LBB1_10852-.Lpost_getpc2712)&4294967295
	s_addc_u32 s15, s15, (.LBB1_10852-.Lpost_getpc2712)>>32
	s_setpc_b64 s[14:15]
.LBB1_25189:
	s_movk_i32 s4, 0x80
	v_cmp_eq_u16_sdwa s[12:13], v5, s4 src0_sel:BYTE_0 src1_sel:DWORD
	s_mov_b64 s[4:5], -1
                                        ; implicit-def: $sgpr10
	s_and_saveexec_b64 s[8:9], s[12:13]
; %bb.25190:
	s_mov_b32 s10, 0x7f800001
	s_xor_b64 s[4:5], exec, -1
; %bb.25191:
	s_or_b64 exec, exec, s[8:9]
	s_and_b64 s[4:5], s[4:5], exec
	s_or_saveexec_b64 s[6:7], s[6:7]
	v_mov_b32_e32 v3, s10
	s_xor_b64 exec, exec, s[6:7]
	s_cbranch_execnz .LBB1_25192
; %bb.61029:
	s_getpc_b64 s[14:15]
.Lpost_getpc16178:
	s_add_u32 s14, s14, (.LBB1_10854-.Lpost_getpc16178)&4294967295
	s_addc_u32 s15, s15, (.LBB1_10854-.Lpost_getpc16178)>>32
	s_setpc_b64 s[14:15]
.LBB1_25192:
	v_mov_b32_e32 v3, 0
	v_cmp_ne_u16_sdwa s[8:9], v5, v3 src0_sel:BYTE_0 src1_sel:DWORD
	s_andn2_b64 s[4:5], s[4:5], exec
	s_and_b64 s[8:9], s[8:9], exec
	s_or_b64 s[4:5], s[4:5], s[8:9]
	s_or_b64 exec, exec, s[6:7]
	s_and_saveexec_b64 s[6:7], s[4:5]
	s_cbranch_execz .LBB1_34099
; %bb.61031:
	s_getpc_b64 s[14:15]
.Lpost_getpc16179:
	s_add_u32 s14, s14, (.LBB1_10855-.Lpost_getpc16179)&4294967295
	s_addc_u32 s15, s15, (.LBB1_10855-.Lpost_getpc16179)>>32
	s_setpc_b64 s[14:15]
.LBB1_34099:
	s_getpc_b64 s[14:15]
.Lpost_getpc2713:
	s_add_u32 s14, s14, (.LBB1_10856-.Lpost_getpc2713)&4294967295
	s_addc_u32 s15, s15, (.LBB1_10856-.Lpost_getpc2713)>>32
	s_setpc_b64 s[14:15]
.LBB1_25193:
	s_movk_i32 s4, 0x80
	v_cmp_eq_u16_sdwa s[12:13], v3, s4 src0_sel:BYTE_0 src1_sel:DWORD
	s_mov_b64 s[4:5], -1
                                        ; implicit-def: $sgpr10
	s_and_saveexec_b64 s[8:9], s[12:13]
; %bb.25194:
	s_mov_b32 s10, 0x7f800001
	s_xor_b64 s[4:5], exec, -1
; %bb.25195:
	s_or_b64 exec, exec, s[8:9]
	s_and_b64 s[4:5], s[4:5], exec
	s_or_saveexec_b64 s[6:7], s[6:7]
	v_mov_b32_e32 v2, s10
	s_xor_b64 exec, exec, s[6:7]
	s_cbranch_execnz .LBB1_25196
; %bb.61033:
	s_getpc_b64 s[14:15]
.Lpost_getpc16180:
	s_add_u32 s14, s14, (.LBB1_10858-.Lpost_getpc16180)&4294967295
	s_addc_u32 s15, s15, (.LBB1_10858-.Lpost_getpc16180)>>32
	s_setpc_b64 s[14:15]
.LBB1_25196:
	v_mov_b32_e32 v2, 0
	v_cmp_ne_u16_sdwa s[8:9], v3, v2 src0_sel:BYTE_0 src1_sel:DWORD
	s_andn2_b64 s[4:5], s[4:5], exec
	s_and_b64 s[8:9], s[8:9], exec
	s_or_b64 s[4:5], s[4:5], s[8:9]
	s_or_b64 exec, exec, s[6:7]
	s_and_saveexec_b64 s[6:7], s[4:5]
	s_cbranch_execz .LBB1_34101
; %bb.61035:
	s_getpc_b64 s[14:15]
.Lpost_getpc16181:
	s_add_u32 s14, s14, (.LBB1_10859-.Lpost_getpc16181)&4294967295
	s_addc_u32 s15, s15, (.LBB1_10859-.Lpost_getpc16181)>>32
	s_setpc_b64 s[14:15]
.LBB1_34101:
	s_getpc_b64 s[14:15]
.Lpost_getpc2714:
	s_add_u32 s14, s14, (.LBB1_10860-.Lpost_getpc2714)&4294967295
	s_addc_u32 s15, s15, (.LBB1_10860-.Lpost_getpc2714)>>32
	s_setpc_b64 s[14:15]
.LBB1_25197:
	s_movk_i32 s4, 0x80
	v_cmp_eq_u16_sdwa s[12:13], v3, s4 src0_sel:BYTE_0 src1_sel:DWORD
	s_mov_b64 s[4:5], -1
                                        ; implicit-def: $sgpr10
	s_and_saveexec_b64 s[8:9], s[12:13]
; %bb.25198:
	s_mov_b32 s10, 0x7f800001
	s_xor_b64 s[4:5], exec, -1
; %bb.25199:
	s_or_b64 exec, exec, s[8:9]
	s_and_b64 s[4:5], s[4:5], exec
	s_or_saveexec_b64 s[6:7], s[6:7]
	v_mov_b32_e32 v4, s10
	s_xor_b64 exec, exec, s[6:7]
	s_cbranch_execnz .LBB1_25200
; %bb.61037:
	s_getpc_b64 s[14:15]
.Lpost_getpc16182:
	s_add_u32 s14, s14, (.LBB1_10862-.Lpost_getpc16182)&4294967295
	s_addc_u32 s15, s15, (.LBB1_10862-.Lpost_getpc16182)>>32
	s_setpc_b64 s[14:15]
.LBB1_25200:
	v_mov_b32_e32 v4, 0
	v_cmp_ne_u16_sdwa s[8:9], v3, v4 src0_sel:BYTE_0 src1_sel:DWORD
	s_andn2_b64 s[4:5], s[4:5], exec
	s_and_b64 s[8:9], s[8:9], exec
	s_or_b64 s[4:5], s[4:5], s[8:9]
	s_or_b64 exec, exec, s[6:7]
	s_and_saveexec_b64 s[6:7], s[4:5]
	s_cbranch_execz .LBB1_34103
; %bb.61039:
	s_getpc_b64 s[14:15]
.Lpost_getpc16183:
	s_add_u32 s14, s14, (.LBB1_10863-.Lpost_getpc16183)&4294967295
	s_addc_u32 s15, s15, (.LBB1_10863-.Lpost_getpc16183)>>32
	s_setpc_b64 s[14:15]
.LBB1_34103:
	s_getpc_b64 s[14:15]
.Lpost_getpc2715:
	s_add_u32 s14, s14, (.LBB1_10864-.Lpost_getpc2715)&4294967295
	s_addc_u32 s15, s15, (.LBB1_10864-.Lpost_getpc2715)>>32
	s_setpc_b64 s[14:15]
.LBB1_25201:
	s_movk_i32 s4, 0x80
	v_cmp_eq_u16_e32 vcc, s4, v3
	s_mov_b64 s[4:5], -1
                                        ; implicit-def: $sgpr10
	s_and_saveexec_b64 s[8:9], vcc
; %bb.25202:
	s_mov_b32 s10, 0x7f800001
	s_xor_b64 s[4:5], exec, -1
; %bb.25203:
	s_or_b64 exec, exec, s[8:9]
	s_and_b64 s[4:5], s[4:5], exec
                                        ; implicit-def: $vgpr3
	s_or_saveexec_b64 s[6:7], s[6:7]
	v_mov_b32_e32 v2, s10
	s_xor_b64 exec, exec, s[6:7]
	s_cbranch_execnz .LBB1_25204
; %bb.61041:
	s_getpc_b64 s[14:15]
.Lpost_getpc16184:
	s_add_u32 s14, s14, (.LBB1_10866-.Lpost_getpc16184)&4294967295
	s_addc_u32 s15, s15, (.LBB1_10866-.Lpost_getpc16184)>>32
	s_setpc_b64 s[14:15]
.LBB1_25204:
	v_cmp_ne_u16_e32 vcc, 0, v3
	s_andn2_b64 s[4:5], s[4:5], exec
	s_and_b64 s[8:9], vcc, exec
	v_mov_b32_e32 v2, 0
	s_or_b64 s[4:5], s[4:5], s[8:9]
	s_or_b64 exec, exec, s[6:7]
	s_and_saveexec_b64 s[6:7], s[4:5]
	s_cbranch_execz .LBB1_34105
; %bb.61043:
	s_getpc_b64 s[14:15]
.Lpost_getpc16185:
	s_add_u32 s14, s14, (.LBB1_10867-.Lpost_getpc16185)&4294967295
	s_addc_u32 s15, s15, (.LBB1_10867-.Lpost_getpc16185)>>32
	s_setpc_b64 s[14:15]
.LBB1_34105:
	s_getpc_b64 s[14:15]
.Lpost_getpc2716:
	s_add_u32 s14, s14, (.LBB1_10868-.Lpost_getpc2716)&4294967295
	s_addc_u32 s15, s15, (.LBB1_10868-.Lpost_getpc2716)>>32
	s_setpc_b64 s[14:15]
.LBB1_25205:
	s_movk_i32 s4, 0x80
	v_cmp_eq_u16_e32 vcc, s4, v3
	s_mov_b64 s[4:5], -1
                                        ; implicit-def: $sgpr10
	s_and_saveexec_b64 s[8:9], vcc
; %bb.25206:
	s_mov_b32 s10, 0x7f800001
	s_xor_b64 s[4:5], exec, -1
; %bb.25207:
	s_or_b64 exec, exec, s[8:9]
	s_and_b64 s[4:5], s[4:5], exec
                                        ; implicit-def: $vgpr3
	s_or_saveexec_b64 s[6:7], s[6:7]
	v_mov_b32_e32 v4, s10
	s_xor_b64 exec, exec, s[6:7]
	s_cbranch_execnz .LBB1_25208
; %bb.61045:
	s_getpc_b64 s[14:15]
.Lpost_getpc16186:
	s_add_u32 s14, s14, (.LBB1_10870-.Lpost_getpc16186)&4294967295
	s_addc_u32 s15, s15, (.LBB1_10870-.Lpost_getpc16186)>>32
	s_setpc_b64 s[14:15]
.LBB1_25208:
	v_cmp_ne_u16_e32 vcc, 0, v3
	s_andn2_b64 s[4:5], s[4:5], exec
	s_and_b64 s[8:9], vcc, exec
	v_mov_b32_e32 v4, 0
	s_or_b64 s[4:5], s[4:5], s[8:9]
	s_or_b64 exec, exec, s[6:7]
	s_and_saveexec_b64 s[6:7], s[4:5]
	s_cbranch_execz .LBB1_34107
; %bb.61047:
	s_getpc_b64 s[14:15]
.Lpost_getpc16187:
	s_add_u32 s14, s14, (.LBB1_10871-.Lpost_getpc16187)&4294967295
	s_addc_u32 s15, s15, (.LBB1_10871-.Lpost_getpc16187)>>32
	s_setpc_b64 s[14:15]
.LBB1_34107:
	s_getpc_b64 s[14:15]
.Lpost_getpc2717:
	s_add_u32 s14, s14, (.LBB1_10872-.Lpost_getpc2717)&4294967295
	s_addc_u32 s15, s15, (.LBB1_10872-.Lpost_getpc2717)>>32
	s_setpc_b64 s[14:15]
.LBB1_25209:
	s_movk_i32 s4, 0x80
	v_cmp_eq_u16_sdwa s[12:13], v9, s4 src0_sel:BYTE_3 src1_sel:DWORD
	s_mov_b64 s[4:5], -1
                                        ; implicit-def: $sgpr10
	s_and_saveexec_b64 s[8:9], s[12:13]
; %bb.25210:
	s_mov_b32 s10, 0x7f800001
	s_xor_b64 s[4:5], exec, -1
; %bb.25211:
	s_or_b64 exec, exec, s[8:9]
	s_and_b64 s[4:5], s[4:5], exec
	s_or_saveexec_b64 s[6:7], s[6:7]
	v_mov_b32_e32 v2, s10
	s_xor_b64 exec, exec, s[6:7]
	s_cbranch_execnz .LBB1_25212
; %bb.61049:
	s_getpc_b64 s[14:15]
.Lpost_getpc16188:
	s_add_u32 s14, s14, (.LBB1_10874-.Lpost_getpc16188)&4294967295
	s_addc_u32 s15, s15, (.LBB1_10874-.Lpost_getpc16188)>>32
	s_setpc_b64 s[14:15]
.LBB1_25212:
	v_mov_b32_e32 v2, 0
	v_cmp_ne_u16_sdwa s[8:9], v9, v2 src0_sel:BYTE_3 src1_sel:DWORD
	s_andn2_b64 s[4:5], s[4:5], exec
	s_and_b64 s[8:9], s[8:9], exec
	s_or_b64 s[4:5], s[4:5], s[8:9]
	s_or_b64 exec, exec, s[6:7]
	s_and_saveexec_b64 s[6:7], s[4:5]
	s_cbranch_execz .LBB1_34109
; %bb.61051:
	s_getpc_b64 s[14:15]
.Lpost_getpc16189:
	s_add_u32 s14, s14, (.LBB1_10875-.Lpost_getpc16189)&4294967295
	s_addc_u32 s15, s15, (.LBB1_10875-.Lpost_getpc16189)>>32
	s_setpc_b64 s[14:15]
.LBB1_34109:
	s_getpc_b64 s[14:15]
.Lpost_getpc2718:
	s_add_u32 s14, s14, (.LBB1_10876-.Lpost_getpc2718)&4294967295
	s_addc_u32 s15, s15, (.LBB1_10876-.Lpost_getpc2718)>>32
	s_setpc_b64 s[14:15]
.LBB1_25213:
	s_movk_i32 s4, 0x80
	v_cmp_eq_u16_sdwa s[12:13], v5, s4 src0_sel:BYTE_3 src1_sel:DWORD
	s_mov_b64 s[4:5], -1
                                        ; implicit-def: $sgpr10
	s_and_saveexec_b64 s[8:9], s[12:13]
; %bb.25214:
	s_mov_b32 s10, 0x7f800001
	s_xor_b64 s[4:5], exec, -1
; %bb.25215:
	s_or_b64 exec, exec, s[8:9]
	s_and_b64 s[4:5], s[4:5], exec
	s_or_saveexec_b64 s[6:7], s[6:7]
	v_mov_b32_e32 v3, s10
	s_xor_b64 exec, exec, s[6:7]
	s_cbranch_execnz .LBB1_25216
; %bb.61053:
	s_getpc_b64 s[14:15]
.Lpost_getpc16190:
	s_add_u32 s14, s14, (.LBB1_10878-.Lpost_getpc16190)&4294967295
	s_addc_u32 s15, s15, (.LBB1_10878-.Lpost_getpc16190)>>32
	s_setpc_b64 s[14:15]
.LBB1_25216:
	v_mov_b32_e32 v3, 0
	v_cmp_ne_u16_sdwa s[8:9], v5, v3 src0_sel:BYTE_3 src1_sel:DWORD
	s_andn2_b64 s[4:5], s[4:5], exec
	s_and_b64 s[8:9], s[8:9], exec
	s_or_b64 s[4:5], s[4:5], s[8:9]
	s_or_b64 exec, exec, s[6:7]
	s_and_saveexec_b64 s[6:7], s[4:5]
	s_cbranch_execz .LBB1_34111
; %bb.61055:
	s_getpc_b64 s[14:15]
.Lpost_getpc16191:
	s_add_u32 s14, s14, (.LBB1_10879-.Lpost_getpc16191)&4294967295
	s_addc_u32 s15, s15, (.LBB1_10879-.Lpost_getpc16191)>>32
	s_setpc_b64 s[14:15]
.LBB1_34111:
	s_getpc_b64 s[14:15]
.Lpost_getpc2719:
	s_add_u32 s14, s14, (.LBB1_10880-.Lpost_getpc2719)&4294967295
	s_addc_u32 s15, s15, (.LBB1_10880-.Lpost_getpc2719)>>32
	s_setpc_b64 s[14:15]
.LBB1_25217:
	s_movk_i32 s4, 0x80
	v_cmp_eq_u16_sdwa s[12:13], v6, s4 src0_sel:BYTE_0 src1_sel:DWORD
	s_mov_b64 s[4:5], -1
                                        ; implicit-def: $sgpr10
	s_and_saveexec_b64 s[8:9], s[12:13]
; %bb.25218:
	s_mov_b32 s10, 0x7f800001
	s_xor_b64 s[4:5], exec, -1
; %bb.25219:
	s_or_b64 exec, exec, s[8:9]
	s_and_b64 s[4:5], s[4:5], exec
	s_or_saveexec_b64 s[6:7], s[6:7]
	v_mov_b32_e32 v12, s10
	s_xor_b64 exec, exec, s[6:7]
	s_cbranch_execnz .LBB1_25220
; %bb.61057:
	s_getpc_b64 s[14:15]
.Lpost_getpc16192:
	s_add_u32 s14, s14, (.LBB1_10882-.Lpost_getpc16192)&4294967295
	s_addc_u32 s15, s15, (.LBB1_10882-.Lpost_getpc16192)>>32
	s_setpc_b64 s[14:15]
.LBB1_25220:
	v_mov_b32_e32 v12, 0
	v_cmp_ne_u16_sdwa s[8:9], v6, v12 src0_sel:BYTE_0 src1_sel:DWORD
	s_andn2_b64 s[4:5], s[4:5], exec
	s_and_b64 s[8:9], s[8:9], exec
	s_or_b64 s[4:5], s[4:5], s[8:9]
	s_or_b64 exec, exec, s[6:7]
	s_and_saveexec_b64 s[6:7], s[4:5]
	s_cbranch_execz .LBB1_34113
; %bb.61059:
	s_getpc_b64 s[14:15]
.Lpost_getpc16193:
	s_add_u32 s14, s14, (.LBB1_10883-.Lpost_getpc16193)&4294967295
	s_addc_u32 s15, s15, (.LBB1_10883-.Lpost_getpc16193)>>32
	s_setpc_b64 s[14:15]
.LBB1_34113:
	s_getpc_b64 s[14:15]
.Lpost_getpc2720:
	s_add_u32 s14, s14, (.LBB1_10884-.Lpost_getpc2720)&4294967295
	s_addc_u32 s15, s15, (.LBB1_10884-.Lpost_getpc2720)>>32
	s_setpc_b64 s[14:15]
.LBB1_25221:
	s_movk_i32 s4, 0x80
	v_cmp_eq_u16_sdwa s[12:13], v2, s4 src0_sel:BYTE_0 src1_sel:DWORD
	s_mov_b64 s[4:5], -1
                                        ; implicit-def: $sgpr10
	s_and_saveexec_b64 s[8:9], s[12:13]
; %bb.25222:
	s_mov_b32 s10, 0x7f800001
	s_xor_b64 s[4:5], exec, -1
; %bb.25223:
	s_or_b64 exec, exec, s[8:9]
	s_and_b64 s[4:5], s[4:5], exec
	s_or_saveexec_b64 s[6:7], s[6:7]
	v_mov_b32_e32 v13, s10
	s_xor_b64 exec, exec, s[6:7]
	s_cbranch_execnz .LBB1_25224
; %bb.61061:
	s_getpc_b64 s[14:15]
.Lpost_getpc16194:
	s_add_u32 s14, s14, (.LBB1_10886-.Lpost_getpc16194)&4294967295
	s_addc_u32 s15, s15, (.LBB1_10886-.Lpost_getpc16194)>>32
	s_setpc_b64 s[14:15]
.LBB1_25224:
	v_mov_b32_e32 v13, 0
	v_cmp_ne_u16_sdwa s[8:9], v2, v13 src0_sel:BYTE_0 src1_sel:DWORD
	s_andn2_b64 s[4:5], s[4:5], exec
	s_and_b64 s[8:9], s[8:9], exec
	s_or_b64 s[4:5], s[4:5], s[8:9]
	s_or_b64 exec, exec, s[6:7]
	s_and_saveexec_b64 s[6:7], s[4:5]
	s_cbranch_execz .LBB1_34115
; %bb.61063:
	s_getpc_b64 s[14:15]
.Lpost_getpc16195:
	s_add_u32 s14, s14, (.LBB1_10887-.Lpost_getpc16195)&4294967295
	s_addc_u32 s15, s15, (.LBB1_10887-.Lpost_getpc16195)>>32
	s_setpc_b64 s[14:15]
.LBB1_34115:
	s_getpc_b64 s[14:15]
.Lpost_getpc2721:
	s_add_u32 s14, s14, (.LBB1_10888-.Lpost_getpc2721)&4294967295
	s_addc_u32 s15, s15, (.LBB1_10888-.Lpost_getpc2721)>>32
	s_setpc_b64 s[14:15]
.LBB1_25225:
	s_movk_i32 s4, 0x80
	v_cmp_eq_u16_sdwa s[12:13], v13, s4 src0_sel:BYTE_0 src1_sel:DWORD
	s_mov_b64 s[4:5], -1
                                        ; implicit-def: $sgpr10
	s_and_saveexec_b64 s[8:9], s[12:13]
; %bb.25226:
	s_mov_b32 s10, 0x7f800001
	s_xor_b64 s[4:5], exec, -1
; %bb.25227:
	s_or_b64 exec, exec, s[8:9]
	s_and_b64 s[4:5], s[4:5], exec
	s_or_saveexec_b64 s[6:7], s[6:7]
	v_mov_b32_e32 v12, s10
	s_xor_b64 exec, exec, s[6:7]
	s_cbranch_execnz .LBB1_25228
; %bb.61065:
	s_getpc_b64 s[14:15]
.Lpost_getpc16196:
	s_add_u32 s14, s14, (.LBB1_10890-.Lpost_getpc16196)&4294967295
	s_addc_u32 s15, s15, (.LBB1_10890-.Lpost_getpc16196)>>32
	s_setpc_b64 s[14:15]
.LBB1_25228:
	v_mov_b32_e32 v12, 0
	v_cmp_ne_u16_sdwa s[8:9], v13, v12 src0_sel:BYTE_0 src1_sel:DWORD
	s_andn2_b64 s[4:5], s[4:5], exec
	s_and_b64 s[8:9], s[8:9], exec
	s_or_b64 s[4:5], s[4:5], s[8:9]
	s_or_b64 exec, exec, s[6:7]
	s_and_saveexec_b64 s[6:7], s[4:5]
	s_cbranch_execz .LBB1_34117
; %bb.61067:
	s_getpc_b64 s[14:15]
.Lpost_getpc16197:
	s_add_u32 s14, s14, (.LBB1_10891-.Lpost_getpc16197)&4294967295
	s_addc_u32 s15, s15, (.LBB1_10891-.Lpost_getpc16197)>>32
	s_setpc_b64 s[14:15]
.LBB1_34117:
	s_getpc_b64 s[14:15]
.Lpost_getpc2722:
	s_add_u32 s14, s14, (.LBB1_10892-.Lpost_getpc2722)&4294967295
	s_addc_u32 s15, s15, (.LBB1_10892-.Lpost_getpc2722)>>32
	s_setpc_b64 s[14:15]
.LBB1_25229:
	s_movk_i32 s4, 0x80
	v_cmp_eq_u16_sdwa s[12:13], v13, s4 src0_sel:BYTE_0 src1_sel:DWORD
	s_mov_b64 s[4:5], -1
                                        ; implicit-def: $sgpr10
	s_and_saveexec_b64 s[8:9], s[12:13]
; %bb.25230:
	s_mov_b32 s10, 0x7f800001
	s_xor_b64 s[4:5], exec, -1
; %bb.25231:
	s_or_b64 exec, exec, s[8:9]
	s_and_b64 s[4:5], s[4:5], exec
	s_or_saveexec_b64 s[6:7], s[6:7]
	v_mov_b32_e32 v14, s10
	s_xor_b64 exec, exec, s[6:7]
	s_cbranch_execnz .LBB1_25232
; %bb.61069:
	s_getpc_b64 s[14:15]
.Lpost_getpc16198:
	s_add_u32 s14, s14, (.LBB1_10894-.Lpost_getpc16198)&4294967295
	s_addc_u32 s15, s15, (.LBB1_10894-.Lpost_getpc16198)>>32
	s_setpc_b64 s[14:15]
.LBB1_25232:
	v_mov_b32_e32 v14, 0
	v_cmp_ne_u16_sdwa s[8:9], v13, v14 src0_sel:BYTE_0 src1_sel:DWORD
	s_andn2_b64 s[4:5], s[4:5], exec
	s_and_b64 s[8:9], s[8:9], exec
	s_or_b64 s[4:5], s[4:5], s[8:9]
	s_or_b64 exec, exec, s[6:7]
	s_and_saveexec_b64 s[6:7], s[4:5]
	s_cbranch_execz .LBB1_34119
; %bb.61071:
	s_getpc_b64 s[14:15]
.Lpost_getpc16199:
	s_add_u32 s14, s14, (.LBB1_10895-.Lpost_getpc16199)&4294967295
	s_addc_u32 s15, s15, (.LBB1_10895-.Lpost_getpc16199)>>32
	s_setpc_b64 s[14:15]
.LBB1_34119:
	s_getpc_b64 s[14:15]
.Lpost_getpc2723:
	s_add_u32 s14, s14, (.LBB1_10896-.Lpost_getpc2723)&4294967295
	s_addc_u32 s15, s15, (.LBB1_10896-.Lpost_getpc2723)>>32
	s_setpc_b64 s[14:15]
.LBB1_25233:
	s_movk_i32 s4, 0x80
	v_cmp_eq_u16_e32 vcc, s4, v13
	s_mov_b64 s[4:5], -1
                                        ; implicit-def: $sgpr10
	s_and_saveexec_b64 s[8:9], vcc
; %bb.25234:
	s_mov_b32 s10, 0x7f800001
	s_xor_b64 s[4:5], exec, -1
; %bb.25235:
	s_or_b64 exec, exec, s[8:9]
	s_and_b64 s[4:5], s[4:5], exec
                                        ; implicit-def: $vgpr13
	s_or_saveexec_b64 s[6:7], s[6:7]
	v_mov_b32_e32 v12, s10
	s_xor_b64 exec, exec, s[6:7]
	s_cbranch_execnz .LBB1_25236
; %bb.61073:
	s_getpc_b64 s[14:15]
.Lpost_getpc16200:
	s_add_u32 s14, s14, (.LBB1_10898-.Lpost_getpc16200)&4294967295
	s_addc_u32 s15, s15, (.LBB1_10898-.Lpost_getpc16200)>>32
	s_setpc_b64 s[14:15]
.LBB1_25236:
	v_cmp_ne_u16_e32 vcc, 0, v13
	s_andn2_b64 s[4:5], s[4:5], exec
	s_and_b64 s[8:9], vcc, exec
	v_mov_b32_e32 v12, 0
	s_or_b64 s[4:5], s[4:5], s[8:9]
	s_or_b64 exec, exec, s[6:7]
	s_and_saveexec_b64 s[6:7], s[4:5]
	s_cbranch_execz .LBB1_34121
; %bb.61075:
	s_getpc_b64 s[14:15]
.Lpost_getpc16201:
	s_add_u32 s14, s14, (.LBB1_10899-.Lpost_getpc16201)&4294967295
	s_addc_u32 s15, s15, (.LBB1_10899-.Lpost_getpc16201)>>32
	s_setpc_b64 s[14:15]
.LBB1_34121:
	s_getpc_b64 s[14:15]
.Lpost_getpc2724:
	s_add_u32 s14, s14, (.LBB1_10900-.Lpost_getpc2724)&4294967295
	s_addc_u32 s15, s15, (.LBB1_10900-.Lpost_getpc2724)>>32
	s_setpc_b64 s[14:15]
.LBB1_25237:
	s_movk_i32 s4, 0x80
	v_cmp_eq_u16_e32 vcc, s4, v13
	s_mov_b64 s[4:5], -1
                                        ; implicit-def: $sgpr10
	s_and_saveexec_b64 s[8:9], vcc
; %bb.25238:
	s_mov_b32 s10, 0x7f800001
	s_xor_b64 s[4:5], exec, -1
; %bb.25239:
	s_or_b64 exec, exec, s[8:9]
	s_and_b64 s[4:5], s[4:5], exec
                                        ; implicit-def: $vgpr13
	s_or_saveexec_b64 s[6:7], s[6:7]
	v_mov_b32_e32 v14, s10
	s_xor_b64 exec, exec, s[6:7]
	s_cbranch_execnz .LBB1_25240
; %bb.61077:
	s_getpc_b64 s[14:15]
.Lpost_getpc16202:
	s_add_u32 s14, s14, (.LBB1_10902-.Lpost_getpc16202)&4294967295
	s_addc_u32 s15, s15, (.LBB1_10902-.Lpost_getpc16202)>>32
	s_setpc_b64 s[14:15]
.LBB1_25240:
	v_cmp_ne_u16_e32 vcc, 0, v13
	s_andn2_b64 s[4:5], s[4:5], exec
	s_and_b64 s[8:9], vcc, exec
	v_mov_b32_e32 v14, 0
	s_or_b64 s[4:5], s[4:5], s[8:9]
	s_or_b64 exec, exec, s[6:7]
	s_and_saveexec_b64 s[6:7], s[4:5]
	s_cbranch_execz .LBB1_34123
; %bb.61079:
	s_getpc_b64 s[14:15]
.Lpost_getpc16203:
	s_add_u32 s14, s14, (.LBB1_10903-.Lpost_getpc16203)&4294967295
	s_addc_u32 s15, s15, (.LBB1_10903-.Lpost_getpc16203)>>32
	s_setpc_b64 s[14:15]
.LBB1_34123:
	s_getpc_b64 s[14:15]
.Lpost_getpc2725:
	s_add_u32 s14, s14, (.LBB1_10904-.Lpost_getpc2725)&4294967295
	s_addc_u32 s15, s15, (.LBB1_10904-.Lpost_getpc2725)>>32
	s_setpc_b64 s[14:15]
.LBB1_25241:
	s_movk_i32 s4, 0x80
	v_cmp_eq_u16_sdwa s[12:13], v6, s4 src0_sel:BYTE_3 src1_sel:DWORD
	s_mov_b64 s[4:5], -1
                                        ; implicit-def: $sgpr10
	s_and_saveexec_b64 s[8:9], s[12:13]
; %bb.25242:
	s_mov_b32 s10, 0x7f800001
	s_xor_b64 s[4:5], exec, -1
; %bb.25243:
	s_or_b64 exec, exec, s[8:9]
	s_and_b64 s[4:5], s[4:5], exec
	s_or_saveexec_b64 s[6:7], s[6:7]
	v_mov_b32_e32 v12, s10
	s_xor_b64 exec, exec, s[6:7]
	s_cbranch_execnz .LBB1_25244
; %bb.61081:
	s_getpc_b64 s[14:15]
.Lpost_getpc16204:
	s_add_u32 s14, s14, (.LBB1_10906-.Lpost_getpc16204)&4294967295
	s_addc_u32 s15, s15, (.LBB1_10906-.Lpost_getpc16204)>>32
	s_setpc_b64 s[14:15]
.LBB1_25244:
	v_mov_b32_e32 v12, 0
	v_cmp_ne_u16_sdwa s[8:9], v6, v12 src0_sel:BYTE_3 src1_sel:DWORD
	s_andn2_b64 s[4:5], s[4:5], exec
	s_and_b64 s[8:9], s[8:9], exec
	s_or_b64 s[4:5], s[4:5], s[8:9]
	s_or_b64 exec, exec, s[6:7]
	s_and_saveexec_b64 s[6:7], s[4:5]
	s_cbranch_execz .LBB1_34125
; %bb.61083:
	s_getpc_b64 s[14:15]
.Lpost_getpc16205:
	s_add_u32 s14, s14, (.LBB1_10907-.Lpost_getpc16205)&4294967295
	s_addc_u32 s15, s15, (.LBB1_10907-.Lpost_getpc16205)>>32
	s_setpc_b64 s[14:15]
.LBB1_34125:
	s_getpc_b64 s[14:15]
.Lpost_getpc2726:
	s_add_u32 s14, s14, (.LBB1_10908-.Lpost_getpc2726)&4294967295
	s_addc_u32 s15, s15, (.LBB1_10908-.Lpost_getpc2726)>>32
	s_setpc_b64 s[14:15]
.LBB1_25245:
	s_movk_i32 s4, 0x80
	v_cmp_eq_u16_sdwa s[12:13], v2, s4 src0_sel:BYTE_3 src1_sel:DWORD
	s_mov_b64 s[4:5], -1
                                        ; implicit-def: $sgpr10
	s_and_saveexec_b64 s[8:9], s[12:13]
; %bb.25246:
	s_mov_b32 s10, 0x7f800001
	s_xor_b64 s[4:5], exec, -1
; %bb.25247:
	s_or_b64 exec, exec, s[8:9]
	s_and_b64 s[4:5], s[4:5], exec
	s_or_saveexec_b64 s[6:7], s[6:7]
	v_mov_b32_e32 v6, s10
	s_xor_b64 exec, exec, s[6:7]
	s_cbranch_execnz .LBB1_25248
; %bb.61085:
	s_getpc_b64 s[14:15]
.Lpost_getpc16206:
	s_add_u32 s14, s14, (.LBB1_10910-.Lpost_getpc16206)&4294967295
	s_addc_u32 s15, s15, (.LBB1_10910-.Lpost_getpc16206)>>32
	s_setpc_b64 s[14:15]
.LBB1_25248:
	v_mov_b32_e32 v6, 0
	v_cmp_ne_u16_sdwa s[8:9], v2, v6 src0_sel:BYTE_3 src1_sel:DWORD
	s_andn2_b64 s[4:5], s[4:5], exec
	s_and_b64 s[8:9], s[8:9], exec
	s_or_b64 s[4:5], s[4:5], s[8:9]
	s_or_b64 exec, exec, s[6:7]
	s_and_saveexec_b64 s[6:7], s[4:5]
	s_cbranch_execz .LBB1_34127
; %bb.61087:
	s_getpc_b64 s[14:15]
.Lpost_getpc16207:
	s_add_u32 s14, s14, (.LBB1_10911-.Lpost_getpc16207)&4294967295
	s_addc_u32 s15, s15, (.LBB1_10911-.Lpost_getpc16207)>>32
	s_setpc_b64 s[14:15]
.LBB1_34127:
	s_getpc_b64 s[14:15]
.Lpost_getpc2727:
	s_add_u32 s14, s14, (.LBB1_10912-.Lpost_getpc2727)&4294967295
	s_addc_u32 s15, s15, (.LBB1_10912-.Lpost_getpc2727)>>32
	s_setpc_b64 s[14:15]
.LBB1_25249:
	s_movk_i32 s4, 0x80
	v_cmp_eq_u16_sdwa s[12:13], v7, s4 src0_sel:BYTE_0 src1_sel:DWORD
	s_mov_b64 s[4:5], -1
                                        ; implicit-def: $sgpr10
	s_and_saveexec_b64 s[8:9], s[12:13]
; %bb.25250:
	s_mov_b32 s10, 0x7f800001
	s_xor_b64 s[4:5], exec, -1
; %bb.25251:
	s_or_b64 exec, exec, s[8:9]
	s_and_b64 s[4:5], s[4:5], exec
	s_or_saveexec_b64 s[6:7], s[6:7]
	v_mov_b32_e32 v2, s10
	s_xor_b64 exec, exec, s[6:7]
	s_cbranch_execnz .LBB1_25252
; %bb.61089:
	s_getpc_b64 s[14:15]
.Lpost_getpc16208:
	s_add_u32 s14, s14, (.LBB1_10914-.Lpost_getpc16208)&4294967295
	s_addc_u32 s15, s15, (.LBB1_10914-.Lpost_getpc16208)>>32
	s_setpc_b64 s[14:15]
.LBB1_25252:
	v_mov_b32_e32 v2, 0
	v_cmp_ne_u16_sdwa s[8:9], v7, v2 src0_sel:BYTE_0 src1_sel:DWORD
	s_andn2_b64 s[4:5], s[4:5], exec
	s_and_b64 s[8:9], s[8:9], exec
	s_or_b64 s[4:5], s[4:5], s[8:9]
	s_or_b64 exec, exec, s[6:7]
	s_and_saveexec_b64 s[6:7], s[4:5]
	s_cbranch_execz .LBB1_34129
; %bb.61091:
	s_getpc_b64 s[14:15]
.Lpost_getpc16209:
	s_add_u32 s14, s14, (.LBB1_10915-.Lpost_getpc16209)&4294967295
	s_addc_u32 s15, s15, (.LBB1_10915-.Lpost_getpc16209)>>32
	s_setpc_b64 s[14:15]
.LBB1_34129:
	s_getpc_b64 s[14:15]
.Lpost_getpc2728:
	s_add_u32 s14, s14, (.LBB1_10916-.Lpost_getpc2728)&4294967295
	s_addc_u32 s15, s15, (.LBB1_10916-.Lpost_getpc2728)>>32
	s_setpc_b64 s[14:15]
.LBB1_25253:
	s_movk_i32 s4, 0x80
	v_cmp_eq_u16_sdwa s[12:13], v3, s4 src0_sel:BYTE_0 src1_sel:DWORD
	s_mov_b64 s[4:5], -1
                                        ; implicit-def: $sgpr10
	s_and_saveexec_b64 s[8:9], s[12:13]
; %bb.25254:
	s_mov_b32 s10, 0x7f800001
	s_xor_b64 s[4:5], exec, -1
; %bb.25255:
	s_or_b64 exec, exec, s[8:9]
	s_and_b64 s[4:5], s[4:5], exec
	s_or_saveexec_b64 s[6:7], s[6:7]
	v_mov_b32_e32 v6, s10
	s_xor_b64 exec, exec, s[6:7]
	s_cbranch_execnz .LBB1_25256
; %bb.61093:
	s_getpc_b64 s[14:15]
.Lpost_getpc16210:
	s_add_u32 s14, s14, (.LBB1_10918-.Lpost_getpc16210)&4294967295
	s_addc_u32 s15, s15, (.LBB1_10918-.Lpost_getpc16210)>>32
	s_setpc_b64 s[14:15]
.LBB1_25256:
	v_mov_b32_e32 v6, 0
	v_cmp_ne_u16_sdwa s[8:9], v3, v6 src0_sel:BYTE_0 src1_sel:DWORD
	s_andn2_b64 s[4:5], s[4:5], exec
	s_and_b64 s[8:9], s[8:9], exec
	s_or_b64 s[4:5], s[4:5], s[8:9]
	s_or_b64 exec, exec, s[6:7]
	s_and_saveexec_b64 s[6:7], s[4:5]
	s_cbranch_execz .LBB1_34131
; %bb.61095:
	s_getpc_b64 s[14:15]
.Lpost_getpc16211:
	s_add_u32 s14, s14, (.LBB1_10919-.Lpost_getpc16211)&4294967295
	s_addc_u32 s15, s15, (.LBB1_10919-.Lpost_getpc16211)>>32
	s_setpc_b64 s[14:15]
.LBB1_34131:
	s_getpc_b64 s[14:15]
.Lpost_getpc2729:
	s_add_u32 s14, s14, (.LBB1_10920-.Lpost_getpc2729)&4294967295
	s_addc_u32 s15, s15, (.LBB1_10920-.Lpost_getpc2729)>>32
	s_setpc_b64 s[14:15]
.LBB1_25257:
	s_movk_i32 s4, 0x80
	v_cmp_eq_u16_sdwa s[12:13], v6, s4 src0_sel:BYTE_0 src1_sel:DWORD
	s_mov_b64 s[4:5], -1
                                        ; implicit-def: $sgpr10
	s_and_saveexec_b64 s[8:9], s[12:13]
; %bb.25258:
	s_mov_b32 s10, 0x7f800001
	s_xor_b64 s[4:5], exec, -1
; %bb.25259:
	s_or_b64 exec, exec, s[8:9]
	s_and_b64 s[4:5], s[4:5], exec
	s_or_saveexec_b64 s[6:7], s[6:7]
	v_mov_b32_e32 v2, s10
	s_xor_b64 exec, exec, s[6:7]
	s_cbranch_execnz .LBB1_25260
; %bb.61097:
	s_getpc_b64 s[14:15]
.Lpost_getpc16212:
	s_add_u32 s14, s14, (.LBB1_10922-.Lpost_getpc16212)&4294967295
	s_addc_u32 s15, s15, (.LBB1_10922-.Lpost_getpc16212)>>32
	s_setpc_b64 s[14:15]
.LBB1_25260:
	v_mov_b32_e32 v2, 0
	v_cmp_ne_u16_sdwa s[8:9], v6, v2 src0_sel:BYTE_0 src1_sel:DWORD
	s_andn2_b64 s[4:5], s[4:5], exec
	s_and_b64 s[8:9], s[8:9], exec
	s_or_b64 s[4:5], s[4:5], s[8:9]
	s_or_b64 exec, exec, s[6:7]
	s_and_saveexec_b64 s[6:7], s[4:5]
	s_cbranch_execz .LBB1_34133
; %bb.61099:
	s_getpc_b64 s[14:15]
.Lpost_getpc16213:
	s_add_u32 s14, s14, (.LBB1_10923-.Lpost_getpc16213)&4294967295
	s_addc_u32 s15, s15, (.LBB1_10923-.Lpost_getpc16213)>>32
	s_setpc_b64 s[14:15]
.LBB1_34133:
	s_getpc_b64 s[14:15]
.Lpost_getpc2730:
	s_add_u32 s14, s14, (.LBB1_10924-.Lpost_getpc2730)&4294967295
	s_addc_u32 s15, s15, (.LBB1_10924-.Lpost_getpc2730)>>32
	s_setpc_b64 s[14:15]
.LBB1_25261:
	s_movk_i32 s4, 0x80
	v_cmp_eq_u16_sdwa s[12:13], v6, s4 src0_sel:BYTE_0 src1_sel:DWORD
	s_mov_b64 s[4:5], -1
                                        ; implicit-def: $sgpr10
	s_and_saveexec_b64 s[8:9], s[12:13]
; %bb.25262:
	s_mov_b32 s10, 0x7f800001
	s_xor_b64 s[4:5], exec, -1
; %bb.25263:
	s_or_b64 exec, exec, s[8:9]
	s_and_b64 s[4:5], s[4:5], exec
	s_or_saveexec_b64 s[6:7], s[6:7]
	v_mov_b32_e32 v12, s10
	s_xor_b64 exec, exec, s[6:7]
	s_cbranch_execnz .LBB1_25264
; %bb.61101:
	s_getpc_b64 s[14:15]
.Lpost_getpc16214:
	s_add_u32 s14, s14, (.LBB1_10926-.Lpost_getpc16214)&4294967295
	s_addc_u32 s15, s15, (.LBB1_10926-.Lpost_getpc16214)>>32
	s_setpc_b64 s[14:15]
.LBB1_25264:
	v_mov_b32_e32 v12, 0
	v_cmp_ne_u16_sdwa s[8:9], v6, v12 src0_sel:BYTE_0 src1_sel:DWORD
	s_andn2_b64 s[4:5], s[4:5], exec
	s_and_b64 s[8:9], s[8:9], exec
	s_or_b64 s[4:5], s[4:5], s[8:9]
	s_or_b64 exec, exec, s[6:7]
	s_and_saveexec_b64 s[6:7], s[4:5]
	s_cbranch_execz .LBB1_34135
; %bb.61103:
	s_getpc_b64 s[14:15]
.Lpost_getpc16215:
	s_add_u32 s14, s14, (.LBB1_10927-.Lpost_getpc16215)&4294967295
	s_addc_u32 s15, s15, (.LBB1_10927-.Lpost_getpc16215)>>32
	s_setpc_b64 s[14:15]
.LBB1_34135:
	s_getpc_b64 s[14:15]
.Lpost_getpc2731:
	s_add_u32 s14, s14, (.LBB1_10928-.Lpost_getpc2731)&4294967295
	s_addc_u32 s15, s15, (.LBB1_10928-.Lpost_getpc2731)>>32
	s_setpc_b64 s[14:15]
.LBB1_25265:
	s_movk_i32 s4, 0x80
	v_cmp_eq_u16_e32 vcc, s4, v6
	s_mov_b64 s[4:5], -1
                                        ; implicit-def: $sgpr10
	s_and_saveexec_b64 s[8:9], vcc
; %bb.25266:
	s_mov_b32 s10, 0x7f800001
	s_xor_b64 s[4:5], exec, -1
; %bb.25267:
	s_or_b64 exec, exec, s[8:9]
	s_and_b64 s[4:5], s[4:5], exec
                                        ; implicit-def: $vgpr6
	s_or_saveexec_b64 s[6:7], s[6:7]
	v_mov_b32_e32 v2, s10
	s_xor_b64 exec, exec, s[6:7]
	s_cbranch_execnz .LBB1_25268
; %bb.61105:
	s_getpc_b64 s[14:15]
.Lpost_getpc16216:
	s_add_u32 s14, s14, (.LBB1_10930-.Lpost_getpc16216)&4294967295
	s_addc_u32 s15, s15, (.LBB1_10930-.Lpost_getpc16216)>>32
	s_setpc_b64 s[14:15]
.LBB1_25268:
	v_cmp_ne_u16_e32 vcc, 0, v6
	s_andn2_b64 s[4:5], s[4:5], exec
	s_and_b64 s[8:9], vcc, exec
	v_mov_b32_e32 v2, 0
	s_or_b64 s[4:5], s[4:5], s[8:9]
	s_or_b64 exec, exec, s[6:7]
	s_and_saveexec_b64 s[6:7], s[4:5]
	s_cbranch_execz .LBB1_34137
; %bb.61107:
	s_getpc_b64 s[14:15]
.Lpost_getpc16217:
	s_add_u32 s14, s14, (.LBB1_10931-.Lpost_getpc16217)&4294967295
	s_addc_u32 s15, s15, (.LBB1_10931-.Lpost_getpc16217)>>32
	s_setpc_b64 s[14:15]
.LBB1_34137:
	s_getpc_b64 s[14:15]
.Lpost_getpc2732:
	s_add_u32 s14, s14, (.LBB1_10932-.Lpost_getpc2732)&4294967295
	s_addc_u32 s15, s15, (.LBB1_10932-.Lpost_getpc2732)>>32
	s_setpc_b64 s[14:15]
.LBB1_25269:
	s_movk_i32 s4, 0x80
	v_cmp_eq_u16_e32 vcc, s4, v6
	s_mov_b64 s[4:5], -1
                                        ; implicit-def: $sgpr10
	s_and_saveexec_b64 s[8:9], vcc
; %bb.25270:
	s_mov_b32 s10, 0x7f800001
	s_xor_b64 s[4:5], exec, -1
; %bb.25271:
	s_or_b64 exec, exec, s[8:9]
	s_and_b64 s[4:5], s[4:5], exec
                                        ; implicit-def: $vgpr6
	s_or_saveexec_b64 s[6:7], s[6:7]
	v_mov_b32_e32 v12, s10
	s_xor_b64 exec, exec, s[6:7]
	s_cbranch_execnz .LBB1_25272
; %bb.61109:
	s_getpc_b64 s[14:15]
.Lpost_getpc16218:
	s_add_u32 s14, s14, (.LBB1_10934-.Lpost_getpc16218)&4294967295
	s_addc_u32 s15, s15, (.LBB1_10934-.Lpost_getpc16218)>>32
	s_setpc_b64 s[14:15]
.LBB1_25272:
	v_cmp_ne_u16_e32 vcc, 0, v6
	s_andn2_b64 s[4:5], s[4:5], exec
	s_and_b64 s[8:9], vcc, exec
	v_mov_b32_e32 v12, 0
	s_or_b64 s[4:5], s[4:5], s[8:9]
	s_or_b64 exec, exec, s[6:7]
	s_and_saveexec_b64 s[6:7], s[4:5]
	s_cbranch_execz .LBB1_34139
; %bb.61111:
	s_getpc_b64 s[14:15]
.Lpost_getpc16219:
	s_add_u32 s14, s14, (.LBB1_10935-.Lpost_getpc16219)&4294967295
	s_addc_u32 s15, s15, (.LBB1_10935-.Lpost_getpc16219)>>32
	s_setpc_b64 s[14:15]
.LBB1_34139:
	s_getpc_b64 s[14:15]
.Lpost_getpc2733:
	s_add_u32 s14, s14, (.LBB1_10936-.Lpost_getpc2733)&4294967295
	s_addc_u32 s15, s15, (.LBB1_10936-.Lpost_getpc2733)>>32
	s_setpc_b64 s[14:15]
.LBB1_25273:
	s_movk_i32 s4, 0x80
	v_cmp_eq_u16_sdwa s[12:13], v7, s4 src0_sel:BYTE_3 src1_sel:DWORD
	s_mov_b64 s[4:5], -1
                                        ; implicit-def: $sgpr10
	s_and_saveexec_b64 s[8:9], s[12:13]
; %bb.25274:
	s_mov_b32 s10, 0x7f800001
	s_xor_b64 s[4:5], exec, -1
; %bb.25275:
	s_or_b64 exec, exec, s[8:9]
	s_and_b64 s[4:5], s[4:5], exec
	s_or_saveexec_b64 s[6:7], s[6:7]
	v_mov_b32_e32 v2, s10
	s_xor_b64 exec, exec, s[6:7]
	s_cbranch_execnz .LBB1_25276
; %bb.61113:
	s_getpc_b64 s[14:15]
.Lpost_getpc16220:
	s_add_u32 s14, s14, (.LBB1_10938-.Lpost_getpc16220)&4294967295
	s_addc_u32 s15, s15, (.LBB1_10938-.Lpost_getpc16220)>>32
	s_setpc_b64 s[14:15]
.LBB1_25276:
	v_mov_b32_e32 v2, 0
	v_cmp_ne_u16_sdwa s[8:9], v7, v2 src0_sel:BYTE_3 src1_sel:DWORD
	s_andn2_b64 s[4:5], s[4:5], exec
	s_and_b64 s[8:9], s[8:9], exec
	s_or_b64 s[4:5], s[4:5], s[8:9]
	s_or_b64 exec, exec, s[6:7]
	s_and_saveexec_b64 s[6:7], s[4:5]
	s_cbranch_execz .LBB1_34141
; %bb.61115:
	s_getpc_b64 s[14:15]
.Lpost_getpc16221:
	s_add_u32 s14, s14, (.LBB1_10939-.Lpost_getpc16221)&4294967295
	s_addc_u32 s15, s15, (.LBB1_10939-.Lpost_getpc16221)>>32
	s_setpc_b64 s[14:15]
.LBB1_34141:
	s_getpc_b64 s[14:15]
.Lpost_getpc2734:
	s_add_u32 s14, s14, (.LBB1_10940-.Lpost_getpc2734)&4294967295
	s_addc_u32 s15, s15, (.LBB1_10940-.Lpost_getpc2734)>>32
	s_setpc_b64 s[14:15]
.LBB1_25277:
	s_movk_i32 s4, 0x80
	v_cmp_eq_u16_sdwa s[12:13], v3, s4 src0_sel:BYTE_3 src1_sel:DWORD
	s_mov_b64 s[4:5], -1
                                        ; implicit-def: $sgpr10
	s_and_saveexec_b64 s[8:9], s[12:13]
; %bb.25278:
	s_mov_b32 s10, 0x7f800001
	s_xor_b64 s[4:5], exec, -1
; %bb.25279:
	s_or_b64 exec, exec, s[8:9]
	s_and_b64 s[4:5], s[4:5], exec
	s_or_saveexec_b64 s[6:7], s[6:7]
	v_mov_b32_e32 v6, s10
	s_xor_b64 exec, exec, s[6:7]
	s_cbranch_execnz .LBB1_25280
; %bb.61117:
	s_getpc_b64 s[14:15]
.Lpost_getpc16222:
	s_add_u32 s14, s14, (.LBB1_10942-.Lpost_getpc16222)&4294967295
	s_addc_u32 s15, s15, (.LBB1_10942-.Lpost_getpc16222)>>32
	s_setpc_b64 s[14:15]
.LBB1_25280:
	v_mov_b32_e32 v6, 0
	v_cmp_ne_u16_sdwa s[8:9], v3, v6 src0_sel:BYTE_3 src1_sel:DWORD
	s_andn2_b64 s[4:5], s[4:5], exec
	s_and_b64 s[8:9], s[8:9], exec
	s_or_b64 s[4:5], s[4:5], s[8:9]
	s_or_b64 exec, exec, s[6:7]
	s_and_saveexec_b64 s[6:7], s[4:5]
	s_cbranch_execz .LBB1_34143
; %bb.61119:
	s_getpc_b64 s[14:15]
.Lpost_getpc16223:
	s_add_u32 s14, s14, (.LBB1_10943-.Lpost_getpc16223)&4294967295
	s_addc_u32 s15, s15, (.LBB1_10943-.Lpost_getpc16223)>>32
	s_setpc_b64 s[14:15]
.LBB1_34143:
	s_getpc_b64 s[14:15]
.Lpost_getpc2735:
	s_add_u32 s14, s14, (.LBB1_10944-.Lpost_getpc2735)&4294967295
	s_addc_u32 s15, s15, (.LBB1_10944-.Lpost_getpc2735)>>32
	s_setpc_b64 s[14:15]
.LBB1_25281:
	s_movk_i32 s4, 0x80
	v_cmp_eq_u16_sdwa s[12:13], v8, s4 src0_sel:BYTE_0 src1_sel:DWORD
	s_mov_b64 s[4:5], -1
                                        ; implicit-def: $sgpr10
	s_and_saveexec_b64 s[8:9], s[12:13]
; %bb.25282:
	s_mov_b32 s10, 0x7f800001
	s_xor_b64 s[4:5], exec, -1
; %bb.25283:
	s_or_b64 exec, exec, s[8:9]
	s_and_b64 s[4:5], s[4:5], exec
	s_or_saveexec_b64 s[6:7], s[6:7]
	v_mov_b32_e32 v2, s10
	s_xor_b64 exec, exec, s[6:7]
	s_cbranch_execnz .LBB1_25284
; %bb.61121:
	s_getpc_b64 s[14:15]
.Lpost_getpc16224:
	s_add_u32 s14, s14, (.LBB1_10946-.Lpost_getpc16224)&4294967295
	s_addc_u32 s15, s15, (.LBB1_10946-.Lpost_getpc16224)>>32
	s_setpc_b64 s[14:15]
.LBB1_25284:
	v_mov_b32_e32 v2, 0
	v_cmp_ne_u16_sdwa s[8:9], v8, v2 src0_sel:BYTE_0 src1_sel:DWORD
	s_andn2_b64 s[4:5], s[4:5], exec
	s_and_b64 s[8:9], s[8:9], exec
	s_or_b64 s[4:5], s[4:5], s[8:9]
	s_or_b64 exec, exec, s[6:7]
	s_and_saveexec_b64 s[6:7], s[4:5]
	s_cbranch_execz .LBB1_34145
; %bb.61123:
	s_getpc_b64 s[14:15]
.Lpost_getpc16225:
	s_add_u32 s14, s14, (.LBB1_10947-.Lpost_getpc16225)&4294967295
	s_addc_u32 s15, s15, (.LBB1_10947-.Lpost_getpc16225)>>32
	s_setpc_b64 s[14:15]
.LBB1_34145:
	s_getpc_b64 s[14:15]
.Lpost_getpc2736:
	s_add_u32 s14, s14, (.LBB1_10948-.Lpost_getpc2736)&4294967295
	s_addc_u32 s15, s15, (.LBB1_10948-.Lpost_getpc2736)>>32
	s_setpc_b64 s[14:15]
.LBB1_25285:
	s_movk_i32 s4, 0x80
	v_cmp_eq_u16_sdwa s[12:13], v4, s4 src0_sel:BYTE_0 src1_sel:DWORD
	s_mov_b64 s[4:5], -1
                                        ; implicit-def: $sgpr10
	s_and_saveexec_b64 s[8:9], s[12:13]
; %bb.25286:
	s_mov_b32 s10, 0x7f800001
	s_xor_b64 s[4:5], exec, -1
; %bb.25287:
	s_or_b64 exec, exec, s[8:9]
	s_and_b64 s[4:5], s[4:5], exec
	s_or_saveexec_b64 s[6:7], s[6:7]
	v_mov_b32_e32 v3, s10
	s_xor_b64 exec, exec, s[6:7]
	s_cbranch_execnz .LBB1_25288
; %bb.61125:
	s_getpc_b64 s[14:15]
.Lpost_getpc16226:
	s_add_u32 s14, s14, (.LBB1_10950-.Lpost_getpc16226)&4294967295
	s_addc_u32 s15, s15, (.LBB1_10950-.Lpost_getpc16226)>>32
	s_setpc_b64 s[14:15]
.LBB1_25288:
	v_mov_b32_e32 v3, 0
	v_cmp_ne_u16_sdwa s[8:9], v4, v3 src0_sel:BYTE_0 src1_sel:DWORD
	s_andn2_b64 s[4:5], s[4:5], exec
	s_and_b64 s[8:9], s[8:9], exec
	s_or_b64 s[4:5], s[4:5], s[8:9]
	s_or_b64 exec, exec, s[6:7]
	s_and_saveexec_b64 s[6:7], s[4:5]
	s_cbranch_execz .LBB1_34147
; %bb.61127:
	s_getpc_b64 s[14:15]
.Lpost_getpc16227:
	s_add_u32 s14, s14, (.LBB1_10951-.Lpost_getpc16227)&4294967295
	s_addc_u32 s15, s15, (.LBB1_10951-.Lpost_getpc16227)>>32
	s_setpc_b64 s[14:15]
.LBB1_34147:
	s_getpc_b64 s[14:15]
.Lpost_getpc2737:
	s_add_u32 s14, s14, (.LBB1_10952-.Lpost_getpc2737)&4294967295
	s_addc_u32 s15, s15, (.LBB1_10952-.Lpost_getpc2737)>>32
	s_setpc_b64 s[14:15]
.LBB1_25289:
	s_movk_i32 s4, 0x80
	v_cmp_eq_u16_sdwa s[12:13], v3, s4 src0_sel:BYTE_0 src1_sel:DWORD
	s_mov_b64 s[4:5], -1
                                        ; implicit-def: $sgpr10
	s_and_saveexec_b64 s[8:9], s[12:13]
; %bb.25290:
	s_mov_b32 s10, 0x7f800001
	s_xor_b64 s[4:5], exec, -1
; %bb.25291:
	s_or_b64 exec, exec, s[8:9]
	s_and_b64 s[4:5], s[4:5], exec
	s_or_saveexec_b64 s[6:7], s[6:7]
	v_mov_b32_e32 v2, s10
	s_xor_b64 exec, exec, s[6:7]
	s_cbranch_execnz .LBB1_25292
; %bb.61129:
	s_getpc_b64 s[14:15]
.Lpost_getpc16228:
	s_add_u32 s14, s14, (.LBB1_10954-.Lpost_getpc16228)&4294967295
	s_addc_u32 s15, s15, (.LBB1_10954-.Lpost_getpc16228)>>32
	s_setpc_b64 s[14:15]
.LBB1_25292:
	v_mov_b32_e32 v2, 0
	v_cmp_ne_u16_sdwa s[8:9], v3, v2 src0_sel:BYTE_0 src1_sel:DWORD
	s_andn2_b64 s[4:5], s[4:5], exec
	s_and_b64 s[8:9], s[8:9], exec
	s_or_b64 s[4:5], s[4:5], s[8:9]
	s_or_b64 exec, exec, s[6:7]
	s_and_saveexec_b64 s[6:7], s[4:5]
	s_cbranch_execz .LBB1_34149
; %bb.61131:
	s_getpc_b64 s[14:15]
.Lpost_getpc16229:
	s_add_u32 s14, s14, (.LBB1_10955-.Lpost_getpc16229)&4294967295
	s_addc_u32 s15, s15, (.LBB1_10955-.Lpost_getpc16229)>>32
	s_setpc_b64 s[14:15]
.LBB1_34149:
	s_getpc_b64 s[14:15]
.Lpost_getpc2738:
	s_add_u32 s14, s14, (.LBB1_10956-.Lpost_getpc2738)&4294967295
	s_addc_u32 s15, s15, (.LBB1_10956-.Lpost_getpc2738)>>32
	s_setpc_b64 s[14:15]
.LBB1_25293:
	s_movk_i32 s4, 0x80
	v_cmp_eq_u16_sdwa s[12:13], v3, s4 src0_sel:BYTE_0 src1_sel:DWORD
	s_mov_b64 s[4:5], -1
                                        ; implicit-def: $sgpr10
	s_and_saveexec_b64 s[8:9], s[12:13]
; %bb.25294:
	s_mov_b32 s10, 0x7f800001
	s_xor_b64 s[4:5], exec, -1
; %bb.25295:
	s_or_b64 exec, exec, s[8:9]
	s_and_b64 s[4:5], s[4:5], exec
	s_or_saveexec_b64 s[6:7], s[6:7]
	v_mov_b32_e32 v6, s10
	s_xor_b64 exec, exec, s[6:7]
	s_cbranch_execnz .LBB1_25296
; %bb.61133:
	s_getpc_b64 s[14:15]
.Lpost_getpc16230:
	s_add_u32 s14, s14, (.LBB1_10958-.Lpost_getpc16230)&4294967295
	s_addc_u32 s15, s15, (.LBB1_10958-.Lpost_getpc16230)>>32
	s_setpc_b64 s[14:15]
.LBB1_25296:
	v_mov_b32_e32 v6, 0
	v_cmp_ne_u16_sdwa s[8:9], v3, v6 src0_sel:BYTE_0 src1_sel:DWORD
	s_andn2_b64 s[4:5], s[4:5], exec
	s_and_b64 s[8:9], s[8:9], exec
	s_or_b64 s[4:5], s[4:5], s[8:9]
	s_or_b64 exec, exec, s[6:7]
	s_and_saveexec_b64 s[6:7], s[4:5]
	s_cbranch_execz .LBB1_34151
; %bb.61135:
	s_getpc_b64 s[14:15]
.Lpost_getpc16231:
	s_add_u32 s14, s14, (.LBB1_10959-.Lpost_getpc16231)&4294967295
	s_addc_u32 s15, s15, (.LBB1_10959-.Lpost_getpc16231)>>32
	s_setpc_b64 s[14:15]
.LBB1_34151:
	s_getpc_b64 s[14:15]
.Lpost_getpc2739:
	s_add_u32 s14, s14, (.LBB1_10960-.Lpost_getpc2739)&4294967295
	s_addc_u32 s15, s15, (.LBB1_10960-.Lpost_getpc2739)>>32
	s_setpc_b64 s[14:15]
.LBB1_25297:
	s_movk_i32 s4, 0x80
	v_cmp_eq_u16_e32 vcc, s4, v3
	s_mov_b64 s[4:5], -1
                                        ; implicit-def: $sgpr10
	s_and_saveexec_b64 s[8:9], vcc
; %bb.25298:
	s_mov_b32 s10, 0x7f800001
	s_xor_b64 s[4:5], exec, -1
; %bb.25299:
	s_or_b64 exec, exec, s[8:9]
	s_and_b64 s[4:5], s[4:5], exec
                                        ; implicit-def: $vgpr3
	s_or_saveexec_b64 s[6:7], s[6:7]
	v_mov_b32_e32 v2, s10
	s_xor_b64 exec, exec, s[6:7]
	s_cbranch_execnz .LBB1_25300
; %bb.61137:
	s_getpc_b64 s[14:15]
.Lpost_getpc16232:
	s_add_u32 s14, s14, (.LBB1_10962-.Lpost_getpc16232)&4294967295
	s_addc_u32 s15, s15, (.LBB1_10962-.Lpost_getpc16232)>>32
	s_setpc_b64 s[14:15]
.LBB1_25300:
	v_cmp_ne_u16_e32 vcc, 0, v3
	s_andn2_b64 s[4:5], s[4:5], exec
	s_and_b64 s[8:9], vcc, exec
	v_mov_b32_e32 v2, 0
	s_or_b64 s[4:5], s[4:5], s[8:9]
	s_or_b64 exec, exec, s[6:7]
	s_and_saveexec_b64 s[6:7], s[4:5]
	s_cbranch_execz .LBB1_34153
; %bb.61139:
	s_getpc_b64 s[14:15]
.Lpost_getpc16233:
	s_add_u32 s14, s14, (.LBB1_10963-.Lpost_getpc16233)&4294967295
	s_addc_u32 s15, s15, (.LBB1_10963-.Lpost_getpc16233)>>32
	s_setpc_b64 s[14:15]
.LBB1_34153:
	s_getpc_b64 s[14:15]
.Lpost_getpc2740:
	s_add_u32 s14, s14, (.LBB1_10964-.Lpost_getpc2740)&4294967295
	s_addc_u32 s15, s15, (.LBB1_10964-.Lpost_getpc2740)>>32
	s_setpc_b64 s[14:15]
.LBB1_25301:
	s_movk_i32 s4, 0x80
	v_cmp_eq_u16_e32 vcc, s4, v3
	s_mov_b64 s[4:5], -1
                                        ; implicit-def: $sgpr10
	s_and_saveexec_b64 s[8:9], vcc
; %bb.25302:
	s_mov_b32 s10, 0x7f800001
	s_xor_b64 s[4:5], exec, -1
; %bb.25303:
	s_or_b64 exec, exec, s[8:9]
	s_and_b64 s[4:5], s[4:5], exec
                                        ; implicit-def: $vgpr3
	s_or_saveexec_b64 s[6:7], s[6:7]
	v_mov_b32_e32 v6, s10
	s_xor_b64 exec, exec, s[6:7]
	s_cbranch_execnz .LBB1_25304
; %bb.61141:
	s_getpc_b64 s[14:15]
.Lpost_getpc16234:
	s_add_u32 s14, s14, (.LBB1_10966-.Lpost_getpc16234)&4294967295
	s_addc_u32 s15, s15, (.LBB1_10966-.Lpost_getpc16234)>>32
	s_setpc_b64 s[14:15]
.LBB1_25304:
	v_cmp_ne_u16_e32 vcc, 0, v3
	s_andn2_b64 s[4:5], s[4:5], exec
	s_and_b64 s[8:9], vcc, exec
	v_mov_b32_e32 v6, 0
	s_or_b64 s[4:5], s[4:5], s[8:9]
	s_or_b64 exec, exec, s[6:7]
	s_and_saveexec_b64 s[6:7], s[4:5]
	s_cbranch_execz .LBB1_34155
; %bb.61143:
	s_getpc_b64 s[14:15]
.Lpost_getpc16235:
	s_add_u32 s14, s14, (.LBB1_10967-.Lpost_getpc16235)&4294967295
	s_addc_u32 s15, s15, (.LBB1_10967-.Lpost_getpc16235)>>32
	s_setpc_b64 s[14:15]
.LBB1_34155:
	s_getpc_b64 s[14:15]
.Lpost_getpc2741:
	s_add_u32 s14, s14, (.LBB1_10968-.Lpost_getpc2741)&4294967295
	s_addc_u32 s15, s15, (.LBB1_10968-.Lpost_getpc2741)>>32
	s_setpc_b64 s[14:15]
.LBB1_25305:
	s_movk_i32 s4, 0x80
	v_cmp_eq_u16_sdwa s[12:13], v8, s4 src0_sel:BYTE_3 src1_sel:DWORD
	s_mov_b64 s[4:5], -1
                                        ; implicit-def: $sgpr10
	s_and_saveexec_b64 s[8:9], s[12:13]
; %bb.25306:
	s_mov_b32 s10, 0x7f800001
	s_xor_b64 s[4:5], exec, -1
; %bb.25307:
	s_or_b64 exec, exec, s[8:9]
	s_and_b64 s[4:5], s[4:5], exec
	s_or_saveexec_b64 s[6:7], s[6:7]
	v_mov_b32_e32 v2, s10
	s_xor_b64 exec, exec, s[6:7]
	s_cbranch_execnz .LBB1_25308
; %bb.61145:
	s_getpc_b64 s[14:15]
.Lpost_getpc16236:
	s_add_u32 s14, s14, (.LBB1_10970-.Lpost_getpc16236)&4294967295
	s_addc_u32 s15, s15, (.LBB1_10970-.Lpost_getpc16236)>>32
	s_setpc_b64 s[14:15]
.LBB1_25308:
	v_mov_b32_e32 v2, 0
	v_cmp_ne_u16_sdwa s[8:9], v8, v2 src0_sel:BYTE_3 src1_sel:DWORD
	s_andn2_b64 s[4:5], s[4:5], exec
	s_and_b64 s[8:9], s[8:9], exec
	s_or_b64 s[4:5], s[4:5], s[8:9]
	s_or_b64 exec, exec, s[6:7]
	s_and_saveexec_b64 s[6:7], s[4:5]
	s_cbranch_execz .LBB1_34157
; %bb.61147:
	s_getpc_b64 s[14:15]
.Lpost_getpc16237:
	s_add_u32 s14, s14, (.LBB1_10971-.Lpost_getpc16237)&4294967295
	s_addc_u32 s15, s15, (.LBB1_10971-.Lpost_getpc16237)>>32
	s_setpc_b64 s[14:15]
.LBB1_34157:
	s_getpc_b64 s[14:15]
.Lpost_getpc2742:
	s_add_u32 s14, s14, (.LBB1_10972-.Lpost_getpc2742)&4294967295
	s_addc_u32 s15, s15, (.LBB1_10972-.Lpost_getpc2742)>>32
	s_setpc_b64 s[14:15]
.LBB1_25309:
	s_movk_i32 s4, 0x80
	v_cmp_eq_u16_sdwa s[12:13], v4, s4 src0_sel:BYTE_3 src1_sel:DWORD
	s_mov_b64 s[4:5], -1
                                        ; implicit-def: $sgpr10
	s_and_saveexec_b64 s[8:9], s[12:13]
; %bb.25310:
	s_mov_b32 s10, 0x7f800001
	s_xor_b64 s[4:5], exec, -1
; %bb.25311:
	s_or_b64 exec, exec, s[8:9]
	s_and_b64 s[4:5], s[4:5], exec
	s_or_saveexec_b64 s[6:7], s[6:7]
	v_mov_b32_e32 v3, s10
	s_xor_b64 exec, exec, s[6:7]
	s_cbranch_execnz .LBB1_25312
; %bb.61149:
	s_getpc_b64 s[14:15]
.Lpost_getpc16238:
	s_add_u32 s14, s14, (.LBB1_10974-.Lpost_getpc16238)&4294967295
	s_addc_u32 s15, s15, (.LBB1_10974-.Lpost_getpc16238)>>32
	s_setpc_b64 s[14:15]
.LBB1_25312:
	v_mov_b32_e32 v3, 0
	v_cmp_ne_u16_sdwa s[8:9], v4, v3 src0_sel:BYTE_3 src1_sel:DWORD
	s_andn2_b64 s[4:5], s[4:5], exec
	s_and_b64 s[8:9], s[8:9], exec
	s_or_b64 s[4:5], s[4:5], s[8:9]
	s_or_b64 exec, exec, s[6:7]
	s_and_saveexec_b64 s[6:7], s[4:5]
	s_cbranch_execz .LBB1_34159
; %bb.61151:
	s_getpc_b64 s[14:15]
.Lpost_getpc16239:
	s_add_u32 s14, s14, (.LBB1_10975-.Lpost_getpc16239)&4294967295
	s_addc_u32 s15, s15, (.LBB1_10975-.Lpost_getpc16239)>>32
	s_setpc_b64 s[14:15]
.LBB1_34159:
	s_getpc_b64 s[14:15]
.Lpost_getpc2743:
	s_add_u32 s14, s14, (.LBB1_10976-.Lpost_getpc2743)&4294967295
	s_addc_u32 s15, s15, (.LBB1_10976-.Lpost_getpc2743)>>32
	s_setpc_b64 s[14:15]
.LBB1_25313:
	s_movk_i32 s4, 0x80
	v_cmp_eq_u16_sdwa s[12:13], v9, s4 src0_sel:BYTE_0 src1_sel:DWORD
	s_mov_b64 s[4:5], -1
                                        ; implicit-def: $sgpr10
	s_and_saveexec_b64 s[8:9], s[12:13]
; %bb.25314:
	s_mov_b32 s10, 0x7f800001
	s_xor_b64 s[4:5], exec, -1
; %bb.25315:
	s_or_b64 exec, exec, s[8:9]
	s_and_b64 s[4:5], s[4:5], exec
	s_or_saveexec_b64 s[6:7], s[6:7]
	v_mov_b32_e32 v2, s10
	s_xor_b64 exec, exec, s[6:7]
	s_cbranch_execnz .LBB1_25316
; %bb.61153:
	s_getpc_b64 s[14:15]
.Lpost_getpc16240:
	s_add_u32 s14, s14, (.LBB1_10978-.Lpost_getpc16240)&4294967295
	s_addc_u32 s15, s15, (.LBB1_10978-.Lpost_getpc16240)>>32
	s_setpc_b64 s[14:15]
.LBB1_25316:
	v_mov_b32_e32 v2, 0
	v_cmp_ne_u16_sdwa s[8:9], v9, v2 src0_sel:BYTE_0 src1_sel:DWORD
	s_andn2_b64 s[4:5], s[4:5], exec
	s_and_b64 s[8:9], s[8:9], exec
	s_or_b64 s[4:5], s[4:5], s[8:9]
	s_or_b64 exec, exec, s[6:7]
	s_and_saveexec_b64 s[6:7], s[4:5]
	s_cbranch_execz .LBB1_34161
; %bb.61155:
	s_getpc_b64 s[14:15]
.Lpost_getpc16241:
	s_add_u32 s14, s14, (.LBB1_10979-.Lpost_getpc16241)&4294967295
	s_addc_u32 s15, s15, (.LBB1_10979-.Lpost_getpc16241)>>32
	s_setpc_b64 s[14:15]
.LBB1_34161:
	s_getpc_b64 s[14:15]
.Lpost_getpc2744:
	s_add_u32 s14, s14, (.LBB1_10980-.Lpost_getpc2744)&4294967295
	s_addc_u32 s15, s15, (.LBB1_10980-.Lpost_getpc2744)>>32
	s_setpc_b64 s[14:15]
.LBB1_25317:
	s_movk_i32 s4, 0x80
	v_cmp_eq_u16_sdwa s[12:13], v5, s4 src0_sel:BYTE_0 src1_sel:DWORD
	s_mov_b64 s[4:5], -1
                                        ; implicit-def: $sgpr10
	s_and_saveexec_b64 s[8:9], s[12:13]
; %bb.25318:
	s_mov_b32 s10, 0x7f800001
	s_xor_b64 s[4:5], exec, -1
; %bb.25319:
	s_or_b64 exec, exec, s[8:9]
	s_and_b64 s[4:5], s[4:5], exec
	s_or_saveexec_b64 s[6:7], s[6:7]
	v_mov_b32_e32 v3, s10
	s_xor_b64 exec, exec, s[6:7]
	s_cbranch_execnz .LBB1_25320
; %bb.61157:
	s_getpc_b64 s[14:15]
.Lpost_getpc16242:
	s_add_u32 s14, s14, (.LBB1_10982-.Lpost_getpc16242)&4294967295
	s_addc_u32 s15, s15, (.LBB1_10982-.Lpost_getpc16242)>>32
	s_setpc_b64 s[14:15]
.LBB1_25320:
	v_mov_b32_e32 v3, 0
	v_cmp_ne_u16_sdwa s[8:9], v5, v3 src0_sel:BYTE_0 src1_sel:DWORD
	s_andn2_b64 s[4:5], s[4:5], exec
	s_and_b64 s[8:9], s[8:9], exec
	s_or_b64 s[4:5], s[4:5], s[8:9]
	s_or_b64 exec, exec, s[6:7]
	s_and_saveexec_b64 s[6:7], s[4:5]
	s_cbranch_execz .LBB1_34163
; %bb.61159:
	s_getpc_b64 s[14:15]
.Lpost_getpc16243:
	s_add_u32 s14, s14, (.LBB1_10983-.Lpost_getpc16243)&4294967295
	s_addc_u32 s15, s15, (.LBB1_10983-.Lpost_getpc16243)>>32
	s_setpc_b64 s[14:15]
.LBB1_34163:
	s_getpc_b64 s[14:15]
.Lpost_getpc2745:
	s_add_u32 s14, s14, (.LBB1_10984-.Lpost_getpc2745)&4294967295
	s_addc_u32 s15, s15, (.LBB1_10984-.Lpost_getpc2745)>>32
	s_setpc_b64 s[14:15]
.LBB1_25321:
	s_movk_i32 s4, 0x80
	v_cmp_eq_u16_sdwa s[12:13], v3, s4 src0_sel:BYTE_0 src1_sel:DWORD
	s_mov_b64 s[4:5], -1
                                        ; implicit-def: $sgpr10
	s_and_saveexec_b64 s[8:9], s[12:13]
; %bb.25322:
	s_mov_b32 s10, 0x7f800001
	s_xor_b64 s[4:5], exec, -1
; %bb.25323:
	s_or_b64 exec, exec, s[8:9]
	s_and_b64 s[4:5], s[4:5], exec
	s_or_saveexec_b64 s[6:7], s[6:7]
	v_mov_b32_e32 v2, s10
	s_xor_b64 exec, exec, s[6:7]
	s_cbranch_execnz .LBB1_25324
; %bb.61161:
	s_getpc_b64 s[14:15]
.Lpost_getpc16244:
	s_add_u32 s14, s14, (.LBB1_10986-.Lpost_getpc16244)&4294967295
	s_addc_u32 s15, s15, (.LBB1_10986-.Lpost_getpc16244)>>32
	s_setpc_b64 s[14:15]
.LBB1_25324:
	v_mov_b32_e32 v2, 0
	v_cmp_ne_u16_sdwa s[8:9], v3, v2 src0_sel:BYTE_0 src1_sel:DWORD
	s_andn2_b64 s[4:5], s[4:5], exec
	s_and_b64 s[8:9], s[8:9], exec
	s_or_b64 s[4:5], s[4:5], s[8:9]
	s_or_b64 exec, exec, s[6:7]
	s_and_saveexec_b64 s[6:7], s[4:5]
	s_cbranch_execz .LBB1_34165
; %bb.61163:
	s_getpc_b64 s[14:15]
.Lpost_getpc16245:
	s_add_u32 s14, s14, (.LBB1_10987-.Lpost_getpc16245)&4294967295
	s_addc_u32 s15, s15, (.LBB1_10987-.Lpost_getpc16245)>>32
	s_setpc_b64 s[14:15]
.LBB1_34165:
	s_getpc_b64 s[14:15]
.Lpost_getpc2746:
	s_add_u32 s14, s14, (.LBB1_10988-.Lpost_getpc2746)&4294967295
	s_addc_u32 s15, s15, (.LBB1_10988-.Lpost_getpc2746)>>32
	s_setpc_b64 s[14:15]
.LBB1_25325:
	s_movk_i32 s4, 0x80
	v_cmp_eq_u16_sdwa s[12:13], v3, s4 src0_sel:BYTE_0 src1_sel:DWORD
	s_mov_b64 s[4:5], -1
                                        ; implicit-def: $sgpr10
	s_and_saveexec_b64 s[8:9], s[12:13]
; %bb.25326:
	s_mov_b32 s10, 0x7f800001
	s_xor_b64 s[4:5], exec, -1
; %bb.25327:
	s_or_b64 exec, exec, s[8:9]
	s_and_b64 s[4:5], s[4:5], exec
	s_or_saveexec_b64 s[6:7], s[6:7]
	v_mov_b32_e32 v4, s10
	s_xor_b64 exec, exec, s[6:7]
	s_cbranch_execnz .LBB1_25328
; %bb.61165:
	s_getpc_b64 s[14:15]
.Lpost_getpc16246:
	s_add_u32 s14, s14, (.LBB1_10990-.Lpost_getpc16246)&4294967295
	s_addc_u32 s15, s15, (.LBB1_10990-.Lpost_getpc16246)>>32
	s_setpc_b64 s[14:15]
.LBB1_25328:
	v_mov_b32_e32 v4, 0
	v_cmp_ne_u16_sdwa s[8:9], v3, v4 src0_sel:BYTE_0 src1_sel:DWORD
	s_andn2_b64 s[4:5], s[4:5], exec
	s_and_b64 s[8:9], s[8:9], exec
	s_or_b64 s[4:5], s[4:5], s[8:9]
	s_or_b64 exec, exec, s[6:7]
	s_and_saveexec_b64 s[6:7], s[4:5]
	s_cbranch_execz .LBB1_34167
; %bb.61167:
	s_getpc_b64 s[14:15]
.Lpost_getpc16247:
	s_add_u32 s14, s14, (.LBB1_10991-.Lpost_getpc16247)&4294967295
	s_addc_u32 s15, s15, (.LBB1_10991-.Lpost_getpc16247)>>32
	s_setpc_b64 s[14:15]
.LBB1_34167:
	s_getpc_b64 s[14:15]
.Lpost_getpc2747:
	s_add_u32 s14, s14, (.LBB1_10992-.Lpost_getpc2747)&4294967295
	s_addc_u32 s15, s15, (.LBB1_10992-.Lpost_getpc2747)>>32
	s_setpc_b64 s[14:15]
.LBB1_25329:
	s_movk_i32 s4, 0x80
	v_cmp_eq_u16_e32 vcc, s4, v3
	s_mov_b64 s[4:5], -1
                                        ; implicit-def: $sgpr10
	s_and_saveexec_b64 s[8:9], vcc
; %bb.25330:
	s_mov_b32 s10, 0x7f800001
	s_xor_b64 s[4:5], exec, -1
; %bb.25331:
	s_or_b64 exec, exec, s[8:9]
	s_and_b64 s[4:5], s[4:5], exec
                                        ; implicit-def: $vgpr3
	s_or_saveexec_b64 s[6:7], s[6:7]
	v_mov_b32_e32 v2, s10
	s_xor_b64 exec, exec, s[6:7]
	s_cbranch_execnz .LBB1_25332
; %bb.61169:
	s_getpc_b64 s[14:15]
.Lpost_getpc16248:
	s_add_u32 s14, s14, (.LBB1_10994-.Lpost_getpc16248)&4294967295
	s_addc_u32 s15, s15, (.LBB1_10994-.Lpost_getpc16248)>>32
	s_setpc_b64 s[14:15]
.LBB1_25332:
	v_cmp_ne_u16_e32 vcc, 0, v3
	s_andn2_b64 s[4:5], s[4:5], exec
	s_and_b64 s[8:9], vcc, exec
	v_mov_b32_e32 v2, 0
	s_or_b64 s[4:5], s[4:5], s[8:9]
	s_or_b64 exec, exec, s[6:7]
	s_and_saveexec_b64 s[6:7], s[4:5]
	s_cbranch_execz .LBB1_34169
; %bb.61171:
	s_getpc_b64 s[14:15]
.Lpost_getpc16249:
	s_add_u32 s14, s14, (.LBB1_10995-.Lpost_getpc16249)&4294967295
	s_addc_u32 s15, s15, (.LBB1_10995-.Lpost_getpc16249)>>32
	s_setpc_b64 s[14:15]
.LBB1_34169:
	s_getpc_b64 s[14:15]
.Lpost_getpc2748:
	s_add_u32 s14, s14, (.LBB1_10996-.Lpost_getpc2748)&4294967295
	s_addc_u32 s15, s15, (.LBB1_10996-.Lpost_getpc2748)>>32
	s_setpc_b64 s[14:15]
.LBB1_25333:
	s_movk_i32 s4, 0x80
	v_cmp_eq_u16_e32 vcc, s4, v3
	s_mov_b64 s[4:5], -1
                                        ; implicit-def: $sgpr10
	s_and_saveexec_b64 s[8:9], vcc
; %bb.25334:
	s_mov_b32 s10, 0x7f800001
	s_xor_b64 s[4:5], exec, -1
; %bb.25335:
	s_or_b64 exec, exec, s[8:9]
	s_and_b64 s[4:5], s[4:5], exec
                                        ; implicit-def: $vgpr3
	s_or_saveexec_b64 s[6:7], s[6:7]
	v_mov_b32_e32 v4, s10
	s_xor_b64 exec, exec, s[6:7]
	s_cbranch_execnz .LBB1_25336
; %bb.61173:
	s_getpc_b64 s[14:15]
.Lpost_getpc16250:
	s_add_u32 s14, s14, (.LBB1_10998-.Lpost_getpc16250)&4294967295
	s_addc_u32 s15, s15, (.LBB1_10998-.Lpost_getpc16250)>>32
	s_setpc_b64 s[14:15]
.LBB1_25336:
	v_cmp_ne_u16_e32 vcc, 0, v3
	s_andn2_b64 s[4:5], s[4:5], exec
	s_and_b64 s[8:9], vcc, exec
	v_mov_b32_e32 v4, 0
	s_or_b64 s[4:5], s[4:5], s[8:9]
	s_or_b64 exec, exec, s[6:7]
	s_and_saveexec_b64 s[6:7], s[4:5]
	s_cbranch_execz .LBB1_34171
; %bb.61175:
	s_getpc_b64 s[14:15]
.Lpost_getpc16251:
	s_add_u32 s14, s14, (.LBB1_10999-.Lpost_getpc16251)&4294967295
	s_addc_u32 s15, s15, (.LBB1_10999-.Lpost_getpc16251)>>32
	s_setpc_b64 s[14:15]
.LBB1_34171:
	s_getpc_b64 s[14:15]
.Lpost_getpc2749:
	s_add_u32 s14, s14, (.LBB1_11000-.Lpost_getpc2749)&4294967295
	s_addc_u32 s15, s15, (.LBB1_11000-.Lpost_getpc2749)>>32
	s_setpc_b64 s[14:15]
.LBB1_25337:
	s_movk_i32 s4, 0x80
	v_cmp_eq_u16_sdwa s[12:13], v9, s4 src0_sel:BYTE_3 src1_sel:DWORD
	s_mov_b64 s[4:5], -1
                                        ; implicit-def: $sgpr10
	s_and_saveexec_b64 s[8:9], s[12:13]
; %bb.25338:
	s_mov_b32 s10, 0x7f800001
	s_xor_b64 s[4:5], exec, -1
; %bb.25339:
	s_or_b64 exec, exec, s[8:9]
	s_and_b64 s[4:5], s[4:5], exec
	s_or_saveexec_b64 s[6:7], s[6:7]
	v_mov_b32_e32 v2, s10
	s_xor_b64 exec, exec, s[6:7]
	s_cbranch_execnz .LBB1_25340
; %bb.61177:
	s_getpc_b64 s[14:15]
.Lpost_getpc16252:
	s_add_u32 s14, s14, (.LBB1_11002-.Lpost_getpc16252)&4294967295
	s_addc_u32 s15, s15, (.LBB1_11002-.Lpost_getpc16252)>>32
	s_setpc_b64 s[14:15]
.LBB1_25340:
	v_mov_b32_e32 v2, 0
	v_cmp_ne_u16_sdwa s[8:9], v9, v2 src0_sel:BYTE_3 src1_sel:DWORD
	s_andn2_b64 s[4:5], s[4:5], exec
	s_and_b64 s[8:9], s[8:9], exec
	s_or_b64 s[4:5], s[4:5], s[8:9]
	s_or_b64 exec, exec, s[6:7]
	s_and_saveexec_b64 s[6:7], s[4:5]
	s_cbranch_execz .LBB1_34173
; %bb.61179:
	s_getpc_b64 s[14:15]
.Lpost_getpc16253:
	s_add_u32 s14, s14, (.LBB1_11003-.Lpost_getpc16253)&4294967295
	s_addc_u32 s15, s15, (.LBB1_11003-.Lpost_getpc16253)>>32
	s_setpc_b64 s[14:15]
.LBB1_34173:
	s_getpc_b64 s[14:15]
.Lpost_getpc2750:
	s_add_u32 s14, s14, (.LBB1_11004-.Lpost_getpc2750)&4294967295
	s_addc_u32 s15, s15, (.LBB1_11004-.Lpost_getpc2750)>>32
	s_setpc_b64 s[14:15]
.LBB1_25341:
	s_movk_i32 s4, 0x80
	v_cmp_eq_u16_sdwa s[12:13], v5, s4 src0_sel:BYTE_3 src1_sel:DWORD
	s_mov_b64 s[4:5], -1
                                        ; implicit-def: $sgpr10
	s_and_saveexec_b64 s[8:9], s[12:13]
; %bb.25342:
	s_mov_b32 s10, 0x7f800001
	s_xor_b64 s[4:5], exec, -1
; %bb.25343:
	s_or_b64 exec, exec, s[8:9]
	s_and_b64 s[4:5], s[4:5], exec
	s_or_saveexec_b64 s[6:7], s[6:7]
	v_mov_b32_e32 v3, s10
	s_xor_b64 exec, exec, s[6:7]
	s_cbranch_execnz .LBB1_25344
; %bb.61181:
	s_getpc_b64 s[14:15]
.Lpost_getpc16254:
	s_add_u32 s14, s14, (.LBB1_11006-.Lpost_getpc16254)&4294967295
	s_addc_u32 s15, s15, (.LBB1_11006-.Lpost_getpc16254)>>32
	s_setpc_b64 s[14:15]
.LBB1_25344:
	v_mov_b32_e32 v3, 0
	v_cmp_ne_u16_sdwa s[8:9], v5, v3 src0_sel:BYTE_3 src1_sel:DWORD
	s_andn2_b64 s[4:5], s[4:5], exec
	s_and_b64 s[8:9], s[8:9], exec
	s_or_b64 s[4:5], s[4:5], s[8:9]
	s_or_b64 exec, exec, s[6:7]
	s_and_saveexec_b64 s[6:7], s[4:5]
	s_cbranch_execz .LBB1_34175
; %bb.61183:
	s_getpc_b64 s[14:15]
.Lpost_getpc16255:
	s_add_u32 s14, s14, (.LBB1_11007-.Lpost_getpc16255)&4294967295
	s_addc_u32 s15, s15, (.LBB1_11007-.Lpost_getpc16255)>>32
	s_setpc_b64 s[14:15]
.LBB1_34175:
	s_getpc_b64 s[14:15]
.Lpost_getpc2751:
	s_add_u32 s14, s14, (.LBB1_11008-.Lpost_getpc2751)&4294967295
	s_addc_u32 s15, s15, (.LBB1_11008-.Lpost_getpc2751)>>32
	s_setpc_b64 s[14:15]
.LBB1_25345:
	s_movk_i32 s4, 0x80
	v_cmp_eq_u16_sdwa s[12:13], v6, s4 src0_sel:BYTE_0 src1_sel:DWORD
	s_mov_b64 s[4:5], -1
                                        ; implicit-def: $sgpr10
	s_and_saveexec_b64 s[8:9], s[12:13]
; %bb.25346:
	s_mov_b32 s10, 0x7f800001
	s_xor_b64 s[4:5], exec, -1
; %bb.25347:
	s_or_b64 exec, exec, s[8:9]
	s_and_b64 s[4:5], s[4:5], exec
	s_or_saveexec_b64 s[6:7], s[6:7]
	v_mov_b32_e32 v12, s10
	s_xor_b64 exec, exec, s[6:7]
	s_cbranch_execnz .LBB1_25348
; %bb.61185:
	s_getpc_b64 s[14:15]
.Lpost_getpc16256:
	s_add_u32 s14, s14, (.LBB1_11010-.Lpost_getpc16256)&4294967295
	s_addc_u32 s15, s15, (.LBB1_11010-.Lpost_getpc16256)>>32
	s_setpc_b64 s[14:15]
.LBB1_25348:
	v_mov_b32_e32 v12, 0
	v_cmp_ne_u16_sdwa s[8:9], v6, v12 src0_sel:BYTE_0 src1_sel:DWORD
	s_andn2_b64 s[4:5], s[4:5], exec
	s_and_b64 s[8:9], s[8:9], exec
	s_or_b64 s[4:5], s[4:5], s[8:9]
	s_or_b64 exec, exec, s[6:7]
	s_and_saveexec_b64 s[6:7], s[4:5]
	s_cbranch_execz .LBB1_34177
; %bb.61187:
	s_getpc_b64 s[14:15]
.Lpost_getpc16257:
	s_add_u32 s14, s14, (.LBB1_11011-.Lpost_getpc16257)&4294967295
	s_addc_u32 s15, s15, (.LBB1_11011-.Lpost_getpc16257)>>32
	s_setpc_b64 s[14:15]
.LBB1_34177:
	s_getpc_b64 s[14:15]
.Lpost_getpc2752:
	s_add_u32 s14, s14, (.LBB1_11012-.Lpost_getpc2752)&4294967295
	s_addc_u32 s15, s15, (.LBB1_11012-.Lpost_getpc2752)>>32
	s_setpc_b64 s[14:15]
.LBB1_25349:
	s_movk_i32 s4, 0x80
	v_cmp_eq_u16_sdwa s[12:13], v2, s4 src0_sel:BYTE_0 src1_sel:DWORD
	s_mov_b64 s[4:5], -1
                                        ; implicit-def: $sgpr10
	s_and_saveexec_b64 s[8:9], s[12:13]
; %bb.25350:
	s_mov_b32 s10, 0x7f800001
	s_xor_b64 s[4:5], exec, -1
; %bb.25351:
	s_or_b64 exec, exec, s[8:9]
	s_and_b64 s[4:5], s[4:5], exec
	s_or_saveexec_b64 s[6:7], s[6:7]
	v_mov_b32_e32 v13, s10
	s_xor_b64 exec, exec, s[6:7]
	s_cbranch_execnz .LBB1_25352
; %bb.61189:
	s_getpc_b64 s[14:15]
.Lpost_getpc16258:
	s_add_u32 s14, s14, (.LBB1_11014-.Lpost_getpc16258)&4294967295
	s_addc_u32 s15, s15, (.LBB1_11014-.Lpost_getpc16258)>>32
	s_setpc_b64 s[14:15]
.LBB1_25352:
	v_mov_b32_e32 v13, 0
	v_cmp_ne_u16_sdwa s[8:9], v2, v13 src0_sel:BYTE_0 src1_sel:DWORD
	s_andn2_b64 s[4:5], s[4:5], exec
	s_and_b64 s[8:9], s[8:9], exec
	s_or_b64 s[4:5], s[4:5], s[8:9]
	s_or_b64 exec, exec, s[6:7]
	s_and_saveexec_b64 s[6:7], s[4:5]
	s_cbranch_execz .LBB1_34179
; %bb.61191:
	s_getpc_b64 s[14:15]
.Lpost_getpc16259:
	s_add_u32 s14, s14, (.LBB1_11015-.Lpost_getpc16259)&4294967295
	s_addc_u32 s15, s15, (.LBB1_11015-.Lpost_getpc16259)>>32
	s_setpc_b64 s[14:15]
.LBB1_34179:
	s_getpc_b64 s[14:15]
.Lpost_getpc2753:
	s_add_u32 s14, s14, (.LBB1_11016-.Lpost_getpc2753)&4294967295
	s_addc_u32 s15, s15, (.LBB1_11016-.Lpost_getpc2753)>>32
	s_setpc_b64 s[14:15]
.LBB1_25353:
	s_movk_i32 s4, 0x80
	v_cmp_eq_u16_sdwa s[12:13], v13, s4 src0_sel:BYTE_0 src1_sel:DWORD
	s_mov_b64 s[4:5], -1
                                        ; implicit-def: $sgpr10
	s_and_saveexec_b64 s[8:9], s[12:13]
; %bb.25354:
	s_mov_b32 s10, 0x7f800001
	s_xor_b64 s[4:5], exec, -1
; %bb.25355:
	s_or_b64 exec, exec, s[8:9]
	s_and_b64 s[4:5], s[4:5], exec
	s_or_saveexec_b64 s[6:7], s[6:7]
	v_mov_b32_e32 v12, s10
	s_xor_b64 exec, exec, s[6:7]
	s_cbranch_execnz .LBB1_25356
; %bb.61193:
	s_getpc_b64 s[14:15]
.Lpost_getpc16260:
	s_add_u32 s14, s14, (.LBB1_11018-.Lpost_getpc16260)&4294967295
	s_addc_u32 s15, s15, (.LBB1_11018-.Lpost_getpc16260)>>32
	s_setpc_b64 s[14:15]
.LBB1_25356:
	v_mov_b32_e32 v12, 0
	v_cmp_ne_u16_sdwa s[8:9], v13, v12 src0_sel:BYTE_0 src1_sel:DWORD
	s_andn2_b64 s[4:5], s[4:5], exec
	s_and_b64 s[8:9], s[8:9], exec
	s_or_b64 s[4:5], s[4:5], s[8:9]
	s_or_b64 exec, exec, s[6:7]
	s_and_saveexec_b64 s[6:7], s[4:5]
	s_cbranch_execz .LBB1_34181
; %bb.61195:
	s_getpc_b64 s[14:15]
.Lpost_getpc16261:
	s_add_u32 s14, s14, (.LBB1_11019-.Lpost_getpc16261)&4294967295
	s_addc_u32 s15, s15, (.LBB1_11019-.Lpost_getpc16261)>>32
	s_setpc_b64 s[14:15]
.LBB1_34181:
	s_getpc_b64 s[14:15]
.Lpost_getpc2754:
	s_add_u32 s14, s14, (.LBB1_11020-.Lpost_getpc2754)&4294967295
	s_addc_u32 s15, s15, (.LBB1_11020-.Lpost_getpc2754)>>32
	s_setpc_b64 s[14:15]
.LBB1_25357:
	s_movk_i32 s4, 0x80
	v_cmp_eq_u16_sdwa s[12:13], v13, s4 src0_sel:BYTE_0 src1_sel:DWORD
	s_mov_b64 s[4:5], -1
                                        ; implicit-def: $sgpr10
	s_and_saveexec_b64 s[8:9], s[12:13]
; %bb.25358:
	s_mov_b32 s10, 0x7f800001
	s_xor_b64 s[4:5], exec, -1
; %bb.25359:
	s_or_b64 exec, exec, s[8:9]
	s_and_b64 s[4:5], s[4:5], exec
	s_or_saveexec_b64 s[6:7], s[6:7]
	v_mov_b32_e32 v14, s10
	s_xor_b64 exec, exec, s[6:7]
	s_cbranch_execnz .LBB1_25360
; %bb.61197:
	s_getpc_b64 s[14:15]
.Lpost_getpc16262:
	s_add_u32 s14, s14, (.LBB1_11022-.Lpost_getpc16262)&4294967295
	s_addc_u32 s15, s15, (.LBB1_11022-.Lpost_getpc16262)>>32
	s_setpc_b64 s[14:15]
.LBB1_25360:
	v_mov_b32_e32 v14, 0
	v_cmp_ne_u16_sdwa s[8:9], v13, v14 src0_sel:BYTE_0 src1_sel:DWORD
	s_andn2_b64 s[4:5], s[4:5], exec
	s_and_b64 s[8:9], s[8:9], exec
	s_or_b64 s[4:5], s[4:5], s[8:9]
	s_or_b64 exec, exec, s[6:7]
	s_and_saveexec_b64 s[6:7], s[4:5]
	s_cbranch_execz .LBB1_34183
; %bb.61199:
	s_getpc_b64 s[14:15]
.Lpost_getpc16263:
	s_add_u32 s14, s14, (.LBB1_11023-.Lpost_getpc16263)&4294967295
	s_addc_u32 s15, s15, (.LBB1_11023-.Lpost_getpc16263)>>32
	s_setpc_b64 s[14:15]
.LBB1_34183:
	s_getpc_b64 s[14:15]
.Lpost_getpc2755:
	s_add_u32 s14, s14, (.LBB1_11024-.Lpost_getpc2755)&4294967295
	s_addc_u32 s15, s15, (.LBB1_11024-.Lpost_getpc2755)>>32
	s_setpc_b64 s[14:15]
.LBB1_25361:
	s_movk_i32 s4, 0x80
	v_cmp_eq_u16_e32 vcc, s4, v13
	s_mov_b64 s[4:5], -1
                                        ; implicit-def: $sgpr10
	s_and_saveexec_b64 s[8:9], vcc
; %bb.25362:
	s_mov_b32 s10, 0x7f800001
	s_xor_b64 s[4:5], exec, -1
; %bb.25363:
	s_or_b64 exec, exec, s[8:9]
	s_and_b64 s[4:5], s[4:5], exec
                                        ; implicit-def: $vgpr13
	s_or_saveexec_b64 s[6:7], s[6:7]
	v_mov_b32_e32 v12, s10
	s_xor_b64 exec, exec, s[6:7]
	s_cbranch_execnz .LBB1_25364
; %bb.61201:
	s_getpc_b64 s[14:15]
.Lpost_getpc16264:
	s_add_u32 s14, s14, (.LBB1_11026-.Lpost_getpc16264)&4294967295
	s_addc_u32 s15, s15, (.LBB1_11026-.Lpost_getpc16264)>>32
	s_setpc_b64 s[14:15]
.LBB1_25364:
	v_cmp_ne_u16_e32 vcc, 0, v13
	s_andn2_b64 s[4:5], s[4:5], exec
	s_and_b64 s[8:9], vcc, exec
	v_mov_b32_e32 v12, 0
	s_or_b64 s[4:5], s[4:5], s[8:9]
	s_or_b64 exec, exec, s[6:7]
	s_and_saveexec_b64 s[6:7], s[4:5]
	s_cbranch_execz .LBB1_34185
; %bb.61203:
	s_getpc_b64 s[14:15]
.Lpost_getpc16265:
	s_add_u32 s14, s14, (.LBB1_11027-.Lpost_getpc16265)&4294967295
	s_addc_u32 s15, s15, (.LBB1_11027-.Lpost_getpc16265)>>32
	s_setpc_b64 s[14:15]
.LBB1_34185:
	s_getpc_b64 s[14:15]
.Lpost_getpc2756:
	s_add_u32 s14, s14, (.LBB1_11028-.Lpost_getpc2756)&4294967295
	s_addc_u32 s15, s15, (.LBB1_11028-.Lpost_getpc2756)>>32
	s_setpc_b64 s[14:15]
.LBB1_25365:
	s_movk_i32 s4, 0x80
	v_cmp_eq_u16_e32 vcc, s4, v13
	s_mov_b64 s[4:5], -1
                                        ; implicit-def: $sgpr10
	s_and_saveexec_b64 s[8:9], vcc
; %bb.25366:
	s_mov_b32 s10, 0x7f800001
	s_xor_b64 s[4:5], exec, -1
; %bb.25367:
	s_or_b64 exec, exec, s[8:9]
	s_and_b64 s[4:5], s[4:5], exec
                                        ; implicit-def: $vgpr13
	s_or_saveexec_b64 s[6:7], s[6:7]
	v_mov_b32_e32 v14, s10
	s_xor_b64 exec, exec, s[6:7]
	s_cbranch_execnz .LBB1_25368
; %bb.61205:
	s_getpc_b64 s[14:15]
.Lpost_getpc16266:
	s_add_u32 s14, s14, (.LBB1_11030-.Lpost_getpc16266)&4294967295
	s_addc_u32 s15, s15, (.LBB1_11030-.Lpost_getpc16266)>>32
	s_setpc_b64 s[14:15]
.LBB1_25368:
	v_cmp_ne_u16_e32 vcc, 0, v13
	s_andn2_b64 s[4:5], s[4:5], exec
	s_and_b64 s[8:9], vcc, exec
	v_mov_b32_e32 v14, 0
	s_or_b64 s[4:5], s[4:5], s[8:9]
	s_or_b64 exec, exec, s[6:7]
	s_and_saveexec_b64 s[6:7], s[4:5]
	s_cbranch_execz .LBB1_34187
; %bb.61207:
	s_getpc_b64 s[14:15]
.Lpost_getpc16267:
	s_add_u32 s14, s14, (.LBB1_11031-.Lpost_getpc16267)&4294967295
	s_addc_u32 s15, s15, (.LBB1_11031-.Lpost_getpc16267)>>32
	s_setpc_b64 s[14:15]
.LBB1_34187:
	s_getpc_b64 s[14:15]
.Lpost_getpc2757:
	s_add_u32 s14, s14, (.LBB1_11032-.Lpost_getpc2757)&4294967295
	s_addc_u32 s15, s15, (.LBB1_11032-.Lpost_getpc2757)>>32
	s_setpc_b64 s[14:15]
.LBB1_25369:
	s_movk_i32 s4, 0x80
	v_cmp_eq_u16_sdwa s[12:13], v6, s4 src0_sel:BYTE_3 src1_sel:DWORD
	s_mov_b64 s[4:5], -1
                                        ; implicit-def: $sgpr10
	s_and_saveexec_b64 s[8:9], s[12:13]
; %bb.25370:
	s_mov_b32 s10, 0x7f800001
	s_xor_b64 s[4:5], exec, -1
; %bb.25371:
	s_or_b64 exec, exec, s[8:9]
	s_and_b64 s[4:5], s[4:5], exec
	s_or_saveexec_b64 s[6:7], s[6:7]
	v_mov_b32_e32 v12, s10
	s_xor_b64 exec, exec, s[6:7]
	s_cbranch_execnz .LBB1_25372
; %bb.61209:
	s_getpc_b64 s[14:15]
.Lpost_getpc16268:
	s_add_u32 s14, s14, (.LBB1_11034-.Lpost_getpc16268)&4294967295
	s_addc_u32 s15, s15, (.LBB1_11034-.Lpost_getpc16268)>>32
	s_setpc_b64 s[14:15]
.LBB1_25372:
	v_mov_b32_e32 v12, 0
	v_cmp_ne_u16_sdwa s[8:9], v6, v12 src0_sel:BYTE_3 src1_sel:DWORD
	s_andn2_b64 s[4:5], s[4:5], exec
	s_and_b64 s[8:9], s[8:9], exec
	s_or_b64 s[4:5], s[4:5], s[8:9]
	s_or_b64 exec, exec, s[6:7]
	s_and_saveexec_b64 s[6:7], s[4:5]
	s_cbranch_execz .LBB1_34189
; %bb.61211:
	s_getpc_b64 s[14:15]
.Lpost_getpc16269:
	s_add_u32 s14, s14, (.LBB1_11035-.Lpost_getpc16269)&4294967295
	s_addc_u32 s15, s15, (.LBB1_11035-.Lpost_getpc16269)>>32
	s_setpc_b64 s[14:15]
.LBB1_34189:
	s_getpc_b64 s[14:15]
.Lpost_getpc2758:
	s_add_u32 s14, s14, (.LBB1_11036-.Lpost_getpc2758)&4294967295
	s_addc_u32 s15, s15, (.LBB1_11036-.Lpost_getpc2758)>>32
	s_setpc_b64 s[14:15]
.LBB1_25373:
	s_movk_i32 s4, 0x80
	v_cmp_eq_u16_sdwa s[12:13], v2, s4 src0_sel:BYTE_3 src1_sel:DWORD
	s_mov_b64 s[4:5], -1
                                        ; implicit-def: $sgpr10
	s_and_saveexec_b64 s[8:9], s[12:13]
; %bb.25374:
	s_mov_b32 s10, 0x7f800001
	s_xor_b64 s[4:5], exec, -1
; %bb.25375:
	s_or_b64 exec, exec, s[8:9]
	s_and_b64 s[4:5], s[4:5], exec
	s_or_saveexec_b64 s[6:7], s[6:7]
	v_mov_b32_e32 v6, s10
	s_xor_b64 exec, exec, s[6:7]
	s_cbranch_execnz .LBB1_25376
; %bb.61213:
	s_getpc_b64 s[14:15]
.Lpost_getpc16270:
	s_add_u32 s14, s14, (.LBB1_11038-.Lpost_getpc16270)&4294967295
	s_addc_u32 s15, s15, (.LBB1_11038-.Lpost_getpc16270)>>32
	s_setpc_b64 s[14:15]
.LBB1_25376:
	v_mov_b32_e32 v6, 0
	v_cmp_ne_u16_sdwa s[8:9], v2, v6 src0_sel:BYTE_3 src1_sel:DWORD
	s_andn2_b64 s[4:5], s[4:5], exec
	s_and_b64 s[8:9], s[8:9], exec
	s_or_b64 s[4:5], s[4:5], s[8:9]
	s_or_b64 exec, exec, s[6:7]
	s_and_saveexec_b64 s[6:7], s[4:5]
	s_cbranch_execz .LBB1_34191
; %bb.61215:
	s_getpc_b64 s[14:15]
.Lpost_getpc16271:
	s_add_u32 s14, s14, (.LBB1_11039-.Lpost_getpc16271)&4294967295
	s_addc_u32 s15, s15, (.LBB1_11039-.Lpost_getpc16271)>>32
	s_setpc_b64 s[14:15]
.LBB1_34191:
	s_getpc_b64 s[14:15]
.Lpost_getpc2759:
	s_add_u32 s14, s14, (.LBB1_11040-.Lpost_getpc2759)&4294967295
	s_addc_u32 s15, s15, (.LBB1_11040-.Lpost_getpc2759)>>32
	s_setpc_b64 s[14:15]
.LBB1_25377:
	s_movk_i32 s4, 0x80
	v_cmp_eq_u16_sdwa s[12:13], v7, s4 src0_sel:BYTE_0 src1_sel:DWORD
	s_mov_b64 s[4:5], -1
                                        ; implicit-def: $sgpr10
	s_and_saveexec_b64 s[8:9], s[12:13]
; %bb.25378:
	s_mov_b32 s10, 0x7f800001
	s_xor_b64 s[4:5], exec, -1
; %bb.25379:
	s_or_b64 exec, exec, s[8:9]
	s_and_b64 s[4:5], s[4:5], exec
	s_or_saveexec_b64 s[6:7], s[6:7]
	v_mov_b32_e32 v2, s10
	s_xor_b64 exec, exec, s[6:7]
	s_cbranch_execnz .LBB1_25380
; %bb.61217:
	s_getpc_b64 s[14:15]
.Lpost_getpc16272:
	s_add_u32 s14, s14, (.LBB1_11042-.Lpost_getpc16272)&4294967295
	s_addc_u32 s15, s15, (.LBB1_11042-.Lpost_getpc16272)>>32
	s_setpc_b64 s[14:15]
.LBB1_25380:
	v_mov_b32_e32 v2, 0
	v_cmp_ne_u16_sdwa s[8:9], v7, v2 src0_sel:BYTE_0 src1_sel:DWORD
	s_andn2_b64 s[4:5], s[4:5], exec
	s_and_b64 s[8:9], s[8:9], exec
	s_or_b64 s[4:5], s[4:5], s[8:9]
	s_or_b64 exec, exec, s[6:7]
	s_and_saveexec_b64 s[6:7], s[4:5]
	s_cbranch_execz .LBB1_34193
; %bb.61219:
	s_getpc_b64 s[14:15]
.Lpost_getpc16273:
	s_add_u32 s14, s14, (.LBB1_11043-.Lpost_getpc16273)&4294967295
	s_addc_u32 s15, s15, (.LBB1_11043-.Lpost_getpc16273)>>32
	s_setpc_b64 s[14:15]
.LBB1_34193:
	s_getpc_b64 s[14:15]
.Lpost_getpc2760:
	s_add_u32 s14, s14, (.LBB1_11044-.Lpost_getpc2760)&4294967295
	s_addc_u32 s15, s15, (.LBB1_11044-.Lpost_getpc2760)>>32
	s_setpc_b64 s[14:15]
.LBB1_25381:
	s_movk_i32 s4, 0x80
	v_cmp_eq_u16_sdwa s[12:13], v3, s4 src0_sel:BYTE_0 src1_sel:DWORD
	s_mov_b64 s[4:5], -1
                                        ; implicit-def: $sgpr10
	s_and_saveexec_b64 s[8:9], s[12:13]
; %bb.25382:
	s_mov_b32 s10, 0x7f800001
	s_xor_b64 s[4:5], exec, -1
; %bb.25383:
	s_or_b64 exec, exec, s[8:9]
	s_and_b64 s[4:5], s[4:5], exec
	s_or_saveexec_b64 s[6:7], s[6:7]
	v_mov_b32_e32 v6, s10
	s_xor_b64 exec, exec, s[6:7]
	s_cbranch_execnz .LBB1_25384
; %bb.61221:
	s_getpc_b64 s[14:15]
.Lpost_getpc16274:
	s_add_u32 s14, s14, (.LBB1_11046-.Lpost_getpc16274)&4294967295
	s_addc_u32 s15, s15, (.LBB1_11046-.Lpost_getpc16274)>>32
	s_setpc_b64 s[14:15]
.LBB1_25384:
	v_mov_b32_e32 v6, 0
	v_cmp_ne_u16_sdwa s[8:9], v3, v6 src0_sel:BYTE_0 src1_sel:DWORD
	s_andn2_b64 s[4:5], s[4:5], exec
	s_and_b64 s[8:9], s[8:9], exec
	s_or_b64 s[4:5], s[4:5], s[8:9]
	s_or_b64 exec, exec, s[6:7]
	s_and_saveexec_b64 s[6:7], s[4:5]
	s_cbranch_execz .LBB1_34195
; %bb.61223:
	s_getpc_b64 s[14:15]
.Lpost_getpc16275:
	s_add_u32 s14, s14, (.LBB1_11047-.Lpost_getpc16275)&4294967295
	s_addc_u32 s15, s15, (.LBB1_11047-.Lpost_getpc16275)>>32
	s_setpc_b64 s[14:15]
.LBB1_34195:
	s_getpc_b64 s[14:15]
.Lpost_getpc2761:
	s_add_u32 s14, s14, (.LBB1_11048-.Lpost_getpc2761)&4294967295
	s_addc_u32 s15, s15, (.LBB1_11048-.Lpost_getpc2761)>>32
	s_setpc_b64 s[14:15]
.LBB1_25385:
	s_movk_i32 s4, 0x80
	v_cmp_eq_u16_sdwa s[12:13], v6, s4 src0_sel:BYTE_0 src1_sel:DWORD
	s_mov_b64 s[4:5], -1
                                        ; implicit-def: $sgpr10
	s_and_saveexec_b64 s[8:9], s[12:13]
; %bb.25386:
	s_mov_b32 s10, 0x7f800001
	s_xor_b64 s[4:5], exec, -1
; %bb.25387:
	s_or_b64 exec, exec, s[8:9]
	s_and_b64 s[4:5], s[4:5], exec
	s_or_saveexec_b64 s[6:7], s[6:7]
	v_mov_b32_e32 v2, s10
	s_xor_b64 exec, exec, s[6:7]
	s_cbranch_execnz .LBB1_25388
; %bb.61225:
	s_getpc_b64 s[14:15]
.Lpost_getpc16276:
	s_add_u32 s14, s14, (.LBB1_11050-.Lpost_getpc16276)&4294967295
	s_addc_u32 s15, s15, (.LBB1_11050-.Lpost_getpc16276)>>32
	s_setpc_b64 s[14:15]
.LBB1_25388:
	v_mov_b32_e32 v2, 0
	v_cmp_ne_u16_sdwa s[8:9], v6, v2 src0_sel:BYTE_0 src1_sel:DWORD
	s_andn2_b64 s[4:5], s[4:5], exec
	s_and_b64 s[8:9], s[8:9], exec
	s_or_b64 s[4:5], s[4:5], s[8:9]
	s_or_b64 exec, exec, s[6:7]
	s_and_saveexec_b64 s[6:7], s[4:5]
	s_cbranch_execz .LBB1_34197
; %bb.61227:
	s_getpc_b64 s[14:15]
.Lpost_getpc16277:
	s_add_u32 s14, s14, (.LBB1_11051-.Lpost_getpc16277)&4294967295
	s_addc_u32 s15, s15, (.LBB1_11051-.Lpost_getpc16277)>>32
	s_setpc_b64 s[14:15]
.LBB1_34197:
	s_getpc_b64 s[14:15]
.Lpost_getpc2762:
	s_add_u32 s14, s14, (.LBB1_11052-.Lpost_getpc2762)&4294967295
	s_addc_u32 s15, s15, (.LBB1_11052-.Lpost_getpc2762)>>32
	s_setpc_b64 s[14:15]
.LBB1_25389:
	s_movk_i32 s4, 0x80
	v_cmp_eq_u16_sdwa s[12:13], v6, s4 src0_sel:BYTE_0 src1_sel:DWORD
	s_mov_b64 s[4:5], -1
                                        ; implicit-def: $sgpr10
	s_and_saveexec_b64 s[8:9], s[12:13]
; %bb.25390:
	s_mov_b32 s10, 0x7f800001
	s_xor_b64 s[4:5], exec, -1
; %bb.25391:
	s_or_b64 exec, exec, s[8:9]
	s_and_b64 s[4:5], s[4:5], exec
	s_or_saveexec_b64 s[6:7], s[6:7]
	v_mov_b32_e32 v12, s10
	s_xor_b64 exec, exec, s[6:7]
	s_cbranch_execnz .LBB1_25392
; %bb.61229:
	s_getpc_b64 s[14:15]
.Lpost_getpc16278:
	s_add_u32 s14, s14, (.LBB1_11054-.Lpost_getpc16278)&4294967295
	s_addc_u32 s15, s15, (.LBB1_11054-.Lpost_getpc16278)>>32
	s_setpc_b64 s[14:15]
.LBB1_25392:
	v_mov_b32_e32 v12, 0
	v_cmp_ne_u16_sdwa s[8:9], v6, v12 src0_sel:BYTE_0 src1_sel:DWORD
	s_andn2_b64 s[4:5], s[4:5], exec
	s_and_b64 s[8:9], s[8:9], exec
	s_or_b64 s[4:5], s[4:5], s[8:9]
	s_or_b64 exec, exec, s[6:7]
	s_and_saveexec_b64 s[6:7], s[4:5]
	s_cbranch_execz .LBB1_34199
; %bb.61231:
	s_getpc_b64 s[14:15]
.Lpost_getpc16279:
	s_add_u32 s14, s14, (.LBB1_11055-.Lpost_getpc16279)&4294967295
	s_addc_u32 s15, s15, (.LBB1_11055-.Lpost_getpc16279)>>32
	s_setpc_b64 s[14:15]
.LBB1_34199:
	s_getpc_b64 s[14:15]
.Lpost_getpc2763:
	s_add_u32 s14, s14, (.LBB1_11056-.Lpost_getpc2763)&4294967295
	s_addc_u32 s15, s15, (.LBB1_11056-.Lpost_getpc2763)>>32
	s_setpc_b64 s[14:15]
.LBB1_25393:
	s_movk_i32 s4, 0x80
	v_cmp_eq_u16_e32 vcc, s4, v6
	s_mov_b64 s[4:5], -1
                                        ; implicit-def: $sgpr10
	s_and_saveexec_b64 s[8:9], vcc
; %bb.25394:
	s_mov_b32 s10, 0x7f800001
	s_xor_b64 s[4:5], exec, -1
; %bb.25395:
	s_or_b64 exec, exec, s[8:9]
	s_and_b64 s[4:5], s[4:5], exec
                                        ; implicit-def: $vgpr6
	s_or_saveexec_b64 s[6:7], s[6:7]
	v_mov_b32_e32 v2, s10
	s_xor_b64 exec, exec, s[6:7]
	s_cbranch_execnz .LBB1_25396
; %bb.61233:
	s_getpc_b64 s[14:15]
.Lpost_getpc16280:
	s_add_u32 s14, s14, (.LBB1_11058-.Lpost_getpc16280)&4294967295
	s_addc_u32 s15, s15, (.LBB1_11058-.Lpost_getpc16280)>>32
	s_setpc_b64 s[14:15]
.LBB1_25396:
	v_cmp_ne_u16_e32 vcc, 0, v6
	s_andn2_b64 s[4:5], s[4:5], exec
	s_and_b64 s[8:9], vcc, exec
	v_mov_b32_e32 v2, 0
	s_or_b64 s[4:5], s[4:5], s[8:9]
	s_or_b64 exec, exec, s[6:7]
	s_and_saveexec_b64 s[6:7], s[4:5]
	s_cbranch_execz .LBB1_34201
; %bb.61235:
	s_getpc_b64 s[14:15]
.Lpost_getpc16281:
	s_add_u32 s14, s14, (.LBB1_11059-.Lpost_getpc16281)&4294967295
	s_addc_u32 s15, s15, (.LBB1_11059-.Lpost_getpc16281)>>32
	s_setpc_b64 s[14:15]
.LBB1_34201:
	s_getpc_b64 s[14:15]
.Lpost_getpc2764:
	s_add_u32 s14, s14, (.LBB1_11060-.Lpost_getpc2764)&4294967295
	s_addc_u32 s15, s15, (.LBB1_11060-.Lpost_getpc2764)>>32
	s_setpc_b64 s[14:15]
.LBB1_25397:
	s_movk_i32 s4, 0x80
	v_cmp_eq_u16_e32 vcc, s4, v6
	s_mov_b64 s[4:5], -1
                                        ; implicit-def: $sgpr10
	s_and_saveexec_b64 s[8:9], vcc
; %bb.25398:
	s_mov_b32 s10, 0x7f800001
	s_xor_b64 s[4:5], exec, -1
; %bb.25399:
	s_or_b64 exec, exec, s[8:9]
	s_and_b64 s[4:5], s[4:5], exec
                                        ; implicit-def: $vgpr6
	s_or_saveexec_b64 s[6:7], s[6:7]
	v_mov_b32_e32 v12, s10
	s_xor_b64 exec, exec, s[6:7]
	s_cbranch_execnz .LBB1_25400
; %bb.61237:
	s_getpc_b64 s[14:15]
.Lpost_getpc16282:
	s_add_u32 s14, s14, (.LBB1_11062-.Lpost_getpc16282)&4294967295
	s_addc_u32 s15, s15, (.LBB1_11062-.Lpost_getpc16282)>>32
	s_setpc_b64 s[14:15]
.LBB1_25400:
	v_cmp_ne_u16_e32 vcc, 0, v6
	s_andn2_b64 s[4:5], s[4:5], exec
	s_and_b64 s[8:9], vcc, exec
	v_mov_b32_e32 v12, 0
	s_or_b64 s[4:5], s[4:5], s[8:9]
	s_or_b64 exec, exec, s[6:7]
	s_and_saveexec_b64 s[6:7], s[4:5]
	s_cbranch_execz .LBB1_34203
; %bb.61239:
	s_getpc_b64 s[14:15]
.Lpost_getpc16283:
	s_add_u32 s14, s14, (.LBB1_11063-.Lpost_getpc16283)&4294967295
	s_addc_u32 s15, s15, (.LBB1_11063-.Lpost_getpc16283)>>32
	s_setpc_b64 s[14:15]
.LBB1_34203:
	s_getpc_b64 s[14:15]
.Lpost_getpc2765:
	s_add_u32 s14, s14, (.LBB1_11064-.Lpost_getpc2765)&4294967295
	s_addc_u32 s15, s15, (.LBB1_11064-.Lpost_getpc2765)>>32
	s_setpc_b64 s[14:15]
.LBB1_25401:
	s_movk_i32 s4, 0x80
	v_cmp_eq_u16_sdwa s[12:13], v7, s4 src0_sel:BYTE_3 src1_sel:DWORD
	s_mov_b64 s[4:5], -1
                                        ; implicit-def: $sgpr10
	s_and_saveexec_b64 s[8:9], s[12:13]
; %bb.25402:
	s_mov_b32 s10, 0x7f800001
	s_xor_b64 s[4:5], exec, -1
; %bb.25403:
	s_or_b64 exec, exec, s[8:9]
	s_and_b64 s[4:5], s[4:5], exec
	s_or_saveexec_b64 s[6:7], s[6:7]
	v_mov_b32_e32 v2, s10
	s_xor_b64 exec, exec, s[6:7]
	s_cbranch_execnz .LBB1_25404
; %bb.61241:
	s_getpc_b64 s[14:15]
.Lpost_getpc16284:
	s_add_u32 s14, s14, (.LBB1_11066-.Lpost_getpc16284)&4294967295
	s_addc_u32 s15, s15, (.LBB1_11066-.Lpost_getpc16284)>>32
	s_setpc_b64 s[14:15]
.LBB1_25404:
	v_mov_b32_e32 v2, 0
	v_cmp_ne_u16_sdwa s[8:9], v7, v2 src0_sel:BYTE_3 src1_sel:DWORD
	s_andn2_b64 s[4:5], s[4:5], exec
	s_and_b64 s[8:9], s[8:9], exec
	s_or_b64 s[4:5], s[4:5], s[8:9]
	s_or_b64 exec, exec, s[6:7]
	s_and_saveexec_b64 s[6:7], s[4:5]
	s_cbranch_execz .LBB1_34205
; %bb.61243:
	s_getpc_b64 s[14:15]
.Lpost_getpc16285:
	s_add_u32 s14, s14, (.LBB1_11067-.Lpost_getpc16285)&4294967295
	s_addc_u32 s15, s15, (.LBB1_11067-.Lpost_getpc16285)>>32
	s_setpc_b64 s[14:15]
.LBB1_34205:
	s_getpc_b64 s[14:15]
.Lpost_getpc2766:
	s_add_u32 s14, s14, (.LBB1_11068-.Lpost_getpc2766)&4294967295
	s_addc_u32 s15, s15, (.LBB1_11068-.Lpost_getpc2766)>>32
	s_setpc_b64 s[14:15]
.LBB1_25405:
	s_movk_i32 s4, 0x80
	v_cmp_eq_u16_sdwa s[12:13], v3, s4 src0_sel:BYTE_3 src1_sel:DWORD
	s_mov_b64 s[4:5], -1
                                        ; implicit-def: $sgpr10
	s_and_saveexec_b64 s[8:9], s[12:13]
; %bb.25406:
	s_mov_b32 s10, 0x7f800001
	s_xor_b64 s[4:5], exec, -1
; %bb.25407:
	s_or_b64 exec, exec, s[8:9]
	s_and_b64 s[4:5], s[4:5], exec
	s_or_saveexec_b64 s[6:7], s[6:7]
	v_mov_b32_e32 v6, s10
	s_xor_b64 exec, exec, s[6:7]
	s_cbranch_execnz .LBB1_25408
; %bb.61245:
	s_getpc_b64 s[14:15]
.Lpost_getpc16286:
	s_add_u32 s14, s14, (.LBB1_11070-.Lpost_getpc16286)&4294967295
	s_addc_u32 s15, s15, (.LBB1_11070-.Lpost_getpc16286)>>32
	s_setpc_b64 s[14:15]
.LBB1_25408:
	v_mov_b32_e32 v6, 0
	v_cmp_ne_u16_sdwa s[8:9], v3, v6 src0_sel:BYTE_3 src1_sel:DWORD
	s_andn2_b64 s[4:5], s[4:5], exec
	s_and_b64 s[8:9], s[8:9], exec
	s_or_b64 s[4:5], s[4:5], s[8:9]
	s_or_b64 exec, exec, s[6:7]
	s_and_saveexec_b64 s[6:7], s[4:5]
	s_cbranch_execz .LBB1_34207
; %bb.61247:
	s_getpc_b64 s[14:15]
.Lpost_getpc16287:
	s_add_u32 s14, s14, (.LBB1_11071-.Lpost_getpc16287)&4294967295
	s_addc_u32 s15, s15, (.LBB1_11071-.Lpost_getpc16287)>>32
	s_setpc_b64 s[14:15]
.LBB1_34207:
	s_getpc_b64 s[14:15]
.Lpost_getpc2767:
	s_add_u32 s14, s14, (.LBB1_11072-.Lpost_getpc2767)&4294967295
	s_addc_u32 s15, s15, (.LBB1_11072-.Lpost_getpc2767)>>32
	s_setpc_b64 s[14:15]
.LBB1_25409:
	s_movk_i32 s4, 0x80
	v_cmp_eq_u16_sdwa s[12:13], v8, s4 src0_sel:BYTE_0 src1_sel:DWORD
	s_mov_b64 s[4:5], -1
                                        ; implicit-def: $sgpr10
	s_and_saveexec_b64 s[8:9], s[12:13]
; %bb.25410:
	s_mov_b32 s10, 0x7f800001
	s_xor_b64 s[4:5], exec, -1
; %bb.25411:
	s_or_b64 exec, exec, s[8:9]
	s_and_b64 s[4:5], s[4:5], exec
	s_or_saveexec_b64 s[6:7], s[6:7]
	v_mov_b32_e32 v2, s10
	s_xor_b64 exec, exec, s[6:7]
	s_cbranch_execnz .LBB1_25412
; %bb.61249:
	s_getpc_b64 s[14:15]
.Lpost_getpc16288:
	s_add_u32 s14, s14, (.LBB1_11074-.Lpost_getpc16288)&4294967295
	s_addc_u32 s15, s15, (.LBB1_11074-.Lpost_getpc16288)>>32
	s_setpc_b64 s[14:15]
.LBB1_25412:
	v_mov_b32_e32 v2, 0
	v_cmp_ne_u16_sdwa s[8:9], v8, v2 src0_sel:BYTE_0 src1_sel:DWORD
	s_andn2_b64 s[4:5], s[4:5], exec
	s_and_b64 s[8:9], s[8:9], exec
	s_or_b64 s[4:5], s[4:5], s[8:9]
	s_or_b64 exec, exec, s[6:7]
	s_and_saveexec_b64 s[6:7], s[4:5]
	s_cbranch_execz .LBB1_34209
; %bb.61251:
	s_getpc_b64 s[14:15]
.Lpost_getpc16289:
	s_add_u32 s14, s14, (.LBB1_11075-.Lpost_getpc16289)&4294967295
	s_addc_u32 s15, s15, (.LBB1_11075-.Lpost_getpc16289)>>32
	s_setpc_b64 s[14:15]
.LBB1_34209:
	s_getpc_b64 s[14:15]
.Lpost_getpc2768:
	s_add_u32 s14, s14, (.LBB1_11076-.Lpost_getpc2768)&4294967295
	s_addc_u32 s15, s15, (.LBB1_11076-.Lpost_getpc2768)>>32
	s_setpc_b64 s[14:15]
.LBB1_25413:
	s_movk_i32 s4, 0x80
	v_cmp_eq_u16_sdwa s[12:13], v4, s4 src0_sel:BYTE_0 src1_sel:DWORD
	s_mov_b64 s[4:5], -1
                                        ; implicit-def: $sgpr10
	s_and_saveexec_b64 s[8:9], s[12:13]
; %bb.25414:
	s_mov_b32 s10, 0x7f800001
	s_xor_b64 s[4:5], exec, -1
; %bb.25415:
	s_or_b64 exec, exec, s[8:9]
	s_and_b64 s[4:5], s[4:5], exec
	s_or_saveexec_b64 s[6:7], s[6:7]
	v_mov_b32_e32 v3, s10
	s_xor_b64 exec, exec, s[6:7]
	s_cbranch_execnz .LBB1_25416
; %bb.61253:
	s_getpc_b64 s[14:15]
.Lpost_getpc16290:
	s_add_u32 s14, s14, (.LBB1_11078-.Lpost_getpc16290)&4294967295
	s_addc_u32 s15, s15, (.LBB1_11078-.Lpost_getpc16290)>>32
	s_setpc_b64 s[14:15]
.LBB1_25416:
	v_mov_b32_e32 v3, 0
	v_cmp_ne_u16_sdwa s[8:9], v4, v3 src0_sel:BYTE_0 src1_sel:DWORD
	s_andn2_b64 s[4:5], s[4:5], exec
	s_and_b64 s[8:9], s[8:9], exec
	s_or_b64 s[4:5], s[4:5], s[8:9]
	s_or_b64 exec, exec, s[6:7]
	s_and_saveexec_b64 s[6:7], s[4:5]
	s_cbranch_execz .LBB1_34211
; %bb.61255:
	s_getpc_b64 s[14:15]
.Lpost_getpc16291:
	s_add_u32 s14, s14, (.LBB1_11079-.Lpost_getpc16291)&4294967295
	s_addc_u32 s15, s15, (.LBB1_11079-.Lpost_getpc16291)>>32
	s_setpc_b64 s[14:15]
.LBB1_34211:
	s_getpc_b64 s[14:15]
.Lpost_getpc2769:
	s_add_u32 s14, s14, (.LBB1_11080-.Lpost_getpc2769)&4294967295
	s_addc_u32 s15, s15, (.LBB1_11080-.Lpost_getpc2769)>>32
	s_setpc_b64 s[14:15]
.LBB1_25417:
	s_movk_i32 s4, 0x80
	v_cmp_eq_u16_sdwa s[12:13], v3, s4 src0_sel:BYTE_0 src1_sel:DWORD
	s_mov_b64 s[4:5], -1
                                        ; implicit-def: $sgpr10
	s_and_saveexec_b64 s[8:9], s[12:13]
; %bb.25418:
	s_mov_b32 s10, 0x7f800001
	s_xor_b64 s[4:5], exec, -1
; %bb.25419:
	s_or_b64 exec, exec, s[8:9]
	s_and_b64 s[4:5], s[4:5], exec
	s_or_saveexec_b64 s[6:7], s[6:7]
	v_mov_b32_e32 v2, s10
	s_xor_b64 exec, exec, s[6:7]
	s_cbranch_execnz .LBB1_25420
; %bb.61257:
	s_getpc_b64 s[14:15]
.Lpost_getpc16292:
	s_add_u32 s14, s14, (.LBB1_11082-.Lpost_getpc16292)&4294967295
	s_addc_u32 s15, s15, (.LBB1_11082-.Lpost_getpc16292)>>32
	s_setpc_b64 s[14:15]
.LBB1_25420:
	v_mov_b32_e32 v2, 0
	v_cmp_ne_u16_sdwa s[8:9], v3, v2 src0_sel:BYTE_0 src1_sel:DWORD
	s_andn2_b64 s[4:5], s[4:5], exec
	s_and_b64 s[8:9], s[8:9], exec
	s_or_b64 s[4:5], s[4:5], s[8:9]
	s_or_b64 exec, exec, s[6:7]
	s_and_saveexec_b64 s[6:7], s[4:5]
	s_cbranch_execz .LBB1_34213
; %bb.61259:
	s_getpc_b64 s[14:15]
.Lpost_getpc16293:
	s_add_u32 s14, s14, (.LBB1_11083-.Lpost_getpc16293)&4294967295
	s_addc_u32 s15, s15, (.LBB1_11083-.Lpost_getpc16293)>>32
	s_setpc_b64 s[14:15]
.LBB1_34213:
	s_getpc_b64 s[14:15]
.Lpost_getpc2770:
	s_add_u32 s14, s14, (.LBB1_11084-.Lpost_getpc2770)&4294967295
	s_addc_u32 s15, s15, (.LBB1_11084-.Lpost_getpc2770)>>32
	s_setpc_b64 s[14:15]
.LBB1_25421:
	s_movk_i32 s4, 0x80
	v_cmp_eq_u16_sdwa s[12:13], v3, s4 src0_sel:BYTE_0 src1_sel:DWORD
	s_mov_b64 s[4:5], -1
                                        ; implicit-def: $sgpr10
	s_and_saveexec_b64 s[8:9], s[12:13]
; %bb.25422:
	s_mov_b32 s10, 0x7f800001
	s_xor_b64 s[4:5], exec, -1
; %bb.25423:
	s_or_b64 exec, exec, s[8:9]
	s_and_b64 s[4:5], s[4:5], exec
	s_or_saveexec_b64 s[6:7], s[6:7]
	v_mov_b32_e32 v6, s10
	s_xor_b64 exec, exec, s[6:7]
	s_cbranch_execnz .LBB1_25424
; %bb.61261:
	s_getpc_b64 s[14:15]
.Lpost_getpc16294:
	s_add_u32 s14, s14, (.LBB1_11086-.Lpost_getpc16294)&4294967295
	s_addc_u32 s15, s15, (.LBB1_11086-.Lpost_getpc16294)>>32
	s_setpc_b64 s[14:15]
.LBB1_25424:
	v_mov_b32_e32 v6, 0
	v_cmp_ne_u16_sdwa s[8:9], v3, v6 src0_sel:BYTE_0 src1_sel:DWORD
	s_andn2_b64 s[4:5], s[4:5], exec
	s_and_b64 s[8:9], s[8:9], exec
	s_or_b64 s[4:5], s[4:5], s[8:9]
	s_or_b64 exec, exec, s[6:7]
	s_and_saveexec_b64 s[6:7], s[4:5]
	s_cbranch_execz .LBB1_34215
; %bb.61263:
	s_getpc_b64 s[14:15]
.Lpost_getpc16295:
	s_add_u32 s14, s14, (.LBB1_11087-.Lpost_getpc16295)&4294967295
	s_addc_u32 s15, s15, (.LBB1_11087-.Lpost_getpc16295)>>32
	s_setpc_b64 s[14:15]
.LBB1_34215:
	s_getpc_b64 s[14:15]
.Lpost_getpc2771:
	s_add_u32 s14, s14, (.LBB1_11088-.Lpost_getpc2771)&4294967295
	s_addc_u32 s15, s15, (.LBB1_11088-.Lpost_getpc2771)>>32
	s_setpc_b64 s[14:15]
.LBB1_25425:
	s_movk_i32 s4, 0x80
	v_cmp_eq_u16_e32 vcc, s4, v3
	s_mov_b64 s[4:5], -1
                                        ; implicit-def: $sgpr10
	s_and_saveexec_b64 s[8:9], vcc
; %bb.25426:
	s_mov_b32 s10, 0x7f800001
	s_xor_b64 s[4:5], exec, -1
; %bb.25427:
	s_or_b64 exec, exec, s[8:9]
	s_and_b64 s[4:5], s[4:5], exec
                                        ; implicit-def: $vgpr3
	s_or_saveexec_b64 s[6:7], s[6:7]
	v_mov_b32_e32 v2, s10
	s_xor_b64 exec, exec, s[6:7]
	s_cbranch_execnz .LBB1_25428
; %bb.61265:
	s_getpc_b64 s[14:15]
.Lpost_getpc16296:
	s_add_u32 s14, s14, (.LBB1_11090-.Lpost_getpc16296)&4294967295
	s_addc_u32 s15, s15, (.LBB1_11090-.Lpost_getpc16296)>>32
	s_setpc_b64 s[14:15]
.LBB1_25428:
	v_cmp_ne_u16_e32 vcc, 0, v3
	s_andn2_b64 s[4:5], s[4:5], exec
	s_and_b64 s[8:9], vcc, exec
	v_mov_b32_e32 v2, 0
	s_or_b64 s[4:5], s[4:5], s[8:9]
	s_or_b64 exec, exec, s[6:7]
	s_and_saveexec_b64 s[6:7], s[4:5]
	s_cbranch_execz .LBB1_34217
; %bb.61267:
	s_getpc_b64 s[14:15]
.Lpost_getpc16297:
	s_add_u32 s14, s14, (.LBB1_11091-.Lpost_getpc16297)&4294967295
	s_addc_u32 s15, s15, (.LBB1_11091-.Lpost_getpc16297)>>32
	s_setpc_b64 s[14:15]
.LBB1_34217:
	s_getpc_b64 s[14:15]
.Lpost_getpc2772:
	s_add_u32 s14, s14, (.LBB1_11092-.Lpost_getpc2772)&4294967295
	s_addc_u32 s15, s15, (.LBB1_11092-.Lpost_getpc2772)>>32
	s_setpc_b64 s[14:15]
.LBB1_25429:
	s_movk_i32 s4, 0x80
	v_cmp_eq_u16_e32 vcc, s4, v3
	s_mov_b64 s[4:5], -1
                                        ; implicit-def: $sgpr10
	s_and_saveexec_b64 s[8:9], vcc
; %bb.25430:
	s_mov_b32 s10, 0x7f800001
	s_xor_b64 s[4:5], exec, -1
; %bb.25431:
	s_or_b64 exec, exec, s[8:9]
	s_and_b64 s[4:5], s[4:5], exec
                                        ; implicit-def: $vgpr3
	s_or_saveexec_b64 s[6:7], s[6:7]
	v_mov_b32_e32 v6, s10
	s_xor_b64 exec, exec, s[6:7]
	s_cbranch_execnz .LBB1_25432
; %bb.61269:
	s_getpc_b64 s[14:15]
.Lpost_getpc16298:
	s_add_u32 s14, s14, (.LBB1_11094-.Lpost_getpc16298)&4294967295
	s_addc_u32 s15, s15, (.LBB1_11094-.Lpost_getpc16298)>>32
	s_setpc_b64 s[14:15]
.LBB1_25432:
	v_cmp_ne_u16_e32 vcc, 0, v3
	s_andn2_b64 s[4:5], s[4:5], exec
	s_and_b64 s[8:9], vcc, exec
	v_mov_b32_e32 v6, 0
	s_or_b64 s[4:5], s[4:5], s[8:9]
	s_or_b64 exec, exec, s[6:7]
	s_and_saveexec_b64 s[6:7], s[4:5]
	s_cbranch_execz .LBB1_34219
; %bb.61271:
	s_getpc_b64 s[14:15]
.Lpost_getpc16299:
	s_add_u32 s14, s14, (.LBB1_11095-.Lpost_getpc16299)&4294967295
	s_addc_u32 s15, s15, (.LBB1_11095-.Lpost_getpc16299)>>32
	s_setpc_b64 s[14:15]
.LBB1_34219:
	s_getpc_b64 s[14:15]
.Lpost_getpc2773:
	s_add_u32 s14, s14, (.LBB1_11096-.Lpost_getpc2773)&4294967295
	s_addc_u32 s15, s15, (.LBB1_11096-.Lpost_getpc2773)>>32
	s_setpc_b64 s[14:15]
.LBB1_25433:
	s_movk_i32 s4, 0x80
	v_cmp_eq_u16_sdwa s[12:13], v8, s4 src0_sel:BYTE_3 src1_sel:DWORD
	s_mov_b64 s[4:5], -1
                                        ; implicit-def: $sgpr10
	s_and_saveexec_b64 s[8:9], s[12:13]
; %bb.25434:
	s_mov_b32 s10, 0x7f800001
	s_xor_b64 s[4:5], exec, -1
; %bb.25435:
	s_or_b64 exec, exec, s[8:9]
	s_and_b64 s[4:5], s[4:5], exec
	s_or_saveexec_b64 s[6:7], s[6:7]
	v_mov_b32_e32 v2, s10
	s_xor_b64 exec, exec, s[6:7]
	s_cbranch_execnz .LBB1_25436
; %bb.61273:
	s_getpc_b64 s[14:15]
.Lpost_getpc16300:
	s_add_u32 s14, s14, (.LBB1_11098-.Lpost_getpc16300)&4294967295
	s_addc_u32 s15, s15, (.LBB1_11098-.Lpost_getpc16300)>>32
	s_setpc_b64 s[14:15]
.LBB1_25436:
	v_mov_b32_e32 v2, 0
	v_cmp_ne_u16_sdwa s[8:9], v8, v2 src0_sel:BYTE_3 src1_sel:DWORD
	s_andn2_b64 s[4:5], s[4:5], exec
	s_and_b64 s[8:9], s[8:9], exec
	s_or_b64 s[4:5], s[4:5], s[8:9]
	s_or_b64 exec, exec, s[6:7]
	s_and_saveexec_b64 s[6:7], s[4:5]
	s_cbranch_execz .LBB1_34221
; %bb.61275:
	s_getpc_b64 s[14:15]
.Lpost_getpc16301:
	s_add_u32 s14, s14, (.LBB1_11099-.Lpost_getpc16301)&4294967295
	s_addc_u32 s15, s15, (.LBB1_11099-.Lpost_getpc16301)>>32
	s_setpc_b64 s[14:15]
.LBB1_34221:
	s_getpc_b64 s[14:15]
.Lpost_getpc2774:
	s_add_u32 s14, s14, (.LBB1_11100-.Lpost_getpc2774)&4294967295
	s_addc_u32 s15, s15, (.LBB1_11100-.Lpost_getpc2774)>>32
	s_setpc_b64 s[14:15]
.LBB1_25437:
	s_movk_i32 s4, 0x80
	v_cmp_eq_u16_sdwa s[12:13], v4, s4 src0_sel:BYTE_3 src1_sel:DWORD
	s_mov_b64 s[4:5], -1
                                        ; implicit-def: $sgpr10
	s_and_saveexec_b64 s[8:9], s[12:13]
; %bb.25438:
	s_mov_b32 s10, 0x7f800001
	s_xor_b64 s[4:5], exec, -1
; %bb.25439:
	s_or_b64 exec, exec, s[8:9]
	s_and_b64 s[4:5], s[4:5], exec
	s_or_saveexec_b64 s[6:7], s[6:7]
	v_mov_b32_e32 v3, s10
	s_xor_b64 exec, exec, s[6:7]
	s_cbranch_execnz .LBB1_25440
; %bb.61277:
	s_getpc_b64 s[14:15]
.Lpost_getpc16302:
	s_add_u32 s14, s14, (.LBB1_11102-.Lpost_getpc16302)&4294967295
	s_addc_u32 s15, s15, (.LBB1_11102-.Lpost_getpc16302)>>32
	s_setpc_b64 s[14:15]
.LBB1_25440:
	v_mov_b32_e32 v3, 0
	v_cmp_ne_u16_sdwa s[8:9], v4, v3 src0_sel:BYTE_3 src1_sel:DWORD
	s_andn2_b64 s[4:5], s[4:5], exec
	s_and_b64 s[8:9], s[8:9], exec
	s_or_b64 s[4:5], s[4:5], s[8:9]
	s_or_b64 exec, exec, s[6:7]
	s_and_saveexec_b64 s[6:7], s[4:5]
	s_cbranch_execz .LBB1_34223
; %bb.61279:
	s_getpc_b64 s[14:15]
.Lpost_getpc16303:
	s_add_u32 s14, s14, (.LBB1_11103-.Lpost_getpc16303)&4294967295
	s_addc_u32 s15, s15, (.LBB1_11103-.Lpost_getpc16303)>>32
	s_setpc_b64 s[14:15]
.LBB1_34223:
	s_getpc_b64 s[14:15]
.Lpost_getpc2775:
	s_add_u32 s14, s14, (.LBB1_11104-.Lpost_getpc2775)&4294967295
	s_addc_u32 s15, s15, (.LBB1_11104-.Lpost_getpc2775)>>32
	s_setpc_b64 s[14:15]
.LBB1_25441:
	s_movk_i32 s4, 0x80
	v_cmp_eq_u16_sdwa s[12:13], v9, s4 src0_sel:BYTE_0 src1_sel:DWORD
	s_mov_b64 s[4:5], -1
                                        ; implicit-def: $sgpr10
	s_and_saveexec_b64 s[8:9], s[12:13]
; %bb.25442:
	s_mov_b32 s10, 0x7f800001
	s_xor_b64 s[4:5], exec, -1
; %bb.25443:
	s_or_b64 exec, exec, s[8:9]
	s_and_b64 s[4:5], s[4:5], exec
	s_or_saveexec_b64 s[6:7], s[6:7]
	v_mov_b32_e32 v2, s10
	s_xor_b64 exec, exec, s[6:7]
	s_cbranch_execnz .LBB1_25444
; %bb.61281:
	s_getpc_b64 s[14:15]
.Lpost_getpc16304:
	s_add_u32 s14, s14, (.LBB1_11106-.Lpost_getpc16304)&4294967295
	s_addc_u32 s15, s15, (.LBB1_11106-.Lpost_getpc16304)>>32
	s_setpc_b64 s[14:15]
.LBB1_25444:
	v_mov_b32_e32 v2, 0
	v_cmp_ne_u16_sdwa s[8:9], v9, v2 src0_sel:BYTE_0 src1_sel:DWORD
	s_andn2_b64 s[4:5], s[4:5], exec
	s_and_b64 s[8:9], s[8:9], exec
	s_or_b64 s[4:5], s[4:5], s[8:9]
	s_or_b64 exec, exec, s[6:7]
	s_and_saveexec_b64 s[6:7], s[4:5]
	s_cbranch_execz .LBB1_34225
; %bb.61283:
	s_getpc_b64 s[14:15]
.Lpost_getpc16305:
	s_add_u32 s14, s14, (.LBB1_11107-.Lpost_getpc16305)&4294967295
	s_addc_u32 s15, s15, (.LBB1_11107-.Lpost_getpc16305)>>32
	s_setpc_b64 s[14:15]
.LBB1_34225:
	s_getpc_b64 s[14:15]
.Lpost_getpc2776:
	s_add_u32 s14, s14, (.LBB1_11108-.Lpost_getpc2776)&4294967295
	s_addc_u32 s15, s15, (.LBB1_11108-.Lpost_getpc2776)>>32
	s_setpc_b64 s[14:15]
.LBB1_25445:
	s_movk_i32 s4, 0x80
	v_cmp_eq_u16_sdwa s[12:13], v5, s4 src0_sel:BYTE_0 src1_sel:DWORD
	s_mov_b64 s[4:5], -1
                                        ; implicit-def: $sgpr10
	s_and_saveexec_b64 s[8:9], s[12:13]
; %bb.25446:
	s_mov_b32 s10, 0x7f800001
	s_xor_b64 s[4:5], exec, -1
; %bb.25447:
	s_or_b64 exec, exec, s[8:9]
	s_and_b64 s[4:5], s[4:5], exec
	s_or_saveexec_b64 s[6:7], s[6:7]
	v_mov_b32_e32 v3, s10
	s_xor_b64 exec, exec, s[6:7]
	s_cbranch_execnz .LBB1_25448
; %bb.61285:
	s_getpc_b64 s[14:15]
.Lpost_getpc16306:
	s_add_u32 s14, s14, (.LBB1_11110-.Lpost_getpc16306)&4294967295
	s_addc_u32 s15, s15, (.LBB1_11110-.Lpost_getpc16306)>>32
	s_setpc_b64 s[14:15]
.LBB1_25448:
	v_mov_b32_e32 v3, 0
	v_cmp_ne_u16_sdwa s[8:9], v5, v3 src0_sel:BYTE_0 src1_sel:DWORD
	s_andn2_b64 s[4:5], s[4:5], exec
	s_and_b64 s[8:9], s[8:9], exec
	s_or_b64 s[4:5], s[4:5], s[8:9]
	s_or_b64 exec, exec, s[6:7]
	s_and_saveexec_b64 s[6:7], s[4:5]
	s_cbranch_execz .LBB1_34227
; %bb.61287:
	s_getpc_b64 s[14:15]
.Lpost_getpc16307:
	s_add_u32 s14, s14, (.LBB1_11111-.Lpost_getpc16307)&4294967295
	s_addc_u32 s15, s15, (.LBB1_11111-.Lpost_getpc16307)>>32
	s_setpc_b64 s[14:15]
.LBB1_34227:
	s_getpc_b64 s[14:15]
.Lpost_getpc2777:
	s_add_u32 s14, s14, (.LBB1_11112-.Lpost_getpc2777)&4294967295
	s_addc_u32 s15, s15, (.LBB1_11112-.Lpost_getpc2777)>>32
	s_setpc_b64 s[14:15]
.LBB1_25449:
	s_movk_i32 s4, 0x80
	v_cmp_eq_u16_sdwa s[12:13], v3, s4 src0_sel:BYTE_0 src1_sel:DWORD
	s_mov_b64 s[4:5], -1
                                        ; implicit-def: $sgpr10
	s_and_saveexec_b64 s[8:9], s[12:13]
; %bb.25450:
	s_mov_b32 s10, 0x7f800001
	s_xor_b64 s[4:5], exec, -1
; %bb.25451:
	s_or_b64 exec, exec, s[8:9]
	s_and_b64 s[4:5], s[4:5], exec
	s_or_saveexec_b64 s[6:7], s[6:7]
	v_mov_b32_e32 v2, s10
	s_xor_b64 exec, exec, s[6:7]
	s_cbranch_execnz .LBB1_25452
; %bb.61289:
	s_getpc_b64 s[14:15]
.Lpost_getpc16308:
	s_add_u32 s14, s14, (.LBB1_11114-.Lpost_getpc16308)&4294967295
	s_addc_u32 s15, s15, (.LBB1_11114-.Lpost_getpc16308)>>32
	s_setpc_b64 s[14:15]
.LBB1_25452:
	v_mov_b32_e32 v2, 0
	v_cmp_ne_u16_sdwa s[8:9], v3, v2 src0_sel:BYTE_0 src1_sel:DWORD
	s_andn2_b64 s[4:5], s[4:5], exec
	s_and_b64 s[8:9], s[8:9], exec
	s_or_b64 s[4:5], s[4:5], s[8:9]
	s_or_b64 exec, exec, s[6:7]
	s_and_saveexec_b64 s[6:7], s[4:5]
	s_cbranch_execz .LBB1_34229
; %bb.61291:
	s_getpc_b64 s[14:15]
.Lpost_getpc16309:
	s_add_u32 s14, s14, (.LBB1_11115-.Lpost_getpc16309)&4294967295
	s_addc_u32 s15, s15, (.LBB1_11115-.Lpost_getpc16309)>>32
	s_setpc_b64 s[14:15]
.LBB1_34229:
	s_getpc_b64 s[14:15]
.Lpost_getpc2778:
	s_add_u32 s14, s14, (.LBB1_11116-.Lpost_getpc2778)&4294967295
	s_addc_u32 s15, s15, (.LBB1_11116-.Lpost_getpc2778)>>32
	s_setpc_b64 s[14:15]
.LBB1_25453:
	s_movk_i32 s4, 0x80
	v_cmp_eq_u16_sdwa s[12:13], v3, s4 src0_sel:BYTE_0 src1_sel:DWORD
	s_mov_b64 s[4:5], -1
                                        ; implicit-def: $sgpr10
	s_and_saveexec_b64 s[8:9], s[12:13]
; %bb.25454:
	s_mov_b32 s10, 0x7f800001
	s_xor_b64 s[4:5], exec, -1
; %bb.25455:
	s_or_b64 exec, exec, s[8:9]
	s_and_b64 s[4:5], s[4:5], exec
	s_or_saveexec_b64 s[6:7], s[6:7]
	v_mov_b32_e32 v4, s10
	s_xor_b64 exec, exec, s[6:7]
	s_cbranch_execnz .LBB1_25456
; %bb.61293:
	s_getpc_b64 s[14:15]
.Lpost_getpc16310:
	s_add_u32 s14, s14, (.LBB1_11118-.Lpost_getpc16310)&4294967295
	s_addc_u32 s15, s15, (.LBB1_11118-.Lpost_getpc16310)>>32
	s_setpc_b64 s[14:15]
.LBB1_25456:
	v_mov_b32_e32 v4, 0
	v_cmp_ne_u16_sdwa s[8:9], v3, v4 src0_sel:BYTE_0 src1_sel:DWORD
	s_andn2_b64 s[4:5], s[4:5], exec
	s_and_b64 s[8:9], s[8:9], exec
	s_or_b64 s[4:5], s[4:5], s[8:9]
	s_or_b64 exec, exec, s[6:7]
	s_and_saveexec_b64 s[6:7], s[4:5]
	s_cbranch_execz .LBB1_34231
; %bb.61295:
	s_getpc_b64 s[14:15]
.Lpost_getpc16311:
	s_add_u32 s14, s14, (.LBB1_11119-.Lpost_getpc16311)&4294967295
	s_addc_u32 s15, s15, (.LBB1_11119-.Lpost_getpc16311)>>32
	s_setpc_b64 s[14:15]
.LBB1_34231:
	s_getpc_b64 s[14:15]
.Lpost_getpc2779:
	s_add_u32 s14, s14, (.LBB1_11120-.Lpost_getpc2779)&4294967295
	s_addc_u32 s15, s15, (.LBB1_11120-.Lpost_getpc2779)>>32
	s_setpc_b64 s[14:15]
.LBB1_25457:
	s_movk_i32 s4, 0x80
	v_cmp_eq_u16_e32 vcc, s4, v3
	s_mov_b64 s[4:5], -1
                                        ; implicit-def: $sgpr10
	s_and_saveexec_b64 s[8:9], vcc
; %bb.25458:
	s_mov_b32 s10, 0x7f800001
	s_xor_b64 s[4:5], exec, -1
; %bb.25459:
	s_or_b64 exec, exec, s[8:9]
	s_and_b64 s[4:5], s[4:5], exec
                                        ; implicit-def: $vgpr3
	s_or_saveexec_b64 s[6:7], s[6:7]
	v_mov_b32_e32 v2, s10
	s_xor_b64 exec, exec, s[6:7]
	s_cbranch_execnz .LBB1_25460
; %bb.61297:
	s_getpc_b64 s[14:15]
.Lpost_getpc16312:
	s_add_u32 s14, s14, (.LBB1_11122-.Lpost_getpc16312)&4294967295
	s_addc_u32 s15, s15, (.LBB1_11122-.Lpost_getpc16312)>>32
	s_setpc_b64 s[14:15]
.LBB1_25460:
	v_cmp_ne_u16_e32 vcc, 0, v3
	s_andn2_b64 s[4:5], s[4:5], exec
	s_and_b64 s[8:9], vcc, exec
	v_mov_b32_e32 v2, 0
	s_or_b64 s[4:5], s[4:5], s[8:9]
	s_or_b64 exec, exec, s[6:7]
	s_and_saveexec_b64 s[6:7], s[4:5]
	s_cbranch_execz .LBB1_34233
; %bb.61299:
	s_getpc_b64 s[14:15]
.Lpost_getpc16313:
	s_add_u32 s14, s14, (.LBB1_11123-.Lpost_getpc16313)&4294967295
	s_addc_u32 s15, s15, (.LBB1_11123-.Lpost_getpc16313)>>32
	s_setpc_b64 s[14:15]
.LBB1_34233:
	s_getpc_b64 s[14:15]
.Lpost_getpc2780:
	s_add_u32 s14, s14, (.LBB1_11124-.Lpost_getpc2780)&4294967295
	s_addc_u32 s15, s15, (.LBB1_11124-.Lpost_getpc2780)>>32
	s_setpc_b64 s[14:15]
.LBB1_25461:
	s_movk_i32 s4, 0x80
	v_cmp_eq_u16_e32 vcc, s4, v3
	s_mov_b64 s[4:5], -1
                                        ; implicit-def: $sgpr10
	s_and_saveexec_b64 s[8:9], vcc
; %bb.25462:
	s_mov_b32 s10, 0x7f800001
	s_xor_b64 s[4:5], exec, -1
; %bb.25463:
	s_or_b64 exec, exec, s[8:9]
	s_and_b64 s[4:5], s[4:5], exec
                                        ; implicit-def: $vgpr3
	s_or_saveexec_b64 s[6:7], s[6:7]
	v_mov_b32_e32 v4, s10
	s_xor_b64 exec, exec, s[6:7]
	s_cbranch_execnz .LBB1_25464
; %bb.61301:
	s_getpc_b64 s[14:15]
.Lpost_getpc16314:
	s_add_u32 s14, s14, (.LBB1_11126-.Lpost_getpc16314)&4294967295
	s_addc_u32 s15, s15, (.LBB1_11126-.Lpost_getpc16314)>>32
	s_setpc_b64 s[14:15]
.LBB1_25464:
	v_cmp_ne_u16_e32 vcc, 0, v3
	s_andn2_b64 s[4:5], s[4:5], exec
	s_and_b64 s[8:9], vcc, exec
	v_mov_b32_e32 v4, 0
	s_or_b64 s[4:5], s[4:5], s[8:9]
	s_or_b64 exec, exec, s[6:7]
	s_and_saveexec_b64 s[6:7], s[4:5]
	s_cbranch_execz .LBB1_34235
; %bb.61303:
	s_getpc_b64 s[14:15]
.Lpost_getpc16315:
	s_add_u32 s14, s14, (.LBB1_11127-.Lpost_getpc16315)&4294967295
	s_addc_u32 s15, s15, (.LBB1_11127-.Lpost_getpc16315)>>32
	s_setpc_b64 s[14:15]
.LBB1_34235:
	s_getpc_b64 s[14:15]
.Lpost_getpc2781:
	s_add_u32 s14, s14, (.LBB1_11128-.Lpost_getpc2781)&4294967295
	s_addc_u32 s15, s15, (.LBB1_11128-.Lpost_getpc2781)>>32
	s_setpc_b64 s[14:15]
.LBB1_25465:
	s_movk_i32 s4, 0x80
	v_cmp_eq_u16_sdwa s[12:13], v9, s4 src0_sel:BYTE_3 src1_sel:DWORD
	s_mov_b64 s[4:5], -1
                                        ; implicit-def: $sgpr10
	s_and_saveexec_b64 s[8:9], s[12:13]
; %bb.25466:
	s_mov_b32 s10, 0x7f800001
	s_xor_b64 s[4:5], exec, -1
; %bb.25467:
	s_or_b64 exec, exec, s[8:9]
	s_and_b64 s[4:5], s[4:5], exec
	s_or_saveexec_b64 s[6:7], s[6:7]
	v_mov_b32_e32 v2, s10
	s_xor_b64 exec, exec, s[6:7]
	s_cbranch_execnz .LBB1_25468
; %bb.61305:
	s_getpc_b64 s[14:15]
.Lpost_getpc16316:
	s_add_u32 s14, s14, (.LBB1_11130-.Lpost_getpc16316)&4294967295
	s_addc_u32 s15, s15, (.LBB1_11130-.Lpost_getpc16316)>>32
	s_setpc_b64 s[14:15]
.LBB1_25468:
	v_mov_b32_e32 v2, 0
	v_cmp_ne_u16_sdwa s[8:9], v9, v2 src0_sel:BYTE_3 src1_sel:DWORD
	s_andn2_b64 s[4:5], s[4:5], exec
	s_and_b64 s[8:9], s[8:9], exec
	s_or_b64 s[4:5], s[4:5], s[8:9]
	s_or_b64 exec, exec, s[6:7]
	s_and_saveexec_b64 s[6:7], s[4:5]
	s_cbranch_execz .LBB1_34237
; %bb.61307:
	s_getpc_b64 s[14:15]
.Lpost_getpc16317:
	s_add_u32 s14, s14, (.LBB1_11131-.Lpost_getpc16317)&4294967295
	s_addc_u32 s15, s15, (.LBB1_11131-.Lpost_getpc16317)>>32
	s_setpc_b64 s[14:15]
.LBB1_34237:
	s_getpc_b64 s[14:15]
.Lpost_getpc2782:
	s_add_u32 s14, s14, (.LBB1_11132-.Lpost_getpc2782)&4294967295
	s_addc_u32 s15, s15, (.LBB1_11132-.Lpost_getpc2782)>>32
	s_setpc_b64 s[14:15]
.LBB1_25469:
	s_movk_i32 s4, 0x80
	v_cmp_eq_u16_sdwa s[12:13], v5, s4 src0_sel:BYTE_3 src1_sel:DWORD
	s_mov_b64 s[4:5], -1
                                        ; implicit-def: $sgpr10
	s_and_saveexec_b64 s[8:9], s[12:13]
; %bb.25470:
	s_mov_b32 s10, 0x7f800001
	s_xor_b64 s[4:5], exec, -1
; %bb.25471:
	s_or_b64 exec, exec, s[8:9]
	s_and_b64 s[4:5], s[4:5], exec
	s_or_saveexec_b64 s[6:7], s[6:7]
	v_mov_b32_e32 v3, s10
	s_xor_b64 exec, exec, s[6:7]
	s_cbranch_execnz .LBB1_25472
; %bb.61309:
	s_getpc_b64 s[14:15]
.Lpost_getpc16318:
	s_add_u32 s14, s14, (.LBB1_11134-.Lpost_getpc16318)&4294967295
	s_addc_u32 s15, s15, (.LBB1_11134-.Lpost_getpc16318)>>32
	s_setpc_b64 s[14:15]
.LBB1_25472:
	v_mov_b32_e32 v3, 0
	v_cmp_ne_u16_sdwa s[8:9], v5, v3 src0_sel:BYTE_3 src1_sel:DWORD
	s_andn2_b64 s[4:5], s[4:5], exec
	s_and_b64 s[8:9], s[8:9], exec
	s_or_b64 s[4:5], s[4:5], s[8:9]
	s_or_b64 exec, exec, s[6:7]
	s_and_saveexec_b64 s[6:7], s[4:5]
	s_cbranch_execz .LBB1_34239
; %bb.61311:
	s_getpc_b64 s[14:15]
.Lpost_getpc16319:
	s_add_u32 s14, s14, (.LBB1_11135-.Lpost_getpc16319)&4294967295
	s_addc_u32 s15, s15, (.LBB1_11135-.Lpost_getpc16319)>>32
	s_setpc_b64 s[14:15]
.LBB1_34239:
	s_getpc_b64 s[14:15]
.Lpost_getpc2783:
	s_add_u32 s14, s14, (.LBB1_11136-.Lpost_getpc2783)&4294967295
	s_addc_u32 s15, s15, (.LBB1_11136-.Lpost_getpc2783)>>32
	s_setpc_b64 s[14:15]
.LBB1_25473:
	s_movk_i32 s4, 0x80
	v_cmp_eq_u16_sdwa s[12:13], v6, s4 src0_sel:BYTE_0 src1_sel:DWORD
	s_mov_b64 s[4:5], -1
                                        ; implicit-def: $sgpr10
	s_and_saveexec_b64 s[8:9], s[12:13]
; %bb.25474:
	s_mov_b32 s10, 0x7f800001
	s_xor_b64 s[4:5], exec, -1
; %bb.25475:
	s_or_b64 exec, exec, s[8:9]
	s_and_b64 s[4:5], s[4:5], exec
	s_or_saveexec_b64 s[6:7], s[6:7]
	v_mov_b32_e32 v12, s10
	s_xor_b64 exec, exec, s[6:7]
	s_cbranch_execnz .LBB1_25476
; %bb.61313:
	s_getpc_b64 s[14:15]
.Lpost_getpc16320:
	s_add_u32 s14, s14, (.LBB1_11138-.Lpost_getpc16320)&4294967295
	s_addc_u32 s15, s15, (.LBB1_11138-.Lpost_getpc16320)>>32
	s_setpc_b64 s[14:15]
.LBB1_25476:
	v_mov_b32_e32 v12, 0
	v_cmp_ne_u16_sdwa s[8:9], v6, v12 src0_sel:BYTE_0 src1_sel:DWORD
	s_andn2_b64 s[4:5], s[4:5], exec
	s_and_b64 s[8:9], s[8:9], exec
	s_or_b64 s[4:5], s[4:5], s[8:9]
	s_or_b64 exec, exec, s[6:7]
	s_and_saveexec_b64 s[6:7], s[4:5]
	s_cbranch_execz .LBB1_34241
; %bb.61315:
	s_getpc_b64 s[14:15]
.Lpost_getpc16321:
	s_add_u32 s14, s14, (.LBB1_11139-.Lpost_getpc16321)&4294967295
	s_addc_u32 s15, s15, (.LBB1_11139-.Lpost_getpc16321)>>32
	s_setpc_b64 s[14:15]
.LBB1_34241:
	s_getpc_b64 s[14:15]
.Lpost_getpc2784:
	s_add_u32 s14, s14, (.LBB1_11140-.Lpost_getpc2784)&4294967295
	s_addc_u32 s15, s15, (.LBB1_11140-.Lpost_getpc2784)>>32
	s_setpc_b64 s[14:15]
.LBB1_25477:
	s_movk_i32 s4, 0x80
	v_cmp_eq_u16_sdwa s[12:13], v2, s4 src0_sel:BYTE_0 src1_sel:DWORD
	s_mov_b64 s[4:5], -1
                                        ; implicit-def: $sgpr10
	s_and_saveexec_b64 s[8:9], s[12:13]
; %bb.25478:
	s_mov_b32 s10, 0x7f800001
	s_xor_b64 s[4:5], exec, -1
; %bb.25479:
	s_or_b64 exec, exec, s[8:9]
	s_and_b64 s[4:5], s[4:5], exec
	s_or_saveexec_b64 s[6:7], s[6:7]
	v_mov_b32_e32 v13, s10
	s_xor_b64 exec, exec, s[6:7]
	s_cbranch_execnz .LBB1_25480
; %bb.61317:
	s_getpc_b64 s[14:15]
.Lpost_getpc16322:
	s_add_u32 s14, s14, (.LBB1_11142-.Lpost_getpc16322)&4294967295
	s_addc_u32 s15, s15, (.LBB1_11142-.Lpost_getpc16322)>>32
	s_setpc_b64 s[14:15]
.LBB1_25480:
	v_mov_b32_e32 v13, 0
	v_cmp_ne_u16_sdwa s[8:9], v2, v13 src0_sel:BYTE_0 src1_sel:DWORD
	s_andn2_b64 s[4:5], s[4:5], exec
	s_and_b64 s[8:9], s[8:9], exec
	s_or_b64 s[4:5], s[4:5], s[8:9]
	s_or_b64 exec, exec, s[6:7]
	s_and_saveexec_b64 s[6:7], s[4:5]
	s_cbranch_execz .LBB1_34243
; %bb.61319:
	s_getpc_b64 s[14:15]
.Lpost_getpc16323:
	s_add_u32 s14, s14, (.LBB1_11143-.Lpost_getpc16323)&4294967295
	s_addc_u32 s15, s15, (.LBB1_11143-.Lpost_getpc16323)>>32
	s_setpc_b64 s[14:15]
.LBB1_34243:
	s_getpc_b64 s[14:15]
.Lpost_getpc2785:
	s_add_u32 s14, s14, (.LBB1_11144-.Lpost_getpc2785)&4294967295
	s_addc_u32 s15, s15, (.LBB1_11144-.Lpost_getpc2785)>>32
	s_setpc_b64 s[14:15]
.LBB1_25481:
	s_movk_i32 s4, 0x80
	v_cmp_eq_u16_sdwa s[12:13], v13, s4 src0_sel:BYTE_0 src1_sel:DWORD
	s_mov_b64 s[4:5], -1
                                        ; implicit-def: $sgpr10
	s_and_saveexec_b64 s[8:9], s[12:13]
; %bb.25482:
	s_mov_b32 s10, 0x7f800001
	s_xor_b64 s[4:5], exec, -1
; %bb.25483:
	s_or_b64 exec, exec, s[8:9]
	s_and_b64 s[4:5], s[4:5], exec
	s_or_saveexec_b64 s[6:7], s[6:7]
	v_mov_b32_e32 v12, s10
	s_xor_b64 exec, exec, s[6:7]
	s_cbranch_execnz .LBB1_25484
; %bb.61321:
	s_getpc_b64 s[14:15]
.Lpost_getpc16324:
	s_add_u32 s14, s14, (.LBB1_11146-.Lpost_getpc16324)&4294967295
	s_addc_u32 s15, s15, (.LBB1_11146-.Lpost_getpc16324)>>32
	s_setpc_b64 s[14:15]
.LBB1_25484:
	v_mov_b32_e32 v12, 0
	v_cmp_ne_u16_sdwa s[8:9], v13, v12 src0_sel:BYTE_0 src1_sel:DWORD
	s_andn2_b64 s[4:5], s[4:5], exec
	s_and_b64 s[8:9], s[8:9], exec
	s_or_b64 s[4:5], s[4:5], s[8:9]
	s_or_b64 exec, exec, s[6:7]
	s_and_saveexec_b64 s[6:7], s[4:5]
	s_cbranch_execz .LBB1_34245
; %bb.61323:
	s_getpc_b64 s[14:15]
.Lpost_getpc16325:
	s_add_u32 s14, s14, (.LBB1_11147-.Lpost_getpc16325)&4294967295
	s_addc_u32 s15, s15, (.LBB1_11147-.Lpost_getpc16325)>>32
	s_setpc_b64 s[14:15]
.LBB1_34245:
	s_getpc_b64 s[14:15]
.Lpost_getpc2786:
	s_add_u32 s14, s14, (.LBB1_11148-.Lpost_getpc2786)&4294967295
	s_addc_u32 s15, s15, (.LBB1_11148-.Lpost_getpc2786)>>32
	s_setpc_b64 s[14:15]
.LBB1_25485:
	s_movk_i32 s4, 0x80
	v_cmp_eq_u16_sdwa s[12:13], v13, s4 src0_sel:BYTE_0 src1_sel:DWORD
	s_mov_b64 s[4:5], -1
                                        ; implicit-def: $sgpr10
	s_and_saveexec_b64 s[8:9], s[12:13]
; %bb.25486:
	s_mov_b32 s10, 0x7f800001
	s_xor_b64 s[4:5], exec, -1
; %bb.25487:
	s_or_b64 exec, exec, s[8:9]
	s_and_b64 s[4:5], s[4:5], exec
	s_or_saveexec_b64 s[6:7], s[6:7]
	v_mov_b32_e32 v14, s10
	s_xor_b64 exec, exec, s[6:7]
	s_cbranch_execnz .LBB1_25488
; %bb.61325:
	s_getpc_b64 s[14:15]
.Lpost_getpc16326:
	s_add_u32 s14, s14, (.LBB1_11150-.Lpost_getpc16326)&4294967295
	s_addc_u32 s15, s15, (.LBB1_11150-.Lpost_getpc16326)>>32
	s_setpc_b64 s[14:15]
.LBB1_25488:
	v_mov_b32_e32 v14, 0
	v_cmp_ne_u16_sdwa s[8:9], v13, v14 src0_sel:BYTE_0 src1_sel:DWORD
	s_andn2_b64 s[4:5], s[4:5], exec
	s_and_b64 s[8:9], s[8:9], exec
	s_or_b64 s[4:5], s[4:5], s[8:9]
	s_or_b64 exec, exec, s[6:7]
	s_and_saveexec_b64 s[6:7], s[4:5]
	s_cbranch_execz .LBB1_34247
; %bb.61327:
	s_getpc_b64 s[14:15]
.Lpost_getpc16327:
	s_add_u32 s14, s14, (.LBB1_11151-.Lpost_getpc16327)&4294967295
	s_addc_u32 s15, s15, (.LBB1_11151-.Lpost_getpc16327)>>32
	s_setpc_b64 s[14:15]
.LBB1_34247:
	s_getpc_b64 s[14:15]
.Lpost_getpc2787:
	s_add_u32 s14, s14, (.LBB1_11152-.Lpost_getpc2787)&4294967295
	s_addc_u32 s15, s15, (.LBB1_11152-.Lpost_getpc2787)>>32
	s_setpc_b64 s[14:15]
.LBB1_25489:
	s_movk_i32 s4, 0x80
	v_cmp_eq_u16_e32 vcc, s4, v13
	s_mov_b64 s[4:5], -1
                                        ; implicit-def: $sgpr10
	s_and_saveexec_b64 s[8:9], vcc
; %bb.25490:
	s_mov_b32 s10, 0x7f800001
	s_xor_b64 s[4:5], exec, -1
; %bb.25491:
	s_or_b64 exec, exec, s[8:9]
	s_and_b64 s[4:5], s[4:5], exec
                                        ; implicit-def: $vgpr13
	s_or_saveexec_b64 s[6:7], s[6:7]
	v_mov_b32_e32 v12, s10
	s_xor_b64 exec, exec, s[6:7]
	s_cbranch_execnz .LBB1_25492
; %bb.61329:
	s_getpc_b64 s[14:15]
.Lpost_getpc16328:
	s_add_u32 s14, s14, (.LBB1_11154-.Lpost_getpc16328)&4294967295
	s_addc_u32 s15, s15, (.LBB1_11154-.Lpost_getpc16328)>>32
	s_setpc_b64 s[14:15]
.LBB1_25492:
	v_cmp_ne_u16_e32 vcc, 0, v13
	s_andn2_b64 s[4:5], s[4:5], exec
	s_and_b64 s[8:9], vcc, exec
	v_mov_b32_e32 v12, 0
	s_or_b64 s[4:5], s[4:5], s[8:9]
	s_or_b64 exec, exec, s[6:7]
	s_and_saveexec_b64 s[6:7], s[4:5]
	s_cbranch_execz .LBB1_34249
; %bb.61331:
	s_getpc_b64 s[14:15]
.Lpost_getpc16329:
	s_add_u32 s14, s14, (.LBB1_11155-.Lpost_getpc16329)&4294967295
	s_addc_u32 s15, s15, (.LBB1_11155-.Lpost_getpc16329)>>32
	s_setpc_b64 s[14:15]
.LBB1_34249:
	s_getpc_b64 s[14:15]
.Lpost_getpc2788:
	s_add_u32 s14, s14, (.LBB1_11156-.Lpost_getpc2788)&4294967295
	s_addc_u32 s15, s15, (.LBB1_11156-.Lpost_getpc2788)>>32
	s_setpc_b64 s[14:15]
.LBB1_25493:
	s_movk_i32 s4, 0x80
	v_cmp_eq_u16_e32 vcc, s4, v13
	s_mov_b64 s[4:5], -1
                                        ; implicit-def: $sgpr10
	s_and_saveexec_b64 s[8:9], vcc
; %bb.25494:
	s_mov_b32 s10, 0x7f800001
	s_xor_b64 s[4:5], exec, -1
; %bb.25495:
	s_or_b64 exec, exec, s[8:9]
	s_and_b64 s[4:5], s[4:5], exec
                                        ; implicit-def: $vgpr13
	s_or_saveexec_b64 s[6:7], s[6:7]
	v_mov_b32_e32 v14, s10
	s_xor_b64 exec, exec, s[6:7]
	s_cbranch_execnz .LBB1_25496
; %bb.61333:
	s_getpc_b64 s[14:15]
.Lpost_getpc16330:
	s_add_u32 s14, s14, (.LBB1_11158-.Lpost_getpc16330)&4294967295
	s_addc_u32 s15, s15, (.LBB1_11158-.Lpost_getpc16330)>>32
	s_setpc_b64 s[14:15]
.LBB1_25496:
	v_cmp_ne_u16_e32 vcc, 0, v13
	s_andn2_b64 s[4:5], s[4:5], exec
	s_and_b64 s[8:9], vcc, exec
	v_mov_b32_e32 v14, 0
	s_or_b64 s[4:5], s[4:5], s[8:9]
	s_or_b64 exec, exec, s[6:7]
	s_and_saveexec_b64 s[6:7], s[4:5]
	s_cbranch_execz .LBB1_34251
; %bb.61335:
	s_getpc_b64 s[14:15]
.Lpost_getpc16331:
	s_add_u32 s14, s14, (.LBB1_11159-.Lpost_getpc16331)&4294967295
	s_addc_u32 s15, s15, (.LBB1_11159-.Lpost_getpc16331)>>32
	s_setpc_b64 s[14:15]
.LBB1_34251:
	s_getpc_b64 s[14:15]
.Lpost_getpc2789:
	s_add_u32 s14, s14, (.LBB1_11160-.Lpost_getpc2789)&4294967295
	s_addc_u32 s15, s15, (.LBB1_11160-.Lpost_getpc2789)>>32
	s_setpc_b64 s[14:15]
.LBB1_25497:
	s_movk_i32 s4, 0x80
	v_cmp_eq_u16_sdwa s[12:13], v6, s4 src0_sel:BYTE_3 src1_sel:DWORD
	s_mov_b64 s[4:5], -1
                                        ; implicit-def: $sgpr10
	s_and_saveexec_b64 s[8:9], s[12:13]
; %bb.25498:
	s_mov_b32 s10, 0x7f800001
	s_xor_b64 s[4:5], exec, -1
; %bb.25499:
	s_or_b64 exec, exec, s[8:9]
	s_and_b64 s[4:5], s[4:5], exec
	s_or_saveexec_b64 s[6:7], s[6:7]
	v_mov_b32_e32 v12, s10
	s_xor_b64 exec, exec, s[6:7]
	s_cbranch_execnz .LBB1_25500
; %bb.61337:
	s_getpc_b64 s[14:15]
.Lpost_getpc16332:
	s_add_u32 s14, s14, (.LBB1_11162-.Lpost_getpc16332)&4294967295
	s_addc_u32 s15, s15, (.LBB1_11162-.Lpost_getpc16332)>>32
	s_setpc_b64 s[14:15]
.LBB1_25500:
	v_mov_b32_e32 v12, 0
	v_cmp_ne_u16_sdwa s[8:9], v6, v12 src0_sel:BYTE_3 src1_sel:DWORD
	s_andn2_b64 s[4:5], s[4:5], exec
	s_and_b64 s[8:9], s[8:9], exec
	s_or_b64 s[4:5], s[4:5], s[8:9]
	s_or_b64 exec, exec, s[6:7]
	s_and_saveexec_b64 s[6:7], s[4:5]
	s_cbranch_execz .LBB1_34253
; %bb.61339:
	s_getpc_b64 s[14:15]
.Lpost_getpc16333:
	s_add_u32 s14, s14, (.LBB1_11163-.Lpost_getpc16333)&4294967295
	s_addc_u32 s15, s15, (.LBB1_11163-.Lpost_getpc16333)>>32
	s_setpc_b64 s[14:15]
.LBB1_34253:
	s_getpc_b64 s[14:15]
.Lpost_getpc2790:
	s_add_u32 s14, s14, (.LBB1_11164-.Lpost_getpc2790)&4294967295
	s_addc_u32 s15, s15, (.LBB1_11164-.Lpost_getpc2790)>>32
	s_setpc_b64 s[14:15]
.LBB1_25501:
	s_movk_i32 s4, 0x80
	v_cmp_eq_u16_sdwa s[12:13], v2, s4 src0_sel:BYTE_3 src1_sel:DWORD
	s_mov_b64 s[4:5], -1
                                        ; implicit-def: $sgpr10
	s_and_saveexec_b64 s[8:9], s[12:13]
; %bb.25502:
	s_mov_b32 s10, 0x7f800001
	s_xor_b64 s[4:5], exec, -1
; %bb.25503:
	s_or_b64 exec, exec, s[8:9]
	s_and_b64 s[4:5], s[4:5], exec
	s_or_saveexec_b64 s[6:7], s[6:7]
	v_mov_b32_e32 v6, s10
	s_xor_b64 exec, exec, s[6:7]
	s_cbranch_execnz .LBB1_25504
; %bb.61341:
	s_getpc_b64 s[14:15]
.Lpost_getpc16334:
	s_add_u32 s14, s14, (.LBB1_11166-.Lpost_getpc16334)&4294967295
	s_addc_u32 s15, s15, (.LBB1_11166-.Lpost_getpc16334)>>32
	s_setpc_b64 s[14:15]
.LBB1_25504:
	v_mov_b32_e32 v6, 0
	v_cmp_ne_u16_sdwa s[8:9], v2, v6 src0_sel:BYTE_3 src1_sel:DWORD
	s_andn2_b64 s[4:5], s[4:5], exec
	s_and_b64 s[8:9], s[8:9], exec
	s_or_b64 s[4:5], s[4:5], s[8:9]
	s_or_b64 exec, exec, s[6:7]
	s_and_saveexec_b64 s[6:7], s[4:5]
	s_cbranch_execz .LBB1_34255
; %bb.61343:
	s_getpc_b64 s[14:15]
.Lpost_getpc16335:
	s_add_u32 s14, s14, (.LBB1_11167-.Lpost_getpc16335)&4294967295
	s_addc_u32 s15, s15, (.LBB1_11167-.Lpost_getpc16335)>>32
	s_setpc_b64 s[14:15]
.LBB1_34255:
	s_getpc_b64 s[14:15]
.Lpost_getpc2791:
	s_add_u32 s14, s14, (.LBB1_11168-.Lpost_getpc2791)&4294967295
	s_addc_u32 s15, s15, (.LBB1_11168-.Lpost_getpc2791)>>32
	s_setpc_b64 s[14:15]
.LBB1_25505:
	s_movk_i32 s4, 0x80
	v_cmp_eq_u16_sdwa s[12:13], v7, s4 src0_sel:BYTE_0 src1_sel:DWORD
	s_mov_b64 s[4:5], -1
                                        ; implicit-def: $sgpr10
	s_and_saveexec_b64 s[8:9], s[12:13]
; %bb.25506:
	s_mov_b32 s10, 0x7f800001
	s_xor_b64 s[4:5], exec, -1
; %bb.25507:
	s_or_b64 exec, exec, s[8:9]
	s_and_b64 s[4:5], s[4:5], exec
	s_or_saveexec_b64 s[6:7], s[6:7]
	v_mov_b32_e32 v2, s10
	s_xor_b64 exec, exec, s[6:7]
	s_cbranch_execnz .LBB1_25508
; %bb.61345:
	s_getpc_b64 s[14:15]
.Lpost_getpc16336:
	s_add_u32 s14, s14, (.LBB1_11170-.Lpost_getpc16336)&4294967295
	s_addc_u32 s15, s15, (.LBB1_11170-.Lpost_getpc16336)>>32
	s_setpc_b64 s[14:15]
.LBB1_25508:
	v_mov_b32_e32 v2, 0
	v_cmp_ne_u16_sdwa s[8:9], v7, v2 src0_sel:BYTE_0 src1_sel:DWORD
	s_andn2_b64 s[4:5], s[4:5], exec
	s_and_b64 s[8:9], s[8:9], exec
	s_or_b64 s[4:5], s[4:5], s[8:9]
	s_or_b64 exec, exec, s[6:7]
	s_and_saveexec_b64 s[6:7], s[4:5]
	s_cbranch_execz .LBB1_34257
; %bb.61347:
	s_getpc_b64 s[14:15]
.Lpost_getpc16337:
	s_add_u32 s14, s14, (.LBB1_11171-.Lpost_getpc16337)&4294967295
	s_addc_u32 s15, s15, (.LBB1_11171-.Lpost_getpc16337)>>32
	s_setpc_b64 s[14:15]
.LBB1_34257:
	s_getpc_b64 s[14:15]
.Lpost_getpc2792:
	s_add_u32 s14, s14, (.LBB1_11172-.Lpost_getpc2792)&4294967295
	s_addc_u32 s15, s15, (.LBB1_11172-.Lpost_getpc2792)>>32
	s_setpc_b64 s[14:15]
.LBB1_25509:
	s_movk_i32 s4, 0x80
	v_cmp_eq_u16_sdwa s[12:13], v3, s4 src0_sel:BYTE_0 src1_sel:DWORD
	s_mov_b64 s[4:5], -1
                                        ; implicit-def: $sgpr10
	s_and_saveexec_b64 s[8:9], s[12:13]
; %bb.25510:
	s_mov_b32 s10, 0x7f800001
	s_xor_b64 s[4:5], exec, -1
; %bb.25511:
	s_or_b64 exec, exec, s[8:9]
	s_and_b64 s[4:5], s[4:5], exec
	s_or_saveexec_b64 s[6:7], s[6:7]
	v_mov_b32_e32 v6, s10
	s_xor_b64 exec, exec, s[6:7]
	s_cbranch_execnz .LBB1_25512
; %bb.61349:
	s_getpc_b64 s[14:15]
.Lpost_getpc16338:
	s_add_u32 s14, s14, (.LBB1_11174-.Lpost_getpc16338)&4294967295
	s_addc_u32 s15, s15, (.LBB1_11174-.Lpost_getpc16338)>>32
	s_setpc_b64 s[14:15]
.LBB1_25512:
	v_mov_b32_e32 v6, 0
	v_cmp_ne_u16_sdwa s[8:9], v3, v6 src0_sel:BYTE_0 src1_sel:DWORD
	s_andn2_b64 s[4:5], s[4:5], exec
	s_and_b64 s[8:9], s[8:9], exec
	s_or_b64 s[4:5], s[4:5], s[8:9]
	s_or_b64 exec, exec, s[6:7]
	s_and_saveexec_b64 s[6:7], s[4:5]
	s_cbranch_execz .LBB1_34259
; %bb.61351:
	s_getpc_b64 s[14:15]
.Lpost_getpc16339:
	s_add_u32 s14, s14, (.LBB1_11175-.Lpost_getpc16339)&4294967295
	s_addc_u32 s15, s15, (.LBB1_11175-.Lpost_getpc16339)>>32
	s_setpc_b64 s[14:15]
.LBB1_34259:
	s_getpc_b64 s[14:15]
.Lpost_getpc2793:
	s_add_u32 s14, s14, (.LBB1_11176-.Lpost_getpc2793)&4294967295
	s_addc_u32 s15, s15, (.LBB1_11176-.Lpost_getpc2793)>>32
	s_setpc_b64 s[14:15]
.LBB1_25513:
	s_movk_i32 s4, 0x80
	v_cmp_eq_u16_sdwa s[12:13], v6, s4 src0_sel:BYTE_0 src1_sel:DWORD
	s_mov_b64 s[4:5], -1
                                        ; implicit-def: $sgpr10
	s_and_saveexec_b64 s[8:9], s[12:13]
; %bb.25514:
	s_mov_b32 s10, 0x7f800001
	s_xor_b64 s[4:5], exec, -1
; %bb.25515:
	s_or_b64 exec, exec, s[8:9]
	s_and_b64 s[4:5], s[4:5], exec
	s_or_saveexec_b64 s[6:7], s[6:7]
	v_mov_b32_e32 v2, s10
	s_xor_b64 exec, exec, s[6:7]
	s_cbranch_execnz .LBB1_25516
; %bb.61353:
	s_getpc_b64 s[14:15]
.Lpost_getpc16340:
	s_add_u32 s14, s14, (.LBB1_11178-.Lpost_getpc16340)&4294967295
	s_addc_u32 s15, s15, (.LBB1_11178-.Lpost_getpc16340)>>32
	s_setpc_b64 s[14:15]
.LBB1_25516:
	v_mov_b32_e32 v2, 0
	v_cmp_ne_u16_sdwa s[8:9], v6, v2 src0_sel:BYTE_0 src1_sel:DWORD
	s_andn2_b64 s[4:5], s[4:5], exec
	s_and_b64 s[8:9], s[8:9], exec
	s_or_b64 s[4:5], s[4:5], s[8:9]
	s_or_b64 exec, exec, s[6:7]
	s_and_saveexec_b64 s[6:7], s[4:5]
	s_cbranch_execz .LBB1_34261
; %bb.61355:
	s_getpc_b64 s[14:15]
.Lpost_getpc16341:
	s_add_u32 s14, s14, (.LBB1_11179-.Lpost_getpc16341)&4294967295
	s_addc_u32 s15, s15, (.LBB1_11179-.Lpost_getpc16341)>>32
	s_setpc_b64 s[14:15]
.LBB1_34261:
	s_getpc_b64 s[14:15]
.Lpost_getpc2794:
	s_add_u32 s14, s14, (.LBB1_11180-.Lpost_getpc2794)&4294967295
	s_addc_u32 s15, s15, (.LBB1_11180-.Lpost_getpc2794)>>32
	s_setpc_b64 s[14:15]
.LBB1_25517:
	s_movk_i32 s4, 0x80
	v_cmp_eq_u16_sdwa s[12:13], v6, s4 src0_sel:BYTE_0 src1_sel:DWORD
	s_mov_b64 s[4:5], -1
                                        ; implicit-def: $sgpr10
	s_and_saveexec_b64 s[8:9], s[12:13]
; %bb.25518:
	s_mov_b32 s10, 0x7f800001
	s_xor_b64 s[4:5], exec, -1
; %bb.25519:
	s_or_b64 exec, exec, s[8:9]
	s_and_b64 s[4:5], s[4:5], exec
	s_or_saveexec_b64 s[6:7], s[6:7]
	v_mov_b32_e32 v12, s10
	s_xor_b64 exec, exec, s[6:7]
	s_cbranch_execnz .LBB1_25520
; %bb.61357:
	s_getpc_b64 s[14:15]
.Lpost_getpc16342:
	s_add_u32 s14, s14, (.LBB1_11182-.Lpost_getpc16342)&4294967295
	s_addc_u32 s15, s15, (.LBB1_11182-.Lpost_getpc16342)>>32
	s_setpc_b64 s[14:15]
.LBB1_25520:
	v_mov_b32_e32 v12, 0
	v_cmp_ne_u16_sdwa s[8:9], v6, v12 src0_sel:BYTE_0 src1_sel:DWORD
	s_andn2_b64 s[4:5], s[4:5], exec
	s_and_b64 s[8:9], s[8:9], exec
	s_or_b64 s[4:5], s[4:5], s[8:9]
	s_or_b64 exec, exec, s[6:7]
	s_and_saveexec_b64 s[6:7], s[4:5]
	s_cbranch_execz .LBB1_34263
; %bb.61359:
	s_getpc_b64 s[14:15]
.Lpost_getpc16343:
	s_add_u32 s14, s14, (.LBB1_11183-.Lpost_getpc16343)&4294967295
	s_addc_u32 s15, s15, (.LBB1_11183-.Lpost_getpc16343)>>32
	s_setpc_b64 s[14:15]
.LBB1_34263:
	s_getpc_b64 s[14:15]
.Lpost_getpc2795:
	s_add_u32 s14, s14, (.LBB1_11184-.Lpost_getpc2795)&4294967295
	s_addc_u32 s15, s15, (.LBB1_11184-.Lpost_getpc2795)>>32
	s_setpc_b64 s[14:15]
.LBB1_25521:
	s_movk_i32 s4, 0x80
	v_cmp_eq_u16_e32 vcc, s4, v6
	s_mov_b64 s[4:5], -1
                                        ; implicit-def: $sgpr10
	s_and_saveexec_b64 s[8:9], vcc
; %bb.25522:
	s_mov_b32 s10, 0x7f800001
	s_xor_b64 s[4:5], exec, -1
; %bb.25523:
	s_or_b64 exec, exec, s[8:9]
	s_and_b64 s[4:5], s[4:5], exec
                                        ; implicit-def: $vgpr6
	s_or_saveexec_b64 s[6:7], s[6:7]
	v_mov_b32_e32 v2, s10
	s_xor_b64 exec, exec, s[6:7]
	s_cbranch_execnz .LBB1_25524
; %bb.61361:
	s_getpc_b64 s[14:15]
.Lpost_getpc16344:
	s_add_u32 s14, s14, (.LBB1_11186-.Lpost_getpc16344)&4294967295
	s_addc_u32 s15, s15, (.LBB1_11186-.Lpost_getpc16344)>>32
	s_setpc_b64 s[14:15]
.LBB1_25524:
	v_cmp_ne_u16_e32 vcc, 0, v6
	s_andn2_b64 s[4:5], s[4:5], exec
	s_and_b64 s[8:9], vcc, exec
	v_mov_b32_e32 v2, 0
	s_or_b64 s[4:5], s[4:5], s[8:9]
	s_or_b64 exec, exec, s[6:7]
	s_and_saveexec_b64 s[6:7], s[4:5]
	s_cbranch_execz .LBB1_34265
; %bb.61363:
	s_getpc_b64 s[14:15]
.Lpost_getpc16345:
	s_add_u32 s14, s14, (.LBB1_11187-.Lpost_getpc16345)&4294967295
	s_addc_u32 s15, s15, (.LBB1_11187-.Lpost_getpc16345)>>32
	s_setpc_b64 s[14:15]
.LBB1_34265:
	s_getpc_b64 s[14:15]
.Lpost_getpc2796:
	s_add_u32 s14, s14, (.LBB1_11188-.Lpost_getpc2796)&4294967295
	s_addc_u32 s15, s15, (.LBB1_11188-.Lpost_getpc2796)>>32
	s_setpc_b64 s[14:15]
.LBB1_25525:
	s_movk_i32 s4, 0x80
	v_cmp_eq_u16_e32 vcc, s4, v6
	s_mov_b64 s[4:5], -1
                                        ; implicit-def: $sgpr10
	s_and_saveexec_b64 s[8:9], vcc
; %bb.25526:
	s_mov_b32 s10, 0x7f800001
	s_xor_b64 s[4:5], exec, -1
; %bb.25527:
	s_or_b64 exec, exec, s[8:9]
	s_and_b64 s[4:5], s[4:5], exec
                                        ; implicit-def: $vgpr6
	s_or_saveexec_b64 s[6:7], s[6:7]
	v_mov_b32_e32 v12, s10
	s_xor_b64 exec, exec, s[6:7]
	s_cbranch_execnz .LBB1_25528
; %bb.61365:
	s_getpc_b64 s[14:15]
.Lpost_getpc16346:
	s_add_u32 s14, s14, (.LBB1_11190-.Lpost_getpc16346)&4294967295
	s_addc_u32 s15, s15, (.LBB1_11190-.Lpost_getpc16346)>>32
	s_setpc_b64 s[14:15]
.LBB1_25528:
	v_cmp_ne_u16_e32 vcc, 0, v6
	s_andn2_b64 s[4:5], s[4:5], exec
	s_and_b64 s[8:9], vcc, exec
	v_mov_b32_e32 v12, 0
	s_or_b64 s[4:5], s[4:5], s[8:9]
	s_or_b64 exec, exec, s[6:7]
	s_and_saveexec_b64 s[6:7], s[4:5]
	s_cbranch_execz .LBB1_34267
; %bb.61367:
	s_getpc_b64 s[14:15]
.Lpost_getpc16347:
	s_add_u32 s14, s14, (.LBB1_11191-.Lpost_getpc16347)&4294967295
	s_addc_u32 s15, s15, (.LBB1_11191-.Lpost_getpc16347)>>32
	s_setpc_b64 s[14:15]
.LBB1_34267:
	s_getpc_b64 s[14:15]
.Lpost_getpc2797:
	s_add_u32 s14, s14, (.LBB1_11192-.Lpost_getpc2797)&4294967295
	s_addc_u32 s15, s15, (.LBB1_11192-.Lpost_getpc2797)>>32
	s_setpc_b64 s[14:15]
.LBB1_25529:
	s_movk_i32 s4, 0x80
	v_cmp_eq_u16_sdwa s[12:13], v7, s4 src0_sel:BYTE_3 src1_sel:DWORD
	s_mov_b64 s[4:5], -1
                                        ; implicit-def: $sgpr10
	s_and_saveexec_b64 s[8:9], s[12:13]
; %bb.25530:
	s_mov_b32 s10, 0x7f800001
	s_xor_b64 s[4:5], exec, -1
; %bb.25531:
	s_or_b64 exec, exec, s[8:9]
	s_and_b64 s[4:5], s[4:5], exec
	s_or_saveexec_b64 s[6:7], s[6:7]
	v_mov_b32_e32 v2, s10
	s_xor_b64 exec, exec, s[6:7]
	s_cbranch_execnz .LBB1_25532
; %bb.61369:
	s_getpc_b64 s[14:15]
.Lpost_getpc16348:
	s_add_u32 s14, s14, (.LBB1_11194-.Lpost_getpc16348)&4294967295
	s_addc_u32 s15, s15, (.LBB1_11194-.Lpost_getpc16348)>>32
	s_setpc_b64 s[14:15]
.LBB1_25532:
	v_mov_b32_e32 v2, 0
	v_cmp_ne_u16_sdwa s[8:9], v7, v2 src0_sel:BYTE_3 src1_sel:DWORD
	s_andn2_b64 s[4:5], s[4:5], exec
	s_and_b64 s[8:9], s[8:9], exec
	s_or_b64 s[4:5], s[4:5], s[8:9]
	s_or_b64 exec, exec, s[6:7]
	s_and_saveexec_b64 s[6:7], s[4:5]
	s_cbranch_execz .LBB1_34269
; %bb.61371:
	s_getpc_b64 s[14:15]
.Lpost_getpc16349:
	s_add_u32 s14, s14, (.LBB1_11195-.Lpost_getpc16349)&4294967295
	s_addc_u32 s15, s15, (.LBB1_11195-.Lpost_getpc16349)>>32
	s_setpc_b64 s[14:15]
.LBB1_34269:
	s_getpc_b64 s[14:15]
.Lpost_getpc2798:
	s_add_u32 s14, s14, (.LBB1_11196-.Lpost_getpc2798)&4294967295
	s_addc_u32 s15, s15, (.LBB1_11196-.Lpost_getpc2798)>>32
	s_setpc_b64 s[14:15]
.LBB1_25533:
	s_movk_i32 s4, 0x80
	v_cmp_eq_u16_sdwa s[12:13], v3, s4 src0_sel:BYTE_3 src1_sel:DWORD
	s_mov_b64 s[4:5], -1
                                        ; implicit-def: $sgpr10
	s_and_saveexec_b64 s[8:9], s[12:13]
; %bb.25534:
	s_mov_b32 s10, 0x7f800001
	s_xor_b64 s[4:5], exec, -1
; %bb.25535:
	s_or_b64 exec, exec, s[8:9]
	s_and_b64 s[4:5], s[4:5], exec
	s_or_saveexec_b64 s[6:7], s[6:7]
	v_mov_b32_e32 v6, s10
	s_xor_b64 exec, exec, s[6:7]
	s_cbranch_execnz .LBB1_25536
; %bb.61373:
	s_getpc_b64 s[14:15]
.Lpost_getpc16350:
	s_add_u32 s14, s14, (.LBB1_11198-.Lpost_getpc16350)&4294967295
	s_addc_u32 s15, s15, (.LBB1_11198-.Lpost_getpc16350)>>32
	s_setpc_b64 s[14:15]
.LBB1_25536:
	v_mov_b32_e32 v6, 0
	v_cmp_ne_u16_sdwa s[8:9], v3, v6 src0_sel:BYTE_3 src1_sel:DWORD
	s_andn2_b64 s[4:5], s[4:5], exec
	s_and_b64 s[8:9], s[8:9], exec
	s_or_b64 s[4:5], s[4:5], s[8:9]
	s_or_b64 exec, exec, s[6:7]
	s_and_saveexec_b64 s[6:7], s[4:5]
	s_cbranch_execz .LBB1_34271
; %bb.61375:
	s_getpc_b64 s[14:15]
.Lpost_getpc16351:
	s_add_u32 s14, s14, (.LBB1_11199-.Lpost_getpc16351)&4294967295
	s_addc_u32 s15, s15, (.LBB1_11199-.Lpost_getpc16351)>>32
	s_setpc_b64 s[14:15]
.LBB1_34271:
	s_getpc_b64 s[14:15]
.Lpost_getpc2799:
	s_add_u32 s14, s14, (.LBB1_11200-.Lpost_getpc2799)&4294967295
	s_addc_u32 s15, s15, (.LBB1_11200-.Lpost_getpc2799)>>32
	s_setpc_b64 s[14:15]
.LBB1_25537:
	s_movk_i32 s4, 0x80
	v_cmp_eq_u16_sdwa s[12:13], v8, s4 src0_sel:BYTE_0 src1_sel:DWORD
	s_mov_b64 s[4:5], -1
                                        ; implicit-def: $sgpr10
	s_and_saveexec_b64 s[8:9], s[12:13]
; %bb.25538:
	s_mov_b32 s10, 0x7f800001
	s_xor_b64 s[4:5], exec, -1
; %bb.25539:
	s_or_b64 exec, exec, s[8:9]
	s_and_b64 s[4:5], s[4:5], exec
	s_or_saveexec_b64 s[6:7], s[6:7]
	v_mov_b32_e32 v2, s10
	s_xor_b64 exec, exec, s[6:7]
	s_cbranch_execnz .LBB1_25540
; %bb.61377:
	s_getpc_b64 s[14:15]
.Lpost_getpc16352:
	s_add_u32 s14, s14, (.LBB1_11202-.Lpost_getpc16352)&4294967295
	s_addc_u32 s15, s15, (.LBB1_11202-.Lpost_getpc16352)>>32
	s_setpc_b64 s[14:15]
.LBB1_25540:
	v_mov_b32_e32 v2, 0
	v_cmp_ne_u16_sdwa s[8:9], v8, v2 src0_sel:BYTE_0 src1_sel:DWORD
	s_andn2_b64 s[4:5], s[4:5], exec
	s_and_b64 s[8:9], s[8:9], exec
	s_or_b64 s[4:5], s[4:5], s[8:9]
	s_or_b64 exec, exec, s[6:7]
	s_and_saveexec_b64 s[6:7], s[4:5]
	s_cbranch_execz .LBB1_34273
; %bb.61379:
	s_getpc_b64 s[14:15]
.Lpost_getpc16353:
	s_add_u32 s14, s14, (.LBB1_11203-.Lpost_getpc16353)&4294967295
	s_addc_u32 s15, s15, (.LBB1_11203-.Lpost_getpc16353)>>32
	s_setpc_b64 s[14:15]
.LBB1_34273:
	s_getpc_b64 s[14:15]
.Lpost_getpc2800:
	s_add_u32 s14, s14, (.LBB1_11204-.Lpost_getpc2800)&4294967295
	s_addc_u32 s15, s15, (.LBB1_11204-.Lpost_getpc2800)>>32
	s_setpc_b64 s[14:15]
.LBB1_25541:
	s_movk_i32 s4, 0x80
	v_cmp_eq_u16_sdwa s[12:13], v4, s4 src0_sel:BYTE_0 src1_sel:DWORD
	s_mov_b64 s[4:5], -1
                                        ; implicit-def: $sgpr10
	s_and_saveexec_b64 s[8:9], s[12:13]
; %bb.25542:
	s_mov_b32 s10, 0x7f800001
	s_xor_b64 s[4:5], exec, -1
; %bb.25543:
	s_or_b64 exec, exec, s[8:9]
	s_and_b64 s[4:5], s[4:5], exec
	s_or_saveexec_b64 s[6:7], s[6:7]
	v_mov_b32_e32 v3, s10
	s_xor_b64 exec, exec, s[6:7]
	s_cbranch_execnz .LBB1_25544
; %bb.61381:
	s_getpc_b64 s[14:15]
.Lpost_getpc16354:
	s_add_u32 s14, s14, (.LBB1_11206-.Lpost_getpc16354)&4294967295
	s_addc_u32 s15, s15, (.LBB1_11206-.Lpost_getpc16354)>>32
	s_setpc_b64 s[14:15]
.LBB1_25544:
	v_mov_b32_e32 v3, 0
	v_cmp_ne_u16_sdwa s[8:9], v4, v3 src0_sel:BYTE_0 src1_sel:DWORD
	s_andn2_b64 s[4:5], s[4:5], exec
	s_and_b64 s[8:9], s[8:9], exec
	s_or_b64 s[4:5], s[4:5], s[8:9]
	s_or_b64 exec, exec, s[6:7]
	s_and_saveexec_b64 s[6:7], s[4:5]
	s_cbranch_execz .LBB1_34275
; %bb.61383:
	s_getpc_b64 s[14:15]
.Lpost_getpc16355:
	s_add_u32 s14, s14, (.LBB1_11207-.Lpost_getpc16355)&4294967295
	s_addc_u32 s15, s15, (.LBB1_11207-.Lpost_getpc16355)>>32
	s_setpc_b64 s[14:15]
.LBB1_34275:
	s_getpc_b64 s[14:15]
.Lpost_getpc2801:
	s_add_u32 s14, s14, (.LBB1_11208-.Lpost_getpc2801)&4294967295
	s_addc_u32 s15, s15, (.LBB1_11208-.Lpost_getpc2801)>>32
	s_setpc_b64 s[14:15]
.LBB1_25545:
	s_movk_i32 s4, 0x80
	v_cmp_eq_u16_sdwa s[12:13], v3, s4 src0_sel:BYTE_0 src1_sel:DWORD
	s_mov_b64 s[4:5], -1
                                        ; implicit-def: $sgpr10
	s_and_saveexec_b64 s[8:9], s[12:13]
; %bb.25546:
	s_mov_b32 s10, 0x7f800001
	s_xor_b64 s[4:5], exec, -1
; %bb.25547:
	s_or_b64 exec, exec, s[8:9]
	s_and_b64 s[4:5], s[4:5], exec
	s_or_saveexec_b64 s[6:7], s[6:7]
	v_mov_b32_e32 v2, s10
	s_xor_b64 exec, exec, s[6:7]
	s_cbranch_execnz .LBB1_25548
; %bb.61385:
	s_getpc_b64 s[14:15]
.Lpost_getpc16356:
	s_add_u32 s14, s14, (.LBB1_11210-.Lpost_getpc16356)&4294967295
	s_addc_u32 s15, s15, (.LBB1_11210-.Lpost_getpc16356)>>32
	s_setpc_b64 s[14:15]
.LBB1_25548:
	v_mov_b32_e32 v2, 0
	v_cmp_ne_u16_sdwa s[8:9], v3, v2 src0_sel:BYTE_0 src1_sel:DWORD
	s_andn2_b64 s[4:5], s[4:5], exec
	s_and_b64 s[8:9], s[8:9], exec
	s_or_b64 s[4:5], s[4:5], s[8:9]
	s_or_b64 exec, exec, s[6:7]
	s_and_saveexec_b64 s[6:7], s[4:5]
	s_cbranch_execz .LBB1_34277
; %bb.61387:
	s_getpc_b64 s[14:15]
.Lpost_getpc16357:
	s_add_u32 s14, s14, (.LBB1_11211-.Lpost_getpc16357)&4294967295
	s_addc_u32 s15, s15, (.LBB1_11211-.Lpost_getpc16357)>>32
	s_setpc_b64 s[14:15]
.LBB1_34277:
	s_getpc_b64 s[14:15]
.Lpost_getpc2802:
	s_add_u32 s14, s14, (.LBB1_11212-.Lpost_getpc2802)&4294967295
	s_addc_u32 s15, s15, (.LBB1_11212-.Lpost_getpc2802)>>32
	s_setpc_b64 s[14:15]
.LBB1_25549:
	s_movk_i32 s4, 0x80
	v_cmp_eq_u16_sdwa s[12:13], v3, s4 src0_sel:BYTE_0 src1_sel:DWORD
	s_mov_b64 s[4:5], -1
                                        ; implicit-def: $sgpr10
	s_and_saveexec_b64 s[8:9], s[12:13]
; %bb.25550:
	s_mov_b32 s10, 0x7f800001
	s_xor_b64 s[4:5], exec, -1
; %bb.25551:
	s_or_b64 exec, exec, s[8:9]
	s_and_b64 s[4:5], s[4:5], exec
	s_or_saveexec_b64 s[6:7], s[6:7]
	v_mov_b32_e32 v6, s10
	s_xor_b64 exec, exec, s[6:7]
	s_cbranch_execnz .LBB1_25552
; %bb.61389:
	s_getpc_b64 s[14:15]
.Lpost_getpc16358:
	s_add_u32 s14, s14, (.LBB1_11214-.Lpost_getpc16358)&4294967295
	s_addc_u32 s15, s15, (.LBB1_11214-.Lpost_getpc16358)>>32
	s_setpc_b64 s[14:15]
.LBB1_25552:
	v_mov_b32_e32 v6, 0
	v_cmp_ne_u16_sdwa s[8:9], v3, v6 src0_sel:BYTE_0 src1_sel:DWORD
	s_andn2_b64 s[4:5], s[4:5], exec
	s_and_b64 s[8:9], s[8:9], exec
	s_or_b64 s[4:5], s[4:5], s[8:9]
	s_or_b64 exec, exec, s[6:7]
	s_and_saveexec_b64 s[6:7], s[4:5]
	s_cbranch_execz .LBB1_34279
; %bb.61391:
	s_getpc_b64 s[14:15]
.Lpost_getpc16359:
	s_add_u32 s14, s14, (.LBB1_11215-.Lpost_getpc16359)&4294967295
	s_addc_u32 s15, s15, (.LBB1_11215-.Lpost_getpc16359)>>32
	s_setpc_b64 s[14:15]
.LBB1_34279:
	s_getpc_b64 s[14:15]
.Lpost_getpc2803:
	s_add_u32 s14, s14, (.LBB1_11216-.Lpost_getpc2803)&4294967295
	s_addc_u32 s15, s15, (.LBB1_11216-.Lpost_getpc2803)>>32
	s_setpc_b64 s[14:15]
.LBB1_25553:
	s_movk_i32 s4, 0x80
	v_cmp_eq_u16_e32 vcc, s4, v3
	s_mov_b64 s[4:5], -1
                                        ; implicit-def: $sgpr10
	s_and_saveexec_b64 s[8:9], vcc
; %bb.25554:
	s_mov_b32 s10, 0x7f800001
	s_xor_b64 s[4:5], exec, -1
; %bb.25555:
	s_or_b64 exec, exec, s[8:9]
	s_and_b64 s[4:5], s[4:5], exec
                                        ; implicit-def: $vgpr3
	s_or_saveexec_b64 s[6:7], s[6:7]
	v_mov_b32_e32 v2, s10
	s_xor_b64 exec, exec, s[6:7]
	s_cbranch_execnz .LBB1_25556
; %bb.61393:
	s_getpc_b64 s[14:15]
.Lpost_getpc16360:
	s_add_u32 s14, s14, (.LBB1_11218-.Lpost_getpc16360)&4294967295
	s_addc_u32 s15, s15, (.LBB1_11218-.Lpost_getpc16360)>>32
	s_setpc_b64 s[14:15]
.LBB1_25556:
	v_cmp_ne_u16_e32 vcc, 0, v3
	s_andn2_b64 s[4:5], s[4:5], exec
	s_and_b64 s[8:9], vcc, exec
	v_mov_b32_e32 v2, 0
	s_or_b64 s[4:5], s[4:5], s[8:9]
	s_or_b64 exec, exec, s[6:7]
	s_and_saveexec_b64 s[6:7], s[4:5]
	s_cbranch_execz .LBB1_34281
; %bb.61395:
	s_getpc_b64 s[14:15]
.Lpost_getpc16361:
	s_add_u32 s14, s14, (.LBB1_11219-.Lpost_getpc16361)&4294967295
	s_addc_u32 s15, s15, (.LBB1_11219-.Lpost_getpc16361)>>32
	s_setpc_b64 s[14:15]
.LBB1_34281:
	s_getpc_b64 s[14:15]
.Lpost_getpc2804:
	s_add_u32 s14, s14, (.LBB1_11220-.Lpost_getpc2804)&4294967295
	s_addc_u32 s15, s15, (.LBB1_11220-.Lpost_getpc2804)>>32
	s_setpc_b64 s[14:15]
.LBB1_25557:
	s_movk_i32 s4, 0x80
	v_cmp_eq_u16_e32 vcc, s4, v3
	s_mov_b64 s[4:5], -1
                                        ; implicit-def: $sgpr10
	s_and_saveexec_b64 s[8:9], vcc
; %bb.25558:
	s_mov_b32 s10, 0x7f800001
	s_xor_b64 s[4:5], exec, -1
; %bb.25559:
	s_or_b64 exec, exec, s[8:9]
	s_and_b64 s[4:5], s[4:5], exec
                                        ; implicit-def: $vgpr3
	s_or_saveexec_b64 s[6:7], s[6:7]
	v_mov_b32_e32 v6, s10
	s_xor_b64 exec, exec, s[6:7]
	s_cbranch_execnz .LBB1_25560
; %bb.61397:
	s_getpc_b64 s[14:15]
.Lpost_getpc16362:
	s_add_u32 s14, s14, (.LBB1_11222-.Lpost_getpc16362)&4294967295
	s_addc_u32 s15, s15, (.LBB1_11222-.Lpost_getpc16362)>>32
	s_setpc_b64 s[14:15]
.LBB1_25560:
	v_cmp_ne_u16_e32 vcc, 0, v3
	s_andn2_b64 s[4:5], s[4:5], exec
	s_and_b64 s[8:9], vcc, exec
	v_mov_b32_e32 v6, 0
	s_or_b64 s[4:5], s[4:5], s[8:9]
	s_or_b64 exec, exec, s[6:7]
	s_and_saveexec_b64 s[6:7], s[4:5]
	s_cbranch_execz .LBB1_34283
; %bb.61399:
	s_getpc_b64 s[14:15]
.Lpost_getpc16363:
	s_add_u32 s14, s14, (.LBB1_11223-.Lpost_getpc16363)&4294967295
	s_addc_u32 s15, s15, (.LBB1_11223-.Lpost_getpc16363)>>32
	s_setpc_b64 s[14:15]
.LBB1_34283:
	s_getpc_b64 s[14:15]
.Lpost_getpc2805:
	s_add_u32 s14, s14, (.LBB1_11224-.Lpost_getpc2805)&4294967295
	s_addc_u32 s15, s15, (.LBB1_11224-.Lpost_getpc2805)>>32
	s_setpc_b64 s[14:15]
.LBB1_25561:
	s_movk_i32 s4, 0x80
	v_cmp_eq_u16_sdwa s[12:13], v8, s4 src0_sel:BYTE_3 src1_sel:DWORD
	s_mov_b64 s[4:5], -1
                                        ; implicit-def: $sgpr10
	s_and_saveexec_b64 s[8:9], s[12:13]
; %bb.25562:
	s_mov_b32 s10, 0x7f800001
	s_xor_b64 s[4:5], exec, -1
; %bb.25563:
	s_or_b64 exec, exec, s[8:9]
	s_and_b64 s[4:5], s[4:5], exec
	s_or_saveexec_b64 s[6:7], s[6:7]
	v_mov_b32_e32 v2, s10
	s_xor_b64 exec, exec, s[6:7]
	s_cbranch_execnz .LBB1_25564
; %bb.61401:
	s_getpc_b64 s[14:15]
.Lpost_getpc16364:
	s_add_u32 s14, s14, (.LBB1_11226-.Lpost_getpc16364)&4294967295
	s_addc_u32 s15, s15, (.LBB1_11226-.Lpost_getpc16364)>>32
	s_setpc_b64 s[14:15]
.LBB1_25564:
	v_mov_b32_e32 v2, 0
	v_cmp_ne_u16_sdwa s[8:9], v8, v2 src0_sel:BYTE_3 src1_sel:DWORD
	s_andn2_b64 s[4:5], s[4:5], exec
	s_and_b64 s[8:9], s[8:9], exec
	s_or_b64 s[4:5], s[4:5], s[8:9]
	s_or_b64 exec, exec, s[6:7]
	s_and_saveexec_b64 s[6:7], s[4:5]
	s_cbranch_execz .LBB1_34285
; %bb.61403:
	s_getpc_b64 s[14:15]
.Lpost_getpc16365:
	s_add_u32 s14, s14, (.LBB1_11227-.Lpost_getpc16365)&4294967295
	s_addc_u32 s15, s15, (.LBB1_11227-.Lpost_getpc16365)>>32
	s_setpc_b64 s[14:15]
.LBB1_34285:
	s_getpc_b64 s[14:15]
.Lpost_getpc2806:
	s_add_u32 s14, s14, (.LBB1_11228-.Lpost_getpc2806)&4294967295
	s_addc_u32 s15, s15, (.LBB1_11228-.Lpost_getpc2806)>>32
	s_setpc_b64 s[14:15]
.LBB1_25565:
	s_movk_i32 s4, 0x80
	v_cmp_eq_u16_sdwa s[12:13], v4, s4 src0_sel:BYTE_3 src1_sel:DWORD
	s_mov_b64 s[4:5], -1
                                        ; implicit-def: $sgpr10
	s_and_saveexec_b64 s[8:9], s[12:13]
; %bb.25566:
	s_mov_b32 s10, 0x7f800001
	s_xor_b64 s[4:5], exec, -1
; %bb.25567:
	s_or_b64 exec, exec, s[8:9]
	s_and_b64 s[4:5], s[4:5], exec
	s_or_saveexec_b64 s[6:7], s[6:7]
	v_mov_b32_e32 v3, s10
	s_xor_b64 exec, exec, s[6:7]
	s_cbranch_execnz .LBB1_25568
; %bb.61405:
	s_getpc_b64 s[14:15]
.Lpost_getpc16366:
	s_add_u32 s14, s14, (.LBB1_11230-.Lpost_getpc16366)&4294967295
	s_addc_u32 s15, s15, (.LBB1_11230-.Lpost_getpc16366)>>32
	s_setpc_b64 s[14:15]
.LBB1_25568:
	v_mov_b32_e32 v3, 0
	v_cmp_ne_u16_sdwa s[8:9], v4, v3 src0_sel:BYTE_3 src1_sel:DWORD
	s_andn2_b64 s[4:5], s[4:5], exec
	s_and_b64 s[8:9], s[8:9], exec
	s_or_b64 s[4:5], s[4:5], s[8:9]
	s_or_b64 exec, exec, s[6:7]
	s_and_saveexec_b64 s[6:7], s[4:5]
	s_cbranch_execz .LBB1_34287
; %bb.61407:
	s_getpc_b64 s[14:15]
.Lpost_getpc16367:
	s_add_u32 s14, s14, (.LBB1_11231-.Lpost_getpc16367)&4294967295
	s_addc_u32 s15, s15, (.LBB1_11231-.Lpost_getpc16367)>>32
	s_setpc_b64 s[14:15]
.LBB1_34287:
	s_getpc_b64 s[14:15]
.Lpost_getpc2807:
	s_add_u32 s14, s14, (.LBB1_11232-.Lpost_getpc2807)&4294967295
	s_addc_u32 s15, s15, (.LBB1_11232-.Lpost_getpc2807)>>32
	s_setpc_b64 s[14:15]
.LBB1_25569:
	s_movk_i32 s4, 0x80
	v_cmp_eq_u16_sdwa s[12:13], v9, s4 src0_sel:BYTE_0 src1_sel:DWORD
	s_mov_b64 s[4:5], -1
                                        ; implicit-def: $sgpr10
	s_and_saveexec_b64 s[8:9], s[12:13]
; %bb.25570:
	s_mov_b32 s10, 0x7f800001
	s_xor_b64 s[4:5], exec, -1
; %bb.25571:
	s_or_b64 exec, exec, s[8:9]
	s_and_b64 s[4:5], s[4:5], exec
	s_or_saveexec_b64 s[6:7], s[6:7]
	v_mov_b32_e32 v2, s10
	s_xor_b64 exec, exec, s[6:7]
	s_cbranch_execnz .LBB1_25572
; %bb.61409:
	s_getpc_b64 s[14:15]
.Lpost_getpc16368:
	s_add_u32 s14, s14, (.LBB1_11234-.Lpost_getpc16368)&4294967295
	s_addc_u32 s15, s15, (.LBB1_11234-.Lpost_getpc16368)>>32
	s_setpc_b64 s[14:15]
.LBB1_25572:
	v_mov_b32_e32 v2, 0
	v_cmp_ne_u16_sdwa s[8:9], v9, v2 src0_sel:BYTE_0 src1_sel:DWORD
	s_andn2_b64 s[4:5], s[4:5], exec
	s_and_b64 s[8:9], s[8:9], exec
	s_or_b64 s[4:5], s[4:5], s[8:9]
	s_or_b64 exec, exec, s[6:7]
	s_and_saveexec_b64 s[6:7], s[4:5]
	s_cbranch_execz .LBB1_34289
; %bb.61411:
	s_getpc_b64 s[14:15]
.Lpost_getpc16369:
	s_add_u32 s14, s14, (.LBB1_11235-.Lpost_getpc16369)&4294967295
	s_addc_u32 s15, s15, (.LBB1_11235-.Lpost_getpc16369)>>32
	s_setpc_b64 s[14:15]
.LBB1_34289:
	s_getpc_b64 s[14:15]
.Lpost_getpc2808:
	s_add_u32 s14, s14, (.LBB1_11236-.Lpost_getpc2808)&4294967295
	s_addc_u32 s15, s15, (.LBB1_11236-.Lpost_getpc2808)>>32
	s_setpc_b64 s[14:15]
.LBB1_25573:
	s_movk_i32 s4, 0x80
	v_cmp_eq_u16_sdwa s[12:13], v5, s4 src0_sel:BYTE_0 src1_sel:DWORD
	s_mov_b64 s[4:5], -1
                                        ; implicit-def: $sgpr10
	s_and_saveexec_b64 s[8:9], s[12:13]
; %bb.25574:
	s_mov_b32 s10, 0x7f800001
	s_xor_b64 s[4:5], exec, -1
; %bb.25575:
	s_or_b64 exec, exec, s[8:9]
	s_and_b64 s[4:5], s[4:5], exec
	s_or_saveexec_b64 s[6:7], s[6:7]
	v_mov_b32_e32 v3, s10
	s_xor_b64 exec, exec, s[6:7]
	s_cbranch_execnz .LBB1_25576
; %bb.61413:
	s_getpc_b64 s[14:15]
.Lpost_getpc16370:
	s_add_u32 s14, s14, (.LBB1_11238-.Lpost_getpc16370)&4294967295
	s_addc_u32 s15, s15, (.LBB1_11238-.Lpost_getpc16370)>>32
	s_setpc_b64 s[14:15]
.LBB1_25576:
	v_mov_b32_e32 v3, 0
	v_cmp_ne_u16_sdwa s[8:9], v5, v3 src0_sel:BYTE_0 src1_sel:DWORD
	s_andn2_b64 s[4:5], s[4:5], exec
	s_and_b64 s[8:9], s[8:9], exec
	s_or_b64 s[4:5], s[4:5], s[8:9]
	s_or_b64 exec, exec, s[6:7]
	s_and_saveexec_b64 s[6:7], s[4:5]
	s_cbranch_execz .LBB1_34291
; %bb.61415:
	s_getpc_b64 s[14:15]
.Lpost_getpc16371:
	s_add_u32 s14, s14, (.LBB1_11239-.Lpost_getpc16371)&4294967295
	s_addc_u32 s15, s15, (.LBB1_11239-.Lpost_getpc16371)>>32
	s_setpc_b64 s[14:15]
.LBB1_34291:
	s_getpc_b64 s[14:15]
.Lpost_getpc2809:
	s_add_u32 s14, s14, (.LBB1_11240-.Lpost_getpc2809)&4294967295
	s_addc_u32 s15, s15, (.LBB1_11240-.Lpost_getpc2809)>>32
	s_setpc_b64 s[14:15]
.LBB1_25577:
	s_movk_i32 s4, 0x80
	v_cmp_eq_u16_sdwa s[12:13], v3, s4 src0_sel:BYTE_0 src1_sel:DWORD
	s_mov_b64 s[4:5], -1
                                        ; implicit-def: $sgpr10
	s_and_saveexec_b64 s[8:9], s[12:13]
; %bb.25578:
	s_mov_b32 s10, 0x7f800001
	s_xor_b64 s[4:5], exec, -1
; %bb.25579:
	s_or_b64 exec, exec, s[8:9]
	s_and_b64 s[4:5], s[4:5], exec
	s_or_saveexec_b64 s[6:7], s[6:7]
	v_mov_b32_e32 v2, s10
	s_xor_b64 exec, exec, s[6:7]
	s_cbranch_execnz .LBB1_25580
; %bb.61417:
	s_getpc_b64 s[14:15]
.Lpost_getpc16372:
	s_add_u32 s14, s14, (.LBB1_11242-.Lpost_getpc16372)&4294967295
	s_addc_u32 s15, s15, (.LBB1_11242-.Lpost_getpc16372)>>32
	s_setpc_b64 s[14:15]
.LBB1_25580:
	v_mov_b32_e32 v2, 0
	v_cmp_ne_u16_sdwa s[8:9], v3, v2 src0_sel:BYTE_0 src1_sel:DWORD
	s_andn2_b64 s[4:5], s[4:5], exec
	s_and_b64 s[8:9], s[8:9], exec
	s_or_b64 s[4:5], s[4:5], s[8:9]
	s_or_b64 exec, exec, s[6:7]
	s_and_saveexec_b64 s[6:7], s[4:5]
	s_cbranch_execz .LBB1_34293
; %bb.61419:
	s_getpc_b64 s[14:15]
.Lpost_getpc16373:
	s_add_u32 s14, s14, (.LBB1_11243-.Lpost_getpc16373)&4294967295
	s_addc_u32 s15, s15, (.LBB1_11243-.Lpost_getpc16373)>>32
	s_setpc_b64 s[14:15]
.LBB1_34293:
	s_getpc_b64 s[14:15]
.Lpost_getpc2810:
	s_add_u32 s14, s14, (.LBB1_11244-.Lpost_getpc2810)&4294967295
	s_addc_u32 s15, s15, (.LBB1_11244-.Lpost_getpc2810)>>32
	s_setpc_b64 s[14:15]
.LBB1_25581:
	s_movk_i32 s4, 0x80
	v_cmp_eq_u16_sdwa s[12:13], v3, s4 src0_sel:BYTE_0 src1_sel:DWORD
	s_mov_b64 s[4:5], -1
                                        ; implicit-def: $sgpr10
	s_and_saveexec_b64 s[8:9], s[12:13]
; %bb.25582:
	s_mov_b32 s10, 0x7f800001
	s_xor_b64 s[4:5], exec, -1
; %bb.25583:
	s_or_b64 exec, exec, s[8:9]
	s_and_b64 s[4:5], s[4:5], exec
	s_or_saveexec_b64 s[6:7], s[6:7]
	v_mov_b32_e32 v4, s10
	s_xor_b64 exec, exec, s[6:7]
	s_cbranch_execnz .LBB1_25584
; %bb.61421:
	s_getpc_b64 s[14:15]
.Lpost_getpc16374:
	s_add_u32 s14, s14, (.LBB1_11246-.Lpost_getpc16374)&4294967295
	s_addc_u32 s15, s15, (.LBB1_11246-.Lpost_getpc16374)>>32
	s_setpc_b64 s[14:15]
.LBB1_25584:
	v_mov_b32_e32 v4, 0
	v_cmp_ne_u16_sdwa s[8:9], v3, v4 src0_sel:BYTE_0 src1_sel:DWORD
	s_andn2_b64 s[4:5], s[4:5], exec
	s_and_b64 s[8:9], s[8:9], exec
	s_or_b64 s[4:5], s[4:5], s[8:9]
	s_or_b64 exec, exec, s[6:7]
	s_and_saveexec_b64 s[6:7], s[4:5]
	s_cbranch_execz .LBB1_34295
; %bb.61423:
	s_getpc_b64 s[14:15]
.Lpost_getpc16375:
	s_add_u32 s14, s14, (.LBB1_11247-.Lpost_getpc16375)&4294967295
	s_addc_u32 s15, s15, (.LBB1_11247-.Lpost_getpc16375)>>32
	s_setpc_b64 s[14:15]
.LBB1_34295:
	s_getpc_b64 s[14:15]
.Lpost_getpc2811:
	s_add_u32 s14, s14, (.LBB1_11248-.Lpost_getpc2811)&4294967295
	s_addc_u32 s15, s15, (.LBB1_11248-.Lpost_getpc2811)>>32
	s_setpc_b64 s[14:15]
.LBB1_25585:
	s_movk_i32 s4, 0x80
	v_cmp_eq_u16_e32 vcc, s4, v3
	s_mov_b64 s[4:5], -1
                                        ; implicit-def: $sgpr10
	s_and_saveexec_b64 s[8:9], vcc
; %bb.25586:
	s_mov_b32 s10, 0x7f800001
	s_xor_b64 s[4:5], exec, -1
; %bb.25587:
	s_or_b64 exec, exec, s[8:9]
	s_and_b64 s[4:5], s[4:5], exec
                                        ; implicit-def: $vgpr3
	s_or_saveexec_b64 s[6:7], s[6:7]
	v_mov_b32_e32 v2, s10
	s_xor_b64 exec, exec, s[6:7]
	s_cbranch_execnz .LBB1_25588
; %bb.61425:
	s_getpc_b64 s[14:15]
.Lpost_getpc16376:
	s_add_u32 s14, s14, (.LBB1_11250-.Lpost_getpc16376)&4294967295
	s_addc_u32 s15, s15, (.LBB1_11250-.Lpost_getpc16376)>>32
	s_setpc_b64 s[14:15]
.LBB1_25588:
	v_cmp_ne_u16_e32 vcc, 0, v3
	s_andn2_b64 s[4:5], s[4:5], exec
	s_and_b64 s[8:9], vcc, exec
	v_mov_b32_e32 v2, 0
	s_or_b64 s[4:5], s[4:5], s[8:9]
	s_or_b64 exec, exec, s[6:7]
	s_and_saveexec_b64 s[6:7], s[4:5]
	s_cbranch_execz .LBB1_34297
; %bb.61427:
	s_getpc_b64 s[14:15]
.Lpost_getpc16377:
	s_add_u32 s14, s14, (.LBB1_11251-.Lpost_getpc16377)&4294967295
	s_addc_u32 s15, s15, (.LBB1_11251-.Lpost_getpc16377)>>32
	s_setpc_b64 s[14:15]
.LBB1_34297:
	s_getpc_b64 s[14:15]
.Lpost_getpc2812:
	s_add_u32 s14, s14, (.LBB1_11252-.Lpost_getpc2812)&4294967295
	s_addc_u32 s15, s15, (.LBB1_11252-.Lpost_getpc2812)>>32
	s_setpc_b64 s[14:15]
.LBB1_25589:
	s_movk_i32 s4, 0x80
	v_cmp_eq_u16_e32 vcc, s4, v3
	s_mov_b64 s[4:5], -1
                                        ; implicit-def: $sgpr10
	s_and_saveexec_b64 s[8:9], vcc
; %bb.25590:
	s_mov_b32 s10, 0x7f800001
	s_xor_b64 s[4:5], exec, -1
; %bb.25591:
	s_or_b64 exec, exec, s[8:9]
	s_and_b64 s[4:5], s[4:5], exec
                                        ; implicit-def: $vgpr3
	s_or_saveexec_b64 s[6:7], s[6:7]
	v_mov_b32_e32 v4, s10
	s_xor_b64 exec, exec, s[6:7]
	s_cbranch_execnz .LBB1_25592
; %bb.61429:
	s_getpc_b64 s[14:15]
.Lpost_getpc16378:
	s_add_u32 s14, s14, (.LBB1_11254-.Lpost_getpc16378)&4294967295
	s_addc_u32 s15, s15, (.LBB1_11254-.Lpost_getpc16378)>>32
	s_setpc_b64 s[14:15]
.LBB1_25592:
	v_cmp_ne_u16_e32 vcc, 0, v3
	s_andn2_b64 s[4:5], s[4:5], exec
	s_and_b64 s[8:9], vcc, exec
	v_mov_b32_e32 v4, 0
	s_or_b64 s[4:5], s[4:5], s[8:9]
	s_or_b64 exec, exec, s[6:7]
	s_and_saveexec_b64 s[6:7], s[4:5]
	s_cbranch_execz .LBB1_34299
; %bb.61431:
	s_getpc_b64 s[14:15]
.Lpost_getpc16379:
	s_add_u32 s14, s14, (.LBB1_11255-.Lpost_getpc16379)&4294967295
	s_addc_u32 s15, s15, (.LBB1_11255-.Lpost_getpc16379)>>32
	s_setpc_b64 s[14:15]
.LBB1_34299:
	s_getpc_b64 s[14:15]
.Lpost_getpc2813:
	s_add_u32 s14, s14, (.LBB1_11256-.Lpost_getpc2813)&4294967295
	s_addc_u32 s15, s15, (.LBB1_11256-.Lpost_getpc2813)>>32
	s_setpc_b64 s[14:15]
.LBB1_25593:
	s_movk_i32 s4, 0x80
	v_cmp_eq_u16_sdwa s[12:13], v9, s4 src0_sel:BYTE_3 src1_sel:DWORD
	s_mov_b64 s[4:5], -1
                                        ; implicit-def: $sgpr10
	s_and_saveexec_b64 s[8:9], s[12:13]
; %bb.25594:
	s_mov_b32 s10, 0x7f800001
	s_xor_b64 s[4:5], exec, -1
; %bb.25595:
	s_or_b64 exec, exec, s[8:9]
	s_and_b64 s[4:5], s[4:5], exec
	s_or_saveexec_b64 s[6:7], s[6:7]
	v_mov_b32_e32 v2, s10
	s_xor_b64 exec, exec, s[6:7]
	s_cbranch_execnz .LBB1_25596
; %bb.61433:
	s_getpc_b64 s[14:15]
.Lpost_getpc16380:
	s_add_u32 s14, s14, (.LBB1_11258-.Lpost_getpc16380)&4294967295
	s_addc_u32 s15, s15, (.LBB1_11258-.Lpost_getpc16380)>>32
	s_setpc_b64 s[14:15]
.LBB1_25596:
	v_mov_b32_e32 v2, 0
	v_cmp_ne_u16_sdwa s[8:9], v9, v2 src0_sel:BYTE_3 src1_sel:DWORD
	s_andn2_b64 s[4:5], s[4:5], exec
	s_and_b64 s[8:9], s[8:9], exec
	s_or_b64 s[4:5], s[4:5], s[8:9]
	s_or_b64 exec, exec, s[6:7]
	s_and_saveexec_b64 s[6:7], s[4:5]
	s_cbranch_execz .LBB1_34301
; %bb.61435:
	s_getpc_b64 s[14:15]
.Lpost_getpc16381:
	s_add_u32 s14, s14, (.LBB1_11259-.Lpost_getpc16381)&4294967295
	s_addc_u32 s15, s15, (.LBB1_11259-.Lpost_getpc16381)>>32
	s_setpc_b64 s[14:15]
.LBB1_34301:
	s_getpc_b64 s[14:15]
.Lpost_getpc2814:
	s_add_u32 s14, s14, (.LBB1_11260-.Lpost_getpc2814)&4294967295
	s_addc_u32 s15, s15, (.LBB1_11260-.Lpost_getpc2814)>>32
	s_setpc_b64 s[14:15]
.LBB1_25597:
	s_movk_i32 s4, 0x80
	v_cmp_eq_u16_sdwa s[12:13], v5, s4 src0_sel:BYTE_3 src1_sel:DWORD
	s_mov_b64 s[4:5], -1
                                        ; implicit-def: $sgpr10
	s_and_saveexec_b64 s[8:9], s[12:13]
; %bb.25598:
	s_mov_b32 s10, 0x7f800001
	s_xor_b64 s[4:5], exec, -1
; %bb.25599:
	s_or_b64 exec, exec, s[8:9]
	s_and_b64 s[4:5], s[4:5], exec
	s_or_saveexec_b64 s[6:7], s[6:7]
	v_mov_b32_e32 v3, s10
	s_xor_b64 exec, exec, s[6:7]
	s_cbranch_execnz .LBB1_25600
; %bb.61437:
	s_getpc_b64 s[14:15]
.Lpost_getpc16382:
	s_add_u32 s14, s14, (.LBB1_11262-.Lpost_getpc16382)&4294967295
	s_addc_u32 s15, s15, (.LBB1_11262-.Lpost_getpc16382)>>32
	s_setpc_b64 s[14:15]
.LBB1_25600:
	v_mov_b32_e32 v3, 0
	v_cmp_ne_u16_sdwa s[8:9], v5, v3 src0_sel:BYTE_3 src1_sel:DWORD
	s_andn2_b64 s[4:5], s[4:5], exec
	s_and_b64 s[8:9], s[8:9], exec
	s_or_b64 s[4:5], s[4:5], s[8:9]
	s_or_b64 exec, exec, s[6:7]
	s_and_saveexec_b64 s[6:7], s[4:5]
	s_cbranch_execz .LBB1_34303
; %bb.61439:
	s_getpc_b64 s[14:15]
.Lpost_getpc16383:
	s_add_u32 s14, s14, (.LBB1_11263-.Lpost_getpc16383)&4294967295
	s_addc_u32 s15, s15, (.LBB1_11263-.Lpost_getpc16383)>>32
	s_setpc_b64 s[14:15]
.LBB1_34303:
	s_getpc_b64 s[14:15]
.Lpost_getpc2815:
	s_add_u32 s14, s14, (.LBB1_11264-.Lpost_getpc2815)&4294967295
	s_addc_u32 s15, s15, (.LBB1_11264-.Lpost_getpc2815)>>32
	s_setpc_b64 s[14:15]
.LBB1_25601:
	s_movk_i32 s4, 0x80
	v_cmp_eq_u16_sdwa s[12:13], v6, s4 src0_sel:BYTE_0 src1_sel:DWORD
	s_mov_b64 s[4:5], -1
                                        ; implicit-def: $sgpr10
	s_and_saveexec_b64 s[8:9], s[12:13]
; %bb.25602:
	s_mov_b32 s10, 0x7f800001
	s_xor_b64 s[4:5], exec, -1
; %bb.25603:
	s_or_b64 exec, exec, s[8:9]
	s_and_b64 s[4:5], s[4:5], exec
	s_or_saveexec_b64 s[6:7], s[6:7]
	v_mov_b32_e32 v12, s10
	s_xor_b64 exec, exec, s[6:7]
	s_cbranch_execnz .LBB1_25604
; %bb.61441:
	s_getpc_b64 s[14:15]
.Lpost_getpc16384:
	s_add_u32 s14, s14, (.LBB1_11266-.Lpost_getpc16384)&4294967295
	s_addc_u32 s15, s15, (.LBB1_11266-.Lpost_getpc16384)>>32
	s_setpc_b64 s[14:15]
.LBB1_25604:
	v_mov_b32_e32 v12, 0
	v_cmp_ne_u16_sdwa s[8:9], v6, v12 src0_sel:BYTE_0 src1_sel:DWORD
	s_andn2_b64 s[4:5], s[4:5], exec
	s_and_b64 s[8:9], s[8:9], exec
	s_or_b64 s[4:5], s[4:5], s[8:9]
	s_or_b64 exec, exec, s[6:7]
	s_and_saveexec_b64 s[6:7], s[4:5]
	s_cbranch_execz .LBB1_34305
; %bb.61443:
	s_getpc_b64 s[14:15]
.Lpost_getpc16385:
	s_add_u32 s14, s14, (.LBB1_11267-.Lpost_getpc16385)&4294967295
	s_addc_u32 s15, s15, (.LBB1_11267-.Lpost_getpc16385)>>32
	s_setpc_b64 s[14:15]
.LBB1_34305:
	s_getpc_b64 s[14:15]
.Lpost_getpc2816:
	s_add_u32 s14, s14, (.LBB1_11268-.Lpost_getpc2816)&4294967295
	s_addc_u32 s15, s15, (.LBB1_11268-.Lpost_getpc2816)>>32
	s_setpc_b64 s[14:15]
.LBB1_25605:
	s_movk_i32 s4, 0x80
	v_cmp_eq_u16_sdwa s[12:13], v2, s4 src0_sel:BYTE_0 src1_sel:DWORD
	s_mov_b64 s[4:5], -1
                                        ; implicit-def: $sgpr10
	s_and_saveexec_b64 s[8:9], s[12:13]
; %bb.25606:
	s_mov_b32 s10, 0x7f800001
	s_xor_b64 s[4:5], exec, -1
; %bb.25607:
	s_or_b64 exec, exec, s[8:9]
	s_and_b64 s[4:5], s[4:5], exec
	s_or_saveexec_b64 s[6:7], s[6:7]
	v_mov_b32_e32 v13, s10
	s_xor_b64 exec, exec, s[6:7]
	s_cbranch_execnz .LBB1_25608
; %bb.61445:
	s_getpc_b64 s[14:15]
.Lpost_getpc16386:
	s_add_u32 s14, s14, (.LBB1_11270-.Lpost_getpc16386)&4294967295
	s_addc_u32 s15, s15, (.LBB1_11270-.Lpost_getpc16386)>>32
	s_setpc_b64 s[14:15]
.LBB1_25608:
	v_mov_b32_e32 v13, 0
	v_cmp_ne_u16_sdwa s[8:9], v2, v13 src0_sel:BYTE_0 src1_sel:DWORD
	s_andn2_b64 s[4:5], s[4:5], exec
	s_and_b64 s[8:9], s[8:9], exec
	s_or_b64 s[4:5], s[4:5], s[8:9]
	s_or_b64 exec, exec, s[6:7]
	s_and_saveexec_b64 s[6:7], s[4:5]
	s_cbranch_execz .LBB1_34307
; %bb.61447:
	s_getpc_b64 s[14:15]
.Lpost_getpc16387:
	s_add_u32 s14, s14, (.LBB1_11271-.Lpost_getpc16387)&4294967295
	s_addc_u32 s15, s15, (.LBB1_11271-.Lpost_getpc16387)>>32
	s_setpc_b64 s[14:15]
.LBB1_34307:
	s_getpc_b64 s[14:15]
.Lpost_getpc2817:
	s_add_u32 s14, s14, (.LBB1_11272-.Lpost_getpc2817)&4294967295
	s_addc_u32 s15, s15, (.LBB1_11272-.Lpost_getpc2817)>>32
	s_setpc_b64 s[14:15]
.LBB1_25609:
	s_movk_i32 s4, 0x80
	v_cmp_eq_u16_sdwa s[12:13], v13, s4 src0_sel:BYTE_0 src1_sel:DWORD
	s_mov_b64 s[4:5], -1
                                        ; implicit-def: $sgpr10
	s_and_saveexec_b64 s[8:9], s[12:13]
; %bb.25610:
	s_mov_b32 s10, 0x7f800001
	s_xor_b64 s[4:5], exec, -1
; %bb.25611:
	s_or_b64 exec, exec, s[8:9]
	s_and_b64 s[4:5], s[4:5], exec
	s_or_saveexec_b64 s[6:7], s[6:7]
	v_mov_b32_e32 v12, s10
	s_xor_b64 exec, exec, s[6:7]
	s_cbranch_execnz .LBB1_25612
; %bb.61449:
	s_getpc_b64 s[14:15]
.Lpost_getpc16388:
	s_add_u32 s14, s14, (.LBB1_11274-.Lpost_getpc16388)&4294967295
	s_addc_u32 s15, s15, (.LBB1_11274-.Lpost_getpc16388)>>32
	s_setpc_b64 s[14:15]
.LBB1_25612:
	v_mov_b32_e32 v12, 0
	v_cmp_ne_u16_sdwa s[8:9], v13, v12 src0_sel:BYTE_0 src1_sel:DWORD
	s_andn2_b64 s[4:5], s[4:5], exec
	s_and_b64 s[8:9], s[8:9], exec
	s_or_b64 s[4:5], s[4:5], s[8:9]
	s_or_b64 exec, exec, s[6:7]
	s_and_saveexec_b64 s[6:7], s[4:5]
	s_cbranch_execz .LBB1_34309
; %bb.61451:
	s_getpc_b64 s[14:15]
.Lpost_getpc16389:
	s_add_u32 s14, s14, (.LBB1_11275-.Lpost_getpc16389)&4294967295
	s_addc_u32 s15, s15, (.LBB1_11275-.Lpost_getpc16389)>>32
	s_setpc_b64 s[14:15]
.LBB1_34309:
	s_getpc_b64 s[14:15]
.Lpost_getpc2818:
	s_add_u32 s14, s14, (.LBB1_11276-.Lpost_getpc2818)&4294967295
	s_addc_u32 s15, s15, (.LBB1_11276-.Lpost_getpc2818)>>32
	s_setpc_b64 s[14:15]
.LBB1_25613:
	s_movk_i32 s4, 0x80
	v_cmp_eq_u16_sdwa s[12:13], v13, s4 src0_sel:BYTE_0 src1_sel:DWORD
	s_mov_b64 s[4:5], -1
                                        ; implicit-def: $sgpr10
	s_and_saveexec_b64 s[8:9], s[12:13]
; %bb.25614:
	s_mov_b32 s10, 0x7f800001
	s_xor_b64 s[4:5], exec, -1
; %bb.25615:
	s_or_b64 exec, exec, s[8:9]
	s_and_b64 s[4:5], s[4:5], exec
	s_or_saveexec_b64 s[6:7], s[6:7]
	v_mov_b32_e32 v14, s10
	s_xor_b64 exec, exec, s[6:7]
	s_cbranch_execnz .LBB1_25616
; %bb.61453:
	s_getpc_b64 s[14:15]
.Lpost_getpc16390:
	s_add_u32 s14, s14, (.LBB1_11278-.Lpost_getpc16390)&4294967295
	s_addc_u32 s15, s15, (.LBB1_11278-.Lpost_getpc16390)>>32
	s_setpc_b64 s[14:15]
.LBB1_25616:
	v_mov_b32_e32 v14, 0
	v_cmp_ne_u16_sdwa s[8:9], v13, v14 src0_sel:BYTE_0 src1_sel:DWORD
	s_andn2_b64 s[4:5], s[4:5], exec
	s_and_b64 s[8:9], s[8:9], exec
	s_or_b64 s[4:5], s[4:5], s[8:9]
	s_or_b64 exec, exec, s[6:7]
	s_and_saveexec_b64 s[6:7], s[4:5]
	s_cbranch_execz .LBB1_34311
; %bb.61455:
	s_getpc_b64 s[14:15]
.Lpost_getpc16391:
	s_add_u32 s14, s14, (.LBB1_11279-.Lpost_getpc16391)&4294967295
	s_addc_u32 s15, s15, (.LBB1_11279-.Lpost_getpc16391)>>32
	s_setpc_b64 s[14:15]
.LBB1_34311:
	s_getpc_b64 s[14:15]
.Lpost_getpc2819:
	s_add_u32 s14, s14, (.LBB1_11280-.Lpost_getpc2819)&4294967295
	s_addc_u32 s15, s15, (.LBB1_11280-.Lpost_getpc2819)>>32
	s_setpc_b64 s[14:15]
.LBB1_25617:
	s_movk_i32 s4, 0x80
	v_cmp_eq_u16_e32 vcc, s4, v13
	s_mov_b64 s[4:5], -1
                                        ; implicit-def: $sgpr10
	s_and_saveexec_b64 s[8:9], vcc
; %bb.25618:
	s_mov_b32 s10, 0x7f800001
	s_xor_b64 s[4:5], exec, -1
; %bb.25619:
	s_or_b64 exec, exec, s[8:9]
	s_and_b64 s[4:5], s[4:5], exec
                                        ; implicit-def: $vgpr13
	s_or_saveexec_b64 s[6:7], s[6:7]
	v_mov_b32_e32 v12, s10
	s_xor_b64 exec, exec, s[6:7]
	s_cbranch_execnz .LBB1_25620
; %bb.61457:
	s_getpc_b64 s[14:15]
.Lpost_getpc16392:
	s_add_u32 s14, s14, (.LBB1_11282-.Lpost_getpc16392)&4294967295
	s_addc_u32 s15, s15, (.LBB1_11282-.Lpost_getpc16392)>>32
	s_setpc_b64 s[14:15]
.LBB1_25620:
	v_cmp_ne_u16_e32 vcc, 0, v13
	s_andn2_b64 s[4:5], s[4:5], exec
	s_and_b64 s[8:9], vcc, exec
	v_mov_b32_e32 v12, 0
	s_or_b64 s[4:5], s[4:5], s[8:9]
	s_or_b64 exec, exec, s[6:7]
	s_and_saveexec_b64 s[6:7], s[4:5]
	s_cbranch_execz .LBB1_34313
; %bb.61459:
	s_getpc_b64 s[14:15]
.Lpost_getpc16393:
	s_add_u32 s14, s14, (.LBB1_11283-.Lpost_getpc16393)&4294967295
	s_addc_u32 s15, s15, (.LBB1_11283-.Lpost_getpc16393)>>32
	s_setpc_b64 s[14:15]
.LBB1_34313:
	s_getpc_b64 s[14:15]
.Lpost_getpc2820:
	s_add_u32 s14, s14, (.LBB1_11284-.Lpost_getpc2820)&4294967295
	s_addc_u32 s15, s15, (.LBB1_11284-.Lpost_getpc2820)>>32
	s_setpc_b64 s[14:15]
.LBB1_25621:
	s_movk_i32 s4, 0x80
	v_cmp_eq_u16_e32 vcc, s4, v13
	s_mov_b64 s[4:5], -1
                                        ; implicit-def: $sgpr10
	s_and_saveexec_b64 s[8:9], vcc
; %bb.25622:
	s_mov_b32 s10, 0x7f800001
	s_xor_b64 s[4:5], exec, -1
; %bb.25623:
	s_or_b64 exec, exec, s[8:9]
	s_and_b64 s[4:5], s[4:5], exec
                                        ; implicit-def: $vgpr13
	s_or_saveexec_b64 s[6:7], s[6:7]
	v_mov_b32_e32 v14, s10
	s_xor_b64 exec, exec, s[6:7]
	s_cbranch_execnz .LBB1_25624
; %bb.61461:
	s_getpc_b64 s[14:15]
.Lpost_getpc16394:
	s_add_u32 s14, s14, (.LBB1_11286-.Lpost_getpc16394)&4294967295
	s_addc_u32 s15, s15, (.LBB1_11286-.Lpost_getpc16394)>>32
	s_setpc_b64 s[14:15]
.LBB1_25624:
	v_cmp_ne_u16_e32 vcc, 0, v13
	s_andn2_b64 s[4:5], s[4:5], exec
	s_and_b64 s[8:9], vcc, exec
	v_mov_b32_e32 v14, 0
	s_or_b64 s[4:5], s[4:5], s[8:9]
	s_or_b64 exec, exec, s[6:7]
	s_and_saveexec_b64 s[6:7], s[4:5]
	s_cbranch_execz .LBB1_34315
; %bb.61463:
	s_getpc_b64 s[14:15]
.Lpost_getpc16395:
	s_add_u32 s14, s14, (.LBB1_11287-.Lpost_getpc16395)&4294967295
	s_addc_u32 s15, s15, (.LBB1_11287-.Lpost_getpc16395)>>32
	s_setpc_b64 s[14:15]
.LBB1_34315:
	s_getpc_b64 s[14:15]
.Lpost_getpc2821:
	s_add_u32 s14, s14, (.LBB1_11288-.Lpost_getpc2821)&4294967295
	s_addc_u32 s15, s15, (.LBB1_11288-.Lpost_getpc2821)>>32
	s_setpc_b64 s[14:15]
.LBB1_25625:
	s_movk_i32 s4, 0x80
	v_cmp_eq_u16_sdwa s[12:13], v6, s4 src0_sel:BYTE_3 src1_sel:DWORD
	s_mov_b64 s[4:5], -1
                                        ; implicit-def: $sgpr10
	s_and_saveexec_b64 s[8:9], s[12:13]
; %bb.25626:
	s_mov_b32 s10, 0x7f800001
	s_xor_b64 s[4:5], exec, -1
; %bb.25627:
	s_or_b64 exec, exec, s[8:9]
	s_and_b64 s[4:5], s[4:5], exec
	s_or_saveexec_b64 s[6:7], s[6:7]
	v_mov_b32_e32 v12, s10
	s_xor_b64 exec, exec, s[6:7]
	s_cbranch_execnz .LBB1_25628
; %bb.61465:
	s_getpc_b64 s[14:15]
.Lpost_getpc16396:
	s_add_u32 s14, s14, (.LBB1_11290-.Lpost_getpc16396)&4294967295
	s_addc_u32 s15, s15, (.LBB1_11290-.Lpost_getpc16396)>>32
	s_setpc_b64 s[14:15]
.LBB1_25628:
	v_mov_b32_e32 v12, 0
	v_cmp_ne_u16_sdwa s[8:9], v6, v12 src0_sel:BYTE_3 src1_sel:DWORD
	s_andn2_b64 s[4:5], s[4:5], exec
	s_and_b64 s[8:9], s[8:9], exec
	s_or_b64 s[4:5], s[4:5], s[8:9]
	s_or_b64 exec, exec, s[6:7]
	s_and_saveexec_b64 s[6:7], s[4:5]
	s_cbranch_execz .LBB1_34317
; %bb.61467:
	s_getpc_b64 s[14:15]
.Lpost_getpc16397:
	s_add_u32 s14, s14, (.LBB1_11291-.Lpost_getpc16397)&4294967295
	s_addc_u32 s15, s15, (.LBB1_11291-.Lpost_getpc16397)>>32
	s_setpc_b64 s[14:15]
.LBB1_34317:
	s_getpc_b64 s[14:15]
.Lpost_getpc2822:
	s_add_u32 s14, s14, (.LBB1_11292-.Lpost_getpc2822)&4294967295
	s_addc_u32 s15, s15, (.LBB1_11292-.Lpost_getpc2822)>>32
	s_setpc_b64 s[14:15]
.LBB1_25629:
	s_movk_i32 s4, 0x80
	v_cmp_eq_u16_sdwa s[12:13], v2, s4 src0_sel:BYTE_3 src1_sel:DWORD
	s_mov_b64 s[4:5], -1
                                        ; implicit-def: $sgpr10
	s_and_saveexec_b64 s[8:9], s[12:13]
; %bb.25630:
	s_mov_b32 s10, 0x7f800001
	s_xor_b64 s[4:5], exec, -1
; %bb.25631:
	s_or_b64 exec, exec, s[8:9]
	s_and_b64 s[4:5], s[4:5], exec
	s_or_saveexec_b64 s[6:7], s[6:7]
	v_mov_b32_e32 v6, s10
	s_xor_b64 exec, exec, s[6:7]
	s_cbranch_execnz .LBB1_25632
; %bb.61469:
	s_getpc_b64 s[14:15]
.Lpost_getpc16398:
	s_add_u32 s14, s14, (.LBB1_11294-.Lpost_getpc16398)&4294967295
	s_addc_u32 s15, s15, (.LBB1_11294-.Lpost_getpc16398)>>32
	s_setpc_b64 s[14:15]
.LBB1_25632:
	v_mov_b32_e32 v6, 0
	v_cmp_ne_u16_sdwa s[8:9], v2, v6 src0_sel:BYTE_3 src1_sel:DWORD
	s_andn2_b64 s[4:5], s[4:5], exec
	s_and_b64 s[8:9], s[8:9], exec
	s_or_b64 s[4:5], s[4:5], s[8:9]
	s_or_b64 exec, exec, s[6:7]
	s_and_saveexec_b64 s[6:7], s[4:5]
	s_cbranch_execz .LBB1_34319
; %bb.61471:
	s_getpc_b64 s[14:15]
.Lpost_getpc16399:
	s_add_u32 s14, s14, (.LBB1_11295-.Lpost_getpc16399)&4294967295
	s_addc_u32 s15, s15, (.LBB1_11295-.Lpost_getpc16399)>>32
	s_setpc_b64 s[14:15]
.LBB1_34319:
	s_getpc_b64 s[14:15]
.Lpost_getpc2823:
	s_add_u32 s14, s14, (.LBB1_11296-.Lpost_getpc2823)&4294967295
	s_addc_u32 s15, s15, (.LBB1_11296-.Lpost_getpc2823)>>32
	s_setpc_b64 s[14:15]
.LBB1_25633:
	s_movk_i32 s4, 0x80
	v_cmp_eq_u16_sdwa s[12:13], v7, s4 src0_sel:BYTE_0 src1_sel:DWORD
	s_mov_b64 s[4:5], -1
                                        ; implicit-def: $sgpr10
	s_and_saveexec_b64 s[8:9], s[12:13]
; %bb.25634:
	s_mov_b32 s10, 0x7f800001
	s_xor_b64 s[4:5], exec, -1
; %bb.25635:
	s_or_b64 exec, exec, s[8:9]
	s_and_b64 s[4:5], s[4:5], exec
	s_or_saveexec_b64 s[6:7], s[6:7]
	v_mov_b32_e32 v2, s10
	s_xor_b64 exec, exec, s[6:7]
	s_cbranch_execnz .LBB1_25636
; %bb.61473:
	s_getpc_b64 s[14:15]
.Lpost_getpc16400:
	s_add_u32 s14, s14, (.LBB1_11298-.Lpost_getpc16400)&4294967295
	s_addc_u32 s15, s15, (.LBB1_11298-.Lpost_getpc16400)>>32
	s_setpc_b64 s[14:15]
.LBB1_25636:
	v_mov_b32_e32 v2, 0
	v_cmp_ne_u16_sdwa s[8:9], v7, v2 src0_sel:BYTE_0 src1_sel:DWORD
	s_andn2_b64 s[4:5], s[4:5], exec
	s_and_b64 s[8:9], s[8:9], exec
	s_or_b64 s[4:5], s[4:5], s[8:9]
	s_or_b64 exec, exec, s[6:7]
	s_and_saveexec_b64 s[6:7], s[4:5]
	s_cbranch_execz .LBB1_34321
; %bb.61475:
	s_getpc_b64 s[14:15]
.Lpost_getpc16401:
	s_add_u32 s14, s14, (.LBB1_11299-.Lpost_getpc16401)&4294967295
	s_addc_u32 s15, s15, (.LBB1_11299-.Lpost_getpc16401)>>32
	s_setpc_b64 s[14:15]
.LBB1_34321:
	s_getpc_b64 s[14:15]
.Lpost_getpc2824:
	s_add_u32 s14, s14, (.LBB1_11300-.Lpost_getpc2824)&4294967295
	s_addc_u32 s15, s15, (.LBB1_11300-.Lpost_getpc2824)>>32
	s_setpc_b64 s[14:15]
.LBB1_25637:
	s_movk_i32 s4, 0x80
	v_cmp_eq_u16_sdwa s[12:13], v3, s4 src0_sel:BYTE_0 src1_sel:DWORD
	s_mov_b64 s[4:5], -1
                                        ; implicit-def: $sgpr10
	s_and_saveexec_b64 s[8:9], s[12:13]
; %bb.25638:
	s_mov_b32 s10, 0x7f800001
	s_xor_b64 s[4:5], exec, -1
; %bb.25639:
	s_or_b64 exec, exec, s[8:9]
	s_and_b64 s[4:5], s[4:5], exec
	s_or_saveexec_b64 s[6:7], s[6:7]
	v_mov_b32_e32 v6, s10
	s_xor_b64 exec, exec, s[6:7]
	s_cbranch_execnz .LBB1_25640
; %bb.61477:
	s_getpc_b64 s[14:15]
.Lpost_getpc16402:
	s_add_u32 s14, s14, (.LBB1_11302-.Lpost_getpc16402)&4294967295
	s_addc_u32 s15, s15, (.LBB1_11302-.Lpost_getpc16402)>>32
	s_setpc_b64 s[14:15]
.LBB1_25640:
	v_mov_b32_e32 v6, 0
	v_cmp_ne_u16_sdwa s[8:9], v3, v6 src0_sel:BYTE_0 src1_sel:DWORD
	s_andn2_b64 s[4:5], s[4:5], exec
	s_and_b64 s[8:9], s[8:9], exec
	s_or_b64 s[4:5], s[4:5], s[8:9]
	s_or_b64 exec, exec, s[6:7]
	s_and_saveexec_b64 s[6:7], s[4:5]
	s_cbranch_execz .LBB1_34323
; %bb.61479:
	s_getpc_b64 s[14:15]
.Lpost_getpc16403:
	s_add_u32 s14, s14, (.LBB1_11303-.Lpost_getpc16403)&4294967295
	s_addc_u32 s15, s15, (.LBB1_11303-.Lpost_getpc16403)>>32
	s_setpc_b64 s[14:15]
.LBB1_34323:
	s_getpc_b64 s[14:15]
.Lpost_getpc2825:
	s_add_u32 s14, s14, (.LBB1_11304-.Lpost_getpc2825)&4294967295
	s_addc_u32 s15, s15, (.LBB1_11304-.Lpost_getpc2825)>>32
	s_setpc_b64 s[14:15]
.LBB1_25641:
	s_movk_i32 s4, 0x80
	v_cmp_eq_u16_sdwa s[12:13], v6, s4 src0_sel:BYTE_0 src1_sel:DWORD
	s_mov_b64 s[4:5], -1
                                        ; implicit-def: $sgpr10
	s_and_saveexec_b64 s[8:9], s[12:13]
; %bb.25642:
	s_mov_b32 s10, 0x7f800001
	s_xor_b64 s[4:5], exec, -1
; %bb.25643:
	s_or_b64 exec, exec, s[8:9]
	s_and_b64 s[4:5], s[4:5], exec
	s_or_saveexec_b64 s[6:7], s[6:7]
	v_mov_b32_e32 v2, s10
	s_xor_b64 exec, exec, s[6:7]
	s_cbranch_execnz .LBB1_25644
; %bb.61481:
	s_getpc_b64 s[14:15]
.Lpost_getpc16404:
	s_add_u32 s14, s14, (.LBB1_11306-.Lpost_getpc16404)&4294967295
	s_addc_u32 s15, s15, (.LBB1_11306-.Lpost_getpc16404)>>32
	s_setpc_b64 s[14:15]
.LBB1_25644:
	v_mov_b32_e32 v2, 0
	v_cmp_ne_u16_sdwa s[8:9], v6, v2 src0_sel:BYTE_0 src1_sel:DWORD
	s_andn2_b64 s[4:5], s[4:5], exec
	s_and_b64 s[8:9], s[8:9], exec
	s_or_b64 s[4:5], s[4:5], s[8:9]
	s_or_b64 exec, exec, s[6:7]
	s_and_saveexec_b64 s[6:7], s[4:5]
	s_cbranch_execz .LBB1_34325
; %bb.61483:
	s_getpc_b64 s[14:15]
.Lpost_getpc16405:
	s_add_u32 s14, s14, (.LBB1_11307-.Lpost_getpc16405)&4294967295
	s_addc_u32 s15, s15, (.LBB1_11307-.Lpost_getpc16405)>>32
	s_setpc_b64 s[14:15]
.LBB1_34325:
	s_getpc_b64 s[14:15]
.Lpost_getpc2826:
	s_add_u32 s14, s14, (.LBB1_11308-.Lpost_getpc2826)&4294967295
	s_addc_u32 s15, s15, (.LBB1_11308-.Lpost_getpc2826)>>32
	s_setpc_b64 s[14:15]
.LBB1_25645:
	s_movk_i32 s4, 0x80
	v_cmp_eq_u16_sdwa s[12:13], v6, s4 src0_sel:BYTE_0 src1_sel:DWORD
	s_mov_b64 s[4:5], -1
                                        ; implicit-def: $sgpr10
	s_and_saveexec_b64 s[8:9], s[12:13]
; %bb.25646:
	s_mov_b32 s10, 0x7f800001
	s_xor_b64 s[4:5], exec, -1
; %bb.25647:
	s_or_b64 exec, exec, s[8:9]
	s_and_b64 s[4:5], s[4:5], exec
	s_or_saveexec_b64 s[6:7], s[6:7]
	v_mov_b32_e32 v12, s10
	s_xor_b64 exec, exec, s[6:7]
	s_cbranch_execnz .LBB1_25648
; %bb.61485:
	s_getpc_b64 s[14:15]
.Lpost_getpc16406:
	s_add_u32 s14, s14, (.LBB1_11310-.Lpost_getpc16406)&4294967295
	s_addc_u32 s15, s15, (.LBB1_11310-.Lpost_getpc16406)>>32
	s_setpc_b64 s[14:15]
.LBB1_25648:
	v_mov_b32_e32 v12, 0
	v_cmp_ne_u16_sdwa s[8:9], v6, v12 src0_sel:BYTE_0 src1_sel:DWORD
	s_andn2_b64 s[4:5], s[4:5], exec
	s_and_b64 s[8:9], s[8:9], exec
	s_or_b64 s[4:5], s[4:5], s[8:9]
	s_or_b64 exec, exec, s[6:7]
	s_and_saveexec_b64 s[6:7], s[4:5]
	s_cbranch_execz .LBB1_34327
; %bb.61487:
	s_getpc_b64 s[14:15]
.Lpost_getpc16407:
	s_add_u32 s14, s14, (.LBB1_11311-.Lpost_getpc16407)&4294967295
	s_addc_u32 s15, s15, (.LBB1_11311-.Lpost_getpc16407)>>32
	s_setpc_b64 s[14:15]
.LBB1_34327:
	s_getpc_b64 s[14:15]
.Lpost_getpc2827:
	s_add_u32 s14, s14, (.LBB1_11312-.Lpost_getpc2827)&4294967295
	s_addc_u32 s15, s15, (.LBB1_11312-.Lpost_getpc2827)>>32
	s_setpc_b64 s[14:15]
.LBB1_25649:
	s_movk_i32 s4, 0x80
	v_cmp_eq_u16_e32 vcc, s4, v6
	s_mov_b64 s[4:5], -1
                                        ; implicit-def: $sgpr10
	s_and_saveexec_b64 s[8:9], vcc
; %bb.25650:
	s_mov_b32 s10, 0x7f800001
	s_xor_b64 s[4:5], exec, -1
; %bb.25651:
	s_or_b64 exec, exec, s[8:9]
	s_and_b64 s[4:5], s[4:5], exec
                                        ; implicit-def: $vgpr6
	s_or_saveexec_b64 s[6:7], s[6:7]
	v_mov_b32_e32 v2, s10
	s_xor_b64 exec, exec, s[6:7]
	s_cbranch_execnz .LBB1_25652
; %bb.61489:
	s_getpc_b64 s[14:15]
.Lpost_getpc16408:
	s_add_u32 s14, s14, (.LBB1_11314-.Lpost_getpc16408)&4294967295
	s_addc_u32 s15, s15, (.LBB1_11314-.Lpost_getpc16408)>>32
	s_setpc_b64 s[14:15]
.LBB1_25652:
	v_cmp_ne_u16_e32 vcc, 0, v6
	s_andn2_b64 s[4:5], s[4:5], exec
	s_and_b64 s[8:9], vcc, exec
	v_mov_b32_e32 v2, 0
	s_or_b64 s[4:5], s[4:5], s[8:9]
	s_or_b64 exec, exec, s[6:7]
	s_and_saveexec_b64 s[6:7], s[4:5]
	s_cbranch_execz .LBB1_34329
; %bb.61491:
	s_getpc_b64 s[14:15]
.Lpost_getpc16409:
	s_add_u32 s14, s14, (.LBB1_11315-.Lpost_getpc16409)&4294967295
	s_addc_u32 s15, s15, (.LBB1_11315-.Lpost_getpc16409)>>32
	s_setpc_b64 s[14:15]
.LBB1_34329:
	s_getpc_b64 s[14:15]
.Lpost_getpc2828:
	s_add_u32 s14, s14, (.LBB1_11316-.Lpost_getpc2828)&4294967295
	s_addc_u32 s15, s15, (.LBB1_11316-.Lpost_getpc2828)>>32
	s_setpc_b64 s[14:15]
.LBB1_25653:
	s_movk_i32 s4, 0x80
	v_cmp_eq_u16_e32 vcc, s4, v6
	s_mov_b64 s[4:5], -1
                                        ; implicit-def: $sgpr10
	s_and_saveexec_b64 s[8:9], vcc
; %bb.25654:
	s_mov_b32 s10, 0x7f800001
	s_xor_b64 s[4:5], exec, -1
; %bb.25655:
	s_or_b64 exec, exec, s[8:9]
	s_and_b64 s[4:5], s[4:5], exec
                                        ; implicit-def: $vgpr6
	s_or_saveexec_b64 s[6:7], s[6:7]
	v_mov_b32_e32 v12, s10
	s_xor_b64 exec, exec, s[6:7]
	s_cbranch_execnz .LBB1_25656
; %bb.61493:
	s_getpc_b64 s[14:15]
.Lpost_getpc16410:
	s_add_u32 s14, s14, (.LBB1_11318-.Lpost_getpc16410)&4294967295
	s_addc_u32 s15, s15, (.LBB1_11318-.Lpost_getpc16410)>>32
	s_setpc_b64 s[14:15]
.LBB1_25656:
	v_cmp_ne_u16_e32 vcc, 0, v6
	s_andn2_b64 s[4:5], s[4:5], exec
	s_and_b64 s[8:9], vcc, exec
	v_mov_b32_e32 v12, 0
	s_or_b64 s[4:5], s[4:5], s[8:9]
	s_or_b64 exec, exec, s[6:7]
	s_and_saveexec_b64 s[6:7], s[4:5]
	s_cbranch_execz .LBB1_34331
; %bb.61495:
	s_getpc_b64 s[14:15]
.Lpost_getpc16411:
	s_add_u32 s14, s14, (.LBB1_11319-.Lpost_getpc16411)&4294967295
	s_addc_u32 s15, s15, (.LBB1_11319-.Lpost_getpc16411)>>32
	s_setpc_b64 s[14:15]
.LBB1_34331:
	s_getpc_b64 s[14:15]
.Lpost_getpc2829:
	s_add_u32 s14, s14, (.LBB1_11320-.Lpost_getpc2829)&4294967295
	s_addc_u32 s15, s15, (.LBB1_11320-.Lpost_getpc2829)>>32
	s_setpc_b64 s[14:15]
.LBB1_25657:
	s_movk_i32 s4, 0x80
	v_cmp_eq_u16_sdwa s[12:13], v7, s4 src0_sel:BYTE_3 src1_sel:DWORD
	s_mov_b64 s[4:5], -1
                                        ; implicit-def: $sgpr10
	s_and_saveexec_b64 s[8:9], s[12:13]
; %bb.25658:
	s_mov_b32 s10, 0x7f800001
	s_xor_b64 s[4:5], exec, -1
; %bb.25659:
	s_or_b64 exec, exec, s[8:9]
	s_and_b64 s[4:5], s[4:5], exec
	s_or_saveexec_b64 s[6:7], s[6:7]
	v_mov_b32_e32 v2, s10
	s_xor_b64 exec, exec, s[6:7]
	s_cbranch_execnz .LBB1_25660
; %bb.61497:
	s_getpc_b64 s[14:15]
.Lpost_getpc16412:
	s_add_u32 s14, s14, (.LBB1_11322-.Lpost_getpc16412)&4294967295
	s_addc_u32 s15, s15, (.LBB1_11322-.Lpost_getpc16412)>>32
	s_setpc_b64 s[14:15]
.LBB1_25660:
	v_mov_b32_e32 v2, 0
	v_cmp_ne_u16_sdwa s[8:9], v7, v2 src0_sel:BYTE_3 src1_sel:DWORD
	s_andn2_b64 s[4:5], s[4:5], exec
	s_and_b64 s[8:9], s[8:9], exec
	s_or_b64 s[4:5], s[4:5], s[8:9]
	s_or_b64 exec, exec, s[6:7]
	s_and_saveexec_b64 s[6:7], s[4:5]
	s_cbranch_execz .LBB1_34333
; %bb.61499:
	s_getpc_b64 s[14:15]
.Lpost_getpc16413:
	s_add_u32 s14, s14, (.LBB1_11323-.Lpost_getpc16413)&4294967295
	s_addc_u32 s15, s15, (.LBB1_11323-.Lpost_getpc16413)>>32
	s_setpc_b64 s[14:15]
.LBB1_34333:
	s_getpc_b64 s[14:15]
.Lpost_getpc2830:
	s_add_u32 s14, s14, (.LBB1_11324-.Lpost_getpc2830)&4294967295
	s_addc_u32 s15, s15, (.LBB1_11324-.Lpost_getpc2830)>>32
	s_setpc_b64 s[14:15]
.LBB1_25661:
	s_movk_i32 s4, 0x80
	v_cmp_eq_u16_sdwa s[12:13], v3, s4 src0_sel:BYTE_3 src1_sel:DWORD
	s_mov_b64 s[4:5], -1
                                        ; implicit-def: $sgpr10
	s_and_saveexec_b64 s[8:9], s[12:13]
; %bb.25662:
	s_mov_b32 s10, 0x7f800001
	s_xor_b64 s[4:5], exec, -1
; %bb.25663:
	s_or_b64 exec, exec, s[8:9]
	s_and_b64 s[4:5], s[4:5], exec
	s_or_saveexec_b64 s[6:7], s[6:7]
	v_mov_b32_e32 v6, s10
	s_xor_b64 exec, exec, s[6:7]
	s_cbranch_execnz .LBB1_25664
; %bb.61501:
	s_getpc_b64 s[14:15]
.Lpost_getpc16414:
	s_add_u32 s14, s14, (.LBB1_11326-.Lpost_getpc16414)&4294967295
	s_addc_u32 s15, s15, (.LBB1_11326-.Lpost_getpc16414)>>32
	s_setpc_b64 s[14:15]
.LBB1_25664:
	v_mov_b32_e32 v6, 0
	v_cmp_ne_u16_sdwa s[8:9], v3, v6 src0_sel:BYTE_3 src1_sel:DWORD
	s_andn2_b64 s[4:5], s[4:5], exec
	s_and_b64 s[8:9], s[8:9], exec
	s_or_b64 s[4:5], s[4:5], s[8:9]
	s_or_b64 exec, exec, s[6:7]
	s_and_saveexec_b64 s[6:7], s[4:5]
	s_cbranch_execz .LBB1_34335
; %bb.61503:
	s_getpc_b64 s[14:15]
.Lpost_getpc16415:
	s_add_u32 s14, s14, (.LBB1_11327-.Lpost_getpc16415)&4294967295
	s_addc_u32 s15, s15, (.LBB1_11327-.Lpost_getpc16415)>>32
	s_setpc_b64 s[14:15]
.LBB1_34335:
	s_getpc_b64 s[14:15]
.Lpost_getpc2831:
	s_add_u32 s14, s14, (.LBB1_11328-.Lpost_getpc2831)&4294967295
	s_addc_u32 s15, s15, (.LBB1_11328-.Lpost_getpc2831)>>32
	s_setpc_b64 s[14:15]
.LBB1_25665:
	s_movk_i32 s4, 0x80
	v_cmp_eq_u16_sdwa s[12:13], v8, s4 src0_sel:BYTE_0 src1_sel:DWORD
	s_mov_b64 s[4:5], -1
                                        ; implicit-def: $sgpr10
	s_and_saveexec_b64 s[8:9], s[12:13]
; %bb.25666:
	s_mov_b32 s10, 0x7f800001
	s_xor_b64 s[4:5], exec, -1
; %bb.25667:
	s_or_b64 exec, exec, s[8:9]
	s_and_b64 s[4:5], s[4:5], exec
	s_or_saveexec_b64 s[6:7], s[6:7]
	v_mov_b32_e32 v2, s10
	s_xor_b64 exec, exec, s[6:7]
	s_cbranch_execnz .LBB1_25668
; %bb.61505:
	s_getpc_b64 s[14:15]
.Lpost_getpc16416:
	s_add_u32 s14, s14, (.LBB1_11330-.Lpost_getpc16416)&4294967295
	s_addc_u32 s15, s15, (.LBB1_11330-.Lpost_getpc16416)>>32
	s_setpc_b64 s[14:15]
.LBB1_25668:
	v_mov_b32_e32 v2, 0
	v_cmp_ne_u16_sdwa s[8:9], v8, v2 src0_sel:BYTE_0 src1_sel:DWORD
	s_andn2_b64 s[4:5], s[4:5], exec
	s_and_b64 s[8:9], s[8:9], exec
	s_or_b64 s[4:5], s[4:5], s[8:9]
	s_or_b64 exec, exec, s[6:7]
	s_and_saveexec_b64 s[6:7], s[4:5]
	s_cbranch_execz .LBB1_34337
; %bb.61507:
	s_getpc_b64 s[14:15]
.Lpost_getpc16417:
	s_add_u32 s14, s14, (.LBB1_11331-.Lpost_getpc16417)&4294967295
	s_addc_u32 s15, s15, (.LBB1_11331-.Lpost_getpc16417)>>32
	s_setpc_b64 s[14:15]
.LBB1_34337:
	s_getpc_b64 s[14:15]
.Lpost_getpc2832:
	s_add_u32 s14, s14, (.LBB1_11332-.Lpost_getpc2832)&4294967295
	s_addc_u32 s15, s15, (.LBB1_11332-.Lpost_getpc2832)>>32
	s_setpc_b64 s[14:15]
.LBB1_25669:
	s_movk_i32 s4, 0x80
	v_cmp_eq_u16_sdwa s[12:13], v4, s4 src0_sel:BYTE_0 src1_sel:DWORD
	s_mov_b64 s[4:5], -1
                                        ; implicit-def: $sgpr10
	s_and_saveexec_b64 s[8:9], s[12:13]
; %bb.25670:
	s_mov_b32 s10, 0x7f800001
	s_xor_b64 s[4:5], exec, -1
; %bb.25671:
	s_or_b64 exec, exec, s[8:9]
	s_and_b64 s[4:5], s[4:5], exec
	s_or_saveexec_b64 s[6:7], s[6:7]
	v_mov_b32_e32 v3, s10
	s_xor_b64 exec, exec, s[6:7]
	s_cbranch_execnz .LBB1_25672
; %bb.61509:
	s_getpc_b64 s[14:15]
.Lpost_getpc16418:
	s_add_u32 s14, s14, (.LBB1_11334-.Lpost_getpc16418)&4294967295
	s_addc_u32 s15, s15, (.LBB1_11334-.Lpost_getpc16418)>>32
	s_setpc_b64 s[14:15]
.LBB1_25672:
	v_mov_b32_e32 v3, 0
	v_cmp_ne_u16_sdwa s[8:9], v4, v3 src0_sel:BYTE_0 src1_sel:DWORD
	s_andn2_b64 s[4:5], s[4:5], exec
	s_and_b64 s[8:9], s[8:9], exec
	s_or_b64 s[4:5], s[4:5], s[8:9]
	s_or_b64 exec, exec, s[6:7]
	s_and_saveexec_b64 s[6:7], s[4:5]
	s_cbranch_execz .LBB1_34339
; %bb.61511:
	s_getpc_b64 s[14:15]
.Lpost_getpc16419:
	s_add_u32 s14, s14, (.LBB1_11335-.Lpost_getpc16419)&4294967295
	s_addc_u32 s15, s15, (.LBB1_11335-.Lpost_getpc16419)>>32
	s_setpc_b64 s[14:15]
.LBB1_34339:
	s_getpc_b64 s[14:15]
.Lpost_getpc2833:
	s_add_u32 s14, s14, (.LBB1_11336-.Lpost_getpc2833)&4294967295
	s_addc_u32 s15, s15, (.LBB1_11336-.Lpost_getpc2833)>>32
	s_setpc_b64 s[14:15]
.LBB1_25673:
	s_movk_i32 s4, 0x80
	v_cmp_eq_u16_sdwa s[12:13], v3, s4 src0_sel:BYTE_0 src1_sel:DWORD
	s_mov_b64 s[4:5], -1
                                        ; implicit-def: $sgpr10
	s_and_saveexec_b64 s[8:9], s[12:13]
; %bb.25674:
	s_mov_b32 s10, 0x7f800001
	s_xor_b64 s[4:5], exec, -1
; %bb.25675:
	s_or_b64 exec, exec, s[8:9]
	s_and_b64 s[4:5], s[4:5], exec
	s_or_saveexec_b64 s[6:7], s[6:7]
	v_mov_b32_e32 v2, s10
	s_xor_b64 exec, exec, s[6:7]
	s_cbranch_execnz .LBB1_25676
; %bb.61513:
	s_getpc_b64 s[14:15]
.Lpost_getpc16420:
	s_add_u32 s14, s14, (.LBB1_11338-.Lpost_getpc16420)&4294967295
	s_addc_u32 s15, s15, (.LBB1_11338-.Lpost_getpc16420)>>32
	s_setpc_b64 s[14:15]
.LBB1_25676:
	v_mov_b32_e32 v2, 0
	v_cmp_ne_u16_sdwa s[8:9], v3, v2 src0_sel:BYTE_0 src1_sel:DWORD
	s_andn2_b64 s[4:5], s[4:5], exec
	s_and_b64 s[8:9], s[8:9], exec
	s_or_b64 s[4:5], s[4:5], s[8:9]
	s_or_b64 exec, exec, s[6:7]
	s_and_saveexec_b64 s[6:7], s[4:5]
	s_cbranch_execz .LBB1_34341
; %bb.61515:
	s_getpc_b64 s[14:15]
.Lpost_getpc16421:
	s_add_u32 s14, s14, (.LBB1_11339-.Lpost_getpc16421)&4294967295
	s_addc_u32 s15, s15, (.LBB1_11339-.Lpost_getpc16421)>>32
	s_setpc_b64 s[14:15]
.LBB1_34341:
	s_getpc_b64 s[14:15]
.Lpost_getpc2834:
	s_add_u32 s14, s14, (.LBB1_11340-.Lpost_getpc2834)&4294967295
	s_addc_u32 s15, s15, (.LBB1_11340-.Lpost_getpc2834)>>32
	s_setpc_b64 s[14:15]
.LBB1_25677:
	s_movk_i32 s4, 0x80
	v_cmp_eq_u16_sdwa s[12:13], v3, s4 src0_sel:BYTE_0 src1_sel:DWORD
	s_mov_b64 s[4:5], -1
                                        ; implicit-def: $sgpr10
	s_and_saveexec_b64 s[8:9], s[12:13]
; %bb.25678:
	s_mov_b32 s10, 0x7f800001
	s_xor_b64 s[4:5], exec, -1
; %bb.25679:
	s_or_b64 exec, exec, s[8:9]
	s_and_b64 s[4:5], s[4:5], exec
	s_or_saveexec_b64 s[6:7], s[6:7]
	v_mov_b32_e32 v6, s10
	s_xor_b64 exec, exec, s[6:7]
	s_cbranch_execnz .LBB1_25680
; %bb.61517:
	s_getpc_b64 s[14:15]
.Lpost_getpc16422:
	s_add_u32 s14, s14, (.LBB1_11342-.Lpost_getpc16422)&4294967295
	s_addc_u32 s15, s15, (.LBB1_11342-.Lpost_getpc16422)>>32
	s_setpc_b64 s[14:15]
.LBB1_25680:
	v_mov_b32_e32 v6, 0
	v_cmp_ne_u16_sdwa s[8:9], v3, v6 src0_sel:BYTE_0 src1_sel:DWORD
	s_andn2_b64 s[4:5], s[4:5], exec
	s_and_b64 s[8:9], s[8:9], exec
	s_or_b64 s[4:5], s[4:5], s[8:9]
	s_or_b64 exec, exec, s[6:7]
	s_and_saveexec_b64 s[6:7], s[4:5]
	s_cbranch_execz .LBB1_34343
; %bb.61519:
	s_getpc_b64 s[14:15]
.Lpost_getpc16423:
	s_add_u32 s14, s14, (.LBB1_11343-.Lpost_getpc16423)&4294967295
	s_addc_u32 s15, s15, (.LBB1_11343-.Lpost_getpc16423)>>32
	s_setpc_b64 s[14:15]
.LBB1_34343:
	s_getpc_b64 s[14:15]
.Lpost_getpc2835:
	s_add_u32 s14, s14, (.LBB1_11344-.Lpost_getpc2835)&4294967295
	s_addc_u32 s15, s15, (.LBB1_11344-.Lpost_getpc2835)>>32
	s_setpc_b64 s[14:15]
.LBB1_25681:
	s_movk_i32 s4, 0x80
	v_cmp_eq_u16_e32 vcc, s4, v3
	s_mov_b64 s[4:5], -1
                                        ; implicit-def: $sgpr10
	s_and_saveexec_b64 s[8:9], vcc
; %bb.25682:
	s_mov_b32 s10, 0x7f800001
	s_xor_b64 s[4:5], exec, -1
; %bb.25683:
	s_or_b64 exec, exec, s[8:9]
	s_and_b64 s[4:5], s[4:5], exec
                                        ; implicit-def: $vgpr3
	s_or_saveexec_b64 s[6:7], s[6:7]
	v_mov_b32_e32 v2, s10
	s_xor_b64 exec, exec, s[6:7]
	s_cbranch_execnz .LBB1_25684
; %bb.61521:
	s_getpc_b64 s[14:15]
.Lpost_getpc16424:
	s_add_u32 s14, s14, (.LBB1_11346-.Lpost_getpc16424)&4294967295
	s_addc_u32 s15, s15, (.LBB1_11346-.Lpost_getpc16424)>>32
	s_setpc_b64 s[14:15]
.LBB1_25684:
	v_cmp_ne_u16_e32 vcc, 0, v3
	s_andn2_b64 s[4:5], s[4:5], exec
	s_and_b64 s[8:9], vcc, exec
	v_mov_b32_e32 v2, 0
	s_or_b64 s[4:5], s[4:5], s[8:9]
	s_or_b64 exec, exec, s[6:7]
	s_and_saveexec_b64 s[6:7], s[4:5]
	s_cbranch_execz .LBB1_34345
; %bb.61523:
	s_getpc_b64 s[14:15]
.Lpost_getpc16425:
	s_add_u32 s14, s14, (.LBB1_11347-.Lpost_getpc16425)&4294967295
	s_addc_u32 s15, s15, (.LBB1_11347-.Lpost_getpc16425)>>32
	s_setpc_b64 s[14:15]
.LBB1_34345:
	s_getpc_b64 s[14:15]
.Lpost_getpc2836:
	s_add_u32 s14, s14, (.LBB1_11348-.Lpost_getpc2836)&4294967295
	s_addc_u32 s15, s15, (.LBB1_11348-.Lpost_getpc2836)>>32
	s_setpc_b64 s[14:15]
.LBB1_25685:
	s_movk_i32 s4, 0x80
	v_cmp_eq_u16_e32 vcc, s4, v3
	s_mov_b64 s[4:5], -1
                                        ; implicit-def: $sgpr10
	s_and_saveexec_b64 s[8:9], vcc
; %bb.25686:
	s_mov_b32 s10, 0x7f800001
	s_xor_b64 s[4:5], exec, -1
; %bb.25687:
	s_or_b64 exec, exec, s[8:9]
	s_and_b64 s[4:5], s[4:5], exec
                                        ; implicit-def: $vgpr3
	s_or_saveexec_b64 s[6:7], s[6:7]
	v_mov_b32_e32 v6, s10
	s_xor_b64 exec, exec, s[6:7]
	s_cbranch_execnz .LBB1_25688
; %bb.61525:
	s_getpc_b64 s[14:15]
.Lpost_getpc16426:
	s_add_u32 s14, s14, (.LBB1_11350-.Lpost_getpc16426)&4294967295
	s_addc_u32 s15, s15, (.LBB1_11350-.Lpost_getpc16426)>>32
	s_setpc_b64 s[14:15]
.LBB1_25688:
	v_cmp_ne_u16_e32 vcc, 0, v3
	s_andn2_b64 s[4:5], s[4:5], exec
	s_and_b64 s[8:9], vcc, exec
	v_mov_b32_e32 v6, 0
	s_or_b64 s[4:5], s[4:5], s[8:9]
	s_or_b64 exec, exec, s[6:7]
	s_and_saveexec_b64 s[6:7], s[4:5]
	s_cbranch_execz .LBB1_34347
; %bb.61527:
	s_getpc_b64 s[14:15]
.Lpost_getpc16427:
	s_add_u32 s14, s14, (.LBB1_11351-.Lpost_getpc16427)&4294967295
	s_addc_u32 s15, s15, (.LBB1_11351-.Lpost_getpc16427)>>32
	s_setpc_b64 s[14:15]
.LBB1_34347:
	s_getpc_b64 s[14:15]
.Lpost_getpc2837:
	s_add_u32 s14, s14, (.LBB1_11352-.Lpost_getpc2837)&4294967295
	s_addc_u32 s15, s15, (.LBB1_11352-.Lpost_getpc2837)>>32
	s_setpc_b64 s[14:15]
.LBB1_25689:
	s_movk_i32 s4, 0x80
	v_cmp_eq_u16_sdwa s[12:13], v8, s4 src0_sel:BYTE_3 src1_sel:DWORD
	s_mov_b64 s[4:5], -1
                                        ; implicit-def: $sgpr10
	s_and_saveexec_b64 s[8:9], s[12:13]
; %bb.25690:
	s_mov_b32 s10, 0x7f800001
	s_xor_b64 s[4:5], exec, -1
; %bb.25691:
	s_or_b64 exec, exec, s[8:9]
	s_and_b64 s[4:5], s[4:5], exec
	s_or_saveexec_b64 s[6:7], s[6:7]
	v_mov_b32_e32 v2, s10
	s_xor_b64 exec, exec, s[6:7]
	s_cbranch_execnz .LBB1_25692
; %bb.61529:
	s_getpc_b64 s[14:15]
.Lpost_getpc16428:
	s_add_u32 s14, s14, (.LBB1_11354-.Lpost_getpc16428)&4294967295
	s_addc_u32 s15, s15, (.LBB1_11354-.Lpost_getpc16428)>>32
	s_setpc_b64 s[14:15]
.LBB1_25692:
	v_mov_b32_e32 v2, 0
	v_cmp_ne_u16_sdwa s[8:9], v8, v2 src0_sel:BYTE_3 src1_sel:DWORD
	s_andn2_b64 s[4:5], s[4:5], exec
	s_and_b64 s[8:9], s[8:9], exec
	s_or_b64 s[4:5], s[4:5], s[8:9]
	s_or_b64 exec, exec, s[6:7]
	s_and_saveexec_b64 s[6:7], s[4:5]
	s_cbranch_execz .LBB1_34349
; %bb.61531:
	s_getpc_b64 s[14:15]
.Lpost_getpc16429:
	s_add_u32 s14, s14, (.LBB1_11355-.Lpost_getpc16429)&4294967295
	s_addc_u32 s15, s15, (.LBB1_11355-.Lpost_getpc16429)>>32
	s_setpc_b64 s[14:15]
.LBB1_34349:
	s_getpc_b64 s[14:15]
.Lpost_getpc2838:
	s_add_u32 s14, s14, (.LBB1_11356-.Lpost_getpc2838)&4294967295
	s_addc_u32 s15, s15, (.LBB1_11356-.Lpost_getpc2838)>>32
	s_setpc_b64 s[14:15]
.LBB1_25693:
	s_movk_i32 s4, 0x80
	v_cmp_eq_u16_sdwa s[12:13], v4, s4 src0_sel:BYTE_3 src1_sel:DWORD
	s_mov_b64 s[4:5], -1
                                        ; implicit-def: $sgpr10
	s_and_saveexec_b64 s[8:9], s[12:13]
; %bb.25694:
	s_mov_b32 s10, 0x7f800001
	s_xor_b64 s[4:5], exec, -1
; %bb.25695:
	s_or_b64 exec, exec, s[8:9]
	s_and_b64 s[4:5], s[4:5], exec
	s_or_saveexec_b64 s[6:7], s[6:7]
	v_mov_b32_e32 v3, s10
	s_xor_b64 exec, exec, s[6:7]
	s_cbranch_execnz .LBB1_25696
; %bb.61533:
	s_getpc_b64 s[14:15]
.Lpost_getpc16430:
	s_add_u32 s14, s14, (.LBB1_11358-.Lpost_getpc16430)&4294967295
	s_addc_u32 s15, s15, (.LBB1_11358-.Lpost_getpc16430)>>32
	s_setpc_b64 s[14:15]
.LBB1_25696:
	v_mov_b32_e32 v3, 0
	v_cmp_ne_u16_sdwa s[8:9], v4, v3 src0_sel:BYTE_3 src1_sel:DWORD
	s_andn2_b64 s[4:5], s[4:5], exec
	s_and_b64 s[8:9], s[8:9], exec
	s_or_b64 s[4:5], s[4:5], s[8:9]
	s_or_b64 exec, exec, s[6:7]
	s_and_saveexec_b64 s[6:7], s[4:5]
	s_cbranch_execz .LBB1_34351
; %bb.61535:
	s_getpc_b64 s[14:15]
.Lpost_getpc16431:
	s_add_u32 s14, s14, (.LBB1_11359-.Lpost_getpc16431)&4294967295
	s_addc_u32 s15, s15, (.LBB1_11359-.Lpost_getpc16431)>>32
	s_setpc_b64 s[14:15]
.LBB1_34351:
	s_getpc_b64 s[14:15]
.Lpost_getpc2839:
	s_add_u32 s14, s14, (.LBB1_11360-.Lpost_getpc2839)&4294967295
	s_addc_u32 s15, s15, (.LBB1_11360-.Lpost_getpc2839)>>32
	s_setpc_b64 s[14:15]
.LBB1_25697:
	s_movk_i32 s4, 0x80
	v_cmp_eq_u16_sdwa s[12:13], v9, s4 src0_sel:BYTE_0 src1_sel:DWORD
	s_mov_b64 s[4:5], -1
                                        ; implicit-def: $sgpr10
	s_and_saveexec_b64 s[8:9], s[12:13]
; %bb.25698:
	s_mov_b32 s10, 0x7f800001
	s_xor_b64 s[4:5], exec, -1
; %bb.25699:
	s_or_b64 exec, exec, s[8:9]
	s_and_b64 s[4:5], s[4:5], exec
	s_or_saveexec_b64 s[6:7], s[6:7]
	v_mov_b32_e32 v2, s10
	s_xor_b64 exec, exec, s[6:7]
	s_cbranch_execnz .LBB1_25700
; %bb.61537:
	s_getpc_b64 s[14:15]
.Lpost_getpc16432:
	s_add_u32 s14, s14, (.LBB1_11362-.Lpost_getpc16432)&4294967295
	s_addc_u32 s15, s15, (.LBB1_11362-.Lpost_getpc16432)>>32
	s_setpc_b64 s[14:15]
.LBB1_25700:
	v_mov_b32_e32 v2, 0
	v_cmp_ne_u16_sdwa s[8:9], v9, v2 src0_sel:BYTE_0 src1_sel:DWORD
	s_andn2_b64 s[4:5], s[4:5], exec
	s_and_b64 s[8:9], s[8:9], exec
	s_or_b64 s[4:5], s[4:5], s[8:9]
	s_or_b64 exec, exec, s[6:7]
	s_and_saveexec_b64 s[6:7], s[4:5]
	s_cbranch_execz .LBB1_34353
; %bb.61539:
	s_getpc_b64 s[14:15]
.Lpost_getpc16433:
	s_add_u32 s14, s14, (.LBB1_11363-.Lpost_getpc16433)&4294967295
	s_addc_u32 s15, s15, (.LBB1_11363-.Lpost_getpc16433)>>32
	s_setpc_b64 s[14:15]
.LBB1_34353:
	s_getpc_b64 s[14:15]
.Lpost_getpc2840:
	s_add_u32 s14, s14, (.LBB1_11364-.Lpost_getpc2840)&4294967295
	s_addc_u32 s15, s15, (.LBB1_11364-.Lpost_getpc2840)>>32
	s_setpc_b64 s[14:15]
.LBB1_25701:
	s_movk_i32 s4, 0x80
	v_cmp_eq_u16_sdwa s[12:13], v5, s4 src0_sel:BYTE_0 src1_sel:DWORD
	s_mov_b64 s[4:5], -1
                                        ; implicit-def: $sgpr10
	s_and_saveexec_b64 s[8:9], s[12:13]
; %bb.25702:
	s_mov_b32 s10, 0x7f800001
	s_xor_b64 s[4:5], exec, -1
; %bb.25703:
	s_or_b64 exec, exec, s[8:9]
	s_and_b64 s[4:5], s[4:5], exec
	s_or_saveexec_b64 s[6:7], s[6:7]
	v_mov_b32_e32 v3, s10
	s_xor_b64 exec, exec, s[6:7]
	s_cbranch_execnz .LBB1_25704
; %bb.61541:
	s_getpc_b64 s[14:15]
.Lpost_getpc16434:
	s_add_u32 s14, s14, (.LBB1_11366-.Lpost_getpc16434)&4294967295
	s_addc_u32 s15, s15, (.LBB1_11366-.Lpost_getpc16434)>>32
	s_setpc_b64 s[14:15]
.LBB1_25704:
	v_mov_b32_e32 v3, 0
	v_cmp_ne_u16_sdwa s[8:9], v5, v3 src0_sel:BYTE_0 src1_sel:DWORD
	s_andn2_b64 s[4:5], s[4:5], exec
	s_and_b64 s[8:9], s[8:9], exec
	s_or_b64 s[4:5], s[4:5], s[8:9]
	s_or_b64 exec, exec, s[6:7]
	s_and_saveexec_b64 s[6:7], s[4:5]
	s_cbranch_execz .LBB1_34355
; %bb.61543:
	s_getpc_b64 s[14:15]
.Lpost_getpc16435:
	s_add_u32 s14, s14, (.LBB1_11367-.Lpost_getpc16435)&4294967295
	s_addc_u32 s15, s15, (.LBB1_11367-.Lpost_getpc16435)>>32
	s_setpc_b64 s[14:15]
.LBB1_34355:
	s_getpc_b64 s[14:15]
.Lpost_getpc2841:
	s_add_u32 s14, s14, (.LBB1_11368-.Lpost_getpc2841)&4294967295
	s_addc_u32 s15, s15, (.LBB1_11368-.Lpost_getpc2841)>>32
	s_setpc_b64 s[14:15]
.LBB1_25705:
	s_movk_i32 s4, 0x80
	v_cmp_eq_u16_sdwa s[12:13], v3, s4 src0_sel:BYTE_0 src1_sel:DWORD
	s_mov_b64 s[4:5], -1
                                        ; implicit-def: $sgpr10
	s_and_saveexec_b64 s[8:9], s[12:13]
; %bb.25706:
	s_mov_b32 s10, 0x7f800001
	s_xor_b64 s[4:5], exec, -1
; %bb.25707:
	s_or_b64 exec, exec, s[8:9]
	s_and_b64 s[4:5], s[4:5], exec
	s_or_saveexec_b64 s[6:7], s[6:7]
	v_mov_b32_e32 v2, s10
	s_xor_b64 exec, exec, s[6:7]
	s_cbranch_execnz .LBB1_25708
; %bb.61545:
	s_getpc_b64 s[14:15]
.Lpost_getpc16436:
	s_add_u32 s14, s14, (.LBB1_11370-.Lpost_getpc16436)&4294967295
	s_addc_u32 s15, s15, (.LBB1_11370-.Lpost_getpc16436)>>32
	s_setpc_b64 s[14:15]
.LBB1_25708:
	v_mov_b32_e32 v2, 0
	v_cmp_ne_u16_sdwa s[8:9], v3, v2 src0_sel:BYTE_0 src1_sel:DWORD
	s_andn2_b64 s[4:5], s[4:5], exec
	s_and_b64 s[8:9], s[8:9], exec
	s_or_b64 s[4:5], s[4:5], s[8:9]
	s_or_b64 exec, exec, s[6:7]
	s_and_saveexec_b64 s[6:7], s[4:5]
	s_cbranch_execz .LBB1_34357
; %bb.61547:
	s_getpc_b64 s[14:15]
.Lpost_getpc16437:
	s_add_u32 s14, s14, (.LBB1_11371-.Lpost_getpc16437)&4294967295
	s_addc_u32 s15, s15, (.LBB1_11371-.Lpost_getpc16437)>>32
	s_setpc_b64 s[14:15]
.LBB1_34357:
	s_getpc_b64 s[14:15]
.Lpost_getpc2842:
	s_add_u32 s14, s14, (.LBB1_11372-.Lpost_getpc2842)&4294967295
	s_addc_u32 s15, s15, (.LBB1_11372-.Lpost_getpc2842)>>32
	s_setpc_b64 s[14:15]
.LBB1_25709:
	s_movk_i32 s4, 0x80
	v_cmp_eq_u16_sdwa s[12:13], v3, s4 src0_sel:BYTE_0 src1_sel:DWORD
	s_mov_b64 s[4:5], -1
                                        ; implicit-def: $sgpr10
	s_and_saveexec_b64 s[8:9], s[12:13]
; %bb.25710:
	s_mov_b32 s10, 0x7f800001
	s_xor_b64 s[4:5], exec, -1
; %bb.25711:
	s_or_b64 exec, exec, s[8:9]
	s_and_b64 s[4:5], s[4:5], exec
	s_or_saveexec_b64 s[6:7], s[6:7]
	v_mov_b32_e32 v4, s10
	s_xor_b64 exec, exec, s[6:7]
	s_cbranch_execnz .LBB1_25712
; %bb.61549:
	s_getpc_b64 s[14:15]
.Lpost_getpc16438:
	s_add_u32 s14, s14, (.LBB1_11374-.Lpost_getpc16438)&4294967295
	s_addc_u32 s15, s15, (.LBB1_11374-.Lpost_getpc16438)>>32
	s_setpc_b64 s[14:15]
.LBB1_25712:
	v_mov_b32_e32 v4, 0
	v_cmp_ne_u16_sdwa s[8:9], v3, v4 src0_sel:BYTE_0 src1_sel:DWORD
	s_andn2_b64 s[4:5], s[4:5], exec
	s_and_b64 s[8:9], s[8:9], exec
	s_or_b64 s[4:5], s[4:5], s[8:9]
	s_or_b64 exec, exec, s[6:7]
	s_and_saveexec_b64 s[6:7], s[4:5]
	s_cbranch_execz .LBB1_34359
; %bb.61551:
	s_getpc_b64 s[14:15]
.Lpost_getpc16439:
	s_add_u32 s14, s14, (.LBB1_11375-.Lpost_getpc16439)&4294967295
	s_addc_u32 s15, s15, (.LBB1_11375-.Lpost_getpc16439)>>32
	s_setpc_b64 s[14:15]
.LBB1_34359:
	s_getpc_b64 s[14:15]
.Lpost_getpc2843:
	s_add_u32 s14, s14, (.LBB1_11376-.Lpost_getpc2843)&4294967295
	s_addc_u32 s15, s15, (.LBB1_11376-.Lpost_getpc2843)>>32
	s_setpc_b64 s[14:15]
.LBB1_25713:
	s_movk_i32 s4, 0x80
	v_cmp_eq_u16_e32 vcc, s4, v3
	s_mov_b64 s[4:5], -1
                                        ; implicit-def: $sgpr10
	s_and_saveexec_b64 s[8:9], vcc
; %bb.25714:
	s_mov_b32 s10, 0x7f800001
	s_xor_b64 s[4:5], exec, -1
; %bb.25715:
	s_or_b64 exec, exec, s[8:9]
	s_and_b64 s[4:5], s[4:5], exec
                                        ; implicit-def: $vgpr3
	s_or_saveexec_b64 s[6:7], s[6:7]
	v_mov_b32_e32 v2, s10
	s_xor_b64 exec, exec, s[6:7]
	s_cbranch_execnz .LBB1_25716
; %bb.61553:
	s_getpc_b64 s[14:15]
.Lpost_getpc16440:
	s_add_u32 s14, s14, (.LBB1_11378-.Lpost_getpc16440)&4294967295
	s_addc_u32 s15, s15, (.LBB1_11378-.Lpost_getpc16440)>>32
	s_setpc_b64 s[14:15]
.LBB1_25716:
	v_cmp_ne_u16_e32 vcc, 0, v3
	s_andn2_b64 s[4:5], s[4:5], exec
	s_and_b64 s[8:9], vcc, exec
	v_mov_b32_e32 v2, 0
	s_or_b64 s[4:5], s[4:5], s[8:9]
	s_or_b64 exec, exec, s[6:7]
	s_and_saveexec_b64 s[6:7], s[4:5]
	s_cbranch_execz .LBB1_34361
; %bb.61555:
	s_getpc_b64 s[14:15]
.Lpost_getpc16441:
	s_add_u32 s14, s14, (.LBB1_11379-.Lpost_getpc16441)&4294967295
	s_addc_u32 s15, s15, (.LBB1_11379-.Lpost_getpc16441)>>32
	s_setpc_b64 s[14:15]
.LBB1_34361:
	s_getpc_b64 s[14:15]
.Lpost_getpc2844:
	s_add_u32 s14, s14, (.LBB1_11380-.Lpost_getpc2844)&4294967295
	s_addc_u32 s15, s15, (.LBB1_11380-.Lpost_getpc2844)>>32
	s_setpc_b64 s[14:15]
.LBB1_25717:
	s_movk_i32 s4, 0x80
	v_cmp_eq_u16_e32 vcc, s4, v3
	s_mov_b64 s[4:5], -1
                                        ; implicit-def: $sgpr10
	s_and_saveexec_b64 s[8:9], vcc
; %bb.25718:
	s_mov_b32 s10, 0x7f800001
	s_xor_b64 s[4:5], exec, -1
; %bb.25719:
	s_or_b64 exec, exec, s[8:9]
	s_and_b64 s[4:5], s[4:5], exec
                                        ; implicit-def: $vgpr3
	s_or_saveexec_b64 s[6:7], s[6:7]
	v_mov_b32_e32 v4, s10
	s_xor_b64 exec, exec, s[6:7]
	s_cbranch_execnz .LBB1_25720
; %bb.61557:
	s_getpc_b64 s[14:15]
.Lpost_getpc16442:
	s_add_u32 s14, s14, (.LBB1_11382-.Lpost_getpc16442)&4294967295
	s_addc_u32 s15, s15, (.LBB1_11382-.Lpost_getpc16442)>>32
	s_setpc_b64 s[14:15]
.LBB1_25720:
	v_cmp_ne_u16_e32 vcc, 0, v3
	s_andn2_b64 s[4:5], s[4:5], exec
	s_and_b64 s[8:9], vcc, exec
	v_mov_b32_e32 v4, 0
	s_or_b64 s[4:5], s[4:5], s[8:9]
	s_or_b64 exec, exec, s[6:7]
	s_and_saveexec_b64 s[6:7], s[4:5]
	s_cbranch_execz .LBB1_34363
; %bb.61559:
	s_getpc_b64 s[14:15]
.Lpost_getpc16443:
	s_add_u32 s14, s14, (.LBB1_11383-.Lpost_getpc16443)&4294967295
	s_addc_u32 s15, s15, (.LBB1_11383-.Lpost_getpc16443)>>32
	s_setpc_b64 s[14:15]
.LBB1_34363:
	s_getpc_b64 s[14:15]
.Lpost_getpc2845:
	s_add_u32 s14, s14, (.LBB1_11384-.Lpost_getpc2845)&4294967295
	s_addc_u32 s15, s15, (.LBB1_11384-.Lpost_getpc2845)>>32
	s_setpc_b64 s[14:15]
.LBB1_25721:
	s_movk_i32 s4, 0x80
	v_cmp_eq_u16_sdwa s[12:13], v9, s4 src0_sel:BYTE_3 src1_sel:DWORD
	s_mov_b64 s[4:5], -1
                                        ; implicit-def: $sgpr10
	s_and_saveexec_b64 s[8:9], s[12:13]
; %bb.25722:
	s_mov_b32 s10, 0x7f800001
	s_xor_b64 s[4:5], exec, -1
; %bb.25723:
	s_or_b64 exec, exec, s[8:9]
	s_and_b64 s[4:5], s[4:5], exec
	s_or_saveexec_b64 s[6:7], s[6:7]
	v_mov_b32_e32 v2, s10
	s_xor_b64 exec, exec, s[6:7]
	s_cbranch_execnz .LBB1_25724
; %bb.61561:
	s_getpc_b64 s[14:15]
.Lpost_getpc16444:
	s_add_u32 s14, s14, (.LBB1_11386-.Lpost_getpc16444)&4294967295
	s_addc_u32 s15, s15, (.LBB1_11386-.Lpost_getpc16444)>>32
	s_setpc_b64 s[14:15]
.LBB1_25724:
	v_mov_b32_e32 v2, 0
	v_cmp_ne_u16_sdwa s[8:9], v9, v2 src0_sel:BYTE_3 src1_sel:DWORD
	s_andn2_b64 s[4:5], s[4:5], exec
	s_and_b64 s[8:9], s[8:9], exec
	s_or_b64 s[4:5], s[4:5], s[8:9]
	s_or_b64 exec, exec, s[6:7]
	s_and_saveexec_b64 s[6:7], s[4:5]
	s_cbranch_execz .LBB1_34365
; %bb.61563:
	s_getpc_b64 s[14:15]
.Lpost_getpc16445:
	s_add_u32 s14, s14, (.LBB1_11387-.Lpost_getpc16445)&4294967295
	s_addc_u32 s15, s15, (.LBB1_11387-.Lpost_getpc16445)>>32
	s_setpc_b64 s[14:15]
.LBB1_34365:
	s_getpc_b64 s[14:15]
.Lpost_getpc2846:
	s_add_u32 s14, s14, (.LBB1_11388-.Lpost_getpc2846)&4294967295
	s_addc_u32 s15, s15, (.LBB1_11388-.Lpost_getpc2846)>>32
	s_setpc_b64 s[14:15]
.LBB1_25725:
	s_movk_i32 s4, 0x80
	v_cmp_eq_u16_sdwa s[12:13], v5, s4 src0_sel:BYTE_3 src1_sel:DWORD
	s_mov_b64 s[4:5], -1
                                        ; implicit-def: $sgpr10
	s_and_saveexec_b64 s[8:9], s[12:13]
; %bb.25726:
	s_mov_b32 s10, 0x7f800001
	s_xor_b64 s[4:5], exec, -1
; %bb.25727:
	s_or_b64 exec, exec, s[8:9]
	s_and_b64 s[4:5], s[4:5], exec
	s_or_saveexec_b64 s[6:7], s[6:7]
	v_mov_b32_e32 v3, s10
	s_xor_b64 exec, exec, s[6:7]
	s_cbranch_execnz .LBB1_25728
; %bb.61565:
	s_getpc_b64 s[14:15]
.Lpost_getpc16446:
	s_add_u32 s14, s14, (.LBB1_11390-.Lpost_getpc16446)&4294967295
	s_addc_u32 s15, s15, (.LBB1_11390-.Lpost_getpc16446)>>32
	s_setpc_b64 s[14:15]
.LBB1_25728:
	v_mov_b32_e32 v3, 0
	v_cmp_ne_u16_sdwa s[8:9], v5, v3 src0_sel:BYTE_3 src1_sel:DWORD
	s_andn2_b64 s[4:5], s[4:5], exec
	s_and_b64 s[8:9], s[8:9], exec
	s_or_b64 s[4:5], s[4:5], s[8:9]
	s_or_b64 exec, exec, s[6:7]
	s_and_saveexec_b64 s[6:7], s[4:5]
	s_cbranch_execz .LBB1_34367
; %bb.61567:
	s_getpc_b64 s[14:15]
.Lpost_getpc16447:
	s_add_u32 s14, s14, (.LBB1_11391-.Lpost_getpc16447)&4294967295
	s_addc_u32 s15, s15, (.LBB1_11391-.Lpost_getpc16447)>>32
	s_setpc_b64 s[14:15]
.LBB1_34367:
	s_getpc_b64 s[14:15]
.Lpost_getpc2847:
	s_add_u32 s14, s14, (.LBB1_11392-.Lpost_getpc2847)&4294967295
	s_addc_u32 s15, s15, (.LBB1_11392-.Lpost_getpc2847)>>32
	s_setpc_b64 s[14:15]
.LBB1_25729:
	s_movk_i32 s4, 0x80
	v_cmp_eq_u16_sdwa s[12:13], v6, s4 src0_sel:BYTE_0 src1_sel:DWORD
	s_mov_b64 s[4:5], -1
                                        ; implicit-def: $sgpr10
	s_and_saveexec_b64 s[8:9], s[12:13]
; %bb.25730:
	s_mov_b32 s10, 0x7f800001
	s_xor_b64 s[4:5], exec, -1
; %bb.25731:
	s_or_b64 exec, exec, s[8:9]
	s_and_b64 s[4:5], s[4:5], exec
	s_or_saveexec_b64 s[6:7], s[6:7]
	v_mov_b32_e32 v12, s10
	s_xor_b64 exec, exec, s[6:7]
	s_cbranch_execnz .LBB1_25732
; %bb.61569:
	s_getpc_b64 s[14:15]
.Lpost_getpc16448:
	s_add_u32 s14, s14, (.LBB1_11394-.Lpost_getpc16448)&4294967295
	s_addc_u32 s15, s15, (.LBB1_11394-.Lpost_getpc16448)>>32
	s_setpc_b64 s[14:15]
.LBB1_25732:
	v_mov_b32_e32 v12, 0
	v_cmp_ne_u16_sdwa s[8:9], v6, v12 src0_sel:BYTE_0 src1_sel:DWORD
	s_andn2_b64 s[4:5], s[4:5], exec
	s_and_b64 s[8:9], s[8:9], exec
	s_or_b64 s[4:5], s[4:5], s[8:9]
	s_or_b64 exec, exec, s[6:7]
	s_and_saveexec_b64 s[6:7], s[4:5]
	s_cbranch_execz .LBB1_34369
; %bb.61571:
	s_getpc_b64 s[14:15]
.Lpost_getpc16449:
	s_add_u32 s14, s14, (.LBB1_11395-.Lpost_getpc16449)&4294967295
	s_addc_u32 s15, s15, (.LBB1_11395-.Lpost_getpc16449)>>32
	s_setpc_b64 s[14:15]
.LBB1_34369:
	s_getpc_b64 s[14:15]
.Lpost_getpc2848:
	s_add_u32 s14, s14, (.LBB1_11396-.Lpost_getpc2848)&4294967295
	s_addc_u32 s15, s15, (.LBB1_11396-.Lpost_getpc2848)>>32
	s_setpc_b64 s[14:15]
.LBB1_25733:
	s_movk_i32 s4, 0x80
	v_cmp_eq_u16_sdwa s[12:13], v2, s4 src0_sel:BYTE_0 src1_sel:DWORD
	s_mov_b64 s[4:5], -1
                                        ; implicit-def: $sgpr10
	s_and_saveexec_b64 s[8:9], s[12:13]
; %bb.25734:
	s_mov_b32 s10, 0x7f800001
	s_xor_b64 s[4:5], exec, -1
; %bb.25735:
	s_or_b64 exec, exec, s[8:9]
	s_and_b64 s[4:5], s[4:5], exec
	s_or_saveexec_b64 s[6:7], s[6:7]
	v_mov_b32_e32 v13, s10
	s_xor_b64 exec, exec, s[6:7]
	s_cbranch_execnz .LBB1_25736
; %bb.61573:
	s_getpc_b64 s[14:15]
.Lpost_getpc16450:
	s_add_u32 s14, s14, (.LBB1_11398-.Lpost_getpc16450)&4294967295
	s_addc_u32 s15, s15, (.LBB1_11398-.Lpost_getpc16450)>>32
	s_setpc_b64 s[14:15]
.LBB1_25736:
	v_mov_b32_e32 v13, 0
	v_cmp_ne_u16_sdwa s[8:9], v2, v13 src0_sel:BYTE_0 src1_sel:DWORD
	s_andn2_b64 s[4:5], s[4:5], exec
	s_and_b64 s[8:9], s[8:9], exec
	s_or_b64 s[4:5], s[4:5], s[8:9]
	s_or_b64 exec, exec, s[6:7]
	s_and_saveexec_b64 s[6:7], s[4:5]
	s_cbranch_execz .LBB1_34371
; %bb.61575:
	s_getpc_b64 s[14:15]
.Lpost_getpc16451:
	s_add_u32 s14, s14, (.LBB1_11399-.Lpost_getpc16451)&4294967295
	s_addc_u32 s15, s15, (.LBB1_11399-.Lpost_getpc16451)>>32
	s_setpc_b64 s[14:15]
.LBB1_34371:
	s_getpc_b64 s[14:15]
.Lpost_getpc2849:
	s_add_u32 s14, s14, (.LBB1_11400-.Lpost_getpc2849)&4294967295
	s_addc_u32 s15, s15, (.LBB1_11400-.Lpost_getpc2849)>>32
	s_setpc_b64 s[14:15]
.LBB1_25737:
	s_movk_i32 s4, 0x80
	v_cmp_eq_u16_sdwa s[12:13], v13, s4 src0_sel:BYTE_0 src1_sel:DWORD
	s_mov_b64 s[4:5], -1
                                        ; implicit-def: $sgpr10
	s_and_saveexec_b64 s[8:9], s[12:13]
; %bb.25738:
	s_mov_b32 s10, 0x7f800001
	s_xor_b64 s[4:5], exec, -1
; %bb.25739:
	s_or_b64 exec, exec, s[8:9]
	s_and_b64 s[4:5], s[4:5], exec
	s_or_saveexec_b64 s[6:7], s[6:7]
	v_mov_b32_e32 v12, s10
	s_xor_b64 exec, exec, s[6:7]
	s_cbranch_execnz .LBB1_25740
; %bb.61577:
	s_getpc_b64 s[14:15]
.Lpost_getpc16452:
	s_add_u32 s14, s14, (.LBB1_11402-.Lpost_getpc16452)&4294967295
	s_addc_u32 s15, s15, (.LBB1_11402-.Lpost_getpc16452)>>32
	s_setpc_b64 s[14:15]
.LBB1_25740:
	v_mov_b32_e32 v12, 0
	v_cmp_ne_u16_sdwa s[8:9], v13, v12 src0_sel:BYTE_0 src1_sel:DWORD
	s_andn2_b64 s[4:5], s[4:5], exec
	s_and_b64 s[8:9], s[8:9], exec
	s_or_b64 s[4:5], s[4:5], s[8:9]
	s_or_b64 exec, exec, s[6:7]
	s_and_saveexec_b64 s[6:7], s[4:5]
	s_cbranch_execz .LBB1_34373
; %bb.61579:
	s_getpc_b64 s[14:15]
.Lpost_getpc16453:
	s_add_u32 s14, s14, (.LBB1_11403-.Lpost_getpc16453)&4294967295
	s_addc_u32 s15, s15, (.LBB1_11403-.Lpost_getpc16453)>>32
	s_setpc_b64 s[14:15]
.LBB1_34373:
	s_getpc_b64 s[14:15]
.Lpost_getpc2850:
	s_add_u32 s14, s14, (.LBB1_11404-.Lpost_getpc2850)&4294967295
	s_addc_u32 s15, s15, (.LBB1_11404-.Lpost_getpc2850)>>32
	s_setpc_b64 s[14:15]
.LBB1_25741:
	s_movk_i32 s4, 0x80
	v_cmp_eq_u16_sdwa s[12:13], v13, s4 src0_sel:BYTE_0 src1_sel:DWORD
	s_mov_b64 s[4:5], -1
                                        ; implicit-def: $sgpr10
	s_and_saveexec_b64 s[8:9], s[12:13]
; %bb.25742:
	s_mov_b32 s10, 0x7f800001
	s_xor_b64 s[4:5], exec, -1
; %bb.25743:
	s_or_b64 exec, exec, s[8:9]
	s_and_b64 s[4:5], s[4:5], exec
	s_or_saveexec_b64 s[6:7], s[6:7]
	v_mov_b32_e32 v14, s10
	s_xor_b64 exec, exec, s[6:7]
	s_cbranch_execnz .LBB1_25744
; %bb.61581:
	s_getpc_b64 s[14:15]
.Lpost_getpc16454:
	s_add_u32 s14, s14, (.LBB1_11406-.Lpost_getpc16454)&4294967295
	s_addc_u32 s15, s15, (.LBB1_11406-.Lpost_getpc16454)>>32
	s_setpc_b64 s[14:15]
.LBB1_25744:
	v_mov_b32_e32 v14, 0
	v_cmp_ne_u16_sdwa s[8:9], v13, v14 src0_sel:BYTE_0 src1_sel:DWORD
	s_andn2_b64 s[4:5], s[4:5], exec
	s_and_b64 s[8:9], s[8:9], exec
	s_or_b64 s[4:5], s[4:5], s[8:9]
	s_or_b64 exec, exec, s[6:7]
	s_and_saveexec_b64 s[6:7], s[4:5]
	s_cbranch_execz .LBB1_34375
; %bb.61583:
	s_getpc_b64 s[14:15]
.Lpost_getpc16455:
	s_add_u32 s14, s14, (.LBB1_11407-.Lpost_getpc16455)&4294967295
	s_addc_u32 s15, s15, (.LBB1_11407-.Lpost_getpc16455)>>32
	s_setpc_b64 s[14:15]
.LBB1_34375:
	s_getpc_b64 s[14:15]
.Lpost_getpc2851:
	s_add_u32 s14, s14, (.LBB1_11408-.Lpost_getpc2851)&4294967295
	s_addc_u32 s15, s15, (.LBB1_11408-.Lpost_getpc2851)>>32
	s_setpc_b64 s[14:15]
.LBB1_25745:
	s_movk_i32 s4, 0x80
	v_cmp_eq_u16_e32 vcc, s4, v13
	s_mov_b64 s[4:5], -1
                                        ; implicit-def: $sgpr10
	s_and_saveexec_b64 s[8:9], vcc
; %bb.25746:
	s_mov_b32 s10, 0x7f800001
	s_xor_b64 s[4:5], exec, -1
; %bb.25747:
	s_or_b64 exec, exec, s[8:9]
	s_and_b64 s[4:5], s[4:5], exec
                                        ; implicit-def: $vgpr13
	s_or_saveexec_b64 s[6:7], s[6:7]
	v_mov_b32_e32 v12, s10
	s_xor_b64 exec, exec, s[6:7]
	s_cbranch_execnz .LBB1_25748
; %bb.61585:
	s_getpc_b64 s[14:15]
.Lpost_getpc16456:
	s_add_u32 s14, s14, (.LBB1_11410-.Lpost_getpc16456)&4294967295
	s_addc_u32 s15, s15, (.LBB1_11410-.Lpost_getpc16456)>>32
	s_setpc_b64 s[14:15]
.LBB1_25748:
	v_cmp_ne_u16_e32 vcc, 0, v13
	s_andn2_b64 s[4:5], s[4:5], exec
	s_and_b64 s[8:9], vcc, exec
	v_mov_b32_e32 v12, 0
	s_or_b64 s[4:5], s[4:5], s[8:9]
	s_or_b64 exec, exec, s[6:7]
	s_and_saveexec_b64 s[6:7], s[4:5]
	s_cbranch_execz .LBB1_34377
; %bb.61587:
	s_getpc_b64 s[14:15]
.Lpost_getpc16457:
	s_add_u32 s14, s14, (.LBB1_11411-.Lpost_getpc16457)&4294967295
	s_addc_u32 s15, s15, (.LBB1_11411-.Lpost_getpc16457)>>32
	s_setpc_b64 s[14:15]
.LBB1_34377:
	s_getpc_b64 s[14:15]
.Lpost_getpc2852:
	s_add_u32 s14, s14, (.LBB1_11412-.Lpost_getpc2852)&4294967295
	s_addc_u32 s15, s15, (.LBB1_11412-.Lpost_getpc2852)>>32
	s_setpc_b64 s[14:15]
.LBB1_25749:
	s_movk_i32 s4, 0x80
	v_cmp_eq_u16_e32 vcc, s4, v13
	s_mov_b64 s[4:5], -1
                                        ; implicit-def: $sgpr10
	s_and_saveexec_b64 s[8:9], vcc
; %bb.25750:
	s_mov_b32 s10, 0x7f800001
	s_xor_b64 s[4:5], exec, -1
; %bb.25751:
	s_or_b64 exec, exec, s[8:9]
	s_and_b64 s[4:5], s[4:5], exec
                                        ; implicit-def: $vgpr13
	s_or_saveexec_b64 s[6:7], s[6:7]
	v_mov_b32_e32 v14, s10
	s_xor_b64 exec, exec, s[6:7]
	s_cbranch_execnz .LBB1_25752
; %bb.61589:
	s_getpc_b64 s[14:15]
.Lpost_getpc16458:
	s_add_u32 s14, s14, (.LBB1_11414-.Lpost_getpc16458)&4294967295
	s_addc_u32 s15, s15, (.LBB1_11414-.Lpost_getpc16458)>>32
	s_setpc_b64 s[14:15]
.LBB1_25752:
	v_cmp_ne_u16_e32 vcc, 0, v13
	s_andn2_b64 s[4:5], s[4:5], exec
	s_and_b64 s[8:9], vcc, exec
	v_mov_b32_e32 v14, 0
	s_or_b64 s[4:5], s[4:5], s[8:9]
	s_or_b64 exec, exec, s[6:7]
	s_and_saveexec_b64 s[6:7], s[4:5]
	s_cbranch_execz .LBB1_34379
; %bb.61591:
	s_getpc_b64 s[14:15]
.Lpost_getpc16459:
	s_add_u32 s14, s14, (.LBB1_11415-.Lpost_getpc16459)&4294967295
	s_addc_u32 s15, s15, (.LBB1_11415-.Lpost_getpc16459)>>32
	s_setpc_b64 s[14:15]
.LBB1_34379:
	s_getpc_b64 s[14:15]
.Lpost_getpc2853:
	s_add_u32 s14, s14, (.LBB1_11416-.Lpost_getpc2853)&4294967295
	s_addc_u32 s15, s15, (.LBB1_11416-.Lpost_getpc2853)>>32
	s_setpc_b64 s[14:15]
.LBB1_25753:
	s_movk_i32 s4, 0x80
	v_cmp_eq_u16_sdwa s[12:13], v6, s4 src0_sel:BYTE_3 src1_sel:DWORD
	s_mov_b64 s[4:5], -1
                                        ; implicit-def: $sgpr10
	s_and_saveexec_b64 s[8:9], s[12:13]
; %bb.25754:
	s_mov_b32 s10, 0x7f800001
	s_xor_b64 s[4:5], exec, -1
; %bb.25755:
	s_or_b64 exec, exec, s[8:9]
	s_and_b64 s[4:5], s[4:5], exec
	s_or_saveexec_b64 s[6:7], s[6:7]
	v_mov_b32_e32 v12, s10
	s_xor_b64 exec, exec, s[6:7]
	s_cbranch_execnz .LBB1_25756
; %bb.61593:
	s_getpc_b64 s[14:15]
.Lpost_getpc16460:
	s_add_u32 s14, s14, (.LBB1_11418-.Lpost_getpc16460)&4294967295
	s_addc_u32 s15, s15, (.LBB1_11418-.Lpost_getpc16460)>>32
	s_setpc_b64 s[14:15]
.LBB1_25756:
	v_mov_b32_e32 v12, 0
	v_cmp_ne_u16_sdwa s[8:9], v6, v12 src0_sel:BYTE_3 src1_sel:DWORD
	s_andn2_b64 s[4:5], s[4:5], exec
	s_and_b64 s[8:9], s[8:9], exec
	s_or_b64 s[4:5], s[4:5], s[8:9]
	s_or_b64 exec, exec, s[6:7]
	s_and_saveexec_b64 s[6:7], s[4:5]
	s_cbranch_execz .LBB1_34381
; %bb.61595:
	s_getpc_b64 s[14:15]
.Lpost_getpc16461:
	s_add_u32 s14, s14, (.LBB1_11419-.Lpost_getpc16461)&4294967295
	s_addc_u32 s15, s15, (.LBB1_11419-.Lpost_getpc16461)>>32
	s_setpc_b64 s[14:15]
.LBB1_34381:
	s_getpc_b64 s[14:15]
.Lpost_getpc2854:
	s_add_u32 s14, s14, (.LBB1_11420-.Lpost_getpc2854)&4294967295
	s_addc_u32 s15, s15, (.LBB1_11420-.Lpost_getpc2854)>>32
	s_setpc_b64 s[14:15]
.LBB1_25757:
	s_movk_i32 s4, 0x80
	v_cmp_eq_u16_sdwa s[12:13], v2, s4 src0_sel:BYTE_3 src1_sel:DWORD
	s_mov_b64 s[4:5], -1
                                        ; implicit-def: $sgpr10
	s_and_saveexec_b64 s[8:9], s[12:13]
; %bb.25758:
	s_mov_b32 s10, 0x7f800001
	s_xor_b64 s[4:5], exec, -1
; %bb.25759:
	s_or_b64 exec, exec, s[8:9]
	s_and_b64 s[4:5], s[4:5], exec
	s_or_saveexec_b64 s[6:7], s[6:7]
	v_mov_b32_e32 v6, s10
	s_xor_b64 exec, exec, s[6:7]
	s_cbranch_execnz .LBB1_25760
; %bb.61597:
	s_getpc_b64 s[14:15]
.Lpost_getpc16462:
	s_add_u32 s14, s14, (.LBB1_11422-.Lpost_getpc16462)&4294967295
	s_addc_u32 s15, s15, (.LBB1_11422-.Lpost_getpc16462)>>32
	s_setpc_b64 s[14:15]
.LBB1_25760:
	v_mov_b32_e32 v6, 0
	v_cmp_ne_u16_sdwa s[8:9], v2, v6 src0_sel:BYTE_3 src1_sel:DWORD
	s_andn2_b64 s[4:5], s[4:5], exec
	s_and_b64 s[8:9], s[8:9], exec
	s_or_b64 s[4:5], s[4:5], s[8:9]
	s_or_b64 exec, exec, s[6:7]
	s_and_saveexec_b64 s[6:7], s[4:5]
	s_cbranch_execz .LBB1_34383
; %bb.61599:
	s_getpc_b64 s[14:15]
.Lpost_getpc16463:
	s_add_u32 s14, s14, (.LBB1_11423-.Lpost_getpc16463)&4294967295
	s_addc_u32 s15, s15, (.LBB1_11423-.Lpost_getpc16463)>>32
	s_setpc_b64 s[14:15]
.LBB1_34383:
	s_getpc_b64 s[14:15]
.Lpost_getpc2855:
	s_add_u32 s14, s14, (.LBB1_11424-.Lpost_getpc2855)&4294967295
	s_addc_u32 s15, s15, (.LBB1_11424-.Lpost_getpc2855)>>32
	s_setpc_b64 s[14:15]
.LBB1_25761:
	s_movk_i32 s4, 0x80
	v_cmp_eq_u16_sdwa s[12:13], v7, s4 src0_sel:BYTE_0 src1_sel:DWORD
	s_mov_b64 s[4:5], -1
                                        ; implicit-def: $sgpr10
	s_and_saveexec_b64 s[8:9], s[12:13]
; %bb.25762:
	s_mov_b32 s10, 0x7f800001
	s_xor_b64 s[4:5], exec, -1
; %bb.25763:
	s_or_b64 exec, exec, s[8:9]
	s_and_b64 s[4:5], s[4:5], exec
	s_or_saveexec_b64 s[6:7], s[6:7]
	v_mov_b32_e32 v2, s10
	s_xor_b64 exec, exec, s[6:7]
	s_cbranch_execnz .LBB1_25764
; %bb.61601:
	s_getpc_b64 s[14:15]
.Lpost_getpc16464:
	s_add_u32 s14, s14, (.LBB1_11426-.Lpost_getpc16464)&4294967295
	s_addc_u32 s15, s15, (.LBB1_11426-.Lpost_getpc16464)>>32
	s_setpc_b64 s[14:15]
.LBB1_25764:
	v_mov_b32_e32 v2, 0
	v_cmp_ne_u16_sdwa s[8:9], v7, v2 src0_sel:BYTE_0 src1_sel:DWORD
	s_andn2_b64 s[4:5], s[4:5], exec
	s_and_b64 s[8:9], s[8:9], exec
	s_or_b64 s[4:5], s[4:5], s[8:9]
	s_or_b64 exec, exec, s[6:7]
	s_and_saveexec_b64 s[6:7], s[4:5]
	s_cbranch_execz .LBB1_34385
; %bb.61603:
	s_getpc_b64 s[14:15]
.Lpost_getpc16465:
	s_add_u32 s14, s14, (.LBB1_11427-.Lpost_getpc16465)&4294967295
	s_addc_u32 s15, s15, (.LBB1_11427-.Lpost_getpc16465)>>32
	s_setpc_b64 s[14:15]
.LBB1_34385:
	s_getpc_b64 s[14:15]
.Lpost_getpc2856:
	s_add_u32 s14, s14, (.LBB1_11428-.Lpost_getpc2856)&4294967295
	s_addc_u32 s15, s15, (.LBB1_11428-.Lpost_getpc2856)>>32
	s_setpc_b64 s[14:15]
.LBB1_25765:
	s_movk_i32 s4, 0x80
	v_cmp_eq_u16_sdwa s[12:13], v3, s4 src0_sel:BYTE_0 src1_sel:DWORD
	s_mov_b64 s[4:5], -1
                                        ; implicit-def: $sgpr10
	s_and_saveexec_b64 s[8:9], s[12:13]
; %bb.25766:
	s_mov_b32 s10, 0x7f800001
	s_xor_b64 s[4:5], exec, -1
; %bb.25767:
	s_or_b64 exec, exec, s[8:9]
	s_and_b64 s[4:5], s[4:5], exec
	s_or_saveexec_b64 s[6:7], s[6:7]
	v_mov_b32_e32 v6, s10
	s_xor_b64 exec, exec, s[6:7]
	s_cbranch_execnz .LBB1_25768
; %bb.61605:
	s_getpc_b64 s[14:15]
.Lpost_getpc16466:
	s_add_u32 s14, s14, (.LBB1_11430-.Lpost_getpc16466)&4294967295
	s_addc_u32 s15, s15, (.LBB1_11430-.Lpost_getpc16466)>>32
	s_setpc_b64 s[14:15]
.LBB1_25768:
	v_mov_b32_e32 v6, 0
	v_cmp_ne_u16_sdwa s[8:9], v3, v6 src0_sel:BYTE_0 src1_sel:DWORD
	s_andn2_b64 s[4:5], s[4:5], exec
	s_and_b64 s[8:9], s[8:9], exec
	s_or_b64 s[4:5], s[4:5], s[8:9]
	s_or_b64 exec, exec, s[6:7]
	s_and_saveexec_b64 s[6:7], s[4:5]
	s_cbranch_execz .LBB1_34387
; %bb.61607:
	s_getpc_b64 s[14:15]
.Lpost_getpc16467:
	s_add_u32 s14, s14, (.LBB1_11431-.Lpost_getpc16467)&4294967295
	s_addc_u32 s15, s15, (.LBB1_11431-.Lpost_getpc16467)>>32
	s_setpc_b64 s[14:15]
.LBB1_34387:
	s_getpc_b64 s[14:15]
.Lpost_getpc2857:
	s_add_u32 s14, s14, (.LBB1_11432-.Lpost_getpc2857)&4294967295
	s_addc_u32 s15, s15, (.LBB1_11432-.Lpost_getpc2857)>>32
	s_setpc_b64 s[14:15]
.LBB1_25769:
	s_movk_i32 s4, 0x80
	v_cmp_eq_u16_sdwa s[12:13], v6, s4 src0_sel:BYTE_0 src1_sel:DWORD
	s_mov_b64 s[4:5], -1
                                        ; implicit-def: $sgpr10
	s_and_saveexec_b64 s[8:9], s[12:13]
; %bb.25770:
	s_mov_b32 s10, 0x7f800001
	s_xor_b64 s[4:5], exec, -1
; %bb.25771:
	s_or_b64 exec, exec, s[8:9]
	s_and_b64 s[4:5], s[4:5], exec
	s_or_saveexec_b64 s[6:7], s[6:7]
	v_mov_b32_e32 v2, s10
	s_xor_b64 exec, exec, s[6:7]
	s_cbranch_execnz .LBB1_25772
; %bb.61609:
	s_getpc_b64 s[14:15]
.Lpost_getpc16468:
	s_add_u32 s14, s14, (.LBB1_11434-.Lpost_getpc16468)&4294967295
	s_addc_u32 s15, s15, (.LBB1_11434-.Lpost_getpc16468)>>32
	s_setpc_b64 s[14:15]
.LBB1_25772:
	v_mov_b32_e32 v2, 0
	v_cmp_ne_u16_sdwa s[8:9], v6, v2 src0_sel:BYTE_0 src1_sel:DWORD
	s_andn2_b64 s[4:5], s[4:5], exec
	s_and_b64 s[8:9], s[8:9], exec
	s_or_b64 s[4:5], s[4:5], s[8:9]
	s_or_b64 exec, exec, s[6:7]
	s_and_saveexec_b64 s[6:7], s[4:5]
	s_cbranch_execz .LBB1_34389
; %bb.61611:
	s_getpc_b64 s[14:15]
.Lpost_getpc16469:
	s_add_u32 s14, s14, (.LBB1_11435-.Lpost_getpc16469)&4294967295
	s_addc_u32 s15, s15, (.LBB1_11435-.Lpost_getpc16469)>>32
	s_setpc_b64 s[14:15]
.LBB1_34389:
	s_getpc_b64 s[14:15]
.Lpost_getpc2858:
	s_add_u32 s14, s14, (.LBB1_11436-.Lpost_getpc2858)&4294967295
	s_addc_u32 s15, s15, (.LBB1_11436-.Lpost_getpc2858)>>32
	s_setpc_b64 s[14:15]
.LBB1_25773:
	s_movk_i32 s4, 0x80
	v_cmp_eq_u16_sdwa s[12:13], v6, s4 src0_sel:BYTE_0 src1_sel:DWORD
	s_mov_b64 s[4:5], -1
                                        ; implicit-def: $sgpr10
	s_and_saveexec_b64 s[8:9], s[12:13]
; %bb.25774:
	s_mov_b32 s10, 0x7f800001
	s_xor_b64 s[4:5], exec, -1
; %bb.25775:
	s_or_b64 exec, exec, s[8:9]
	s_and_b64 s[4:5], s[4:5], exec
	s_or_saveexec_b64 s[6:7], s[6:7]
	v_mov_b32_e32 v12, s10
	s_xor_b64 exec, exec, s[6:7]
	s_cbranch_execnz .LBB1_25776
; %bb.61613:
	s_getpc_b64 s[14:15]
.Lpost_getpc16470:
	s_add_u32 s14, s14, (.LBB1_11438-.Lpost_getpc16470)&4294967295
	s_addc_u32 s15, s15, (.LBB1_11438-.Lpost_getpc16470)>>32
	s_setpc_b64 s[14:15]
.LBB1_25776:
	v_mov_b32_e32 v12, 0
	v_cmp_ne_u16_sdwa s[8:9], v6, v12 src0_sel:BYTE_0 src1_sel:DWORD
	s_andn2_b64 s[4:5], s[4:5], exec
	s_and_b64 s[8:9], s[8:9], exec
	s_or_b64 s[4:5], s[4:5], s[8:9]
	s_or_b64 exec, exec, s[6:7]
	s_and_saveexec_b64 s[6:7], s[4:5]
	s_cbranch_execz .LBB1_34391
; %bb.61615:
	s_getpc_b64 s[14:15]
.Lpost_getpc16471:
	s_add_u32 s14, s14, (.LBB1_11439-.Lpost_getpc16471)&4294967295
	s_addc_u32 s15, s15, (.LBB1_11439-.Lpost_getpc16471)>>32
	s_setpc_b64 s[14:15]
.LBB1_34391:
	s_getpc_b64 s[14:15]
.Lpost_getpc2859:
	s_add_u32 s14, s14, (.LBB1_11440-.Lpost_getpc2859)&4294967295
	s_addc_u32 s15, s15, (.LBB1_11440-.Lpost_getpc2859)>>32
	s_setpc_b64 s[14:15]
.LBB1_25777:
	s_movk_i32 s4, 0x80
	v_cmp_eq_u16_e32 vcc, s4, v6
	s_mov_b64 s[4:5], -1
                                        ; implicit-def: $sgpr10
	s_and_saveexec_b64 s[8:9], vcc
; %bb.25778:
	s_mov_b32 s10, 0x7f800001
	s_xor_b64 s[4:5], exec, -1
; %bb.25779:
	s_or_b64 exec, exec, s[8:9]
	s_and_b64 s[4:5], s[4:5], exec
                                        ; implicit-def: $vgpr6
	s_or_saveexec_b64 s[6:7], s[6:7]
	v_mov_b32_e32 v2, s10
	s_xor_b64 exec, exec, s[6:7]
	s_cbranch_execnz .LBB1_25780
; %bb.61617:
	s_getpc_b64 s[14:15]
.Lpost_getpc16472:
	s_add_u32 s14, s14, (.LBB1_11442-.Lpost_getpc16472)&4294967295
	s_addc_u32 s15, s15, (.LBB1_11442-.Lpost_getpc16472)>>32
	s_setpc_b64 s[14:15]
.LBB1_25780:
	v_cmp_ne_u16_e32 vcc, 0, v6
	s_andn2_b64 s[4:5], s[4:5], exec
	s_and_b64 s[8:9], vcc, exec
	v_mov_b32_e32 v2, 0
	s_or_b64 s[4:5], s[4:5], s[8:9]
	s_or_b64 exec, exec, s[6:7]
	s_and_saveexec_b64 s[6:7], s[4:5]
	s_cbranch_execz .LBB1_34393
; %bb.61619:
	s_getpc_b64 s[14:15]
.Lpost_getpc16473:
	s_add_u32 s14, s14, (.LBB1_11443-.Lpost_getpc16473)&4294967295
	s_addc_u32 s15, s15, (.LBB1_11443-.Lpost_getpc16473)>>32
	s_setpc_b64 s[14:15]
.LBB1_34393:
	s_getpc_b64 s[14:15]
.Lpost_getpc2860:
	s_add_u32 s14, s14, (.LBB1_11444-.Lpost_getpc2860)&4294967295
	s_addc_u32 s15, s15, (.LBB1_11444-.Lpost_getpc2860)>>32
	s_setpc_b64 s[14:15]
.LBB1_25781:
	s_movk_i32 s4, 0x80
	v_cmp_eq_u16_e32 vcc, s4, v6
	s_mov_b64 s[4:5], -1
                                        ; implicit-def: $sgpr10
	s_and_saveexec_b64 s[8:9], vcc
; %bb.25782:
	s_mov_b32 s10, 0x7f800001
	s_xor_b64 s[4:5], exec, -1
; %bb.25783:
	s_or_b64 exec, exec, s[8:9]
	s_and_b64 s[4:5], s[4:5], exec
                                        ; implicit-def: $vgpr6
	s_or_saveexec_b64 s[6:7], s[6:7]
	v_mov_b32_e32 v12, s10
	s_xor_b64 exec, exec, s[6:7]
	s_cbranch_execnz .LBB1_25784
; %bb.61621:
	s_getpc_b64 s[14:15]
.Lpost_getpc16474:
	s_add_u32 s14, s14, (.LBB1_11446-.Lpost_getpc16474)&4294967295
	s_addc_u32 s15, s15, (.LBB1_11446-.Lpost_getpc16474)>>32
	s_setpc_b64 s[14:15]
.LBB1_25784:
	v_cmp_ne_u16_e32 vcc, 0, v6
	s_andn2_b64 s[4:5], s[4:5], exec
	s_and_b64 s[8:9], vcc, exec
	v_mov_b32_e32 v12, 0
	s_or_b64 s[4:5], s[4:5], s[8:9]
	s_or_b64 exec, exec, s[6:7]
	s_and_saveexec_b64 s[6:7], s[4:5]
	s_cbranch_execz .LBB1_34395
; %bb.61623:
	s_getpc_b64 s[14:15]
.Lpost_getpc16475:
	s_add_u32 s14, s14, (.LBB1_11447-.Lpost_getpc16475)&4294967295
	s_addc_u32 s15, s15, (.LBB1_11447-.Lpost_getpc16475)>>32
	s_setpc_b64 s[14:15]
.LBB1_34395:
	s_getpc_b64 s[14:15]
.Lpost_getpc2861:
	s_add_u32 s14, s14, (.LBB1_11448-.Lpost_getpc2861)&4294967295
	s_addc_u32 s15, s15, (.LBB1_11448-.Lpost_getpc2861)>>32
	s_setpc_b64 s[14:15]
.LBB1_25785:
	s_movk_i32 s4, 0x80
	v_cmp_eq_u16_sdwa s[12:13], v7, s4 src0_sel:BYTE_3 src1_sel:DWORD
	s_mov_b64 s[4:5], -1
                                        ; implicit-def: $sgpr10
	s_and_saveexec_b64 s[8:9], s[12:13]
; %bb.25786:
	s_mov_b32 s10, 0x7f800001
	s_xor_b64 s[4:5], exec, -1
; %bb.25787:
	s_or_b64 exec, exec, s[8:9]
	s_and_b64 s[4:5], s[4:5], exec
	s_or_saveexec_b64 s[6:7], s[6:7]
	v_mov_b32_e32 v2, s10
	s_xor_b64 exec, exec, s[6:7]
	s_cbranch_execnz .LBB1_25788
; %bb.61625:
	s_getpc_b64 s[14:15]
.Lpost_getpc16476:
	s_add_u32 s14, s14, (.LBB1_11450-.Lpost_getpc16476)&4294967295
	s_addc_u32 s15, s15, (.LBB1_11450-.Lpost_getpc16476)>>32
	s_setpc_b64 s[14:15]
.LBB1_25788:
	v_mov_b32_e32 v2, 0
	v_cmp_ne_u16_sdwa s[8:9], v7, v2 src0_sel:BYTE_3 src1_sel:DWORD
	s_andn2_b64 s[4:5], s[4:5], exec
	s_and_b64 s[8:9], s[8:9], exec
	s_or_b64 s[4:5], s[4:5], s[8:9]
	s_or_b64 exec, exec, s[6:7]
	s_and_saveexec_b64 s[6:7], s[4:5]
	s_cbranch_execz .LBB1_34397
; %bb.61627:
	s_getpc_b64 s[14:15]
.Lpost_getpc16477:
	s_add_u32 s14, s14, (.LBB1_11451-.Lpost_getpc16477)&4294967295
	s_addc_u32 s15, s15, (.LBB1_11451-.Lpost_getpc16477)>>32
	s_setpc_b64 s[14:15]
.LBB1_34397:
	s_getpc_b64 s[14:15]
.Lpost_getpc2862:
	s_add_u32 s14, s14, (.LBB1_11452-.Lpost_getpc2862)&4294967295
	s_addc_u32 s15, s15, (.LBB1_11452-.Lpost_getpc2862)>>32
	s_setpc_b64 s[14:15]
.LBB1_25789:
	s_movk_i32 s4, 0x80
	v_cmp_eq_u16_sdwa s[12:13], v3, s4 src0_sel:BYTE_3 src1_sel:DWORD
	s_mov_b64 s[4:5], -1
                                        ; implicit-def: $sgpr10
	s_and_saveexec_b64 s[8:9], s[12:13]
; %bb.25790:
	s_mov_b32 s10, 0x7f800001
	s_xor_b64 s[4:5], exec, -1
; %bb.25791:
	s_or_b64 exec, exec, s[8:9]
	s_and_b64 s[4:5], s[4:5], exec
	s_or_saveexec_b64 s[6:7], s[6:7]
	v_mov_b32_e32 v6, s10
	s_xor_b64 exec, exec, s[6:7]
	s_cbranch_execnz .LBB1_25792
; %bb.61629:
	s_getpc_b64 s[14:15]
.Lpost_getpc16478:
	s_add_u32 s14, s14, (.LBB1_11454-.Lpost_getpc16478)&4294967295
	s_addc_u32 s15, s15, (.LBB1_11454-.Lpost_getpc16478)>>32
	s_setpc_b64 s[14:15]
.LBB1_25792:
	v_mov_b32_e32 v6, 0
	v_cmp_ne_u16_sdwa s[8:9], v3, v6 src0_sel:BYTE_3 src1_sel:DWORD
	s_andn2_b64 s[4:5], s[4:5], exec
	s_and_b64 s[8:9], s[8:9], exec
	s_or_b64 s[4:5], s[4:5], s[8:9]
	s_or_b64 exec, exec, s[6:7]
	s_and_saveexec_b64 s[6:7], s[4:5]
	s_cbranch_execz .LBB1_34399
; %bb.61631:
	s_getpc_b64 s[14:15]
.Lpost_getpc16479:
	s_add_u32 s14, s14, (.LBB1_11455-.Lpost_getpc16479)&4294967295
	s_addc_u32 s15, s15, (.LBB1_11455-.Lpost_getpc16479)>>32
	s_setpc_b64 s[14:15]
.LBB1_34399:
	s_getpc_b64 s[14:15]
.Lpost_getpc2863:
	s_add_u32 s14, s14, (.LBB1_11456-.Lpost_getpc2863)&4294967295
	s_addc_u32 s15, s15, (.LBB1_11456-.Lpost_getpc2863)>>32
	s_setpc_b64 s[14:15]
.LBB1_25793:
	s_movk_i32 s4, 0x80
	v_cmp_eq_u16_sdwa s[12:13], v8, s4 src0_sel:BYTE_0 src1_sel:DWORD
	s_mov_b64 s[4:5], -1
                                        ; implicit-def: $sgpr10
	s_and_saveexec_b64 s[8:9], s[12:13]
; %bb.25794:
	s_mov_b32 s10, 0x7f800001
	s_xor_b64 s[4:5], exec, -1
; %bb.25795:
	s_or_b64 exec, exec, s[8:9]
	s_and_b64 s[4:5], s[4:5], exec
	s_or_saveexec_b64 s[6:7], s[6:7]
	v_mov_b32_e32 v2, s10
	s_xor_b64 exec, exec, s[6:7]
	s_cbranch_execnz .LBB1_25796
; %bb.61633:
	s_getpc_b64 s[14:15]
.Lpost_getpc16480:
	s_add_u32 s14, s14, (.LBB1_11458-.Lpost_getpc16480)&4294967295
	s_addc_u32 s15, s15, (.LBB1_11458-.Lpost_getpc16480)>>32
	s_setpc_b64 s[14:15]
.LBB1_25796:
	v_mov_b32_e32 v2, 0
	v_cmp_ne_u16_sdwa s[8:9], v8, v2 src0_sel:BYTE_0 src1_sel:DWORD
	s_andn2_b64 s[4:5], s[4:5], exec
	s_and_b64 s[8:9], s[8:9], exec
	s_or_b64 s[4:5], s[4:5], s[8:9]
	s_or_b64 exec, exec, s[6:7]
	s_and_saveexec_b64 s[6:7], s[4:5]
	s_cbranch_execz .LBB1_34401
; %bb.61635:
	s_getpc_b64 s[14:15]
.Lpost_getpc16481:
	s_add_u32 s14, s14, (.LBB1_11459-.Lpost_getpc16481)&4294967295
	s_addc_u32 s15, s15, (.LBB1_11459-.Lpost_getpc16481)>>32
	s_setpc_b64 s[14:15]
.LBB1_34401:
	s_getpc_b64 s[14:15]
.Lpost_getpc2864:
	s_add_u32 s14, s14, (.LBB1_11460-.Lpost_getpc2864)&4294967295
	s_addc_u32 s15, s15, (.LBB1_11460-.Lpost_getpc2864)>>32
	s_setpc_b64 s[14:15]
.LBB1_25797:
	s_movk_i32 s4, 0x80
	v_cmp_eq_u16_sdwa s[12:13], v4, s4 src0_sel:BYTE_0 src1_sel:DWORD
	s_mov_b64 s[4:5], -1
                                        ; implicit-def: $sgpr10
	s_and_saveexec_b64 s[8:9], s[12:13]
; %bb.25798:
	s_mov_b32 s10, 0x7f800001
	s_xor_b64 s[4:5], exec, -1
; %bb.25799:
	s_or_b64 exec, exec, s[8:9]
	s_and_b64 s[4:5], s[4:5], exec
	s_or_saveexec_b64 s[6:7], s[6:7]
	v_mov_b32_e32 v3, s10
	s_xor_b64 exec, exec, s[6:7]
	s_cbranch_execnz .LBB1_25800
; %bb.61637:
	s_getpc_b64 s[14:15]
.Lpost_getpc16482:
	s_add_u32 s14, s14, (.LBB1_11462-.Lpost_getpc16482)&4294967295
	s_addc_u32 s15, s15, (.LBB1_11462-.Lpost_getpc16482)>>32
	s_setpc_b64 s[14:15]
.LBB1_25800:
	v_mov_b32_e32 v3, 0
	v_cmp_ne_u16_sdwa s[8:9], v4, v3 src0_sel:BYTE_0 src1_sel:DWORD
	s_andn2_b64 s[4:5], s[4:5], exec
	s_and_b64 s[8:9], s[8:9], exec
	s_or_b64 s[4:5], s[4:5], s[8:9]
	s_or_b64 exec, exec, s[6:7]
	s_and_saveexec_b64 s[6:7], s[4:5]
	s_cbranch_execz .LBB1_34403
; %bb.61639:
	s_getpc_b64 s[14:15]
.Lpost_getpc16483:
	s_add_u32 s14, s14, (.LBB1_11463-.Lpost_getpc16483)&4294967295
	s_addc_u32 s15, s15, (.LBB1_11463-.Lpost_getpc16483)>>32
	s_setpc_b64 s[14:15]
.LBB1_34403:
	s_getpc_b64 s[14:15]
.Lpost_getpc2865:
	s_add_u32 s14, s14, (.LBB1_11464-.Lpost_getpc2865)&4294967295
	s_addc_u32 s15, s15, (.LBB1_11464-.Lpost_getpc2865)>>32
	s_setpc_b64 s[14:15]
.LBB1_25801:
	s_movk_i32 s4, 0x80
	v_cmp_eq_u16_sdwa s[12:13], v3, s4 src0_sel:BYTE_0 src1_sel:DWORD
	s_mov_b64 s[4:5], -1
                                        ; implicit-def: $sgpr10
	s_and_saveexec_b64 s[8:9], s[12:13]
; %bb.25802:
	s_mov_b32 s10, 0x7f800001
	s_xor_b64 s[4:5], exec, -1
; %bb.25803:
	s_or_b64 exec, exec, s[8:9]
	s_and_b64 s[4:5], s[4:5], exec
	s_or_saveexec_b64 s[6:7], s[6:7]
	v_mov_b32_e32 v2, s10
	s_xor_b64 exec, exec, s[6:7]
	s_cbranch_execnz .LBB1_25804
; %bb.61641:
	s_getpc_b64 s[14:15]
.Lpost_getpc16484:
	s_add_u32 s14, s14, (.LBB1_11466-.Lpost_getpc16484)&4294967295
	s_addc_u32 s15, s15, (.LBB1_11466-.Lpost_getpc16484)>>32
	s_setpc_b64 s[14:15]
.LBB1_25804:
	v_mov_b32_e32 v2, 0
	v_cmp_ne_u16_sdwa s[8:9], v3, v2 src0_sel:BYTE_0 src1_sel:DWORD
	s_andn2_b64 s[4:5], s[4:5], exec
	s_and_b64 s[8:9], s[8:9], exec
	s_or_b64 s[4:5], s[4:5], s[8:9]
	s_or_b64 exec, exec, s[6:7]
	s_and_saveexec_b64 s[6:7], s[4:5]
	s_cbranch_execz .LBB1_34405
; %bb.61643:
	s_getpc_b64 s[14:15]
.Lpost_getpc16485:
	s_add_u32 s14, s14, (.LBB1_11467-.Lpost_getpc16485)&4294967295
	s_addc_u32 s15, s15, (.LBB1_11467-.Lpost_getpc16485)>>32
	s_setpc_b64 s[14:15]
.LBB1_34405:
	s_getpc_b64 s[14:15]
.Lpost_getpc2866:
	s_add_u32 s14, s14, (.LBB1_11468-.Lpost_getpc2866)&4294967295
	s_addc_u32 s15, s15, (.LBB1_11468-.Lpost_getpc2866)>>32
	s_setpc_b64 s[14:15]
.LBB1_25805:
	s_movk_i32 s4, 0x80
	v_cmp_eq_u16_sdwa s[12:13], v3, s4 src0_sel:BYTE_0 src1_sel:DWORD
	s_mov_b64 s[4:5], -1
                                        ; implicit-def: $sgpr10
	s_and_saveexec_b64 s[8:9], s[12:13]
; %bb.25806:
	s_mov_b32 s10, 0x7f800001
	s_xor_b64 s[4:5], exec, -1
; %bb.25807:
	s_or_b64 exec, exec, s[8:9]
	s_and_b64 s[4:5], s[4:5], exec
	s_or_saveexec_b64 s[6:7], s[6:7]
	v_mov_b32_e32 v6, s10
	s_xor_b64 exec, exec, s[6:7]
	s_cbranch_execnz .LBB1_25808
; %bb.61645:
	s_getpc_b64 s[14:15]
.Lpost_getpc16486:
	s_add_u32 s14, s14, (.LBB1_11470-.Lpost_getpc16486)&4294967295
	s_addc_u32 s15, s15, (.LBB1_11470-.Lpost_getpc16486)>>32
	s_setpc_b64 s[14:15]
.LBB1_25808:
	v_mov_b32_e32 v6, 0
	v_cmp_ne_u16_sdwa s[8:9], v3, v6 src0_sel:BYTE_0 src1_sel:DWORD
	s_andn2_b64 s[4:5], s[4:5], exec
	s_and_b64 s[8:9], s[8:9], exec
	s_or_b64 s[4:5], s[4:5], s[8:9]
	s_or_b64 exec, exec, s[6:7]
	s_and_saveexec_b64 s[6:7], s[4:5]
	s_cbranch_execz .LBB1_34407
; %bb.61647:
	s_getpc_b64 s[14:15]
.Lpost_getpc16487:
	s_add_u32 s14, s14, (.LBB1_11471-.Lpost_getpc16487)&4294967295
	s_addc_u32 s15, s15, (.LBB1_11471-.Lpost_getpc16487)>>32
	s_setpc_b64 s[14:15]
.LBB1_34407:
	s_getpc_b64 s[14:15]
.Lpost_getpc2867:
	s_add_u32 s14, s14, (.LBB1_11472-.Lpost_getpc2867)&4294967295
	s_addc_u32 s15, s15, (.LBB1_11472-.Lpost_getpc2867)>>32
	s_setpc_b64 s[14:15]
.LBB1_25809:
	s_movk_i32 s4, 0x80
	v_cmp_eq_u16_e32 vcc, s4, v3
	s_mov_b64 s[4:5], -1
                                        ; implicit-def: $sgpr10
	s_and_saveexec_b64 s[8:9], vcc
; %bb.25810:
	s_mov_b32 s10, 0x7f800001
	s_xor_b64 s[4:5], exec, -1
; %bb.25811:
	s_or_b64 exec, exec, s[8:9]
	s_and_b64 s[4:5], s[4:5], exec
                                        ; implicit-def: $vgpr3
	s_or_saveexec_b64 s[6:7], s[6:7]
	v_mov_b32_e32 v2, s10
	s_xor_b64 exec, exec, s[6:7]
	s_cbranch_execnz .LBB1_25812
; %bb.61649:
	s_getpc_b64 s[14:15]
.Lpost_getpc16488:
	s_add_u32 s14, s14, (.LBB1_11474-.Lpost_getpc16488)&4294967295
	s_addc_u32 s15, s15, (.LBB1_11474-.Lpost_getpc16488)>>32
	s_setpc_b64 s[14:15]
.LBB1_25812:
	v_cmp_ne_u16_e32 vcc, 0, v3
	s_andn2_b64 s[4:5], s[4:5], exec
	s_and_b64 s[8:9], vcc, exec
	v_mov_b32_e32 v2, 0
	s_or_b64 s[4:5], s[4:5], s[8:9]
	s_or_b64 exec, exec, s[6:7]
	s_and_saveexec_b64 s[6:7], s[4:5]
	s_cbranch_execz .LBB1_34409
; %bb.61651:
	s_getpc_b64 s[14:15]
.Lpost_getpc16489:
	s_add_u32 s14, s14, (.LBB1_11475-.Lpost_getpc16489)&4294967295
	s_addc_u32 s15, s15, (.LBB1_11475-.Lpost_getpc16489)>>32
	s_setpc_b64 s[14:15]
.LBB1_34409:
	s_getpc_b64 s[14:15]
.Lpost_getpc2868:
	s_add_u32 s14, s14, (.LBB1_11476-.Lpost_getpc2868)&4294967295
	s_addc_u32 s15, s15, (.LBB1_11476-.Lpost_getpc2868)>>32
	s_setpc_b64 s[14:15]
.LBB1_25813:
	s_movk_i32 s4, 0x80
	v_cmp_eq_u16_e32 vcc, s4, v3
	s_mov_b64 s[4:5], -1
                                        ; implicit-def: $sgpr10
	s_and_saveexec_b64 s[8:9], vcc
; %bb.25814:
	s_mov_b32 s10, 0x7f800001
	s_xor_b64 s[4:5], exec, -1
; %bb.25815:
	s_or_b64 exec, exec, s[8:9]
	s_and_b64 s[4:5], s[4:5], exec
                                        ; implicit-def: $vgpr3
	s_or_saveexec_b64 s[6:7], s[6:7]
	v_mov_b32_e32 v6, s10
	s_xor_b64 exec, exec, s[6:7]
	s_cbranch_execnz .LBB1_25816
; %bb.61653:
	s_getpc_b64 s[14:15]
.Lpost_getpc16490:
	s_add_u32 s14, s14, (.LBB1_11478-.Lpost_getpc16490)&4294967295
	s_addc_u32 s15, s15, (.LBB1_11478-.Lpost_getpc16490)>>32
	s_setpc_b64 s[14:15]
.LBB1_25816:
	v_cmp_ne_u16_e32 vcc, 0, v3
	s_andn2_b64 s[4:5], s[4:5], exec
	s_and_b64 s[8:9], vcc, exec
	v_mov_b32_e32 v6, 0
	s_or_b64 s[4:5], s[4:5], s[8:9]
	s_or_b64 exec, exec, s[6:7]
	s_and_saveexec_b64 s[6:7], s[4:5]
	s_cbranch_execz .LBB1_34411
; %bb.61655:
	s_getpc_b64 s[14:15]
.Lpost_getpc16491:
	s_add_u32 s14, s14, (.LBB1_11479-.Lpost_getpc16491)&4294967295
	s_addc_u32 s15, s15, (.LBB1_11479-.Lpost_getpc16491)>>32
	s_setpc_b64 s[14:15]
.LBB1_34411:
	s_getpc_b64 s[14:15]
.Lpost_getpc2869:
	s_add_u32 s14, s14, (.LBB1_11480-.Lpost_getpc2869)&4294967295
	s_addc_u32 s15, s15, (.LBB1_11480-.Lpost_getpc2869)>>32
	s_setpc_b64 s[14:15]
.LBB1_25817:
	s_movk_i32 s4, 0x80
	v_cmp_eq_u16_sdwa s[12:13], v8, s4 src0_sel:BYTE_3 src1_sel:DWORD
	s_mov_b64 s[4:5], -1
                                        ; implicit-def: $sgpr10
	s_and_saveexec_b64 s[8:9], s[12:13]
; %bb.25818:
	s_mov_b32 s10, 0x7f800001
	s_xor_b64 s[4:5], exec, -1
; %bb.25819:
	s_or_b64 exec, exec, s[8:9]
	s_and_b64 s[4:5], s[4:5], exec
	s_or_saveexec_b64 s[6:7], s[6:7]
	v_mov_b32_e32 v2, s10
	s_xor_b64 exec, exec, s[6:7]
	s_cbranch_execnz .LBB1_25820
; %bb.61657:
	s_getpc_b64 s[14:15]
.Lpost_getpc16492:
	s_add_u32 s14, s14, (.LBB1_11482-.Lpost_getpc16492)&4294967295
	s_addc_u32 s15, s15, (.LBB1_11482-.Lpost_getpc16492)>>32
	s_setpc_b64 s[14:15]
.LBB1_25820:
	v_mov_b32_e32 v2, 0
	v_cmp_ne_u16_sdwa s[8:9], v8, v2 src0_sel:BYTE_3 src1_sel:DWORD
	s_andn2_b64 s[4:5], s[4:5], exec
	s_and_b64 s[8:9], s[8:9], exec
	s_or_b64 s[4:5], s[4:5], s[8:9]
	s_or_b64 exec, exec, s[6:7]
	s_and_saveexec_b64 s[6:7], s[4:5]
	s_cbranch_execz .LBB1_34413
; %bb.61659:
	s_getpc_b64 s[14:15]
.Lpost_getpc16493:
	s_add_u32 s14, s14, (.LBB1_11483-.Lpost_getpc16493)&4294967295
	s_addc_u32 s15, s15, (.LBB1_11483-.Lpost_getpc16493)>>32
	s_setpc_b64 s[14:15]
.LBB1_34413:
	s_getpc_b64 s[14:15]
.Lpost_getpc2870:
	s_add_u32 s14, s14, (.LBB1_11484-.Lpost_getpc2870)&4294967295
	s_addc_u32 s15, s15, (.LBB1_11484-.Lpost_getpc2870)>>32
	s_setpc_b64 s[14:15]
.LBB1_25821:
	s_movk_i32 s4, 0x80
	v_cmp_eq_u16_sdwa s[12:13], v4, s4 src0_sel:BYTE_3 src1_sel:DWORD
	s_mov_b64 s[4:5], -1
                                        ; implicit-def: $sgpr10
	s_and_saveexec_b64 s[8:9], s[12:13]
; %bb.25822:
	s_mov_b32 s10, 0x7f800001
	s_xor_b64 s[4:5], exec, -1
; %bb.25823:
	s_or_b64 exec, exec, s[8:9]
	s_and_b64 s[4:5], s[4:5], exec
	s_or_saveexec_b64 s[6:7], s[6:7]
	v_mov_b32_e32 v3, s10
	s_xor_b64 exec, exec, s[6:7]
	s_cbranch_execnz .LBB1_25824
; %bb.61661:
	s_getpc_b64 s[14:15]
.Lpost_getpc16494:
	s_add_u32 s14, s14, (.LBB1_11486-.Lpost_getpc16494)&4294967295
	s_addc_u32 s15, s15, (.LBB1_11486-.Lpost_getpc16494)>>32
	s_setpc_b64 s[14:15]
.LBB1_25824:
	v_mov_b32_e32 v3, 0
	v_cmp_ne_u16_sdwa s[8:9], v4, v3 src0_sel:BYTE_3 src1_sel:DWORD
	s_andn2_b64 s[4:5], s[4:5], exec
	s_and_b64 s[8:9], s[8:9], exec
	s_or_b64 s[4:5], s[4:5], s[8:9]
	s_or_b64 exec, exec, s[6:7]
	s_and_saveexec_b64 s[6:7], s[4:5]
	s_cbranch_execz .LBB1_34415
; %bb.61663:
	s_getpc_b64 s[14:15]
.Lpost_getpc16495:
	s_add_u32 s14, s14, (.LBB1_11487-.Lpost_getpc16495)&4294967295
	s_addc_u32 s15, s15, (.LBB1_11487-.Lpost_getpc16495)>>32
	s_setpc_b64 s[14:15]
.LBB1_34415:
	s_getpc_b64 s[14:15]
.Lpost_getpc2871:
	s_add_u32 s14, s14, (.LBB1_11488-.Lpost_getpc2871)&4294967295
	s_addc_u32 s15, s15, (.LBB1_11488-.Lpost_getpc2871)>>32
	s_setpc_b64 s[14:15]
.LBB1_25825:
	s_movk_i32 s4, 0x80
	v_cmp_eq_u16_sdwa s[12:13], v9, s4 src0_sel:BYTE_0 src1_sel:DWORD
	s_mov_b64 s[4:5], -1
                                        ; implicit-def: $sgpr10
	s_and_saveexec_b64 s[8:9], s[12:13]
; %bb.25826:
	s_mov_b32 s10, 0x7f800001
	s_xor_b64 s[4:5], exec, -1
; %bb.25827:
	s_or_b64 exec, exec, s[8:9]
	s_and_b64 s[4:5], s[4:5], exec
	s_or_saveexec_b64 s[6:7], s[6:7]
	v_mov_b32_e32 v2, s10
	s_xor_b64 exec, exec, s[6:7]
	s_cbranch_execnz .LBB1_25828
; %bb.61665:
	s_getpc_b64 s[14:15]
.Lpost_getpc16496:
	s_add_u32 s14, s14, (.LBB1_11490-.Lpost_getpc16496)&4294967295
	s_addc_u32 s15, s15, (.LBB1_11490-.Lpost_getpc16496)>>32
	s_setpc_b64 s[14:15]
.LBB1_25828:
	v_mov_b32_e32 v2, 0
	v_cmp_ne_u16_sdwa s[8:9], v9, v2 src0_sel:BYTE_0 src1_sel:DWORD
	s_andn2_b64 s[4:5], s[4:5], exec
	s_and_b64 s[8:9], s[8:9], exec
	s_or_b64 s[4:5], s[4:5], s[8:9]
	s_or_b64 exec, exec, s[6:7]
	s_and_saveexec_b64 s[6:7], s[4:5]
	s_cbranch_execz .LBB1_34417
; %bb.61667:
	s_getpc_b64 s[14:15]
.Lpost_getpc16497:
	s_add_u32 s14, s14, (.LBB1_11491-.Lpost_getpc16497)&4294967295
	s_addc_u32 s15, s15, (.LBB1_11491-.Lpost_getpc16497)>>32
	s_setpc_b64 s[14:15]
.LBB1_34417:
	s_getpc_b64 s[14:15]
.Lpost_getpc2872:
	s_add_u32 s14, s14, (.LBB1_11492-.Lpost_getpc2872)&4294967295
	s_addc_u32 s15, s15, (.LBB1_11492-.Lpost_getpc2872)>>32
	s_setpc_b64 s[14:15]
.LBB1_25829:
	s_movk_i32 s4, 0x80
	v_cmp_eq_u16_sdwa s[12:13], v5, s4 src0_sel:BYTE_0 src1_sel:DWORD
	s_mov_b64 s[4:5], -1
                                        ; implicit-def: $sgpr10
	s_and_saveexec_b64 s[8:9], s[12:13]
; %bb.25830:
	s_mov_b32 s10, 0x7f800001
	s_xor_b64 s[4:5], exec, -1
; %bb.25831:
	s_or_b64 exec, exec, s[8:9]
	s_and_b64 s[4:5], s[4:5], exec
	s_or_saveexec_b64 s[6:7], s[6:7]
	v_mov_b32_e32 v3, s10
	s_xor_b64 exec, exec, s[6:7]
	s_cbranch_execnz .LBB1_25832
; %bb.61669:
	s_getpc_b64 s[14:15]
.Lpost_getpc16498:
	s_add_u32 s14, s14, (.LBB1_11494-.Lpost_getpc16498)&4294967295
	s_addc_u32 s15, s15, (.LBB1_11494-.Lpost_getpc16498)>>32
	s_setpc_b64 s[14:15]
.LBB1_25832:
	v_mov_b32_e32 v3, 0
	v_cmp_ne_u16_sdwa s[8:9], v5, v3 src0_sel:BYTE_0 src1_sel:DWORD
	s_andn2_b64 s[4:5], s[4:5], exec
	s_and_b64 s[8:9], s[8:9], exec
	s_or_b64 s[4:5], s[4:5], s[8:9]
	s_or_b64 exec, exec, s[6:7]
	s_and_saveexec_b64 s[6:7], s[4:5]
	s_cbranch_execz .LBB1_34419
; %bb.61671:
	s_getpc_b64 s[14:15]
.Lpost_getpc16499:
	s_add_u32 s14, s14, (.LBB1_11495-.Lpost_getpc16499)&4294967295
	s_addc_u32 s15, s15, (.LBB1_11495-.Lpost_getpc16499)>>32
	s_setpc_b64 s[14:15]
.LBB1_34419:
	s_getpc_b64 s[14:15]
.Lpost_getpc2873:
	s_add_u32 s14, s14, (.LBB1_11496-.Lpost_getpc2873)&4294967295
	s_addc_u32 s15, s15, (.LBB1_11496-.Lpost_getpc2873)>>32
	s_setpc_b64 s[14:15]
.LBB1_25833:
	s_movk_i32 s4, 0x80
	v_cmp_eq_u16_sdwa s[12:13], v3, s4 src0_sel:BYTE_0 src1_sel:DWORD
	s_mov_b64 s[4:5], -1
                                        ; implicit-def: $sgpr10
	s_and_saveexec_b64 s[8:9], s[12:13]
; %bb.25834:
	s_mov_b32 s10, 0x7f800001
	s_xor_b64 s[4:5], exec, -1
; %bb.25835:
	s_or_b64 exec, exec, s[8:9]
	s_and_b64 s[4:5], s[4:5], exec
	s_or_saveexec_b64 s[6:7], s[6:7]
	v_mov_b32_e32 v2, s10
	s_xor_b64 exec, exec, s[6:7]
	s_cbranch_execnz .LBB1_25836
; %bb.61673:
	s_getpc_b64 s[14:15]
.Lpost_getpc16500:
	s_add_u32 s14, s14, (.LBB1_11498-.Lpost_getpc16500)&4294967295
	s_addc_u32 s15, s15, (.LBB1_11498-.Lpost_getpc16500)>>32
	s_setpc_b64 s[14:15]
.LBB1_25836:
	v_mov_b32_e32 v2, 0
	v_cmp_ne_u16_sdwa s[8:9], v3, v2 src0_sel:BYTE_0 src1_sel:DWORD
	s_andn2_b64 s[4:5], s[4:5], exec
	s_and_b64 s[8:9], s[8:9], exec
	s_or_b64 s[4:5], s[4:5], s[8:9]
	s_or_b64 exec, exec, s[6:7]
	s_and_saveexec_b64 s[6:7], s[4:5]
	s_cbranch_execz .LBB1_34421
; %bb.61675:
	s_getpc_b64 s[14:15]
.Lpost_getpc16501:
	s_add_u32 s14, s14, (.LBB1_11499-.Lpost_getpc16501)&4294967295
	s_addc_u32 s15, s15, (.LBB1_11499-.Lpost_getpc16501)>>32
	s_setpc_b64 s[14:15]
.LBB1_34421:
	s_getpc_b64 s[14:15]
.Lpost_getpc2874:
	s_add_u32 s14, s14, (.LBB1_11500-.Lpost_getpc2874)&4294967295
	s_addc_u32 s15, s15, (.LBB1_11500-.Lpost_getpc2874)>>32
	s_setpc_b64 s[14:15]
.LBB1_25837:
	s_movk_i32 s4, 0x80
	v_cmp_eq_u16_sdwa s[12:13], v3, s4 src0_sel:BYTE_0 src1_sel:DWORD
	s_mov_b64 s[4:5], -1
                                        ; implicit-def: $sgpr10
	s_and_saveexec_b64 s[8:9], s[12:13]
; %bb.25838:
	s_mov_b32 s10, 0x7f800001
	s_xor_b64 s[4:5], exec, -1
; %bb.25839:
	s_or_b64 exec, exec, s[8:9]
	s_and_b64 s[4:5], s[4:5], exec
	s_or_saveexec_b64 s[6:7], s[6:7]
	v_mov_b32_e32 v4, s10
	s_xor_b64 exec, exec, s[6:7]
	s_cbranch_execnz .LBB1_25840
; %bb.61677:
	s_getpc_b64 s[14:15]
.Lpost_getpc16502:
	s_add_u32 s14, s14, (.LBB1_11502-.Lpost_getpc16502)&4294967295
	s_addc_u32 s15, s15, (.LBB1_11502-.Lpost_getpc16502)>>32
	s_setpc_b64 s[14:15]
.LBB1_25840:
	v_mov_b32_e32 v4, 0
	v_cmp_ne_u16_sdwa s[8:9], v3, v4 src0_sel:BYTE_0 src1_sel:DWORD
	s_andn2_b64 s[4:5], s[4:5], exec
	s_and_b64 s[8:9], s[8:9], exec
	s_or_b64 s[4:5], s[4:5], s[8:9]
	s_or_b64 exec, exec, s[6:7]
	s_and_saveexec_b64 s[6:7], s[4:5]
	s_cbranch_execz .LBB1_34423
; %bb.61679:
	s_getpc_b64 s[14:15]
.Lpost_getpc16503:
	s_add_u32 s14, s14, (.LBB1_11503-.Lpost_getpc16503)&4294967295
	s_addc_u32 s15, s15, (.LBB1_11503-.Lpost_getpc16503)>>32
	s_setpc_b64 s[14:15]
.LBB1_34423:
	s_getpc_b64 s[14:15]
.Lpost_getpc2875:
	s_add_u32 s14, s14, (.LBB1_11504-.Lpost_getpc2875)&4294967295
	s_addc_u32 s15, s15, (.LBB1_11504-.Lpost_getpc2875)>>32
	s_setpc_b64 s[14:15]
.LBB1_25841:
	s_movk_i32 s4, 0x80
	v_cmp_eq_u16_e32 vcc, s4, v3
	s_mov_b64 s[4:5], -1
                                        ; implicit-def: $sgpr10
	s_and_saveexec_b64 s[8:9], vcc
; %bb.25842:
	s_mov_b32 s10, 0x7f800001
	s_xor_b64 s[4:5], exec, -1
; %bb.25843:
	s_or_b64 exec, exec, s[8:9]
	s_and_b64 s[4:5], s[4:5], exec
                                        ; implicit-def: $vgpr3
	s_or_saveexec_b64 s[6:7], s[6:7]
	v_mov_b32_e32 v2, s10
	s_xor_b64 exec, exec, s[6:7]
	s_cbranch_execnz .LBB1_25844
; %bb.61681:
	s_getpc_b64 s[14:15]
.Lpost_getpc16504:
	s_add_u32 s14, s14, (.LBB1_11506-.Lpost_getpc16504)&4294967295
	s_addc_u32 s15, s15, (.LBB1_11506-.Lpost_getpc16504)>>32
	s_setpc_b64 s[14:15]
.LBB1_25844:
	v_cmp_ne_u16_e32 vcc, 0, v3
	s_andn2_b64 s[4:5], s[4:5], exec
	s_and_b64 s[8:9], vcc, exec
	v_mov_b32_e32 v2, 0
	s_or_b64 s[4:5], s[4:5], s[8:9]
	s_or_b64 exec, exec, s[6:7]
	s_and_saveexec_b64 s[6:7], s[4:5]
	s_cbranch_execz .LBB1_34425
; %bb.61683:
	s_getpc_b64 s[14:15]
.Lpost_getpc16505:
	s_add_u32 s14, s14, (.LBB1_11507-.Lpost_getpc16505)&4294967295
	s_addc_u32 s15, s15, (.LBB1_11507-.Lpost_getpc16505)>>32
	s_setpc_b64 s[14:15]
.LBB1_34425:
	s_getpc_b64 s[14:15]
.Lpost_getpc2876:
	s_add_u32 s14, s14, (.LBB1_11508-.Lpost_getpc2876)&4294967295
	s_addc_u32 s15, s15, (.LBB1_11508-.Lpost_getpc2876)>>32
	s_setpc_b64 s[14:15]
.LBB1_25845:
	s_movk_i32 s4, 0x80
	v_cmp_eq_u16_e32 vcc, s4, v3
	s_mov_b64 s[4:5], -1
                                        ; implicit-def: $sgpr10
	s_and_saveexec_b64 s[8:9], vcc
; %bb.25846:
	s_mov_b32 s10, 0x7f800001
	s_xor_b64 s[4:5], exec, -1
; %bb.25847:
	s_or_b64 exec, exec, s[8:9]
	s_and_b64 s[4:5], s[4:5], exec
                                        ; implicit-def: $vgpr3
	s_or_saveexec_b64 s[6:7], s[6:7]
	v_mov_b32_e32 v4, s10
	s_xor_b64 exec, exec, s[6:7]
	s_cbranch_execnz .LBB1_25848
; %bb.61685:
	s_getpc_b64 s[14:15]
.Lpost_getpc16506:
	s_add_u32 s14, s14, (.LBB1_11510-.Lpost_getpc16506)&4294967295
	s_addc_u32 s15, s15, (.LBB1_11510-.Lpost_getpc16506)>>32
	s_setpc_b64 s[14:15]
.LBB1_25848:
	v_cmp_ne_u16_e32 vcc, 0, v3
	s_andn2_b64 s[4:5], s[4:5], exec
	s_and_b64 s[8:9], vcc, exec
	v_mov_b32_e32 v4, 0
	s_or_b64 s[4:5], s[4:5], s[8:9]
	s_or_b64 exec, exec, s[6:7]
	s_and_saveexec_b64 s[6:7], s[4:5]
	s_cbranch_execz .LBB1_34427
; %bb.61687:
	s_getpc_b64 s[14:15]
.Lpost_getpc16507:
	s_add_u32 s14, s14, (.LBB1_11511-.Lpost_getpc16507)&4294967295
	s_addc_u32 s15, s15, (.LBB1_11511-.Lpost_getpc16507)>>32
	s_setpc_b64 s[14:15]
.LBB1_34427:
	s_getpc_b64 s[14:15]
.Lpost_getpc2877:
	s_add_u32 s14, s14, (.LBB1_11512-.Lpost_getpc2877)&4294967295
	s_addc_u32 s15, s15, (.LBB1_11512-.Lpost_getpc2877)>>32
	s_setpc_b64 s[14:15]
.LBB1_25849:
	s_movk_i32 s4, 0x80
	v_cmp_eq_u16_sdwa s[12:13], v9, s4 src0_sel:BYTE_3 src1_sel:DWORD
	s_mov_b64 s[4:5], -1
                                        ; implicit-def: $sgpr10
	s_and_saveexec_b64 s[8:9], s[12:13]
; %bb.25850:
	s_mov_b32 s10, 0x7f800001
	s_xor_b64 s[4:5], exec, -1
; %bb.25851:
	s_or_b64 exec, exec, s[8:9]
	s_and_b64 s[4:5], s[4:5], exec
	s_or_saveexec_b64 s[6:7], s[6:7]
	v_mov_b32_e32 v2, s10
	s_xor_b64 exec, exec, s[6:7]
	s_cbranch_execnz .LBB1_25852
; %bb.61689:
	s_getpc_b64 s[14:15]
.Lpost_getpc16508:
	s_add_u32 s14, s14, (.LBB1_11514-.Lpost_getpc16508)&4294967295
	s_addc_u32 s15, s15, (.LBB1_11514-.Lpost_getpc16508)>>32
	s_setpc_b64 s[14:15]
.LBB1_25852:
	v_mov_b32_e32 v2, 0
	v_cmp_ne_u16_sdwa s[8:9], v9, v2 src0_sel:BYTE_3 src1_sel:DWORD
	s_andn2_b64 s[4:5], s[4:5], exec
	s_and_b64 s[8:9], s[8:9], exec
	s_or_b64 s[4:5], s[4:5], s[8:9]
	s_or_b64 exec, exec, s[6:7]
	s_and_saveexec_b64 s[6:7], s[4:5]
	s_cbranch_execz .LBB1_34429
; %bb.61691:
	s_getpc_b64 s[14:15]
.Lpost_getpc16509:
	s_add_u32 s14, s14, (.LBB1_11515-.Lpost_getpc16509)&4294967295
	s_addc_u32 s15, s15, (.LBB1_11515-.Lpost_getpc16509)>>32
	s_setpc_b64 s[14:15]
.LBB1_34429:
	s_getpc_b64 s[14:15]
.Lpost_getpc2878:
	s_add_u32 s14, s14, (.LBB1_11516-.Lpost_getpc2878)&4294967295
	s_addc_u32 s15, s15, (.LBB1_11516-.Lpost_getpc2878)>>32
	s_setpc_b64 s[14:15]
.LBB1_25853:
	s_movk_i32 s4, 0x80
	v_cmp_eq_u16_sdwa s[12:13], v5, s4 src0_sel:BYTE_3 src1_sel:DWORD
	s_mov_b64 s[4:5], -1
                                        ; implicit-def: $sgpr10
	s_and_saveexec_b64 s[8:9], s[12:13]
; %bb.25854:
	s_mov_b32 s10, 0x7f800001
	s_xor_b64 s[4:5], exec, -1
; %bb.25855:
	s_or_b64 exec, exec, s[8:9]
	s_and_b64 s[4:5], s[4:5], exec
	s_or_saveexec_b64 s[6:7], s[6:7]
	v_mov_b32_e32 v3, s10
	s_xor_b64 exec, exec, s[6:7]
	s_cbranch_execnz .LBB1_25856
; %bb.61693:
	s_getpc_b64 s[14:15]
.Lpost_getpc16510:
	s_add_u32 s14, s14, (.LBB1_11518-.Lpost_getpc16510)&4294967295
	s_addc_u32 s15, s15, (.LBB1_11518-.Lpost_getpc16510)>>32
	s_setpc_b64 s[14:15]
.LBB1_25856:
	v_mov_b32_e32 v3, 0
	v_cmp_ne_u16_sdwa s[8:9], v5, v3 src0_sel:BYTE_3 src1_sel:DWORD
	s_andn2_b64 s[4:5], s[4:5], exec
	s_and_b64 s[8:9], s[8:9], exec
	s_or_b64 s[4:5], s[4:5], s[8:9]
	s_or_b64 exec, exec, s[6:7]
	s_and_saveexec_b64 s[6:7], s[4:5]
	s_cbranch_execz .LBB1_34431
; %bb.61695:
	s_getpc_b64 s[14:15]
.Lpost_getpc16511:
	s_add_u32 s14, s14, (.LBB1_11519-.Lpost_getpc16511)&4294967295
	s_addc_u32 s15, s15, (.LBB1_11519-.Lpost_getpc16511)>>32
	s_setpc_b64 s[14:15]
.LBB1_34431:
	s_getpc_b64 s[14:15]
.Lpost_getpc2879:
	s_add_u32 s14, s14, (.LBB1_11520-.Lpost_getpc2879)&4294967295
	s_addc_u32 s15, s15, (.LBB1_11520-.Lpost_getpc2879)>>32
	s_setpc_b64 s[14:15]
.LBB1_25857:
	s_movk_i32 s4, 0x80
	v_cmp_eq_u16_sdwa s[12:13], v6, s4 src0_sel:BYTE_0 src1_sel:DWORD
	s_mov_b64 s[4:5], -1
                                        ; implicit-def: $sgpr10
	s_and_saveexec_b64 s[8:9], s[12:13]
; %bb.25858:
	s_mov_b32 s10, 0x7f800001
	s_xor_b64 s[4:5], exec, -1
; %bb.25859:
	s_or_b64 exec, exec, s[8:9]
	s_and_b64 s[4:5], s[4:5], exec
	s_or_saveexec_b64 s[6:7], s[6:7]
	v_mov_b32_e32 v12, s10
	s_xor_b64 exec, exec, s[6:7]
	s_cbranch_execnz .LBB1_25860
; %bb.61697:
	s_getpc_b64 s[14:15]
.Lpost_getpc16512:
	s_add_u32 s14, s14, (.LBB1_11522-.Lpost_getpc16512)&4294967295
	s_addc_u32 s15, s15, (.LBB1_11522-.Lpost_getpc16512)>>32
	s_setpc_b64 s[14:15]
.LBB1_25860:
	v_mov_b32_e32 v12, 0
	v_cmp_ne_u16_sdwa s[8:9], v6, v12 src0_sel:BYTE_0 src1_sel:DWORD
	s_andn2_b64 s[4:5], s[4:5], exec
	s_and_b64 s[8:9], s[8:9], exec
	s_or_b64 s[4:5], s[4:5], s[8:9]
	s_or_b64 exec, exec, s[6:7]
	s_and_saveexec_b64 s[6:7], s[4:5]
	s_cbranch_execz .LBB1_34433
; %bb.61699:
	s_getpc_b64 s[14:15]
.Lpost_getpc16513:
	s_add_u32 s14, s14, (.LBB1_11523-.Lpost_getpc16513)&4294967295
	s_addc_u32 s15, s15, (.LBB1_11523-.Lpost_getpc16513)>>32
	s_setpc_b64 s[14:15]
.LBB1_34433:
	s_getpc_b64 s[14:15]
.Lpost_getpc2880:
	s_add_u32 s14, s14, (.LBB1_11524-.Lpost_getpc2880)&4294967295
	s_addc_u32 s15, s15, (.LBB1_11524-.Lpost_getpc2880)>>32
	s_setpc_b64 s[14:15]
.LBB1_25861:
	s_movk_i32 s4, 0x80
	v_cmp_eq_u16_sdwa s[12:13], v2, s4 src0_sel:BYTE_0 src1_sel:DWORD
	s_mov_b64 s[4:5], -1
                                        ; implicit-def: $sgpr10
	s_and_saveexec_b64 s[8:9], s[12:13]
; %bb.25862:
	s_mov_b32 s10, 0x7f800001
	s_xor_b64 s[4:5], exec, -1
; %bb.25863:
	s_or_b64 exec, exec, s[8:9]
	s_and_b64 s[4:5], s[4:5], exec
	s_or_saveexec_b64 s[6:7], s[6:7]
	v_mov_b32_e32 v13, s10
	s_xor_b64 exec, exec, s[6:7]
	s_cbranch_execnz .LBB1_25864
; %bb.61701:
	s_getpc_b64 s[14:15]
.Lpost_getpc16514:
	s_add_u32 s14, s14, (.LBB1_11526-.Lpost_getpc16514)&4294967295
	s_addc_u32 s15, s15, (.LBB1_11526-.Lpost_getpc16514)>>32
	s_setpc_b64 s[14:15]
.LBB1_25864:
	v_mov_b32_e32 v13, 0
	v_cmp_ne_u16_sdwa s[8:9], v2, v13 src0_sel:BYTE_0 src1_sel:DWORD
	s_andn2_b64 s[4:5], s[4:5], exec
	s_and_b64 s[8:9], s[8:9], exec
	s_or_b64 s[4:5], s[4:5], s[8:9]
	s_or_b64 exec, exec, s[6:7]
	s_and_saveexec_b64 s[6:7], s[4:5]
	s_cbranch_execz .LBB1_34435
; %bb.61703:
	s_getpc_b64 s[14:15]
.Lpost_getpc16515:
	s_add_u32 s14, s14, (.LBB1_11527-.Lpost_getpc16515)&4294967295
	s_addc_u32 s15, s15, (.LBB1_11527-.Lpost_getpc16515)>>32
	s_setpc_b64 s[14:15]
.LBB1_34435:
	s_getpc_b64 s[14:15]
.Lpost_getpc2881:
	s_add_u32 s14, s14, (.LBB1_11528-.Lpost_getpc2881)&4294967295
	s_addc_u32 s15, s15, (.LBB1_11528-.Lpost_getpc2881)>>32
	s_setpc_b64 s[14:15]
.LBB1_25865:
	s_movk_i32 s4, 0x80
	v_cmp_eq_u16_sdwa s[12:13], v13, s4 src0_sel:BYTE_0 src1_sel:DWORD
	s_mov_b64 s[4:5], -1
                                        ; implicit-def: $sgpr10
	s_and_saveexec_b64 s[8:9], s[12:13]
; %bb.25866:
	s_mov_b32 s10, 0x7f800001
	s_xor_b64 s[4:5], exec, -1
; %bb.25867:
	s_or_b64 exec, exec, s[8:9]
	s_and_b64 s[4:5], s[4:5], exec
	s_or_saveexec_b64 s[6:7], s[6:7]
	v_mov_b32_e32 v12, s10
	s_xor_b64 exec, exec, s[6:7]
	s_cbranch_execnz .LBB1_25868
; %bb.61705:
	s_getpc_b64 s[14:15]
.Lpost_getpc16516:
	s_add_u32 s14, s14, (.LBB1_11530-.Lpost_getpc16516)&4294967295
	s_addc_u32 s15, s15, (.LBB1_11530-.Lpost_getpc16516)>>32
	s_setpc_b64 s[14:15]
.LBB1_25868:
	v_mov_b32_e32 v12, 0
	v_cmp_ne_u16_sdwa s[8:9], v13, v12 src0_sel:BYTE_0 src1_sel:DWORD
	s_andn2_b64 s[4:5], s[4:5], exec
	s_and_b64 s[8:9], s[8:9], exec
	s_or_b64 s[4:5], s[4:5], s[8:9]
	s_or_b64 exec, exec, s[6:7]
	s_and_saveexec_b64 s[6:7], s[4:5]
	s_cbranch_execz .LBB1_34437
; %bb.61707:
	s_getpc_b64 s[14:15]
.Lpost_getpc16517:
	s_add_u32 s14, s14, (.LBB1_11531-.Lpost_getpc16517)&4294967295
	s_addc_u32 s15, s15, (.LBB1_11531-.Lpost_getpc16517)>>32
	s_setpc_b64 s[14:15]
.LBB1_34437:
	s_getpc_b64 s[14:15]
.Lpost_getpc2882:
	s_add_u32 s14, s14, (.LBB1_11532-.Lpost_getpc2882)&4294967295
	s_addc_u32 s15, s15, (.LBB1_11532-.Lpost_getpc2882)>>32
	s_setpc_b64 s[14:15]
.LBB1_25869:
	s_movk_i32 s4, 0x80
	v_cmp_eq_u16_sdwa s[12:13], v13, s4 src0_sel:BYTE_0 src1_sel:DWORD
	s_mov_b64 s[4:5], -1
                                        ; implicit-def: $sgpr10
	s_and_saveexec_b64 s[8:9], s[12:13]
; %bb.25870:
	s_mov_b32 s10, 0x7f800001
	s_xor_b64 s[4:5], exec, -1
; %bb.25871:
	s_or_b64 exec, exec, s[8:9]
	s_and_b64 s[4:5], s[4:5], exec
	s_or_saveexec_b64 s[6:7], s[6:7]
	v_mov_b32_e32 v14, s10
	s_xor_b64 exec, exec, s[6:7]
	s_cbranch_execnz .LBB1_25872
; %bb.61709:
	s_getpc_b64 s[14:15]
.Lpost_getpc16518:
	s_add_u32 s14, s14, (.LBB1_11534-.Lpost_getpc16518)&4294967295
	s_addc_u32 s15, s15, (.LBB1_11534-.Lpost_getpc16518)>>32
	s_setpc_b64 s[14:15]
.LBB1_25872:
	v_mov_b32_e32 v14, 0
	v_cmp_ne_u16_sdwa s[8:9], v13, v14 src0_sel:BYTE_0 src1_sel:DWORD
	s_andn2_b64 s[4:5], s[4:5], exec
	s_and_b64 s[8:9], s[8:9], exec
	s_or_b64 s[4:5], s[4:5], s[8:9]
	s_or_b64 exec, exec, s[6:7]
	s_and_saveexec_b64 s[6:7], s[4:5]
	s_cbranch_execz .LBB1_34439
; %bb.61711:
	s_getpc_b64 s[14:15]
.Lpost_getpc16519:
	s_add_u32 s14, s14, (.LBB1_11535-.Lpost_getpc16519)&4294967295
	s_addc_u32 s15, s15, (.LBB1_11535-.Lpost_getpc16519)>>32
	s_setpc_b64 s[14:15]
.LBB1_34439:
	s_getpc_b64 s[14:15]
.Lpost_getpc2883:
	s_add_u32 s14, s14, (.LBB1_11536-.Lpost_getpc2883)&4294967295
	s_addc_u32 s15, s15, (.LBB1_11536-.Lpost_getpc2883)>>32
	s_setpc_b64 s[14:15]
.LBB1_25873:
	s_movk_i32 s4, 0x80
	v_cmp_eq_u16_e32 vcc, s4, v13
	s_mov_b64 s[4:5], -1
                                        ; implicit-def: $sgpr10
	s_and_saveexec_b64 s[8:9], vcc
; %bb.25874:
	s_mov_b32 s10, 0x7f800001
	s_xor_b64 s[4:5], exec, -1
; %bb.25875:
	s_or_b64 exec, exec, s[8:9]
	s_and_b64 s[4:5], s[4:5], exec
                                        ; implicit-def: $vgpr13
	s_or_saveexec_b64 s[6:7], s[6:7]
	v_mov_b32_e32 v12, s10
	s_xor_b64 exec, exec, s[6:7]
	s_cbranch_execnz .LBB1_25876
; %bb.61713:
	s_getpc_b64 s[14:15]
.Lpost_getpc16520:
	s_add_u32 s14, s14, (.LBB1_11538-.Lpost_getpc16520)&4294967295
	s_addc_u32 s15, s15, (.LBB1_11538-.Lpost_getpc16520)>>32
	s_setpc_b64 s[14:15]
.LBB1_25876:
	v_cmp_ne_u16_e32 vcc, 0, v13
	s_andn2_b64 s[4:5], s[4:5], exec
	s_and_b64 s[8:9], vcc, exec
	v_mov_b32_e32 v12, 0
	s_or_b64 s[4:5], s[4:5], s[8:9]
	s_or_b64 exec, exec, s[6:7]
	s_and_saveexec_b64 s[6:7], s[4:5]
	s_cbranch_execz .LBB1_34441
; %bb.61715:
	s_getpc_b64 s[14:15]
.Lpost_getpc16521:
	s_add_u32 s14, s14, (.LBB1_11539-.Lpost_getpc16521)&4294967295
	s_addc_u32 s15, s15, (.LBB1_11539-.Lpost_getpc16521)>>32
	s_setpc_b64 s[14:15]
.LBB1_34441:
	s_getpc_b64 s[14:15]
.Lpost_getpc2884:
	s_add_u32 s14, s14, (.LBB1_11540-.Lpost_getpc2884)&4294967295
	s_addc_u32 s15, s15, (.LBB1_11540-.Lpost_getpc2884)>>32
	s_setpc_b64 s[14:15]
.LBB1_25877:
	s_movk_i32 s4, 0x80
	v_cmp_eq_u16_e32 vcc, s4, v13
	s_mov_b64 s[4:5], -1
                                        ; implicit-def: $sgpr10
	s_and_saveexec_b64 s[8:9], vcc
; %bb.25878:
	s_mov_b32 s10, 0x7f800001
	s_xor_b64 s[4:5], exec, -1
; %bb.25879:
	s_or_b64 exec, exec, s[8:9]
	s_and_b64 s[4:5], s[4:5], exec
                                        ; implicit-def: $vgpr13
	s_or_saveexec_b64 s[6:7], s[6:7]
	v_mov_b32_e32 v14, s10
	s_xor_b64 exec, exec, s[6:7]
	s_cbranch_execnz .LBB1_25880
; %bb.61717:
	s_getpc_b64 s[14:15]
.Lpost_getpc16522:
	s_add_u32 s14, s14, (.LBB1_11542-.Lpost_getpc16522)&4294967295
	s_addc_u32 s15, s15, (.LBB1_11542-.Lpost_getpc16522)>>32
	s_setpc_b64 s[14:15]
.LBB1_25880:
	v_cmp_ne_u16_e32 vcc, 0, v13
	s_andn2_b64 s[4:5], s[4:5], exec
	s_and_b64 s[8:9], vcc, exec
	v_mov_b32_e32 v14, 0
	s_or_b64 s[4:5], s[4:5], s[8:9]
	s_or_b64 exec, exec, s[6:7]
	s_and_saveexec_b64 s[6:7], s[4:5]
	s_cbranch_execz .LBB1_34443
; %bb.61719:
	s_getpc_b64 s[14:15]
.Lpost_getpc16523:
	s_add_u32 s14, s14, (.LBB1_11543-.Lpost_getpc16523)&4294967295
	s_addc_u32 s15, s15, (.LBB1_11543-.Lpost_getpc16523)>>32
	s_setpc_b64 s[14:15]
.LBB1_34443:
	s_getpc_b64 s[14:15]
.Lpost_getpc2885:
	s_add_u32 s14, s14, (.LBB1_11544-.Lpost_getpc2885)&4294967295
	s_addc_u32 s15, s15, (.LBB1_11544-.Lpost_getpc2885)>>32
	s_setpc_b64 s[14:15]
.LBB1_25881:
	s_movk_i32 s4, 0x80
	v_cmp_eq_u16_sdwa s[12:13], v6, s4 src0_sel:BYTE_3 src1_sel:DWORD
	s_mov_b64 s[4:5], -1
                                        ; implicit-def: $sgpr10
	s_and_saveexec_b64 s[8:9], s[12:13]
; %bb.25882:
	s_mov_b32 s10, 0x7f800001
	s_xor_b64 s[4:5], exec, -1
; %bb.25883:
	s_or_b64 exec, exec, s[8:9]
	s_and_b64 s[4:5], s[4:5], exec
	s_or_saveexec_b64 s[6:7], s[6:7]
	v_mov_b32_e32 v12, s10
	s_xor_b64 exec, exec, s[6:7]
	s_cbranch_execnz .LBB1_25884
; %bb.61721:
	s_getpc_b64 s[14:15]
.Lpost_getpc16524:
	s_add_u32 s14, s14, (.LBB1_11546-.Lpost_getpc16524)&4294967295
	s_addc_u32 s15, s15, (.LBB1_11546-.Lpost_getpc16524)>>32
	s_setpc_b64 s[14:15]
.LBB1_25884:
	v_mov_b32_e32 v12, 0
	v_cmp_ne_u16_sdwa s[8:9], v6, v12 src0_sel:BYTE_3 src1_sel:DWORD
	s_andn2_b64 s[4:5], s[4:5], exec
	s_and_b64 s[8:9], s[8:9], exec
	s_or_b64 s[4:5], s[4:5], s[8:9]
	s_or_b64 exec, exec, s[6:7]
	s_and_saveexec_b64 s[6:7], s[4:5]
	s_cbranch_execz .LBB1_34445
; %bb.61723:
	s_getpc_b64 s[14:15]
.Lpost_getpc16525:
	s_add_u32 s14, s14, (.LBB1_11547-.Lpost_getpc16525)&4294967295
	s_addc_u32 s15, s15, (.LBB1_11547-.Lpost_getpc16525)>>32
	s_setpc_b64 s[14:15]
.LBB1_34445:
	s_getpc_b64 s[14:15]
.Lpost_getpc2886:
	s_add_u32 s14, s14, (.LBB1_11548-.Lpost_getpc2886)&4294967295
	s_addc_u32 s15, s15, (.LBB1_11548-.Lpost_getpc2886)>>32
	s_setpc_b64 s[14:15]
.LBB1_25885:
	s_movk_i32 s4, 0x80
	v_cmp_eq_u16_sdwa s[12:13], v2, s4 src0_sel:BYTE_3 src1_sel:DWORD
	s_mov_b64 s[4:5], -1
                                        ; implicit-def: $sgpr10
	s_and_saveexec_b64 s[8:9], s[12:13]
; %bb.25886:
	s_mov_b32 s10, 0x7f800001
	s_xor_b64 s[4:5], exec, -1
; %bb.25887:
	s_or_b64 exec, exec, s[8:9]
	s_and_b64 s[4:5], s[4:5], exec
	s_or_saveexec_b64 s[6:7], s[6:7]
	v_mov_b32_e32 v6, s10
	s_xor_b64 exec, exec, s[6:7]
	s_cbranch_execnz .LBB1_25888
; %bb.61725:
	s_getpc_b64 s[14:15]
.Lpost_getpc16526:
	s_add_u32 s14, s14, (.LBB1_11550-.Lpost_getpc16526)&4294967295
	s_addc_u32 s15, s15, (.LBB1_11550-.Lpost_getpc16526)>>32
	s_setpc_b64 s[14:15]
.LBB1_25888:
	v_mov_b32_e32 v6, 0
	v_cmp_ne_u16_sdwa s[8:9], v2, v6 src0_sel:BYTE_3 src1_sel:DWORD
	s_andn2_b64 s[4:5], s[4:5], exec
	s_and_b64 s[8:9], s[8:9], exec
	s_or_b64 s[4:5], s[4:5], s[8:9]
	s_or_b64 exec, exec, s[6:7]
	s_and_saveexec_b64 s[6:7], s[4:5]
	s_cbranch_execz .LBB1_34447
; %bb.61727:
	s_getpc_b64 s[14:15]
.Lpost_getpc16527:
	s_add_u32 s14, s14, (.LBB1_11551-.Lpost_getpc16527)&4294967295
	s_addc_u32 s15, s15, (.LBB1_11551-.Lpost_getpc16527)>>32
	s_setpc_b64 s[14:15]
.LBB1_34447:
	s_getpc_b64 s[14:15]
.Lpost_getpc2887:
	s_add_u32 s14, s14, (.LBB1_11552-.Lpost_getpc2887)&4294967295
	s_addc_u32 s15, s15, (.LBB1_11552-.Lpost_getpc2887)>>32
	s_setpc_b64 s[14:15]
.LBB1_25889:
	s_movk_i32 s4, 0x80
	v_cmp_eq_u16_sdwa s[12:13], v7, s4 src0_sel:BYTE_0 src1_sel:DWORD
	s_mov_b64 s[4:5], -1
                                        ; implicit-def: $sgpr10
	s_and_saveexec_b64 s[8:9], s[12:13]
; %bb.25890:
	s_mov_b32 s10, 0x7f800001
	s_xor_b64 s[4:5], exec, -1
; %bb.25891:
	s_or_b64 exec, exec, s[8:9]
	s_and_b64 s[4:5], s[4:5], exec
	s_or_saveexec_b64 s[6:7], s[6:7]
	v_mov_b32_e32 v2, s10
	s_xor_b64 exec, exec, s[6:7]
	s_cbranch_execnz .LBB1_25892
; %bb.61729:
	s_getpc_b64 s[14:15]
.Lpost_getpc16528:
	s_add_u32 s14, s14, (.LBB1_11554-.Lpost_getpc16528)&4294967295
	s_addc_u32 s15, s15, (.LBB1_11554-.Lpost_getpc16528)>>32
	s_setpc_b64 s[14:15]
.LBB1_25892:
	v_mov_b32_e32 v2, 0
	v_cmp_ne_u16_sdwa s[8:9], v7, v2 src0_sel:BYTE_0 src1_sel:DWORD
	s_andn2_b64 s[4:5], s[4:5], exec
	s_and_b64 s[8:9], s[8:9], exec
	s_or_b64 s[4:5], s[4:5], s[8:9]
	s_or_b64 exec, exec, s[6:7]
	s_and_saveexec_b64 s[6:7], s[4:5]
	s_cbranch_execz .LBB1_34449
; %bb.61731:
	s_getpc_b64 s[14:15]
.Lpost_getpc16529:
	s_add_u32 s14, s14, (.LBB1_11555-.Lpost_getpc16529)&4294967295
	s_addc_u32 s15, s15, (.LBB1_11555-.Lpost_getpc16529)>>32
	s_setpc_b64 s[14:15]
.LBB1_34449:
	s_getpc_b64 s[14:15]
.Lpost_getpc2888:
	s_add_u32 s14, s14, (.LBB1_11556-.Lpost_getpc2888)&4294967295
	s_addc_u32 s15, s15, (.LBB1_11556-.Lpost_getpc2888)>>32
	s_setpc_b64 s[14:15]
.LBB1_25893:
	s_movk_i32 s4, 0x80
	v_cmp_eq_u16_sdwa s[12:13], v3, s4 src0_sel:BYTE_0 src1_sel:DWORD
	s_mov_b64 s[4:5], -1
                                        ; implicit-def: $sgpr10
	s_and_saveexec_b64 s[8:9], s[12:13]
; %bb.25894:
	s_mov_b32 s10, 0x7f800001
	s_xor_b64 s[4:5], exec, -1
; %bb.25895:
	s_or_b64 exec, exec, s[8:9]
	s_and_b64 s[4:5], s[4:5], exec
	s_or_saveexec_b64 s[6:7], s[6:7]
	v_mov_b32_e32 v6, s10
	s_xor_b64 exec, exec, s[6:7]
	s_cbranch_execnz .LBB1_25896
; %bb.61733:
	s_getpc_b64 s[14:15]
.Lpost_getpc16530:
	s_add_u32 s14, s14, (.LBB1_11558-.Lpost_getpc16530)&4294967295
	s_addc_u32 s15, s15, (.LBB1_11558-.Lpost_getpc16530)>>32
	s_setpc_b64 s[14:15]
.LBB1_25896:
	v_mov_b32_e32 v6, 0
	v_cmp_ne_u16_sdwa s[8:9], v3, v6 src0_sel:BYTE_0 src1_sel:DWORD
	s_andn2_b64 s[4:5], s[4:5], exec
	s_and_b64 s[8:9], s[8:9], exec
	s_or_b64 s[4:5], s[4:5], s[8:9]
	s_or_b64 exec, exec, s[6:7]
	s_and_saveexec_b64 s[6:7], s[4:5]
	s_cbranch_execz .LBB1_34451
; %bb.61735:
	s_getpc_b64 s[14:15]
.Lpost_getpc16531:
	s_add_u32 s14, s14, (.LBB1_11559-.Lpost_getpc16531)&4294967295
	s_addc_u32 s15, s15, (.LBB1_11559-.Lpost_getpc16531)>>32
	s_setpc_b64 s[14:15]
.LBB1_34451:
	s_getpc_b64 s[14:15]
.Lpost_getpc2889:
	s_add_u32 s14, s14, (.LBB1_11560-.Lpost_getpc2889)&4294967295
	s_addc_u32 s15, s15, (.LBB1_11560-.Lpost_getpc2889)>>32
	s_setpc_b64 s[14:15]
.LBB1_25897:
	s_movk_i32 s4, 0x80
	v_cmp_eq_u16_sdwa s[12:13], v6, s4 src0_sel:BYTE_0 src1_sel:DWORD
	s_mov_b64 s[4:5], -1
                                        ; implicit-def: $sgpr10
	s_and_saveexec_b64 s[8:9], s[12:13]
; %bb.25898:
	s_mov_b32 s10, 0x7f800001
	s_xor_b64 s[4:5], exec, -1
; %bb.25899:
	s_or_b64 exec, exec, s[8:9]
	s_and_b64 s[4:5], s[4:5], exec
	s_or_saveexec_b64 s[6:7], s[6:7]
	v_mov_b32_e32 v2, s10
	s_xor_b64 exec, exec, s[6:7]
	s_cbranch_execnz .LBB1_25900
; %bb.61737:
	s_getpc_b64 s[14:15]
.Lpost_getpc16532:
	s_add_u32 s14, s14, (.LBB1_11562-.Lpost_getpc16532)&4294967295
	s_addc_u32 s15, s15, (.LBB1_11562-.Lpost_getpc16532)>>32
	s_setpc_b64 s[14:15]
.LBB1_25900:
	v_mov_b32_e32 v2, 0
	v_cmp_ne_u16_sdwa s[8:9], v6, v2 src0_sel:BYTE_0 src1_sel:DWORD
	s_andn2_b64 s[4:5], s[4:5], exec
	s_and_b64 s[8:9], s[8:9], exec
	s_or_b64 s[4:5], s[4:5], s[8:9]
	s_or_b64 exec, exec, s[6:7]
	s_and_saveexec_b64 s[6:7], s[4:5]
	s_cbranch_execz .LBB1_34453
; %bb.61739:
	s_getpc_b64 s[14:15]
.Lpost_getpc16533:
	s_add_u32 s14, s14, (.LBB1_11563-.Lpost_getpc16533)&4294967295
	s_addc_u32 s15, s15, (.LBB1_11563-.Lpost_getpc16533)>>32
	s_setpc_b64 s[14:15]
.LBB1_34453:
	s_getpc_b64 s[14:15]
.Lpost_getpc2890:
	s_add_u32 s14, s14, (.LBB1_11564-.Lpost_getpc2890)&4294967295
	s_addc_u32 s15, s15, (.LBB1_11564-.Lpost_getpc2890)>>32
	s_setpc_b64 s[14:15]
.LBB1_25901:
	s_movk_i32 s4, 0x80
	v_cmp_eq_u16_sdwa s[12:13], v6, s4 src0_sel:BYTE_0 src1_sel:DWORD
	s_mov_b64 s[4:5], -1
                                        ; implicit-def: $sgpr10
	s_and_saveexec_b64 s[8:9], s[12:13]
; %bb.25902:
	s_mov_b32 s10, 0x7f800001
	s_xor_b64 s[4:5], exec, -1
; %bb.25903:
	s_or_b64 exec, exec, s[8:9]
	s_and_b64 s[4:5], s[4:5], exec
	s_or_saveexec_b64 s[6:7], s[6:7]
	v_mov_b32_e32 v12, s10
	s_xor_b64 exec, exec, s[6:7]
	s_cbranch_execnz .LBB1_25904
; %bb.61741:
	s_getpc_b64 s[14:15]
.Lpost_getpc16534:
	s_add_u32 s14, s14, (.LBB1_11566-.Lpost_getpc16534)&4294967295
	s_addc_u32 s15, s15, (.LBB1_11566-.Lpost_getpc16534)>>32
	s_setpc_b64 s[14:15]
.LBB1_25904:
	v_mov_b32_e32 v12, 0
	v_cmp_ne_u16_sdwa s[8:9], v6, v12 src0_sel:BYTE_0 src1_sel:DWORD
	s_andn2_b64 s[4:5], s[4:5], exec
	s_and_b64 s[8:9], s[8:9], exec
	s_or_b64 s[4:5], s[4:5], s[8:9]
	s_or_b64 exec, exec, s[6:7]
	s_and_saveexec_b64 s[6:7], s[4:5]
	s_cbranch_execz .LBB1_34455
; %bb.61743:
	s_getpc_b64 s[14:15]
.Lpost_getpc16535:
	s_add_u32 s14, s14, (.LBB1_11567-.Lpost_getpc16535)&4294967295
	s_addc_u32 s15, s15, (.LBB1_11567-.Lpost_getpc16535)>>32
	s_setpc_b64 s[14:15]
.LBB1_34455:
	s_getpc_b64 s[14:15]
.Lpost_getpc2891:
	s_add_u32 s14, s14, (.LBB1_11568-.Lpost_getpc2891)&4294967295
	s_addc_u32 s15, s15, (.LBB1_11568-.Lpost_getpc2891)>>32
	s_setpc_b64 s[14:15]
.LBB1_25905:
	s_movk_i32 s4, 0x80
	v_cmp_eq_u16_e32 vcc, s4, v6
	s_mov_b64 s[4:5], -1
                                        ; implicit-def: $sgpr10
	s_and_saveexec_b64 s[8:9], vcc
; %bb.25906:
	s_mov_b32 s10, 0x7f800001
	s_xor_b64 s[4:5], exec, -1
; %bb.25907:
	s_or_b64 exec, exec, s[8:9]
	s_and_b64 s[4:5], s[4:5], exec
                                        ; implicit-def: $vgpr6
	s_or_saveexec_b64 s[6:7], s[6:7]
	v_mov_b32_e32 v2, s10
	s_xor_b64 exec, exec, s[6:7]
	s_cbranch_execnz .LBB1_25908
; %bb.61745:
	s_getpc_b64 s[14:15]
.Lpost_getpc16536:
	s_add_u32 s14, s14, (.LBB1_11570-.Lpost_getpc16536)&4294967295
	s_addc_u32 s15, s15, (.LBB1_11570-.Lpost_getpc16536)>>32
	s_setpc_b64 s[14:15]
.LBB1_25908:
	v_cmp_ne_u16_e32 vcc, 0, v6
	s_andn2_b64 s[4:5], s[4:5], exec
	s_and_b64 s[8:9], vcc, exec
	v_mov_b32_e32 v2, 0
	s_or_b64 s[4:5], s[4:5], s[8:9]
	s_or_b64 exec, exec, s[6:7]
	s_and_saveexec_b64 s[6:7], s[4:5]
	s_cbranch_execz .LBB1_34457
; %bb.61747:
	s_getpc_b64 s[14:15]
.Lpost_getpc16537:
	s_add_u32 s14, s14, (.LBB1_11571-.Lpost_getpc16537)&4294967295
	s_addc_u32 s15, s15, (.LBB1_11571-.Lpost_getpc16537)>>32
	s_setpc_b64 s[14:15]
.LBB1_34457:
	s_getpc_b64 s[14:15]
.Lpost_getpc2892:
	s_add_u32 s14, s14, (.LBB1_11572-.Lpost_getpc2892)&4294967295
	s_addc_u32 s15, s15, (.LBB1_11572-.Lpost_getpc2892)>>32
	s_setpc_b64 s[14:15]
.LBB1_25909:
	s_movk_i32 s4, 0x80
	v_cmp_eq_u16_e32 vcc, s4, v6
	s_mov_b64 s[4:5], -1
                                        ; implicit-def: $sgpr10
	s_and_saveexec_b64 s[8:9], vcc
; %bb.25910:
	s_mov_b32 s10, 0x7f800001
	s_xor_b64 s[4:5], exec, -1
; %bb.25911:
	s_or_b64 exec, exec, s[8:9]
	s_and_b64 s[4:5], s[4:5], exec
                                        ; implicit-def: $vgpr6
	s_or_saveexec_b64 s[6:7], s[6:7]
	v_mov_b32_e32 v12, s10
	s_xor_b64 exec, exec, s[6:7]
	s_cbranch_execnz .LBB1_25912
; %bb.61749:
	s_getpc_b64 s[14:15]
.Lpost_getpc16538:
	s_add_u32 s14, s14, (.LBB1_11574-.Lpost_getpc16538)&4294967295
	s_addc_u32 s15, s15, (.LBB1_11574-.Lpost_getpc16538)>>32
	s_setpc_b64 s[14:15]
.LBB1_25912:
	v_cmp_ne_u16_e32 vcc, 0, v6
	s_andn2_b64 s[4:5], s[4:5], exec
	s_and_b64 s[8:9], vcc, exec
	v_mov_b32_e32 v12, 0
	s_or_b64 s[4:5], s[4:5], s[8:9]
	s_or_b64 exec, exec, s[6:7]
	s_and_saveexec_b64 s[6:7], s[4:5]
	s_cbranch_execz .LBB1_34459
; %bb.61751:
	s_getpc_b64 s[14:15]
.Lpost_getpc16539:
	s_add_u32 s14, s14, (.LBB1_11575-.Lpost_getpc16539)&4294967295
	s_addc_u32 s15, s15, (.LBB1_11575-.Lpost_getpc16539)>>32
	s_setpc_b64 s[14:15]
.LBB1_34459:
	s_getpc_b64 s[14:15]
.Lpost_getpc2893:
	s_add_u32 s14, s14, (.LBB1_11576-.Lpost_getpc2893)&4294967295
	s_addc_u32 s15, s15, (.LBB1_11576-.Lpost_getpc2893)>>32
	s_setpc_b64 s[14:15]
.LBB1_25913:
	s_movk_i32 s4, 0x80
	v_cmp_eq_u16_sdwa s[12:13], v7, s4 src0_sel:BYTE_3 src1_sel:DWORD
	s_mov_b64 s[4:5], -1
                                        ; implicit-def: $sgpr10
	s_and_saveexec_b64 s[8:9], s[12:13]
; %bb.25914:
	s_mov_b32 s10, 0x7f800001
	s_xor_b64 s[4:5], exec, -1
; %bb.25915:
	s_or_b64 exec, exec, s[8:9]
	s_and_b64 s[4:5], s[4:5], exec
	s_or_saveexec_b64 s[6:7], s[6:7]
	v_mov_b32_e32 v2, s10
	s_xor_b64 exec, exec, s[6:7]
	s_cbranch_execnz .LBB1_25916
; %bb.61753:
	s_getpc_b64 s[14:15]
.Lpost_getpc16540:
	s_add_u32 s14, s14, (.LBB1_11578-.Lpost_getpc16540)&4294967295
	s_addc_u32 s15, s15, (.LBB1_11578-.Lpost_getpc16540)>>32
	s_setpc_b64 s[14:15]
.LBB1_25916:
	v_mov_b32_e32 v2, 0
	v_cmp_ne_u16_sdwa s[8:9], v7, v2 src0_sel:BYTE_3 src1_sel:DWORD
	s_andn2_b64 s[4:5], s[4:5], exec
	s_and_b64 s[8:9], s[8:9], exec
	s_or_b64 s[4:5], s[4:5], s[8:9]
	s_or_b64 exec, exec, s[6:7]
	s_and_saveexec_b64 s[6:7], s[4:5]
	s_cbranch_execz .LBB1_34461
; %bb.61755:
	s_getpc_b64 s[14:15]
.Lpost_getpc16541:
	s_add_u32 s14, s14, (.LBB1_11579-.Lpost_getpc16541)&4294967295
	s_addc_u32 s15, s15, (.LBB1_11579-.Lpost_getpc16541)>>32
	s_setpc_b64 s[14:15]
.LBB1_34461:
	s_getpc_b64 s[14:15]
.Lpost_getpc2894:
	s_add_u32 s14, s14, (.LBB1_11580-.Lpost_getpc2894)&4294967295
	s_addc_u32 s15, s15, (.LBB1_11580-.Lpost_getpc2894)>>32
	s_setpc_b64 s[14:15]
.LBB1_25917:
	s_movk_i32 s4, 0x80
	v_cmp_eq_u16_sdwa s[12:13], v3, s4 src0_sel:BYTE_3 src1_sel:DWORD
	s_mov_b64 s[4:5], -1
                                        ; implicit-def: $sgpr10
	s_and_saveexec_b64 s[8:9], s[12:13]
; %bb.25918:
	s_mov_b32 s10, 0x7f800001
	s_xor_b64 s[4:5], exec, -1
; %bb.25919:
	s_or_b64 exec, exec, s[8:9]
	s_and_b64 s[4:5], s[4:5], exec
	s_or_saveexec_b64 s[6:7], s[6:7]
	v_mov_b32_e32 v6, s10
	s_xor_b64 exec, exec, s[6:7]
	s_cbranch_execnz .LBB1_25920
; %bb.61757:
	s_getpc_b64 s[14:15]
.Lpost_getpc16542:
	s_add_u32 s14, s14, (.LBB1_11582-.Lpost_getpc16542)&4294967295
	s_addc_u32 s15, s15, (.LBB1_11582-.Lpost_getpc16542)>>32
	s_setpc_b64 s[14:15]
.LBB1_25920:
	v_mov_b32_e32 v6, 0
	v_cmp_ne_u16_sdwa s[8:9], v3, v6 src0_sel:BYTE_3 src1_sel:DWORD
	s_andn2_b64 s[4:5], s[4:5], exec
	s_and_b64 s[8:9], s[8:9], exec
	s_or_b64 s[4:5], s[4:5], s[8:9]
	s_or_b64 exec, exec, s[6:7]
	s_and_saveexec_b64 s[6:7], s[4:5]
	s_cbranch_execz .LBB1_34463
; %bb.61759:
	s_getpc_b64 s[14:15]
.Lpost_getpc16543:
	s_add_u32 s14, s14, (.LBB1_11583-.Lpost_getpc16543)&4294967295
	s_addc_u32 s15, s15, (.LBB1_11583-.Lpost_getpc16543)>>32
	s_setpc_b64 s[14:15]
.LBB1_34463:
	s_getpc_b64 s[14:15]
.Lpost_getpc2895:
	s_add_u32 s14, s14, (.LBB1_11584-.Lpost_getpc2895)&4294967295
	s_addc_u32 s15, s15, (.LBB1_11584-.Lpost_getpc2895)>>32
	s_setpc_b64 s[14:15]
.LBB1_25921:
	s_movk_i32 s4, 0x80
	v_cmp_eq_u16_sdwa s[12:13], v8, s4 src0_sel:BYTE_0 src1_sel:DWORD
	s_mov_b64 s[4:5], -1
                                        ; implicit-def: $sgpr10
	s_and_saveexec_b64 s[8:9], s[12:13]
; %bb.25922:
	s_mov_b32 s10, 0x7f800001
	s_xor_b64 s[4:5], exec, -1
; %bb.25923:
	s_or_b64 exec, exec, s[8:9]
	s_and_b64 s[4:5], s[4:5], exec
	s_or_saveexec_b64 s[6:7], s[6:7]
	v_mov_b32_e32 v2, s10
	s_xor_b64 exec, exec, s[6:7]
	s_cbranch_execnz .LBB1_25924
; %bb.61761:
	s_getpc_b64 s[14:15]
.Lpost_getpc16544:
	s_add_u32 s14, s14, (.LBB1_11586-.Lpost_getpc16544)&4294967295
	s_addc_u32 s15, s15, (.LBB1_11586-.Lpost_getpc16544)>>32
	s_setpc_b64 s[14:15]
.LBB1_25924:
	v_mov_b32_e32 v2, 0
	v_cmp_ne_u16_sdwa s[8:9], v8, v2 src0_sel:BYTE_0 src1_sel:DWORD
	s_andn2_b64 s[4:5], s[4:5], exec
	s_and_b64 s[8:9], s[8:9], exec
	s_or_b64 s[4:5], s[4:5], s[8:9]
	s_or_b64 exec, exec, s[6:7]
	s_and_saveexec_b64 s[6:7], s[4:5]
	s_cbranch_execz .LBB1_34465
; %bb.61763:
	s_getpc_b64 s[14:15]
.Lpost_getpc16545:
	s_add_u32 s14, s14, (.LBB1_11587-.Lpost_getpc16545)&4294967295
	s_addc_u32 s15, s15, (.LBB1_11587-.Lpost_getpc16545)>>32
	s_setpc_b64 s[14:15]
.LBB1_34465:
	s_getpc_b64 s[14:15]
.Lpost_getpc2896:
	s_add_u32 s14, s14, (.LBB1_11588-.Lpost_getpc2896)&4294967295
	s_addc_u32 s15, s15, (.LBB1_11588-.Lpost_getpc2896)>>32
	s_setpc_b64 s[14:15]
.LBB1_25925:
	s_movk_i32 s4, 0x80
	v_cmp_eq_u16_sdwa s[12:13], v4, s4 src0_sel:BYTE_0 src1_sel:DWORD
	s_mov_b64 s[4:5], -1
                                        ; implicit-def: $sgpr10
	s_and_saveexec_b64 s[8:9], s[12:13]
; %bb.25926:
	s_mov_b32 s10, 0x7f800001
	s_xor_b64 s[4:5], exec, -1
; %bb.25927:
	s_or_b64 exec, exec, s[8:9]
	s_and_b64 s[4:5], s[4:5], exec
	s_or_saveexec_b64 s[6:7], s[6:7]
	v_mov_b32_e32 v3, s10
	s_xor_b64 exec, exec, s[6:7]
	s_cbranch_execnz .LBB1_25928
; %bb.61765:
	s_getpc_b64 s[14:15]
.Lpost_getpc16546:
	s_add_u32 s14, s14, (.LBB1_11590-.Lpost_getpc16546)&4294967295
	s_addc_u32 s15, s15, (.LBB1_11590-.Lpost_getpc16546)>>32
	s_setpc_b64 s[14:15]
.LBB1_25928:
	v_mov_b32_e32 v3, 0
	v_cmp_ne_u16_sdwa s[8:9], v4, v3 src0_sel:BYTE_0 src1_sel:DWORD
	s_andn2_b64 s[4:5], s[4:5], exec
	s_and_b64 s[8:9], s[8:9], exec
	s_or_b64 s[4:5], s[4:5], s[8:9]
	s_or_b64 exec, exec, s[6:7]
	s_and_saveexec_b64 s[6:7], s[4:5]
	s_cbranch_execz .LBB1_34467
; %bb.61767:
	s_getpc_b64 s[14:15]
.Lpost_getpc16547:
	s_add_u32 s14, s14, (.LBB1_11591-.Lpost_getpc16547)&4294967295
	s_addc_u32 s15, s15, (.LBB1_11591-.Lpost_getpc16547)>>32
	s_setpc_b64 s[14:15]
.LBB1_34467:
	s_getpc_b64 s[14:15]
.Lpost_getpc2897:
	s_add_u32 s14, s14, (.LBB1_11592-.Lpost_getpc2897)&4294967295
	s_addc_u32 s15, s15, (.LBB1_11592-.Lpost_getpc2897)>>32
	s_setpc_b64 s[14:15]
.LBB1_25929:
	s_movk_i32 s4, 0x80
	v_cmp_eq_u16_sdwa s[12:13], v3, s4 src0_sel:BYTE_0 src1_sel:DWORD
	s_mov_b64 s[4:5], -1
                                        ; implicit-def: $sgpr10
	s_and_saveexec_b64 s[8:9], s[12:13]
; %bb.25930:
	s_mov_b32 s10, 0x7f800001
	s_xor_b64 s[4:5], exec, -1
; %bb.25931:
	s_or_b64 exec, exec, s[8:9]
	s_and_b64 s[4:5], s[4:5], exec
	s_or_saveexec_b64 s[6:7], s[6:7]
	v_mov_b32_e32 v2, s10
	s_xor_b64 exec, exec, s[6:7]
	s_cbranch_execnz .LBB1_25932
; %bb.61769:
	s_getpc_b64 s[14:15]
.Lpost_getpc16548:
	s_add_u32 s14, s14, (.LBB1_11594-.Lpost_getpc16548)&4294967295
	s_addc_u32 s15, s15, (.LBB1_11594-.Lpost_getpc16548)>>32
	s_setpc_b64 s[14:15]
.LBB1_25932:
	v_mov_b32_e32 v2, 0
	v_cmp_ne_u16_sdwa s[8:9], v3, v2 src0_sel:BYTE_0 src1_sel:DWORD
	s_andn2_b64 s[4:5], s[4:5], exec
	s_and_b64 s[8:9], s[8:9], exec
	s_or_b64 s[4:5], s[4:5], s[8:9]
	s_or_b64 exec, exec, s[6:7]
	s_and_saveexec_b64 s[6:7], s[4:5]
	s_cbranch_execz .LBB1_34469
; %bb.61771:
	s_getpc_b64 s[14:15]
.Lpost_getpc16549:
	s_add_u32 s14, s14, (.LBB1_11595-.Lpost_getpc16549)&4294967295
	s_addc_u32 s15, s15, (.LBB1_11595-.Lpost_getpc16549)>>32
	s_setpc_b64 s[14:15]
.LBB1_34469:
	s_getpc_b64 s[14:15]
.Lpost_getpc2898:
	s_add_u32 s14, s14, (.LBB1_11596-.Lpost_getpc2898)&4294967295
	s_addc_u32 s15, s15, (.LBB1_11596-.Lpost_getpc2898)>>32
	s_setpc_b64 s[14:15]
.LBB1_25933:
	s_movk_i32 s4, 0x80
	v_cmp_eq_u16_sdwa s[12:13], v3, s4 src0_sel:BYTE_0 src1_sel:DWORD
	s_mov_b64 s[4:5], -1
                                        ; implicit-def: $sgpr10
	s_and_saveexec_b64 s[8:9], s[12:13]
; %bb.25934:
	s_mov_b32 s10, 0x7f800001
	s_xor_b64 s[4:5], exec, -1
; %bb.25935:
	s_or_b64 exec, exec, s[8:9]
	s_and_b64 s[4:5], s[4:5], exec
	s_or_saveexec_b64 s[6:7], s[6:7]
	v_mov_b32_e32 v6, s10
	s_xor_b64 exec, exec, s[6:7]
	s_cbranch_execnz .LBB1_25936
; %bb.61773:
	s_getpc_b64 s[14:15]
.Lpost_getpc16550:
	s_add_u32 s14, s14, (.LBB1_11598-.Lpost_getpc16550)&4294967295
	s_addc_u32 s15, s15, (.LBB1_11598-.Lpost_getpc16550)>>32
	s_setpc_b64 s[14:15]
.LBB1_25936:
	v_mov_b32_e32 v6, 0
	v_cmp_ne_u16_sdwa s[8:9], v3, v6 src0_sel:BYTE_0 src1_sel:DWORD
	s_andn2_b64 s[4:5], s[4:5], exec
	s_and_b64 s[8:9], s[8:9], exec
	s_or_b64 s[4:5], s[4:5], s[8:9]
	s_or_b64 exec, exec, s[6:7]
	s_and_saveexec_b64 s[6:7], s[4:5]
	s_cbranch_execz .LBB1_34471
; %bb.61775:
	s_getpc_b64 s[14:15]
.Lpost_getpc16551:
	s_add_u32 s14, s14, (.LBB1_11599-.Lpost_getpc16551)&4294967295
	s_addc_u32 s15, s15, (.LBB1_11599-.Lpost_getpc16551)>>32
	s_setpc_b64 s[14:15]
.LBB1_34471:
	s_getpc_b64 s[14:15]
.Lpost_getpc2899:
	s_add_u32 s14, s14, (.LBB1_11600-.Lpost_getpc2899)&4294967295
	s_addc_u32 s15, s15, (.LBB1_11600-.Lpost_getpc2899)>>32
	s_setpc_b64 s[14:15]
.LBB1_25937:
	s_movk_i32 s4, 0x80
	v_cmp_eq_u16_e32 vcc, s4, v3
	s_mov_b64 s[4:5], -1
                                        ; implicit-def: $sgpr10
	s_and_saveexec_b64 s[8:9], vcc
; %bb.25938:
	s_mov_b32 s10, 0x7f800001
	s_xor_b64 s[4:5], exec, -1
; %bb.25939:
	s_or_b64 exec, exec, s[8:9]
	s_and_b64 s[4:5], s[4:5], exec
                                        ; implicit-def: $vgpr3
	s_or_saveexec_b64 s[6:7], s[6:7]
	v_mov_b32_e32 v2, s10
	s_xor_b64 exec, exec, s[6:7]
	s_cbranch_execnz .LBB1_25940
; %bb.61777:
	s_getpc_b64 s[14:15]
.Lpost_getpc16552:
	s_add_u32 s14, s14, (.LBB1_11602-.Lpost_getpc16552)&4294967295
	s_addc_u32 s15, s15, (.LBB1_11602-.Lpost_getpc16552)>>32
	s_setpc_b64 s[14:15]
.LBB1_25940:
	v_cmp_ne_u16_e32 vcc, 0, v3
	s_andn2_b64 s[4:5], s[4:5], exec
	s_and_b64 s[8:9], vcc, exec
	v_mov_b32_e32 v2, 0
	s_or_b64 s[4:5], s[4:5], s[8:9]
	s_or_b64 exec, exec, s[6:7]
	s_and_saveexec_b64 s[6:7], s[4:5]
	s_cbranch_execz .LBB1_34473
; %bb.61779:
	s_getpc_b64 s[14:15]
.Lpost_getpc16553:
	s_add_u32 s14, s14, (.LBB1_11603-.Lpost_getpc16553)&4294967295
	s_addc_u32 s15, s15, (.LBB1_11603-.Lpost_getpc16553)>>32
	s_setpc_b64 s[14:15]
.LBB1_34473:
	s_getpc_b64 s[14:15]
.Lpost_getpc2900:
	s_add_u32 s14, s14, (.LBB1_11604-.Lpost_getpc2900)&4294967295
	s_addc_u32 s15, s15, (.LBB1_11604-.Lpost_getpc2900)>>32
	s_setpc_b64 s[14:15]
.LBB1_25941:
	s_movk_i32 s4, 0x80
	v_cmp_eq_u16_e32 vcc, s4, v3
	s_mov_b64 s[4:5], -1
                                        ; implicit-def: $sgpr10
	s_and_saveexec_b64 s[8:9], vcc
; %bb.25942:
	s_mov_b32 s10, 0x7f800001
	s_xor_b64 s[4:5], exec, -1
; %bb.25943:
	s_or_b64 exec, exec, s[8:9]
	s_and_b64 s[4:5], s[4:5], exec
                                        ; implicit-def: $vgpr3
	s_or_saveexec_b64 s[6:7], s[6:7]
	v_mov_b32_e32 v6, s10
	s_xor_b64 exec, exec, s[6:7]
	s_cbranch_execnz .LBB1_25944
; %bb.61781:
	s_getpc_b64 s[14:15]
.Lpost_getpc16554:
	s_add_u32 s14, s14, (.LBB1_11606-.Lpost_getpc16554)&4294967295
	s_addc_u32 s15, s15, (.LBB1_11606-.Lpost_getpc16554)>>32
	s_setpc_b64 s[14:15]
.LBB1_25944:
	v_cmp_ne_u16_e32 vcc, 0, v3
	s_andn2_b64 s[4:5], s[4:5], exec
	s_and_b64 s[8:9], vcc, exec
	v_mov_b32_e32 v6, 0
	s_or_b64 s[4:5], s[4:5], s[8:9]
	s_or_b64 exec, exec, s[6:7]
	s_and_saveexec_b64 s[6:7], s[4:5]
	s_cbranch_execz .LBB1_34475
; %bb.61783:
	s_getpc_b64 s[14:15]
.Lpost_getpc16555:
	s_add_u32 s14, s14, (.LBB1_11607-.Lpost_getpc16555)&4294967295
	s_addc_u32 s15, s15, (.LBB1_11607-.Lpost_getpc16555)>>32
	s_setpc_b64 s[14:15]
.LBB1_34475:
	s_getpc_b64 s[14:15]
.Lpost_getpc2901:
	s_add_u32 s14, s14, (.LBB1_11608-.Lpost_getpc2901)&4294967295
	s_addc_u32 s15, s15, (.LBB1_11608-.Lpost_getpc2901)>>32
	s_setpc_b64 s[14:15]
.LBB1_25945:
	s_movk_i32 s4, 0x80
	v_cmp_eq_u16_sdwa s[12:13], v8, s4 src0_sel:BYTE_3 src1_sel:DWORD
	s_mov_b64 s[4:5], -1
                                        ; implicit-def: $sgpr10
	s_and_saveexec_b64 s[8:9], s[12:13]
; %bb.25946:
	s_mov_b32 s10, 0x7f800001
	s_xor_b64 s[4:5], exec, -1
; %bb.25947:
	s_or_b64 exec, exec, s[8:9]
	s_and_b64 s[4:5], s[4:5], exec
	s_or_saveexec_b64 s[6:7], s[6:7]
	v_mov_b32_e32 v2, s10
	s_xor_b64 exec, exec, s[6:7]
	s_cbranch_execnz .LBB1_25948
; %bb.61785:
	s_getpc_b64 s[14:15]
.Lpost_getpc16556:
	s_add_u32 s14, s14, (.LBB1_11610-.Lpost_getpc16556)&4294967295
	s_addc_u32 s15, s15, (.LBB1_11610-.Lpost_getpc16556)>>32
	s_setpc_b64 s[14:15]
.LBB1_25948:
	v_mov_b32_e32 v2, 0
	v_cmp_ne_u16_sdwa s[8:9], v8, v2 src0_sel:BYTE_3 src1_sel:DWORD
	s_andn2_b64 s[4:5], s[4:5], exec
	s_and_b64 s[8:9], s[8:9], exec
	s_or_b64 s[4:5], s[4:5], s[8:9]
	s_or_b64 exec, exec, s[6:7]
	s_and_saveexec_b64 s[6:7], s[4:5]
	s_cbranch_execz .LBB1_34477
; %bb.61787:
	s_getpc_b64 s[14:15]
.Lpost_getpc16557:
	s_add_u32 s14, s14, (.LBB1_11611-.Lpost_getpc16557)&4294967295
	s_addc_u32 s15, s15, (.LBB1_11611-.Lpost_getpc16557)>>32
	s_setpc_b64 s[14:15]
.LBB1_34477:
	s_getpc_b64 s[14:15]
.Lpost_getpc2902:
	s_add_u32 s14, s14, (.LBB1_11612-.Lpost_getpc2902)&4294967295
	s_addc_u32 s15, s15, (.LBB1_11612-.Lpost_getpc2902)>>32
	s_setpc_b64 s[14:15]
.LBB1_25949:
	s_movk_i32 s4, 0x80
	v_cmp_eq_u16_sdwa s[12:13], v4, s4 src0_sel:BYTE_3 src1_sel:DWORD
	s_mov_b64 s[4:5], -1
                                        ; implicit-def: $sgpr10
	s_and_saveexec_b64 s[8:9], s[12:13]
; %bb.25950:
	s_mov_b32 s10, 0x7f800001
	s_xor_b64 s[4:5], exec, -1
; %bb.25951:
	s_or_b64 exec, exec, s[8:9]
	s_and_b64 s[4:5], s[4:5], exec
	s_or_saveexec_b64 s[6:7], s[6:7]
	v_mov_b32_e32 v3, s10
	s_xor_b64 exec, exec, s[6:7]
	s_cbranch_execnz .LBB1_25952
; %bb.61789:
	s_getpc_b64 s[14:15]
.Lpost_getpc16558:
	s_add_u32 s14, s14, (.LBB1_11614-.Lpost_getpc16558)&4294967295
	s_addc_u32 s15, s15, (.LBB1_11614-.Lpost_getpc16558)>>32
	s_setpc_b64 s[14:15]
.LBB1_25952:
	v_mov_b32_e32 v3, 0
	v_cmp_ne_u16_sdwa s[8:9], v4, v3 src0_sel:BYTE_3 src1_sel:DWORD
	s_andn2_b64 s[4:5], s[4:5], exec
	s_and_b64 s[8:9], s[8:9], exec
	s_or_b64 s[4:5], s[4:5], s[8:9]
	s_or_b64 exec, exec, s[6:7]
	s_and_saveexec_b64 s[6:7], s[4:5]
	s_cbranch_execz .LBB1_34479
; %bb.61791:
	s_getpc_b64 s[14:15]
.Lpost_getpc16559:
	s_add_u32 s14, s14, (.LBB1_11615-.Lpost_getpc16559)&4294967295
	s_addc_u32 s15, s15, (.LBB1_11615-.Lpost_getpc16559)>>32
	s_setpc_b64 s[14:15]
.LBB1_34479:
	s_getpc_b64 s[14:15]
.Lpost_getpc2903:
	s_add_u32 s14, s14, (.LBB1_11616-.Lpost_getpc2903)&4294967295
	s_addc_u32 s15, s15, (.LBB1_11616-.Lpost_getpc2903)>>32
	s_setpc_b64 s[14:15]
.LBB1_25953:
	s_movk_i32 s4, 0x80
	v_cmp_eq_u16_sdwa s[12:13], v9, s4 src0_sel:BYTE_0 src1_sel:DWORD
	s_mov_b64 s[4:5], -1
                                        ; implicit-def: $sgpr10
	s_and_saveexec_b64 s[8:9], s[12:13]
; %bb.25954:
	s_mov_b32 s10, 0x7f800001
	s_xor_b64 s[4:5], exec, -1
; %bb.25955:
	s_or_b64 exec, exec, s[8:9]
	s_and_b64 s[4:5], s[4:5], exec
	s_or_saveexec_b64 s[6:7], s[6:7]
	v_mov_b32_e32 v2, s10
	s_xor_b64 exec, exec, s[6:7]
	s_cbranch_execnz .LBB1_25956
; %bb.61793:
	s_getpc_b64 s[14:15]
.Lpost_getpc16560:
	s_add_u32 s14, s14, (.LBB1_11618-.Lpost_getpc16560)&4294967295
	s_addc_u32 s15, s15, (.LBB1_11618-.Lpost_getpc16560)>>32
	s_setpc_b64 s[14:15]
.LBB1_25956:
	v_mov_b32_e32 v2, 0
	v_cmp_ne_u16_sdwa s[8:9], v9, v2 src0_sel:BYTE_0 src1_sel:DWORD
	s_andn2_b64 s[4:5], s[4:5], exec
	s_and_b64 s[8:9], s[8:9], exec
	s_or_b64 s[4:5], s[4:5], s[8:9]
	s_or_b64 exec, exec, s[6:7]
	s_and_saveexec_b64 s[6:7], s[4:5]
	s_cbranch_execz .LBB1_34481
; %bb.61795:
	s_getpc_b64 s[14:15]
.Lpost_getpc16561:
	s_add_u32 s14, s14, (.LBB1_11619-.Lpost_getpc16561)&4294967295
	s_addc_u32 s15, s15, (.LBB1_11619-.Lpost_getpc16561)>>32
	s_setpc_b64 s[14:15]
.LBB1_34481:
	s_getpc_b64 s[14:15]
.Lpost_getpc2904:
	s_add_u32 s14, s14, (.LBB1_11620-.Lpost_getpc2904)&4294967295
	s_addc_u32 s15, s15, (.LBB1_11620-.Lpost_getpc2904)>>32
	s_setpc_b64 s[14:15]
.LBB1_25957:
	s_movk_i32 s4, 0x80
	v_cmp_eq_u16_sdwa s[12:13], v5, s4 src0_sel:BYTE_0 src1_sel:DWORD
	s_mov_b64 s[4:5], -1
                                        ; implicit-def: $sgpr10
	s_and_saveexec_b64 s[8:9], s[12:13]
; %bb.25958:
	s_mov_b32 s10, 0x7f800001
	s_xor_b64 s[4:5], exec, -1
; %bb.25959:
	s_or_b64 exec, exec, s[8:9]
	s_and_b64 s[4:5], s[4:5], exec
	s_or_saveexec_b64 s[6:7], s[6:7]
	v_mov_b32_e32 v3, s10
	s_xor_b64 exec, exec, s[6:7]
	s_cbranch_execnz .LBB1_25960
; %bb.61797:
	s_getpc_b64 s[14:15]
.Lpost_getpc16562:
	s_add_u32 s14, s14, (.LBB1_11622-.Lpost_getpc16562)&4294967295
	s_addc_u32 s15, s15, (.LBB1_11622-.Lpost_getpc16562)>>32
	s_setpc_b64 s[14:15]
.LBB1_25960:
	v_mov_b32_e32 v3, 0
	v_cmp_ne_u16_sdwa s[8:9], v5, v3 src0_sel:BYTE_0 src1_sel:DWORD
	s_andn2_b64 s[4:5], s[4:5], exec
	s_and_b64 s[8:9], s[8:9], exec
	s_or_b64 s[4:5], s[4:5], s[8:9]
	s_or_b64 exec, exec, s[6:7]
	s_and_saveexec_b64 s[6:7], s[4:5]
	s_cbranch_execz .LBB1_34483
; %bb.61799:
	s_getpc_b64 s[14:15]
.Lpost_getpc16563:
	s_add_u32 s14, s14, (.LBB1_11623-.Lpost_getpc16563)&4294967295
	s_addc_u32 s15, s15, (.LBB1_11623-.Lpost_getpc16563)>>32
	s_setpc_b64 s[14:15]
.LBB1_34483:
	s_getpc_b64 s[14:15]
.Lpost_getpc2905:
	s_add_u32 s14, s14, (.LBB1_11624-.Lpost_getpc2905)&4294967295
	s_addc_u32 s15, s15, (.LBB1_11624-.Lpost_getpc2905)>>32
	s_setpc_b64 s[14:15]
.LBB1_25961:
	s_movk_i32 s4, 0x80
	v_cmp_eq_u16_sdwa s[12:13], v3, s4 src0_sel:BYTE_0 src1_sel:DWORD
	s_mov_b64 s[4:5], -1
                                        ; implicit-def: $sgpr10
	s_and_saveexec_b64 s[8:9], s[12:13]
; %bb.25962:
	s_mov_b32 s10, 0x7f800001
	s_xor_b64 s[4:5], exec, -1
; %bb.25963:
	s_or_b64 exec, exec, s[8:9]
	s_and_b64 s[4:5], s[4:5], exec
	s_or_saveexec_b64 s[6:7], s[6:7]
	v_mov_b32_e32 v2, s10
	s_xor_b64 exec, exec, s[6:7]
	s_cbranch_execnz .LBB1_25964
; %bb.61801:
	s_getpc_b64 s[14:15]
.Lpost_getpc16564:
	s_add_u32 s14, s14, (.LBB1_11626-.Lpost_getpc16564)&4294967295
	s_addc_u32 s15, s15, (.LBB1_11626-.Lpost_getpc16564)>>32
	s_setpc_b64 s[14:15]
.LBB1_25964:
	v_mov_b32_e32 v2, 0
	v_cmp_ne_u16_sdwa s[8:9], v3, v2 src0_sel:BYTE_0 src1_sel:DWORD
	s_andn2_b64 s[4:5], s[4:5], exec
	s_and_b64 s[8:9], s[8:9], exec
	s_or_b64 s[4:5], s[4:5], s[8:9]
	s_or_b64 exec, exec, s[6:7]
	s_and_saveexec_b64 s[6:7], s[4:5]
	s_cbranch_execz .LBB1_34485
; %bb.61803:
	s_getpc_b64 s[14:15]
.Lpost_getpc16565:
	s_add_u32 s14, s14, (.LBB1_11627-.Lpost_getpc16565)&4294967295
	s_addc_u32 s15, s15, (.LBB1_11627-.Lpost_getpc16565)>>32
	s_setpc_b64 s[14:15]
.LBB1_34485:
	s_getpc_b64 s[14:15]
.Lpost_getpc2906:
	s_add_u32 s14, s14, (.LBB1_11628-.Lpost_getpc2906)&4294967295
	s_addc_u32 s15, s15, (.LBB1_11628-.Lpost_getpc2906)>>32
	s_setpc_b64 s[14:15]
.LBB1_25965:
	s_movk_i32 s4, 0x80
	v_cmp_eq_u16_sdwa s[12:13], v3, s4 src0_sel:BYTE_0 src1_sel:DWORD
	s_mov_b64 s[4:5], -1
                                        ; implicit-def: $sgpr10
	s_and_saveexec_b64 s[8:9], s[12:13]
; %bb.25966:
	s_mov_b32 s10, 0x7f800001
	s_xor_b64 s[4:5], exec, -1
; %bb.25967:
	s_or_b64 exec, exec, s[8:9]
	s_and_b64 s[4:5], s[4:5], exec
	s_or_saveexec_b64 s[6:7], s[6:7]
	v_mov_b32_e32 v4, s10
	s_xor_b64 exec, exec, s[6:7]
	s_cbranch_execnz .LBB1_25968
; %bb.61805:
	s_getpc_b64 s[14:15]
.Lpost_getpc16566:
	s_add_u32 s14, s14, (.LBB1_11630-.Lpost_getpc16566)&4294967295
	s_addc_u32 s15, s15, (.LBB1_11630-.Lpost_getpc16566)>>32
	s_setpc_b64 s[14:15]
.LBB1_25968:
	v_mov_b32_e32 v4, 0
	v_cmp_ne_u16_sdwa s[8:9], v3, v4 src0_sel:BYTE_0 src1_sel:DWORD
	s_andn2_b64 s[4:5], s[4:5], exec
	s_and_b64 s[8:9], s[8:9], exec
	s_or_b64 s[4:5], s[4:5], s[8:9]
	s_or_b64 exec, exec, s[6:7]
	s_and_saveexec_b64 s[6:7], s[4:5]
	s_cbranch_execz .LBB1_34487
; %bb.61807:
	s_getpc_b64 s[14:15]
.Lpost_getpc16567:
	s_add_u32 s14, s14, (.LBB1_11631-.Lpost_getpc16567)&4294967295
	s_addc_u32 s15, s15, (.LBB1_11631-.Lpost_getpc16567)>>32
	s_setpc_b64 s[14:15]
.LBB1_34487:
	s_getpc_b64 s[14:15]
.Lpost_getpc2907:
	s_add_u32 s14, s14, (.LBB1_11632-.Lpost_getpc2907)&4294967295
	s_addc_u32 s15, s15, (.LBB1_11632-.Lpost_getpc2907)>>32
	s_setpc_b64 s[14:15]
.LBB1_25969:
	s_movk_i32 s4, 0x80
	v_cmp_eq_u16_e32 vcc, s4, v3
	s_mov_b64 s[4:5], -1
                                        ; implicit-def: $sgpr10
	s_and_saveexec_b64 s[8:9], vcc
; %bb.25970:
	s_mov_b32 s10, 0x7f800001
	s_xor_b64 s[4:5], exec, -1
; %bb.25971:
	s_or_b64 exec, exec, s[8:9]
	s_and_b64 s[4:5], s[4:5], exec
                                        ; implicit-def: $vgpr3
	s_or_saveexec_b64 s[6:7], s[6:7]
	v_mov_b32_e32 v2, s10
	s_xor_b64 exec, exec, s[6:7]
	s_cbranch_execnz .LBB1_25972
; %bb.61809:
	s_getpc_b64 s[14:15]
.Lpost_getpc16568:
	s_add_u32 s14, s14, (.LBB1_11634-.Lpost_getpc16568)&4294967295
	s_addc_u32 s15, s15, (.LBB1_11634-.Lpost_getpc16568)>>32
	s_setpc_b64 s[14:15]
.LBB1_25972:
	v_cmp_ne_u16_e32 vcc, 0, v3
	s_andn2_b64 s[4:5], s[4:5], exec
	s_and_b64 s[8:9], vcc, exec
	v_mov_b32_e32 v2, 0
	s_or_b64 s[4:5], s[4:5], s[8:9]
	s_or_b64 exec, exec, s[6:7]
	s_and_saveexec_b64 s[6:7], s[4:5]
	s_cbranch_execz .LBB1_34489
; %bb.61811:
	s_getpc_b64 s[14:15]
.Lpost_getpc16569:
	s_add_u32 s14, s14, (.LBB1_11635-.Lpost_getpc16569)&4294967295
	s_addc_u32 s15, s15, (.LBB1_11635-.Lpost_getpc16569)>>32
	s_setpc_b64 s[14:15]
.LBB1_34489:
	s_getpc_b64 s[14:15]
.Lpost_getpc2908:
	s_add_u32 s14, s14, (.LBB1_11636-.Lpost_getpc2908)&4294967295
	s_addc_u32 s15, s15, (.LBB1_11636-.Lpost_getpc2908)>>32
	s_setpc_b64 s[14:15]
.LBB1_25973:
	s_movk_i32 s4, 0x80
	v_cmp_eq_u16_e32 vcc, s4, v3
	s_mov_b64 s[4:5], -1
                                        ; implicit-def: $sgpr10
	s_and_saveexec_b64 s[8:9], vcc
; %bb.25974:
	s_mov_b32 s10, 0x7f800001
	s_xor_b64 s[4:5], exec, -1
; %bb.25975:
	s_or_b64 exec, exec, s[8:9]
	s_and_b64 s[4:5], s[4:5], exec
                                        ; implicit-def: $vgpr3
	s_or_saveexec_b64 s[6:7], s[6:7]
	v_mov_b32_e32 v4, s10
	s_xor_b64 exec, exec, s[6:7]
	s_cbranch_execnz .LBB1_25976
; %bb.61813:
	s_getpc_b64 s[14:15]
.Lpost_getpc16570:
	s_add_u32 s14, s14, (.LBB1_11638-.Lpost_getpc16570)&4294967295
	s_addc_u32 s15, s15, (.LBB1_11638-.Lpost_getpc16570)>>32
	s_setpc_b64 s[14:15]
.LBB1_25976:
	v_cmp_ne_u16_e32 vcc, 0, v3
	s_andn2_b64 s[4:5], s[4:5], exec
	s_and_b64 s[8:9], vcc, exec
	v_mov_b32_e32 v4, 0
	s_or_b64 s[4:5], s[4:5], s[8:9]
	s_or_b64 exec, exec, s[6:7]
	s_and_saveexec_b64 s[6:7], s[4:5]
	s_cbranch_execz .LBB1_34491
; %bb.61815:
	s_getpc_b64 s[14:15]
.Lpost_getpc16571:
	s_add_u32 s14, s14, (.LBB1_11639-.Lpost_getpc16571)&4294967295
	s_addc_u32 s15, s15, (.LBB1_11639-.Lpost_getpc16571)>>32
	s_setpc_b64 s[14:15]
.LBB1_34491:
	s_getpc_b64 s[14:15]
.Lpost_getpc2909:
	s_add_u32 s14, s14, (.LBB1_11640-.Lpost_getpc2909)&4294967295
	s_addc_u32 s15, s15, (.LBB1_11640-.Lpost_getpc2909)>>32
	s_setpc_b64 s[14:15]
.LBB1_25977:
	s_movk_i32 s4, 0x80
	v_cmp_eq_u16_sdwa s[12:13], v9, s4 src0_sel:BYTE_3 src1_sel:DWORD
	s_mov_b64 s[4:5], -1
                                        ; implicit-def: $sgpr10
	s_and_saveexec_b64 s[8:9], s[12:13]
; %bb.25978:
	s_mov_b32 s10, 0x7f800001
	s_xor_b64 s[4:5], exec, -1
; %bb.25979:
	s_or_b64 exec, exec, s[8:9]
	s_and_b64 s[4:5], s[4:5], exec
	s_or_saveexec_b64 s[6:7], s[6:7]
	v_mov_b32_e32 v2, s10
	s_xor_b64 exec, exec, s[6:7]
	s_cbranch_execnz .LBB1_25980
; %bb.61817:
	s_getpc_b64 s[14:15]
.Lpost_getpc16572:
	s_add_u32 s14, s14, (.LBB1_11642-.Lpost_getpc16572)&4294967295
	s_addc_u32 s15, s15, (.LBB1_11642-.Lpost_getpc16572)>>32
	s_setpc_b64 s[14:15]
.LBB1_25980:
	v_mov_b32_e32 v2, 0
	v_cmp_ne_u16_sdwa s[8:9], v9, v2 src0_sel:BYTE_3 src1_sel:DWORD
	s_andn2_b64 s[4:5], s[4:5], exec
	s_and_b64 s[8:9], s[8:9], exec
	s_or_b64 s[4:5], s[4:5], s[8:9]
	s_or_b64 exec, exec, s[6:7]
	s_and_saveexec_b64 s[6:7], s[4:5]
	s_cbranch_execz .LBB1_34493
; %bb.61819:
	s_getpc_b64 s[14:15]
.Lpost_getpc16573:
	s_add_u32 s14, s14, (.LBB1_11643-.Lpost_getpc16573)&4294967295
	s_addc_u32 s15, s15, (.LBB1_11643-.Lpost_getpc16573)>>32
	s_setpc_b64 s[14:15]
.LBB1_34493:
	s_getpc_b64 s[14:15]
.Lpost_getpc2910:
	s_add_u32 s14, s14, (.LBB1_11644-.Lpost_getpc2910)&4294967295
	s_addc_u32 s15, s15, (.LBB1_11644-.Lpost_getpc2910)>>32
	s_setpc_b64 s[14:15]
.LBB1_25981:
	s_movk_i32 s4, 0x80
	v_cmp_eq_u16_sdwa s[12:13], v5, s4 src0_sel:BYTE_3 src1_sel:DWORD
	s_mov_b64 s[4:5], -1
                                        ; implicit-def: $sgpr10
	s_and_saveexec_b64 s[8:9], s[12:13]
; %bb.25982:
	s_mov_b32 s10, 0x7f800001
	s_xor_b64 s[4:5], exec, -1
; %bb.25983:
	s_or_b64 exec, exec, s[8:9]
	s_and_b64 s[4:5], s[4:5], exec
	s_or_saveexec_b64 s[6:7], s[6:7]
	v_mov_b32_e32 v3, s10
	s_xor_b64 exec, exec, s[6:7]
	s_cbranch_execnz .LBB1_25984
; %bb.61821:
	s_getpc_b64 s[14:15]
.Lpost_getpc16574:
	s_add_u32 s14, s14, (.LBB1_11646-.Lpost_getpc16574)&4294967295
	s_addc_u32 s15, s15, (.LBB1_11646-.Lpost_getpc16574)>>32
	s_setpc_b64 s[14:15]
.LBB1_25984:
	v_mov_b32_e32 v3, 0
	v_cmp_ne_u16_sdwa s[8:9], v5, v3 src0_sel:BYTE_3 src1_sel:DWORD
	s_andn2_b64 s[4:5], s[4:5], exec
	s_and_b64 s[8:9], s[8:9], exec
	s_or_b64 s[4:5], s[4:5], s[8:9]
	s_or_b64 exec, exec, s[6:7]
	s_and_saveexec_b64 s[6:7], s[4:5]
	s_cbranch_execz .LBB1_34495
; %bb.61823:
	s_getpc_b64 s[14:15]
.Lpost_getpc16575:
	s_add_u32 s14, s14, (.LBB1_11647-.Lpost_getpc16575)&4294967295
	s_addc_u32 s15, s15, (.LBB1_11647-.Lpost_getpc16575)>>32
	s_setpc_b64 s[14:15]
.LBB1_34495:
	s_getpc_b64 s[14:15]
.Lpost_getpc2911:
	s_add_u32 s14, s14, (.LBB1_11648-.Lpost_getpc2911)&4294967295
	s_addc_u32 s15, s15, (.LBB1_11648-.Lpost_getpc2911)>>32
	s_setpc_b64 s[14:15]
.LBB1_25985:
	s_movk_i32 s4, 0x80
	v_cmp_eq_u16_sdwa s[12:13], v6, s4 src0_sel:BYTE_0 src1_sel:DWORD
	s_mov_b64 s[4:5], -1
                                        ; implicit-def: $sgpr10
	s_and_saveexec_b64 s[8:9], s[12:13]
; %bb.25986:
	s_mov_b32 s10, 0x7f800001
	s_xor_b64 s[4:5], exec, -1
; %bb.25987:
	s_or_b64 exec, exec, s[8:9]
	s_and_b64 s[4:5], s[4:5], exec
	s_or_saveexec_b64 s[6:7], s[6:7]
	v_mov_b32_e32 v12, s10
	s_xor_b64 exec, exec, s[6:7]
	s_cbranch_execnz .LBB1_25988
; %bb.61825:
	s_getpc_b64 s[14:15]
.Lpost_getpc16576:
	s_add_u32 s14, s14, (.LBB1_11650-.Lpost_getpc16576)&4294967295
	s_addc_u32 s15, s15, (.LBB1_11650-.Lpost_getpc16576)>>32
	s_setpc_b64 s[14:15]
.LBB1_25988:
	v_mov_b32_e32 v12, 0
	v_cmp_ne_u16_sdwa s[8:9], v6, v12 src0_sel:BYTE_0 src1_sel:DWORD
	s_andn2_b64 s[4:5], s[4:5], exec
	s_and_b64 s[8:9], s[8:9], exec
	s_or_b64 s[4:5], s[4:5], s[8:9]
	s_or_b64 exec, exec, s[6:7]
	s_and_saveexec_b64 s[6:7], s[4:5]
	s_cbranch_execz .LBB1_34497
; %bb.61827:
	s_getpc_b64 s[14:15]
.Lpost_getpc16577:
	s_add_u32 s14, s14, (.LBB1_11651-.Lpost_getpc16577)&4294967295
	s_addc_u32 s15, s15, (.LBB1_11651-.Lpost_getpc16577)>>32
	s_setpc_b64 s[14:15]
.LBB1_34497:
	s_getpc_b64 s[14:15]
.Lpost_getpc2912:
	s_add_u32 s14, s14, (.LBB1_11652-.Lpost_getpc2912)&4294967295
	s_addc_u32 s15, s15, (.LBB1_11652-.Lpost_getpc2912)>>32
	s_setpc_b64 s[14:15]
.LBB1_25989:
	s_movk_i32 s4, 0x80
	v_cmp_eq_u16_sdwa s[12:13], v2, s4 src0_sel:BYTE_0 src1_sel:DWORD
	s_mov_b64 s[4:5], -1
                                        ; implicit-def: $sgpr10
	s_and_saveexec_b64 s[8:9], s[12:13]
; %bb.25990:
	s_mov_b32 s10, 0x7f800001
	s_xor_b64 s[4:5], exec, -1
; %bb.25991:
	s_or_b64 exec, exec, s[8:9]
	s_and_b64 s[4:5], s[4:5], exec
	s_or_saveexec_b64 s[6:7], s[6:7]
	v_mov_b32_e32 v13, s10
	s_xor_b64 exec, exec, s[6:7]
	s_cbranch_execnz .LBB1_25992
; %bb.61829:
	s_getpc_b64 s[14:15]
.Lpost_getpc16578:
	s_add_u32 s14, s14, (.LBB1_11654-.Lpost_getpc16578)&4294967295
	s_addc_u32 s15, s15, (.LBB1_11654-.Lpost_getpc16578)>>32
	s_setpc_b64 s[14:15]
.LBB1_25992:
	v_mov_b32_e32 v13, 0
	v_cmp_ne_u16_sdwa s[8:9], v2, v13 src0_sel:BYTE_0 src1_sel:DWORD
	s_andn2_b64 s[4:5], s[4:5], exec
	s_and_b64 s[8:9], s[8:9], exec
	s_or_b64 s[4:5], s[4:5], s[8:9]
	s_or_b64 exec, exec, s[6:7]
	s_and_saveexec_b64 s[6:7], s[4:5]
	s_cbranch_execz .LBB1_34499
; %bb.61831:
	s_getpc_b64 s[14:15]
.Lpost_getpc16579:
	s_add_u32 s14, s14, (.LBB1_11655-.Lpost_getpc16579)&4294967295
	s_addc_u32 s15, s15, (.LBB1_11655-.Lpost_getpc16579)>>32
	s_setpc_b64 s[14:15]
.LBB1_34499:
	s_getpc_b64 s[14:15]
.Lpost_getpc2913:
	s_add_u32 s14, s14, (.LBB1_11656-.Lpost_getpc2913)&4294967295
	s_addc_u32 s15, s15, (.LBB1_11656-.Lpost_getpc2913)>>32
	s_setpc_b64 s[14:15]
.LBB1_25993:
	s_movk_i32 s4, 0x80
	v_cmp_eq_u16_sdwa s[12:13], v13, s4 src0_sel:BYTE_0 src1_sel:DWORD
	s_mov_b64 s[4:5], -1
                                        ; implicit-def: $sgpr10
	s_and_saveexec_b64 s[8:9], s[12:13]
; %bb.25994:
	s_mov_b32 s10, 0x7f800001
	s_xor_b64 s[4:5], exec, -1
; %bb.25995:
	s_or_b64 exec, exec, s[8:9]
	s_and_b64 s[4:5], s[4:5], exec
	s_or_saveexec_b64 s[6:7], s[6:7]
	v_mov_b32_e32 v12, s10
	s_xor_b64 exec, exec, s[6:7]
	s_cbranch_execnz .LBB1_25996
; %bb.61833:
	s_getpc_b64 s[14:15]
.Lpost_getpc16580:
	s_add_u32 s14, s14, (.LBB1_11658-.Lpost_getpc16580)&4294967295
	s_addc_u32 s15, s15, (.LBB1_11658-.Lpost_getpc16580)>>32
	s_setpc_b64 s[14:15]
.LBB1_25996:
	v_mov_b32_e32 v12, 0
	v_cmp_ne_u16_sdwa s[8:9], v13, v12 src0_sel:BYTE_0 src1_sel:DWORD
	s_andn2_b64 s[4:5], s[4:5], exec
	s_and_b64 s[8:9], s[8:9], exec
	s_or_b64 s[4:5], s[4:5], s[8:9]
	s_or_b64 exec, exec, s[6:7]
	s_and_saveexec_b64 s[6:7], s[4:5]
	s_cbranch_execz .LBB1_34501
; %bb.61835:
	s_getpc_b64 s[14:15]
.Lpost_getpc16581:
	s_add_u32 s14, s14, (.LBB1_11659-.Lpost_getpc16581)&4294967295
	s_addc_u32 s15, s15, (.LBB1_11659-.Lpost_getpc16581)>>32
	s_setpc_b64 s[14:15]
.LBB1_34501:
	s_getpc_b64 s[14:15]
.Lpost_getpc2914:
	s_add_u32 s14, s14, (.LBB1_11660-.Lpost_getpc2914)&4294967295
	s_addc_u32 s15, s15, (.LBB1_11660-.Lpost_getpc2914)>>32
	s_setpc_b64 s[14:15]
.LBB1_25997:
	s_movk_i32 s4, 0x80
	v_cmp_eq_u16_sdwa s[12:13], v13, s4 src0_sel:BYTE_0 src1_sel:DWORD
	s_mov_b64 s[4:5], -1
                                        ; implicit-def: $sgpr10
	s_and_saveexec_b64 s[8:9], s[12:13]
; %bb.25998:
	s_mov_b32 s10, 0x7f800001
	s_xor_b64 s[4:5], exec, -1
; %bb.25999:
	s_or_b64 exec, exec, s[8:9]
	s_and_b64 s[4:5], s[4:5], exec
	s_or_saveexec_b64 s[6:7], s[6:7]
	v_mov_b32_e32 v14, s10
	s_xor_b64 exec, exec, s[6:7]
	s_cbranch_execnz .LBB1_26000
; %bb.61837:
	s_getpc_b64 s[14:15]
.Lpost_getpc16582:
	s_add_u32 s14, s14, (.LBB1_11662-.Lpost_getpc16582)&4294967295
	s_addc_u32 s15, s15, (.LBB1_11662-.Lpost_getpc16582)>>32
	s_setpc_b64 s[14:15]
.LBB1_26000:
	v_mov_b32_e32 v14, 0
	v_cmp_ne_u16_sdwa s[8:9], v13, v14 src0_sel:BYTE_0 src1_sel:DWORD
	s_andn2_b64 s[4:5], s[4:5], exec
	s_and_b64 s[8:9], s[8:9], exec
	s_or_b64 s[4:5], s[4:5], s[8:9]
	s_or_b64 exec, exec, s[6:7]
	s_and_saveexec_b64 s[6:7], s[4:5]
	s_cbranch_execz .LBB1_34503
; %bb.61839:
	s_getpc_b64 s[14:15]
.Lpost_getpc16583:
	s_add_u32 s14, s14, (.LBB1_11663-.Lpost_getpc16583)&4294967295
	s_addc_u32 s15, s15, (.LBB1_11663-.Lpost_getpc16583)>>32
	s_setpc_b64 s[14:15]
.LBB1_34503:
	s_getpc_b64 s[14:15]
.Lpost_getpc2915:
	s_add_u32 s14, s14, (.LBB1_11664-.Lpost_getpc2915)&4294967295
	s_addc_u32 s15, s15, (.LBB1_11664-.Lpost_getpc2915)>>32
	s_setpc_b64 s[14:15]
.LBB1_26001:
	s_movk_i32 s4, 0x80
	v_cmp_eq_u16_e32 vcc, s4, v13
	s_mov_b64 s[4:5], -1
                                        ; implicit-def: $sgpr10
	s_and_saveexec_b64 s[8:9], vcc
; %bb.26002:
	s_mov_b32 s10, 0x7f800001
	s_xor_b64 s[4:5], exec, -1
; %bb.26003:
	s_or_b64 exec, exec, s[8:9]
	s_and_b64 s[4:5], s[4:5], exec
                                        ; implicit-def: $vgpr13
	s_or_saveexec_b64 s[6:7], s[6:7]
	v_mov_b32_e32 v12, s10
	s_xor_b64 exec, exec, s[6:7]
	s_cbranch_execnz .LBB1_26004
; %bb.61841:
	s_getpc_b64 s[14:15]
.Lpost_getpc16584:
	s_add_u32 s14, s14, (.LBB1_11666-.Lpost_getpc16584)&4294967295
	s_addc_u32 s15, s15, (.LBB1_11666-.Lpost_getpc16584)>>32
	s_setpc_b64 s[14:15]
.LBB1_26004:
	v_cmp_ne_u16_e32 vcc, 0, v13
	s_andn2_b64 s[4:5], s[4:5], exec
	s_and_b64 s[8:9], vcc, exec
	v_mov_b32_e32 v12, 0
	s_or_b64 s[4:5], s[4:5], s[8:9]
	s_or_b64 exec, exec, s[6:7]
	s_and_saveexec_b64 s[6:7], s[4:5]
	s_cbranch_execz .LBB1_34505
; %bb.61843:
	s_getpc_b64 s[14:15]
.Lpost_getpc16585:
	s_add_u32 s14, s14, (.LBB1_11667-.Lpost_getpc16585)&4294967295
	s_addc_u32 s15, s15, (.LBB1_11667-.Lpost_getpc16585)>>32
	s_setpc_b64 s[14:15]
.LBB1_34505:
	s_getpc_b64 s[14:15]
.Lpost_getpc2916:
	s_add_u32 s14, s14, (.LBB1_11668-.Lpost_getpc2916)&4294967295
	s_addc_u32 s15, s15, (.LBB1_11668-.Lpost_getpc2916)>>32
	s_setpc_b64 s[14:15]
.LBB1_26005:
	s_movk_i32 s4, 0x80
	v_cmp_eq_u16_e32 vcc, s4, v13
	s_mov_b64 s[4:5], -1
                                        ; implicit-def: $sgpr10
	s_and_saveexec_b64 s[8:9], vcc
; %bb.26006:
	s_mov_b32 s10, 0x7f800001
	s_xor_b64 s[4:5], exec, -1
; %bb.26007:
	s_or_b64 exec, exec, s[8:9]
	s_and_b64 s[4:5], s[4:5], exec
                                        ; implicit-def: $vgpr13
	s_or_saveexec_b64 s[6:7], s[6:7]
	v_mov_b32_e32 v14, s10
	s_xor_b64 exec, exec, s[6:7]
	s_cbranch_execnz .LBB1_26008
; %bb.61845:
	s_getpc_b64 s[14:15]
.Lpost_getpc16586:
	s_add_u32 s14, s14, (.LBB1_11670-.Lpost_getpc16586)&4294967295
	s_addc_u32 s15, s15, (.LBB1_11670-.Lpost_getpc16586)>>32
	s_setpc_b64 s[14:15]
.LBB1_26008:
	v_cmp_ne_u16_e32 vcc, 0, v13
	s_andn2_b64 s[4:5], s[4:5], exec
	s_and_b64 s[8:9], vcc, exec
	v_mov_b32_e32 v14, 0
	s_or_b64 s[4:5], s[4:5], s[8:9]
	s_or_b64 exec, exec, s[6:7]
	s_and_saveexec_b64 s[6:7], s[4:5]
	s_cbranch_execz .LBB1_34507
; %bb.61847:
	s_getpc_b64 s[14:15]
.Lpost_getpc16587:
	s_add_u32 s14, s14, (.LBB1_11671-.Lpost_getpc16587)&4294967295
	s_addc_u32 s15, s15, (.LBB1_11671-.Lpost_getpc16587)>>32
	s_setpc_b64 s[14:15]
.LBB1_34507:
	s_getpc_b64 s[14:15]
.Lpost_getpc2917:
	s_add_u32 s14, s14, (.LBB1_11672-.Lpost_getpc2917)&4294967295
	s_addc_u32 s15, s15, (.LBB1_11672-.Lpost_getpc2917)>>32
	s_setpc_b64 s[14:15]
.LBB1_26009:
	s_movk_i32 s4, 0x80
	v_cmp_eq_u16_sdwa s[12:13], v6, s4 src0_sel:BYTE_3 src1_sel:DWORD
	s_mov_b64 s[4:5], -1
                                        ; implicit-def: $sgpr10
	s_and_saveexec_b64 s[8:9], s[12:13]
; %bb.26010:
	s_mov_b32 s10, 0x7f800001
	s_xor_b64 s[4:5], exec, -1
; %bb.26011:
	s_or_b64 exec, exec, s[8:9]
	s_and_b64 s[4:5], s[4:5], exec
	s_or_saveexec_b64 s[6:7], s[6:7]
	v_mov_b32_e32 v12, s10
	s_xor_b64 exec, exec, s[6:7]
	s_cbranch_execnz .LBB1_26012
; %bb.61849:
	s_getpc_b64 s[14:15]
.Lpost_getpc16588:
	s_add_u32 s14, s14, (.LBB1_11674-.Lpost_getpc16588)&4294967295
	s_addc_u32 s15, s15, (.LBB1_11674-.Lpost_getpc16588)>>32
	s_setpc_b64 s[14:15]
.LBB1_26012:
	v_mov_b32_e32 v12, 0
	v_cmp_ne_u16_sdwa s[8:9], v6, v12 src0_sel:BYTE_3 src1_sel:DWORD
	s_andn2_b64 s[4:5], s[4:5], exec
	s_and_b64 s[8:9], s[8:9], exec
	s_or_b64 s[4:5], s[4:5], s[8:9]
	s_or_b64 exec, exec, s[6:7]
	s_and_saveexec_b64 s[6:7], s[4:5]
	s_cbranch_execz .LBB1_34509
; %bb.61851:
	s_getpc_b64 s[14:15]
.Lpost_getpc16589:
	s_add_u32 s14, s14, (.LBB1_11675-.Lpost_getpc16589)&4294967295
	s_addc_u32 s15, s15, (.LBB1_11675-.Lpost_getpc16589)>>32
	s_setpc_b64 s[14:15]
.LBB1_34509:
	s_getpc_b64 s[14:15]
.Lpost_getpc2918:
	s_add_u32 s14, s14, (.LBB1_11676-.Lpost_getpc2918)&4294967295
	s_addc_u32 s15, s15, (.LBB1_11676-.Lpost_getpc2918)>>32
	s_setpc_b64 s[14:15]
.LBB1_26013:
	s_movk_i32 s4, 0x80
	v_cmp_eq_u16_sdwa s[12:13], v2, s4 src0_sel:BYTE_3 src1_sel:DWORD
	s_mov_b64 s[4:5], -1
                                        ; implicit-def: $sgpr10
	s_and_saveexec_b64 s[8:9], s[12:13]
; %bb.26014:
	s_mov_b32 s10, 0x7f800001
	s_xor_b64 s[4:5], exec, -1
; %bb.26015:
	s_or_b64 exec, exec, s[8:9]
	s_and_b64 s[4:5], s[4:5], exec
	s_or_saveexec_b64 s[6:7], s[6:7]
	v_mov_b32_e32 v6, s10
	s_xor_b64 exec, exec, s[6:7]
	s_cbranch_execnz .LBB1_26016
; %bb.61853:
	s_getpc_b64 s[14:15]
.Lpost_getpc16590:
	s_add_u32 s14, s14, (.LBB1_11678-.Lpost_getpc16590)&4294967295
	s_addc_u32 s15, s15, (.LBB1_11678-.Lpost_getpc16590)>>32
	s_setpc_b64 s[14:15]
.LBB1_26016:
	v_mov_b32_e32 v6, 0
	v_cmp_ne_u16_sdwa s[8:9], v2, v6 src0_sel:BYTE_3 src1_sel:DWORD
	s_andn2_b64 s[4:5], s[4:5], exec
	s_and_b64 s[8:9], s[8:9], exec
	s_or_b64 s[4:5], s[4:5], s[8:9]
	s_or_b64 exec, exec, s[6:7]
	s_and_saveexec_b64 s[6:7], s[4:5]
	s_cbranch_execz .LBB1_34511
; %bb.61855:
	s_getpc_b64 s[14:15]
.Lpost_getpc16591:
	s_add_u32 s14, s14, (.LBB1_11679-.Lpost_getpc16591)&4294967295
	s_addc_u32 s15, s15, (.LBB1_11679-.Lpost_getpc16591)>>32
	s_setpc_b64 s[14:15]
.LBB1_34511:
	s_getpc_b64 s[14:15]
.Lpost_getpc2919:
	s_add_u32 s14, s14, (.LBB1_11680-.Lpost_getpc2919)&4294967295
	s_addc_u32 s15, s15, (.LBB1_11680-.Lpost_getpc2919)>>32
	s_setpc_b64 s[14:15]
.LBB1_26017:
	s_movk_i32 s4, 0x80
	v_cmp_eq_u16_sdwa s[12:13], v7, s4 src0_sel:BYTE_0 src1_sel:DWORD
	s_mov_b64 s[4:5], -1
                                        ; implicit-def: $sgpr10
	s_and_saveexec_b64 s[8:9], s[12:13]
; %bb.26018:
	s_mov_b32 s10, 0x7f800001
	s_xor_b64 s[4:5], exec, -1
; %bb.26019:
	s_or_b64 exec, exec, s[8:9]
	s_and_b64 s[4:5], s[4:5], exec
	s_or_saveexec_b64 s[6:7], s[6:7]
	v_mov_b32_e32 v2, s10
	s_xor_b64 exec, exec, s[6:7]
	s_cbranch_execnz .LBB1_26020
; %bb.61857:
	s_getpc_b64 s[14:15]
.Lpost_getpc16592:
	s_add_u32 s14, s14, (.LBB1_11682-.Lpost_getpc16592)&4294967295
	s_addc_u32 s15, s15, (.LBB1_11682-.Lpost_getpc16592)>>32
	s_setpc_b64 s[14:15]
.LBB1_26020:
	v_mov_b32_e32 v2, 0
	v_cmp_ne_u16_sdwa s[8:9], v7, v2 src0_sel:BYTE_0 src1_sel:DWORD
	s_andn2_b64 s[4:5], s[4:5], exec
	s_and_b64 s[8:9], s[8:9], exec
	s_or_b64 s[4:5], s[4:5], s[8:9]
	s_or_b64 exec, exec, s[6:7]
	s_and_saveexec_b64 s[6:7], s[4:5]
	s_cbranch_execz .LBB1_34513
; %bb.61859:
	s_getpc_b64 s[14:15]
.Lpost_getpc16593:
	s_add_u32 s14, s14, (.LBB1_11683-.Lpost_getpc16593)&4294967295
	s_addc_u32 s15, s15, (.LBB1_11683-.Lpost_getpc16593)>>32
	s_setpc_b64 s[14:15]
.LBB1_34513:
	s_getpc_b64 s[14:15]
.Lpost_getpc2920:
	s_add_u32 s14, s14, (.LBB1_11684-.Lpost_getpc2920)&4294967295
	s_addc_u32 s15, s15, (.LBB1_11684-.Lpost_getpc2920)>>32
	s_setpc_b64 s[14:15]
.LBB1_26021:
	s_movk_i32 s4, 0x80
	v_cmp_eq_u16_sdwa s[12:13], v3, s4 src0_sel:BYTE_0 src1_sel:DWORD
	s_mov_b64 s[4:5], -1
                                        ; implicit-def: $sgpr10
	s_and_saveexec_b64 s[8:9], s[12:13]
; %bb.26022:
	s_mov_b32 s10, 0x7f800001
	s_xor_b64 s[4:5], exec, -1
; %bb.26023:
	s_or_b64 exec, exec, s[8:9]
	s_and_b64 s[4:5], s[4:5], exec
	s_or_saveexec_b64 s[6:7], s[6:7]
	v_mov_b32_e32 v6, s10
	s_xor_b64 exec, exec, s[6:7]
	s_cbranch_execnz .LBB1_26024
; %bb.61861:
	s_getpc_b64 s[14:15]
.Lpost_getpc16594:
	s_add_u32 s14, s14, (.LBB1_11686-.Lpost_getpc16594)&4294967295
	s_addc_u32 s15, s15, (.LBB1_11686-.Lpost_getpc16594)>>32
	s_setpc_b64 s[14:15]
.LBB1_26024:
	v_mov_b32_e32 v6, 0
	v_cmp_ne_u16_sdwa s[8:9], v3, v6 src0_sel:BYTE_0 src1_sel:DWORD
	s_andn2_b64 s[4:5], s[4:5], exec
	s_and_b64 s[8:9], s[8:9], exec
	s_or_b64 s[4:5], s[4:5], s[8:9]
	s_or_b64 exec, exec, s[6:7]
	s_and_saveexec_b64 s[6:7], s[4:5]
	s_cbranch_execz .LBB1_34515
; %bb.61863:
	s_getpc_b64 s[14:15]
.Lpost_getpc16595:
	s_add_u32 s14, s14, (.LBB1_11687-.Lpost_getpc16595)&4294967295
	s_addc_u32 s15, s15, (.LBB1_11687-.Lpost_getpc16595)>>32
	s_setpc_b64 s[14:15]
.LBB1_34515:
	s_getpc_b64 s[14:15]
.Lpost_getpc2921:
	s_add_u32 s14, s14, (.LBB1_11688-.Lpost_getpc2921)&4294967295
	s_addc_u32 s15, s15, (.LBB1_11688-.Lpost_getpc2921)>>32
	s_setpc_b64 s[14:15]
.LBB1_26025:
	s_movk_i32 s4, 0x80
	v_cmp_eq_u16_sdwa s[12:13], v6, s4 src0_sel:BYTE_0 src1_sel:DWORD
	s_mov_b64 s[4:5], -1
                                        ; implicit-def: $sgpr10
	s_and_saveexec_b64 s[8:9], s[12:13]
; %bb.26026:
	s_mov_b32 s10, 0x7f800001
	s_xor_b64 s[4:5], exec, -1
; %bb.26027:
	s_or_b64 exec, exec, s[8:9]
	s_and_b64 s[4:5], s[4:5], exec
	s_or_saveexec_b64 s[6:7], s[6:7]
	v_mov_b32_e32 v2, s10
	s_xor_b64 exec, exec, s[6:7]
	s_cbranch_execnz .LBB1_26028
; %bb.61865:
	s_getpc_b64 s[14:15]
.Lpost_getpc16596:
	s_add_u32 s14, s14, (.LBB1_11690-.Lpost_getpc16596)&4294967295
	s_addc_u32 s15, s15, (.LBB1_11690-.Lpost_getpc16596)>>32
	s_setpc_b64 s[14:15]
.LBB1_26028:
	v_mov_b32_e32 v2, 0
	v_cmp_ne_u16_sdwa s[8:9], v6, v2 src0_sel:BYTE_0 src1_sel:DWORD
	s_andn2_b64 s[4:5], s[4:5], exec
	s_and_b64 s[8:9], s[8:9], exec
	s_or_b64 s[4:5], s[4:5], s[8:9]
	s_or_b64 exec, exec, s[6:7]
	s_and_saveexec_b64 s[6:7], s[4:5]
	s_cbranch_execz .LBB1_34517
; %bb.61867:
	s_getpc_b64 s[14:15]
.Lpost_getpc16597:
	s_add_u32 s14, s14, (.LBB1_11691-.Lpost_getpc16597)&4294967295
	s_addc_u32 s15, s15, (.LBB1_11691-.Lpost_getpc16597)>>32
	s_setpc_b64 s[14:15]
.LBB1_34517:
	s_getpc_b64 s[14:15]
.Lpost_getpc2922:
	s_add_u32 s14, s14, (.LBB1_11692-.Lpost_getpc2922)&4294967295
	s_addc_u32 s15, s15, (.LBB1_11692-.Lpost_getpc2922)>>32
	s_setpc_b64 s[14:15]
.LBB1_26029:
	s_movk_i32 s4, 0x80
	v_cmp_eq_u16_sdwa s[12:13], v6, s4 src0_sel:BYTE_0 src1_sel:DWORD
	s_mov_b64 s[4:5], -1
                                        ; implicit-def: $sgpr10
	s_and_saveexec_b64 s[8:9], s[12:13]
; %bb.26030:
	s_mov_b32 s10, 0x7f800001
	s_xor_b64 s[4:5], exec, -1
; %bb.26031:
	s_or_b64 exec, exec, s[8:9]
	s_and_b64 s[4:5], s[4:5], exec
	s_or_saveexec_b64 s[6:7], s[6:7]
	v_mov_b32_e32 v12, s10
	s_xor_b64 exec, exec, s[6:7]
	s_cbranch_execnz .LBB1_26032
; %bb.61869:
	s_getpc_b64 s[14:15]
.Lpost_getpc16598:
	s_add_u32 s14, s14, (.LBB1_11694-.Lpost_getpc16598)&4294967295
	s_addc_u32 s15, s15, (.LBB1_11694-.Lpost_getpc16598)>>32
	s_setpc_b64 s[14:15]
.LBB1_26032:
	v_mov_b32_e32 v12, 0
	v_cmp_ne_u16_sdwa s[8:9], v6, v12 src0_sel:BYTE_0 src1_sel:DWORD
	s_andn2_b64 s[4:5], s[4:5], exec
	s_and_b64 s[8:9], s[8:9], exec
	s_or_b64 s[4:5], s[4:5], s[8:9]
	s_or_b64 exec, exec, s[6:7]
	s_and_saveexec_b64 s[6:7], s[4:5]
	s_cbranch_execz .LBB1_34519
; %bb.61871:
	s_getpc_b64 s[14:15]
.Lpost_getpc16599:
	s_add_u32 s14, s14, (.LBB1_11695-.Lpost_getpc16599)&4294967295
	s_addc_u32 s15, s15, (.LBB1_11695-.Lpost_getpc16599)>>32
	s_setpc_b64 s[14:15]
.LBB1_34519:
	s_getpc_b64 s[14:15]
.Lpost_getpc2923:
	s_add_u32 s14, s14, (.LBB1_11696-.Lpost_getpc2923)&4294967295
	s_addc_u32 s15, s15, (.LBB1_11696-.Lpost_getpc2923)>>32
	s_setpc_b64 s[14:15]
.LBB1_26033:
	s_movk_i32 s4, 0x80
	v_cmp_eq_u16_e32 vcc, s4, v6
	s_mov_b64 s[4:5], -1
                                        ; implicit-def: $sgpr10
	s_and_saveexec_b64 s[8:9], vcc
; %bb.26034:
	s_mov_b32 s10, 0x7f800001
	s_xor_b64 s[4:5], exec, -1
; %bb.26035:
	s_or_b64 exec, exec, s[8:9]
	s_and_b64 s[4:5], s[4:5], exec
                                        ; implicit-def: $vgpr6
	s_or_saveexec_b64 s[6:7], s[6:7]
	v_mov_b32_e32 v2, s10
	s_xor_b64 exec, exec, s[6:7]
	s_cbranch_execnz .LBB1_26036
; %bb.61873:
	s_getpc_b64 s[14:15]
.Lpost_getpc16600:
	s_add_u32 s14, s14, (.LBB1_11698-.Lpost_getpc16600)&4294967295
	s_addc_u32 s15, s15, (.LBB1_11698-.Lpost_getpc16600)>>32
	s_setpc_b64 s[14:15]
.LBB1_26036:
	v_cmp_ne_u16_e32 vcc, 0, v6
	s_andn2_b64 s[4:5], s[4:5], exec
	s_and_b64 s[8:9], vcc, exec
	v_mov_b32_e32 v2, 0
	s_or_b64 s[4:5], s[4:5], s[8:9]
	s_or_b64 exec, exec, s[6:7]
	s_and_saveexec_b64 s[6:7], s[4:5]
	s_cbranch_execz .LBB1_34521
; %bb.61875:
	s_getpc_b64 s[14:15]
.Lpost_getpc16601:
	s_add_u32 s14, s14, (.LBB1_11699-.Lpost_getpc16601)&4294967295
	s_addc_u32 s15, s15, (.LBB1_11699-.Lpost_getpc16601)>>32
	s_setpc_b64 s[14:15]
.LBB1_34521:
	s_getpc_b64 s[14:15]
.Lpost_getpc2924:
	s_add_u32 s14, s14, (.LBB1_11700-.Lpost_getpc2924)&4294967295
	s_addc_u32 s15, s15, (.LBB1_11700-.Lpost_getpc2924)>>32
	s_setpc_b64 s[14:15]
.LBB1_26037:
	s_movk_i32 s4, 0x80
	v_cmp_eq_u16_e32 vcc, s4, v6
	s_mov_b64 s[4:5], -1
                                        ; implicit-def: $sgpr10
	s_and_saveexec_b64 s[8:9], vcc
; %bb.26038:
	s_mov_b32 s10, 0x7f800001
	s_xor_b64 s[4:5], exec, -1
; %bb.26039:
	s_or_b64 exec, exec, s[8:9]
	s_and_b64 s[4:5], s[4:5], exec
                                        ; implicit-def: $vgpr6
	s_or_saveexec_b64 s[6:7], s[6:7]
	v_mov_b32_e32 v12, s10
	s_xor_b64 exec, exec, s[6:7]
	s_cbranch_execnz .LBB1_26040
; %bb.61877:
	s_getpc_b64 s[14:15]
.Lpost_getpc16602:
	s_add_u32 s14, s14, (.LBB1_11702-.Lpost_getpc16602)&4294967295
	s_addc_u32 s15, s15, (.LBB1_11702-.Lpost_getpc16602)>>32
	s_setpc_b64 s[14:15]
.LBB1_26040:
	v_cmp_ne_u16_e32 vcc, 0, v6
	s_andn2_b64 s[4:5], s[4:5], exec
	s_and_b64 s[8:9], vcc, exec
	v_mov_b32_e32 v12, 0
	s_or_b64 s[4:5], s[4:5], s[8:9]
	s_or_b64 exec, exec, s[6:7]
	s_and_saveexec_b64 s[6:7], s[4:5]
	s_cbranch_execz .LBB1_34523
; %bb.61879:
	s_getpc_b64 s[14:15]
.Lpost_getpc16603:
	s_add_u32 s14, s14, (.LBB1_11703-.Lpost_getpc16603)&4294967295
	s_addc_u32 s15, s15, (.LBB1_11703-.Lpost_getpc16603)>>32
	s_setpc_b64 s[14:15]
.LBB1_34523:
	s_getpc_b64 s[14:15]
.Lpost_getpc2925:
	s_add_u32 s14, s14, (.LBB1_11704-.Lpost_getpc2925)&4294967295
	s_addc_u32 s15, s15, (.LBB1_11704-.Lpost_getpc2925)>>32
	s_setpc_b64 s[14:15]
.LBB1_26041:
	s_movk_i32 s4, 0x80
	v_cmp_eq_u16_sdwa s[12:13], v7, s4 src0_sel:BYTE_3 src1_sel:DWORD
	s_mov_b64 s[4:5], -1
                                        ; implicit-def: $sgpr10
	s_and_saveexec_b64 s[8:9], s[12:13]
; %bb.26042:
	s_mov_b32 s10, 0x7f800001
	s_xor_b64 s[4:5], exec, -1
; %bb.26043:
	s_or_b64 exec, exec, s[8:9]
	s_and_b64 s[4:5], s[4:5], exec
	s_or_saveexec_b64 s[6:7], s[6:7]
	v_mov_b32_e32 v2, s10
	s_xor_b64 exec, exec, s[6:7]
	s_cbranch_execnz .LBB1_26044
; %bb.61881:
	s_getpc_b64 s[14:15]
.Lpost_getpc16604:
	s_add_u32 s14, s14, (.LBB1_11706-.Lpost_getpc16604)&4294967295
	s_addc_u32 s15, s15, (.LBB1_11706-.Lpost_getpc16604)>>32
	s_setpc_b64 s[14:15]
.LBB1_26044:
	v_mov_b32_e32 v2, 0
	v_cmp_ne_u16_sdwa s[8:9], v7, v2 src0_sel:BYTE_3 src1_sel:DWORD
	s_andn2_b64 s[4:5], s[4:5], exec
	s_and_b64 s[8:9], s[8:9], exec
	s_or_b64 s[4:5], s[4:5], s[8:9]
	s_or_b64 exec, exec, s[6:7]
	s_and_saveexec_b64 s[6:7], s[4:5]
	s_cbranch_execz .LBB1_34525
; %bb.61883:
	s_getpc_b64 s[14:15]
.Lpost_getpc16605:
	s_add_u32 s14, s14, (.LBB1_11707-.Lpost_getpc16605)&4294967295
	s_addc_u32 s15, s15, (.LBB1_11707-.Lpost_getpc16605)>>32
	s_setpc_b64 s[14:15]
.LBB1_34525:
	s_getpc_b64 s[14:15]
.Lpost_getpc2926:
	s_add_u32 s14, s14, (.LBB1_11708-.Lpost_getpc2926)&4294967295
	s_addc_u32 s15, s15, (.LBB1_11708-.Lpost_getpc2926)>>32
	s_setpc_b64 s[14:15]
.LBB1_26045:
	s_movk_i32 s4, 0x80
	v_cmp_eq_u16_sdwa s[12:13], v3, s4 src0_sel:BYTE_3 src1_sel:DWORD
	s_mov_b64 s[4:5], -1
                                        ; implicit-def: $sgpr10
	s_and_saveexec_b64 s[8:9], s[12:13]
; %bb.26046:
	s_mov_b32 s10, 0x7f800001
	s_xor_b64 s[4:5], exec, -1
; %bb.26047:
	s_or_b64 exec, exec, s[8:9]
	s_and_b64 s[4:5], s[4:5], exec
	s_or_saveexec_b64 s[6:7], s[6:7]
	v_mov_b32_e32 v6, s10
	s_xor_b64 exec, exec, s[6:7]
	s_cbranch_execnz .LBB1_26048
; %bb.61885:
	s_getpc_b64 s[14:15]
.Lpost_getpc16606:
	s_add_u32 s14, s14, (.LBB1_11710-.Lpost_getpc16606)&4294967295
	s_addc_u32 s15, s15, (.LBB1_11710-.Lpost_getpc16606)>>32
	s_setpc_b64 s[14:15]
.LBB1_26048:
	v_mov_b32_e32 v6, 0
	v_cmp_ne_u16_sdwa s[8:9], v3, v6 src0_sel:BYTE_3 src1_sel:DWORD
	s_andn2_b64 s[4:5], s[4:5], exec
	s_and_b64 s[8:9], s[8:9], exec
	s_or_b64 s[4:5], s[4:5], s[8:9]
	s_or_b64 exec, exec, s[6:7]
	s_and_saveexec_b64 s[6:7], s[4:5]
	s_cbranch_execz .LBB1_34527
; %bb.61887:
	s_getpc_b64 s[14:15]
.Lpost_getpc16607:
	s_add_u32 s14, s14, (.LBB1_11711-.Lpost_getpc16607)&4294967295
	s_addc_u32 s15, s15, (.LBB1_11711-.Lpost_getpc16607)>>32
	s_setpc_b64 s[14:15]
.LBB1_34527:
	s_getpc_b64 s[14:15]
.Lpost_getpc2927:
	s_add_u32 s14, s14, (.LBB1_11712-.Lpost_getpc2927)&4294967295
	s_addc_u32 s15, s15, (.LBB1_11712-.Lpost_getpc2927)>>32
	s_setpc_b64 s[14:15]
.LBB1_26049:
	s_movk_i32 s4, 0x80
	v_cmp_eq_u16_sdwa s[12:13], v8, s4 src0_sel:BYTE_0 src1_sel:DWORD
	s_mov_b64 s[4:5], -1
                                        ; implicit-def: $sgpr10
	s_and_saveexec_b64 s[8:9], s[12:13]
; %bb.26050:
	s_mov_b32 s10, 0x7f800001
	s_xor_b64 s[4:5], exec, -1
; %bb.26051:
	s_or_b64 exec, exec, s[8:9]
	s_and_b64 s[4:5], s[4:5], exec
	s_or_saveexec_b64 s[6:7], s[6:7]
	v_mov_b32_e32 v2, s10
	s_xor_b64 exec, exec, s[6:7]
	s_cbranch_execnz .LBB1_26052
; %bb.61889:
	s_getpc_b64 s[14:15]
.Lpost_getpc16608:
	s_add_u32 s14, s14, (.LBB1_11714-.Lpost_getpc16608)&4294967295
	s_addc_u32 s15, s15, (.LBB1_11714-.Lpost_getpc16608)>>32
	s_setpc_b64 s[14:15]
.LBB1_26052:
	v_mov_b32_e32 v2, 0
	v_cmp_ne_u16_sdwa s[8:9], v8, v2 src0_sel:BYTE_0 src1_sel:DWORD
	s_andn2_b64 s[4:5], s[4:5], exec
	s_and_b64 s[8:9], s[8:9], exec
	s_or_b64 s[4:5], s[4:5], s[8:9]
	s_or_b64 exec, exec, s[6:7]
	s_and_saveexec_b64 s[6:7], s[4:5]
	s_cbranch_execz .LBB1_34529
; %bb.61891:
	s_getpc_b64 s[14:15]
.Lpost_getpc16609:
	s_add_u32 s14, s14, (.LBB1_11715-.Lpost_getpc16609)&4294967295
	s_addc_u32 s15, s15, (.LBB1_11715-.Lpost_getpc16609)>>32
	s_setpc_b64 s[14:15]
.LBB1_34529:
	s_getpc_b64 s[14:15]
.Lpost_getpc2928:
	s_add_u32 s14, s14, (.LBB1_11716-.Lpost_getpc2928)&4294967295
	s_addc_u32 s15, s15, (.LBB1_11716-.Lpost_getpc2928)>>32
	s_setpc_b64 s[14:15]
.LBB1_26053:
	s_movk_i32 s4, 0x80
	v_cmp_eq_u16_sdwa s[12:13], v4, s4 src0_sel:BYTE_0 src1_sel:DWORD
	s_mov_b64 s[4:5], -1
                                        ; implicit-def: $sgpr10
	s_and_saveexec_b64 s[8:9], s[12:13]
; %bb.26054:
	s_mov_b32 s10, 0x7f800001
	s_xor_b64 s[4:5], exec, -1
; %bb.26055:
	s_or_b64 exec, exec, s[8:9]
	s_and_b64 s[4:5], s[4:5], exec
	s_or_saveexec_b64 s[6:7], s[6:7]
	v_mov_b32_e32 v3, s10
	s_xor_b64 exec, exec, s[6:7]
	s_cbranch_execnz .LBB1_26056
; %bb.61893:
	s_getpc_b64 s[14:15]
.Lpost_getpc16610:
	s_add_u32 s14, s14, (.LBB1_11718-.Lpost_getpc16610)&4294967295
	s_addc_u32 s15, s15, (.LBB1_11718-.Lpost_getpc16610)>>32
	s_setpc_b64 s[14:15]
.LBB1_26056:
	v_mov_b32_e32 v3, 0
	v_cmp_ne_u16_sdwa s[8:9], v4, v3 src0_sel:BYTE_0 src1_sel:DWORD
	s_andn2_b64 s[4:5], s[4:5], exec
	s_and_b64 s[8:9], s[8:9], exec
	s_or_b64 s[4:5], s[4:5], s[8:9]
	s_or_b64 exec, exec, s[6:7]
	s_and_saveexec_b64 s[6:7], s[4:5]
	s_cbranch_execz .LBB1_34531
; %bb.61895:
	s_getpc_b64 s[14:15]
.Lpost_getpc16611:
	s_add_u32 s14, s14, (.LBB1_11719-.Lpost_getpc16611)&4294967295
	s_addc_u32 s15, s15, (.LBB1_11719-.Lpost_getpc16611)>>32
	s_setpc_b64 s[14:15]
.LBB1_34531:
	s_getpc_b64 s[14:15]
.Lpost_getpc2929:
	s_add_u32 s14, s14, (.LBB1_11720-.Lpost_getpc2929)&4294967295
	s_addc_u32 s15, s15, (.LBB1_11720-.Lpost_getpc2929)>>32
	s_setpc_b64 s[14:15]
.LBB1_26057:
	s_movk_i32 s4, 0x80
	v_cmp_eq_u16_sdwa s[12:13], v3, s4 src0_sel:BYTE_0 src1_sel:DWORD
	s_mov_b64 s[4:5], -1
                                        ; implicit-def: $sgpr10
	s_and_saveexec_b64 s[8:9], s[12:13]
; %bb.26058:
	s_mov_b32 s10, 0x7f800001
	s_xor_b64 s[4:5], exec, -1
; %bb.26059:
	s_or_b64 exec, exec, s[8:9]
	s_and_b64 s[4:5], s[4:5], exec
	s_or_saveexec_b64 s[6:7], s[6:7]
	v_mov_b32_e32 v2, s10
	s_xor_b64 exec, exec, s[6:7]
	s_cbranch_execnz .LBB1_26060
; %bb.61897:
	s_getpc_b64 s[14:15]
.Lpost_getpc16612:
	s_add_u32 s14, s14, (.LBB1_11722-.Lpost_getpc16612)&4294967295
	s_addc_u32 s15, s15, (.LBB1_11722-.Lpost_getpc16612)>>32
	s_setpc_b64 s[14:15]
.LBB1_26060:
	v_mov_b32_e32 v2, 0
	v_cmp_ne_u16_sdwa s[8:9], v3, v2 src0_sel:BYTE_0 src1_sel:DWORD
	s_andn2_b64 s[4:5], s[4:5], exec
	s_and_b64 s[8:9], s[8:9], exec
	s_or_b64 s[4:5], s[4:5], s[8:9]
	s_or_b64 exec, exec, s[6:7]
	s_and_saveexec_b64 s[6:7], s[4:5]
	s_cbranch_execz .LBB1_34533
; %bb.61899:
	s_getpc_b64 s[14:15]
.Lpost_getpc16613:
	s_add_u32 s14, s14, (.LBB1_11723-.Lpost_getpc16613)&4294967295
	s_addc_u32 s15, s15, (.LBB1_11723-.Lpost_getpc16613)>>32
	s_setpc_b64 s[14:15]
.LBB1_34533:
	s_getpc_b64 s[14:15]
.Lpost_getpc2930:
	s_add_u32 s14, s14, (.LBB1_11724-.Lpost_getpc2930)&4294967295
	s_addc_u32 s15, s15, (.LBB1_11724-.Lpost_getpc2930)>>32
	s_setpc_b64 s[14:15]
.LBB1_26061:
	s_movk_i32 s4, 0x80
	v_cmp_eq_u16_sdwa s[12:13], v3, s4 src0_sel:BYTE_0 src1_sel:DWORD
	s_mov_b64 s[4:5], -1
                                        ; implicit-def: $sgpr10
	s_and_saveexec_b64 s[8:9], s[12:13]
; %bb.26062:
	s_mov_b32 s10, 0x7f800001
	s_xor_b64 s[4:5], exec, -1
; %bb.26063:
	s_or_b64 exec, exec, s[8:9]
	s_and_b64 s[4:5], s[4:5], exec
	s_or_saveexec_b64 s[6:7], s[6:7]
	v_mov_b32_e32 v6, s10
	s_xor_b64 exec, exec, s[6:7]
	s_cbranch_execnz .LBB1_26064
; %bb.61901:
	s_getpc_b64 s[14:15]
.Lpost_getpc16614:
	s_add_u32 s14, s14, (.LBB1_11726-.Lpost_getpc16614)&4294967295
	s_addc_u32 s15, s15, (.LBB1_11726-.Lpost_getpc16614)>>32
	s_setpc_b64 s[14:15]
.LBB1_26064:
	v_mov_b32_e32 v6, 0
	v_cmp_ne_u16_sdwa s[8:9], v3, v6 src0_sel:BYTE_0 src1_sel:DWORD
	s_andn2_b64 s[4:5], s[4:5], exec
	s_and_b64 s[8:9], s[8:9], exec
	s_or_b64 s[4:5], s[4:5], s[8:9]
	s_or_b64 exec, exec, s[6:7]
	s_and_saveexec_b64 s[6:7], s[4:5]
	s_cbranch_execz .LBB1_34535
; %bb.61903:
	s_getpc_b64 s[14:15]
.Lpost_getpc16615:
	s_add_u32 s14, s14, (.LBB1_11727-.Lpost_getpc16615)&4294967295
	s_addc_u32 s15, s15, (.LBB1_11727-.Lpost_getpc16615)>>32
	s_setpc_b64 s[14:15]
.LBB1_34535:
	s_getpc_b64 s[14:15]
.Lpost_getpc2931:
	s_add_u32 s14, s14, (.LBB1_11728-.Lpost_getpc2931)&4294967295
	s_addc_u32 s15, s15, (.LBB1_11728-.Lpost_getpc2931)>>32
	s_setpc_b64 s[14:15]
.LBB1_26065:
	s_movk_i32 s4, 0x80
	v_cmp_eq_u16_e32 vcc, s4, v3
	s_mov_b64 s[4:5], -1
                                        ; implicit-def: $sgpr10
	s_and_saveexec_b64 s[8:9], vcc
; %bb.26066:
	s_mov_b32 s10, 0x7f800001
	s_xor_b64 s[4:5], exec, -1
; %bb.26067:
	s_or_b64 exec, exec, s[8:9]
	s_and_b64 s[4:5], s[4:5], exec
                                        ; implicit-def: $vgpr3
	s_or_saveexec_b64 s[6:7], s[6:7]
	v_mov_b32_e32 v2, s10
	s_xor_b64 exec, exec, s[6:7]
	s_cbranch_execnz .LBB1_26068
; %bb.61905:
	s_getpc_b64 s[14:15]
.Lpost_getpc16616:
	s_add_u32 s14, s14, (.LBB1_11730-.Lpost_getpc16616)&4294967295
	s_addc_u32 s15, s15, (.LBB1_11730-.Lpost_getpc16616)>>32
	s_setpc_b64 s[14:15]
.LBB1_26068:
	v_cmp_ne_u16_e32 vcc, 0, v3
	s_andn2_b64 s[4:5], s[4:5], exec
	s_and_b64 s[8:9], vcc, exec
	v_mov_b32_e32 v2, 0
	s_or_b64 s[4:5], s[4:5], s[8:9]
	s_or_b64 exec, exec, s[6:7]
	s_and_saveexec_b64 s[6:7], s[4:5]
	s_cbranch_execz .LBB1_34537
; %bb.61907:
	s_getpc_b64 s[14:15]
.Lpost_getpc16617:
	s_add_u32 s14, s14, (.LBB1_11731-.Lpost_getpc16617)&4294967295
	s_addc_u32 s15, s15, (.LBB1_11731-.Lpost_getpc16617)>>32
	s_setpc_b64 s[14:15]
.LBB1_34537:
	s_getpc_b64 s[14:15]
.Lpost_getpc2932:
	s_add_u32 s14, s14, (.LBB1_11732-.Lpost_getpc2932)&4294967295
	s_addc_u32 s15, s15, (.LBB1_11732-.Lpost_getpc2932)>>32
	s_setpc_b64 s[14:15]
.LBB1_26069:
	s_movk_i32 s4, 0x80
	v_cmp_eq_u16_e32 vcc, s4, v3
	s_mov_b64 s[4:5], -1
                                        ; implicit-def: $sgpr10
	s_and_saveexec_b64 s[8:9], vcc
; %bb.26070:
	s_mov_b32 s10, 0x7f800001
	s_xor_b64 s[4:5], exec, -1
; %bb.26071:
	s_or_b64 exec, exec, s[8:9]
	s_and_b64 s[4:5], s[4:5], exec
                                        ; implicit-def: $vgpr3
	s_or_saveexec_b64 s[6:7], s[6:7]
	v_mov_b32_e32 v6, s10
	s_xor_b64 exec, exec, s[6:7]
	s_cbranch_execnz .LBB1_26072
; %bb.61909:
	s_getpc_b64 s[14:15]
.Lpost_getpc16618:
	s_add_u32 s14, s14, (.LBB1_11734-.Lpost_getpc16618)&4294967295
	s_addc_u32 s15, s15, (.LBB1_11734-.Lpost_getpc16618)>>32
	s_setpc_b64 s[14:15]
.LBB1_26072:
	v_cmp_ne_u16_e32 vcc, 0, v3
	s_andn2_b64 s[4:5], s[4:5], exec
	s_and_b64 s[8:9], vcc, exec
	v_mov_b32_e32 v6, 0
	s_or_b64 s[4:5], s[4:5], s[8:9]
	s_or_b64 exec, exec, s[6:7]
	s_and_saveexec_b64 s[6:7], s[4:5]
	s_cbranch_execz .LBB1_34539
; %bb.61911:
	s_getpc_b64 s[14:15]
.Lpost_getpc16619:
	s_add_u32 s14, s14, (.LBB1_11735-.Lpost_getpc16619)&4294967295
	s_addc_u32 s15, s15, (.LBB1_11735-.Lpost_getpc16619)>>32
	s_setpc_b64 s[14:15]
.LBB1_34539:
	s_getpc_b64 s[14:15]
.Lpost_getpc2933:
	s_add_u32 s14, s14, (.LBB1_11736-.Lpost_getpc2933)&4294967295
	s_addc_u32 s15, s15, (.LBB1_11736-.Lpost_getpc2933)>>32
	s_setpc_b64 s[14:15]
.LBB1_26073:
	s_movk_i32 s4, 0x80
	v_cmp_eq_u16_sdwa s[12:13], v8, s4 src0_sel:BYTE_3 src1_sel:DWORD
	s_mov_b64 s[4:5], -1
                                        ; implicit-def: $sgpr10
	s_and_saveexec_b64 s[8:9], s[12:13]
; %bb.26074:
	s_mov_b32 s10, 0x7f800001
	s_xor_b64 s[4:5], exec, -1
; %bb.26075:
	s_or_b64 exec, exec, s[8:9]
	s_and_b64 s[4:5], s[4:5], exec
	s_or_saveexec_b64 s[6:7], s[6:7]
	v_mov_b32_e32 v2, s10
	s_xor_b64 exec, exec, s[6:7]
	s_cbranch_execnz .LBB1_26076
; %bb.61913:
	s_getpc_b64 s[14:15]
.Lpost_getpc16620:
	s_add_u32 s14, s14, (.LBB1_11738-.Lpost_getpc16620)&4294967295
	s_addc_u32 s15, s15, (.LBB1_11738-.Lpost_getpc16620)>>32
	s_setpc_b64 s[14:15]
.LBB1_26076:
	v_mov_b32_e32 v2, 0
	v_cmp_ne_u16_sdwa s[8:9], v8, v2 src0_sel:BYTE_3 src1_sel:DWORD
	s_andn2_b64 s[4:5], s[4:5], exec
	s_and_b64 s[8:9], s[8:9], exec
	s_or_b64 s[4:5], s[4:5], s[8:9]
	s_or_b64 exec, exec, s[6:7]
	s_and_saveexec_b64 s[6:7], s[4:5]
	s_cbranch_execz .LBB1_34541
; %bb.61915:
	s_getpc_b64 s[14:15]
.Lpost_getpc16621:
	s_add_u32 s14, s14, (.LBB1_11739-.Lpost_getpc16621)&4294967295
	s_addc_u32 s15, s15, (.LBB1_11739-.Lpost_getpc16621)>>32
	s_setpc_b64 s[14:15]
.LBB1_34541:
	s_getpc_b64 s[14:15]
.Lpost_getpc2934:
	s_add_u32 s14, s14, (.LBB1_11740-.Lpost_getpc2934)&4294967295
	s_addc_u32 s15, s15, (.LBB1_11740-.Lpost_getpc2934)>>32
	s_setpc_b64 s[14:15]
.LBB1_26077:
	s_movk_i32 s4, 0x80
	v_cmp_eq_u16_sdwa s[12:13], v4, s4 src0_sel:BYTE_3 src1_sel:DWORD
	s_mov_b64 s[4:5], -1
                                        ; implicit-def: $sgpr10
	s_and_saveexec_b64 s[8:9], s[12:13]
; %bb.26078:
	s_mov_b32 s10, 0x7f800001
	s_xor_b64 s[4:5], exec, -1
; %bb.26079:
	s_or_b64 exec, exec, s[8:9]
	s_and_b64 s[4:5], s[4:5], exec
	s_or_saveexec_b64 s[6:7], s[6:7]
	v_mov_b32_e32 v3, s10
	s_xor_b64 exec, exec, s[6:7]
	s_cbranch_execnz .LBB1_26080
; %bb.61917:
	s_getpc_b64 s[14:15]
.Lpost_getpc16622:
	s_add_u32 s14, s14, (.LBB1_11742-.Lpost_getpc16622)&4294967295
	s_addc_u32 s15, s15, (.LBB1_11742-.Lpost_getpc16622)>>32
	s_setpc_b64 s[14:15]
.LBB1_26080:
	v_mov_b32_e32 v3, 0
	v_cmp_ne_u16_sdwa s[8:9], v4, v3 src0_sel:BYTE_3 src1_sel:DWORD
	s_andn2_b64 s[4:5], s[4:5], exec
	s_and_b64 s[8:9], s[8:9], exec
	s_or_b64 s[4:5], s[4:5], s[8:9]
	s_or_b64 exec, exec, s[6:7]
	s_and_saveexec_b64 s[6:7], s[4:5]
	s_cbranch_execz .LBB1_34543
; %bb.61919:
	s_getpc_b64 s[14:15]
.Lpost_getpc16623:
	s_add_u32 s14, s14, (.LBB1_11743-.Lpost_getpc16623)&4294967295
	s_addc_u32 s15, s15, (.LBB1_11743-.Lpost_getpc16623)>>32
	s_setpc_b64 s[14:15]
.LBB1_34543:
	s_getpc_b64 s[14:15]
.Lpost_getpc2935:
	s_add_u32 s14, s14, (.LBB1_11744-.Lpost_getpc2935)&4294967295
	s_addc_u32 s15, s15, (.LBB1_11744-.Lpost_getpc2935)>>32
	s_setpc_b64 s[14:15]
.LBB1_26081:
	s_movk_i32 s4, 0x80
	v_cmp_eq_u16_sdwa s[12:13], v9, s4 src0_sel:BYTE_0 src1_sel:DWORD
	s_mov_b64 s[4:5], -1
                                        ; implicit-def: $sgpr10
	s_and_saveexec_b64 s[8:9], s[12:13]
; %bb.26082:
	s_mov_b32 s10, 0x7f800001
	s_xor_b64 s[4:5], exec, -1
; %bb.26083:
	s_or_b64 exec, exec, s[8:9]
	s_and_b64 s[4:5], s[4:5], exec
	s_or_saveexec_b64 s[6:7], s[6:7]
	v_mov_b32_e32 v2, s10
	s_xor_b64 exec, exec, s[6:7]
	s_cbranch_execnz .LBB1_26084
; %bb.61921:
	s_getpc_b64 s[14:15]
.Lpost_getpc16624:
	s_add_u32 s14, s14, (.LBB1_11746-.Lpost_getpc16624)&4294967295
	s_addc_u32 s15, s15, (.LBB1_11746-.Lpost_getpc16624)>>32
	s_setpc_b64 s[14:15]
.LBB1_26084:
	v_mov_b32_e32 v2, 0
	v_cmp_ne_u16_sdwa s[8:9], v9, v2 src0_sel:BYTE_0 src1_sel:DWORD
	s_andn2_b64 s[4:5], s[4:5], exec
	s_and_b64 s[8:9], s[8:9], exec
	s_or_b64 s[4:5], s[4:5], s[8:9]
	s_or_b64 exec, exec, s[6:7]
	s_and_saveexec_b64 s[6:7], s[4:5]
	s_cbranch_execz .LBB1_34545
; %bb.61923:
	s_getpc_b64 s[14:15]
.Lpost_getpc16625:
	s_add_u32 s14, s14, (.LBB1_11747-.Lpost_getpc16625)&4294967295
	s_addc_u32 s15, s15, (.LBB1_11747-.Lpost_getpc16625)>>32
	s_setpc_b64 s[14:15]
.LBB1_34545:
	s_getpc_b64 s[14:15]
.Lpost_getpc2936:
	s_add_u32 s14, s14, (.LBB1_11748-.Lpost_getpc2936)&4294967295
	s_addc_u32 s15, s15, (.LBB1_11748-.Lpost_getpc2936)>>32
	s_setpc_b64 s[14:15]
.LBB1_26085:
	s_movk_i32 s4, 0x80
	v_cmp_eq_u16_sdwa s[12:13], v5, s4 src0_sel:BYTE_0 src1_sel:DWORD
	s_mov_b64 s[4:5], -1
                                        ; implicit-def: $sgpr10
	s_and_saveexec_b64 s[8:9], s[12:13]
; %bb.26086:
	s_mov_b32 s10, 0x7f800001
	s_xor_b64 s[4:5], exec, -1
; %bb.26087:
	s_or_b64 exec, exec, s[8:9]
	s_and_b64 s[4:5], s[4:5], exec
	s_or_saveexec_b64 s[6:7], s[6:7]
	v_mov_b32_e32 v3, s10
	s_xor_b64 exec, exec, s[6:7]
	s_cbranch_execnz .LBB1_26088
; %bb.61925:
	s_getpc_b64 s[14:15]
.Lpost_getpc16626:
	s_add_u32 s14, s14, (.LBB1_11750-.Lpost_getpc16626)&4294967295
	s_addc_u32 s15, s15, (.LBB1_11750-.Lpost_getpc16626)>>32
	s_setpc_b64 s[14:15]
.LBB1_26088:
	v_mov_b32_e32 v3, 0
	v_cmp_ne_u16_sdwa s[8:9], v5, v3 src0_sel:BYTE_0 src1_sel:DWORD
	s_andn2_b64 s[4:5], s[4:5], exec
	s_and_b64 s[8:9], s[8:9], exec
	s_or_b64 s[4:5], s[4:5], s[8:9]
	s_or_b64 exec, exec, s[6:7]
	s_and_saveexec_b64 s[6:7], s[4:5]
	s_cbranch_execz .LBB1_34547
; %bb.61927:
	s_getpc_b64 s[14:15]
.Lpost_getpc16627:
	s_add_u32 s14, s14, (.LBB1_11751-.Lpost_getpc16627)&4294967295
	s_addc_u32 s15, s15, (.LBB1_11751-.Lpost_getpc16627)>>32
	s_setpc_b64 s[14:15]
.LBB1_34547:
	s_getpc_b64 s[14:15]
.Lpost_getpc2937:
	s_add_u32 s14, s14, (.LBB1_11752-.Lpost_getpc2937)&4294967295
	s_addc_u32 s15, s15, (.LBB1_11752-.Lpost_getpc2937)>>32
	s_setpc_b64 s[14:15]
.LBB1_26089:
	s_movk_i32 s4, 0x80
	v_cmp_eq_u16_sdwa s[12:13], v3, s4 src0_sel:BYTE_0 src1_sel:DWORD
	s_mov_b64 s[4:5], -1
                                        ; implicit-def: $sgpr10
	s_and_saveexec_b64 s[8:9], s[12:13]
; %bb.26090:
	s_mov_b32 s10, 0x7f800001
	s_xor_b64 s[4:5], exec, -1
; %bb.26091:
	s_or_b64 exec, exec, s[8:9]
	s_and_b64 s[4:5], s[4:5], exec
	s_or_saveexec_b64 s[6:7], s[6:7]
	v_mov_b32_e32 v2, s10
	s_xor_b64 exec, exec, s[6:7]
	s_cbranch_execnz .LBB1_26092
; %bb.61929:
	s_getpc_b64 s[14:15]
.Lpost_getpc16628:
	s_add_u32 s14, s14, (.LBB1_11754-.Lpost_getpc16628)&4294967295
	s_addc_u32 s15, s15, (.LBB1_11754-.Lpost_getpc16628)>>32
	s_setpc_b64 s[14:15]
.LBB1_26092:
	v_mov_b32_e32 v2, 0
	v_cmp_ne_u16_sdwa s[8:9], v3, v2 src0_sel:BYTE_0 src1_sel:DWORD
	s_andn2_b64 s[4:5], s[4:5], exec
	s_and_b64 s[8:9], s[8:9], exec
	s_or_b64 s[4:5], s[4:5], s[8:9]
	s_or_b64 exec, exec, s[6:7]
	s_and_saveexec_b64 s[6:7], s[4:5]
	s_cbranch_execz .LBB1_34549
; %bb.61931:
	s_getpc_b64 s[14:15]
.Lpost_getpc16629:
	s_add_u32 s14, s14, (.LBB1_11755-.Lpost_getpc16629)&4294967295
	s_addc_u32 s15, s15, (.LBB1_11755-.Lpost_getpc16629)>>32
	s_setpc_b64 s[14:15]
.LBB1_34549:
	s_getpc_b64 s[14:15]
.Lpost_getpc2938:
	s_add_u32 s14, s14, (.LBB1_11756-.Lpost_getpc2938)&4294967295
	s_addc_u32 s15, s15, (.LBB1_11756-.Lpost_getpc2938)>>32
	s_setpc_b64 s[14:15]
.LBB1_26093:
	s_movk_i32 s4, 0x80
	v_cmp_eq_u16_sdwa s[12:13], v3, s4 src0_sel:BYTE_0 src1_sel:DWORD
	s_mov_b64 s[4:5], -1
                                        ; implicit-def: $sgpr10
	s_and_saveexec_b64 s[8:9], s[12:13]
; %bb.26094:
	s_mov_b32 s10, 0x7f800001
	s_xor_b64 s[4:5], exec, -1
; %bb.26095:
	s_or_b64 exec, exec, s[8:9]
	s_and_b64 s[4:5], s[4:5], exec
	s_or_saveexec_b64 s[6:7], s[6:7]
	v_mov_b32_e32 v4, s10
	s_xor_b64 exec, exec, s[6:7]
	s_cbranch_execnz .LBB1_26096
; %bb.61933:
	s_getpc_b64 s[14:15]
.Lpost_getpc16630:
	s_add_u32 s14, s14, (.LBB1_11758-.Lpost_getpc16630)&4294967295
	s_addc_u32 s15, s15, (.LBB1_11758-.Lpost_getpc16630)>>32
	s_setpc_b64 s[14:15]
.LBB1_26096:
	v_mov_b32_e32 v4, 0
	v_cmp_ne_u16_sdwa s[8:9], v3, v4 src0_sel:BYTE_0 src1_sel:DWORD
	s_andn2_b64 s[4:5], s[4:5], exec
	s_and_b64 s[8:9], s[8:9], exec
	s_or_b64 s[4:5], s[4:5], s[8:9]
	s_or_b64 exec, exec, s[6:7]
	s_and_saveexec_b64 s[6:7], s[4:5]
	s_cbranch_execz .LBB1_34551
; %bb.61935:
	s_getpc_b64 s[14:15]
.Lpost_getpc16631:
	s_add_u32 s14, s14, (.LBB1_11759-.Lpost_getpc16631)&4294967295
	s_addc_u32 s15, s15, (.LBB1_11759-.Lpost_getpc16631)>>32
	s_setpc_b64 s[14:15]
.LBB1_34551:
	s_getpc_b64 s[14:15]
.Lpost_getpc2939:
	s_add_u32 s14, s14, (.LBB1_11760-.Lpost_getpc2939)&4294967295
	s_addc_u32 s15, s15, (.LBB1_11760-.Lpost_getpc2939)>>32
	s_setpc_b64 s[14:15]
.LBB1_26097:
	s_movk_i32 s4, 0x80
	v_cmp_eq_u16_e32 vcc, s4, v3
	s_mov_b64 s[4:5], -1
                                        ; implicit-def: $sgpr10
	s_and_saveexec_b64 s[8:9], vcc
; %bb.26098:
	s_mov_b32 s10, 0x7f800001
	s_xor_b64 s[4:5], exec, -1
; %bb.26099:
	s_or_b64 exec, exec, s[8:9]
	s_and_b64 s[4:5], s[4:5], exec
                                        ; implicit-def: $vgpr3
	s_or_saveexec_b64 s[6:7], s[6:7]
	v_mov_b32_e32 v2, s10
	s_xor_b64 exec, exec, s[6:7]
	s_cbranch_execnz .LBB1_26100
; %bb.61937:
	s_getpc_b64 s[14:15]
.Lpost_getpc16632:
	s_add_u32 s14, s14, (.LBB1_11762-.Lpost_getpc16632)&4294967295
	s_addc_u32 s15, s15, (.LBB1_11762-.Lpost_getpc16632)>>32
	s_setpc_b64 s[14:15]
.LBB1_26100:
	v_cmp_ne_u16_e32 vcc, 0, v3
	s_andn2_b64 s[4:5], s[4:5], exec
	s_and_b64 s[8:9], vcc, exec
	v_mov_b32_e32 v2, 0
	s_or_b64 s[4:5], s[4:5], s[8:9]
	s_or_b64 exec, exec, s[6:7]
	s_and_saveexec_b64 s[6:7], s[4:5]
	s_cbranch_execz .LBB1_34553
; %bb.61939:
	s_getpc_b64 s[14:15]
.Lpost_getpc16633:
	s_add_u32 s14, s14, (.LBB1_11763-.Lpost_getpc16633)&4294967295
	s_addc_u32 s15, s15, (.LBB1_11763-.Lpost_getpc16633)>>32
	s_setpc_b64 s[14:15]
.LBB1_34553:
	s_getpc_b64 s[14:15]
.Lpost_getpc2940:
	s_add_u32 s14, s14, (.LBB1_11764-.Lpost_getpc2940)&4294967295
	s_addc_u32 s15, s15, (.LBB1_11764-.Lpost_getpc2940)>>32
	s_setpc_b64 s[14:15]
.LBB1_26101:
	s_movk_i32 s4, 0x80
	v_cmp_eq_u16_e32 vcc, s4, v3
	s_mov_b64 s[4:5], -1
                                        ; implicit-def: $sgpr10
	s_and_saveexec_b64 s[8:9], vcc
; %bb.26102:
	s_mov_b32 s10, 0x7f800001
	s_xor_b64 s[4:5], exec, -1
; %bb.26103:
	s_or_b64 exec, exec, s[8:9]
	s_and_b64 s[4:5], s[4:5], exec
                                        ; implicit-def: $vgpr3
	s_or_saveexec_b64 s[6:7], s[6:7]
	v_mov_b32_e32 v4, s10
	s_xor_b64 exec, exec, s[6:7]
	s_cbranch_execnz .LBB1_26104
; %bb.61941:
	s_getpc_b64 s[14:15]
.Lpost_getpc16634:
	s_add_u32 s14, s14, (.LBB1_11766-.Lpost_getpc16634)&4294967295
	s_addc_u32 s15, s15, (.LBB1_11766-.Lpost_getpc16634)>>32
	s_setpc_b64 s[14:15]
.LBB1_26104:
	v_cmp_ne_u16_e32 vcc, 0, v3
	s_andn2_b64 s[4:5], s[4:5], exec
	s_and_b64 s[8:9], vcc, exec
	v_mov_b32_e32 v4, 0
	s_or_b64 s[4:5], s[4:5], s[8:9]
	s_or_b64 exec, exec, s[6:7]
	s_and_saveexec_b64 s[6:7], s[4:5]
	s_cbranch_execz .LBB1_34555
; %bb.61943:
	s_getpc_b64 s[14:15]
.Lpost_getpc16635:
	s_add_u32 s14, s14, (.LBB1_11767-.Lpost_getpc16635)&4294967295
	s_addc_u32 s15, s15, (.LBB1_11767-.Lpost_getpc16635)>>32
	s_setpc_b64 s[14:15]
.LBB1_34555:
	s_getpc_b64 s[14:15]
.Lpost_getpc2941:
	s_add_u32 s14, s14, (.LBB1_11768-.Lpost_getpc2941)&4294967295
	s_addc_u32 s15, s15, (.LBB1_11768-.Lpost_getpc2941)>>32
	s_setpc_b64 s[14:15]
.LBB1_26105:
	s_movk_i32 s4, 0x80
	v_cmp_eq_u16_sdwa s[12:13], v9, s4 src0_sel:BYTE_3 src1_sel:DWORD
	s_mov_b64 s[4:5], -1
                                        ; implicit-def: $sgpr10
	s_and_saveexec_b64 s[8:9], s[12:13]
; %bb.26106:
	s_mov_b32 s10, 0x7f800001
	s_xor_b64 s[4:5], exec, -1
; %bb.26107:
	s_or_b64 exec, exec, s[8:9]
	s_and_b64 s[4:5], s[4:5], exec
	s_or_saveexec_b64 s[6:7], s[6:7]
	v_mov_b32_e32 v2, s10
	s_xor_b64 exec, exec, s[6:7]
	s_cbranch_execnz .LBB1_26108
; %bb.61945:
	s_getpc_b64 s[14:15]
.Lpost_getpc16636:
	s_add_u32 s14, s14, (.LBB1_11770-.Lpost_getpc16636)&4294967295
	s_addc_u32 s15, s15, (.LBB1_11770-.Lpost_getpc16636)>>32
	s_setpc_b64 s[14:15]
.LBB1_26108:
	v_mov_b32_e32 v2, 0
	v_cmp_ne_u16_sdwa s[8:9], v9, v2 src0_sel:BYTE_3 src1_sel:DWORD
	s_andn2_b64 s[4:5], s[4:5], exec
	s_and_b64 s[8:9], s[8:9], exec
	s_or_b64 s[4:5], s[4:5], s[8:9]
	s_or_b64 exec, exec, s[6:7]
	s_and_saveexec_b64 s[6:7], s[4:5]
	s_cbranch_execz .LBB1_34557
; %bb.61947:
	s_getpc_b64 s[14:15]
.Lpost_getpc16637:
	s_add_u32 s14, s14, (.LBB1_11771-.Lpost_getpc16637)&4294967295
	s_addc_u32 s15, s15, (.LBB1_11771-.Lpost_getpc16637)>>32
	s_setpc_b64 s[14:15]
.LBB1_34557:
	s_getpc_b64 s[14:15]
.Lpost_getpc2942:
	s_add_u32 s14, s14, (.LBB1_11772-.Lpost_getpc2942)&4294967295
	s_addc_u32 s15, s15, (.LBB1_11772-.Lpost_getpc2942)>>32
	s_setpc_b64 s[14:15]
.LBB1_26109:
	s_movk_i32 s4, 0x80
	v_cmp_eq_u16_sdwa s[12:13], v5, s4 src0_sel:BYTE_3 src1_sel:DWORD
	s_mov_b64 s[4:5], -1
                                        ; implicit-def: $sgpr10
	s_and_saveexec_b64 s[8:9], s[12:13]
; %bb.26110:
	s_mov_b32 s10, 0x7f800001
	s_xor_b64 s[4:5], exec, -1
; %bb.26111:
	s_or_b64 exec, exec, s[8:9]
	s_and_b64 s[4:5], s[4:5], exec
	s_or_saveexec_b64 s[6:7], s[6:7]
	v_mov_b32_e32 v3, s10
	s_xor_b64 exec, exec, s[6:7]
	s_cbranch_execnz .LBB1_26112
; %bb.61949:
	s_getpc_b64 s[14:15]
.Lpost_getpc16638:
	s_add_u32 s14, s14, (.LBB1_11774-.Lpost_getpc16638)&4294967295
	s_addc_u32 s15, s15, (.LBB1_11774-.Lpost_getpc16638)>>32
	s_setpc_b64 s[14:15]
.LBB1_26112:
	v_mov_b32_e32 v3, 0
	v_cmp_ne_u16_sdwa s[8:9], v5, v3 src0_sel:BYTE_3 src1_sel:DWORD
	s_andn2_b64 s[4:5], s[4:5], exec
	s_and_b64 s[8:9], s[8:9], exec
	s_or_b64 s[4:5], s[4:5], s[8:9]
	s_or_b64 exec, exec, s[6:7]
	s_and_saveexec_b64 s[6:7], s[4:5]
	s_cbranch_execz .LBB1_34559
; %bb.61951:
	s_getpc_b64 s[14:15]
.Lpost_getpc16639:
	s_add_u32 s14, s14, (.LBB1_11775-.Lpost_getpc16639)&4294967295
	s_addc_u32 s15, s15, (.LBB1_11775-.Lpost_getpc16639)>>32
	s_setpc_b64 s[14:15]
.LBB1_34559:
	s_getpc_b64 s[14:15]
.Lpost_getpc2943:
	s_add_u32 s14, s14, (.LBB1_11776-.Lpost_getpc2943)&4294967295
	s_addc_u32 s15, s15, (.LBB1_11776-.Lpost_getpc2943)>>32
	s_setpc_b64 s[14:15]
.LBB1_26113:
	s_movk_i32 s4, 0x80
	v_cmp_eq_u16_sdwa s[12:13], v6, s4 src0_sel:BYTE_0 src1_sel:DWORD
	s_mov_b64 s[4:5], -1
                                        ; implicit-def: $sgpr10
	s_and_saveexec_b64 s[8:9], s[12:13]
; %bb.26114:
	s_mov_b32 s10, 0x7f800001
	s_xor_b64 s[4:5], exec, -1
; %bb.26115:
	s_or_b64 exec, exec, s[8:9]
	s_and_b64 s[4:5], s[4:5], exec
	s_or_saveexec_b64 s[6:7], s[6:7]
	v_mov_b32_e32 v12, s10
	s_xor_b64 exec, exec, s[6:7]
	s_cbranch_execnz .LBB1_26116
; %bb.61953:
	s_getpc_b64 s[14:15]
.Lpost_getpc16640:
	s_add_u32 s14, s14, (.LBB1_11778-.Lpost_getpc16640)&4294967295
	s_addc_u32 s15, s15, (.LBB1_11778-.Lpost_getpc16640)>>32
	s_setpc_b64 s[14:15]
.LBB1_26116:
	v_mov_b32_e32 v12, 0
	v_cmp_ne_u16_sdwa s[8:9], v6, v12 src0_sel:BYTE_0 src1_sel:DWORD
	s_andn2_b64 s[4:5], s[4:5], exec
	s_and_b64 s[8:9], s[8:9], exec
	s_or_b64 s[4:5], s[4:5], s[8:9]
	s_or_b64 exec, exec, s[6:7]
	s_and_saveexec_b64 s[6:7], s[4:5]
	s_cbranch_execz .LBB1_34561
; %bb.61955:
	s_getpc_b64 s[14:15]
.Lpost_getpc16641:
	s_add_u32 s14, s14, (.LBB1_11779-.Lpost_getpc16641)&4294967295
	s_addc_u32 s15, s15, (.LBB1_11779-.Lpost_getpc16641)>>32
	s_setpc_b64 s[14:15]
.LBB1_34561:
	s_getpc_b64 s[14:15]
.Lpost_getpc2944:
	s_add_u32 s14, s14, (.LBB1_11780-.Lpost_getpc2944)&4294967295
	s_addc_u32 s15, s15, (.LBB1_11780-.Lpost_getpc2944)>>32
	s_setpc_b64 s[14:15]
.LBB1_26117:
	s_movk_i32 s4, 0x80
	v_cmp_eq_u16_sdwa s[12:13], v2, s4 src0_sel:BYTE_0 src1_sel:DWORD
	s_mov_b64 s[4:5], -1
                                        ; implicit-def: $sgpr10
	s_and_saveexec_b64 s[8:9], s[12:13]
; %bb.26118:
	s_mov_b32 s10, 0x7f800001
	s_xor_b64 s[4:5], exec, -1
; %bb.26119:
	s_or_b64 exec, exec, s[8:9]
	s_and_b64 s[4:5], s[4:5], exec
	s_or_saveexec_b64 s[6:7], s[6:7]
	v_mov_b32_e32 v13, s10
	s_xor_b64 exec, exec, s[6:7]
	s_cbranch_execnz .LBB1_26120
; %bb.61957:
	s_getpc_b64 s[14:15]
.Lpost_getpc16642:
	s_add_u32 s14, s14, (.LBB1_11782-.Lpost_getpc16642)&4294967295
	s_addc_u32 s15, s15, (.LBB1_11782-.Lpost_getpc16642)>>32
	s_setpc_b64 s[14:15]
.LBB1_26120:
	v_mov_b32_e32 v13, 0
	v_cmp_ne_u16_sdwa s[8:9], v2, v13 src0_sel:BYTE_0 src1_sel:DWORD
	s_andn2_b64 s[4:5], s[4:5], exec
	s_and_b64 s[8:9], s[8:9], exec
	s_or_b64 s[4:5], s[4:5], s[8:9]
	s_or_b64 exec, exec, s[6:7]
	s_and_saveexec_b64 s[6:7], s[4:5]
	s_cbranch_execz .LBB1_34563
; %bb.61959:
	s_getpc_b64 s[14:15]
.Lpost_getpc16643:
	s_add_u32 s14, s14, (.LBB1_11783-.Lpost_getpc16643)&4294967295
	s_addc_u32 s15, s15, (.LBB1_11783-.Lpost_getpc16643)>>32
	s_setpc_b64 s[14:15]
.LBB1_34563:
	s_getpc_b64 s[14:15]
.Lpost_getpc2945:
	s_add_u32 s14, s14, (.LBB1_11784-.Lpost_getpc2945)&4294967295
	s_addc_u32 s15, s15, (.LBB1_11784-.Lpost_getpc2945)>>32
	s_setpc_b64 s[14:15]
.LBB1_26121:
	s_movk_i32 s4, 0x80
	v_cmp_eq_u16_sdwa s[12:13], v13, s4 src0_sel:BYTE_0 src1_sel:DWORD
	s_mov_b64 s[4:5], -1
                                        ; implicit-def: $sgpr10
	s_and_saveexec_b64 s[8:9], s[12:13]
; %bb.26122:
	s_mov_b32 s10, 0x7f800001
	s_xor_b64 s[4:5], exec, -1
; %bb.26123:
	s_or_b64 exec, exec, s[8:9]
	s_and_b64 s[4:5], s[4:5], exec
	s_or_saveexec_b64 s[6:7], s[6:7]
	v_mov_b32_e32 v12, s10
	s_xor_b64 exec, exec, s[6:7]
	s_cbranch_execnz .LBB1_26124
; %bb.61961:
	s_getpc_b64 s[14:15]
.Lpost_getpc16644:
	s_add_u32 s14, s14, (.LBB1_11786-.Lpost_getpc16644)&4294967295
	s_addc_u32 s15, s15, (.LBB1_11786-.Lpost_getpc16644)>>32
	s_setpc_b64 s[14:15]
.LBB1_26124:
	v_mov_b32_e32 v12, 0
	v_cmp_ne_u16_sdwa s[8:9], v13, v12 src0_sel:BYTE_0 src1_sel:DWORD
	s_andn2_b64 s[4:5], s[4:5], exec
	s_and_b64 s[8:9], s[8:9], exec
	s_or_b64 s[4:5], s[4:5], s[8:9]
	s_or_b64 exec, exec, s[6:7]
	s_and_saveexec_b64 s[6:7], s[4:5]
	s_cbranch_execz .LBB1_34565
; %bb.61963:
	s_getpc_b64 s[14:15]
.Lpost_getpc16645:
	s_add_u32 s14, s14, (.LBB1_11787-.Lpost_getpc16645)&4294967295
	s_addc_u32 s15, s15, (.LBB1_11787-.Lpost_getpc16645)>>32
	s_setpc_b64 s[14:15]
.LBB1_34565:
	s_getpc_b64 s[14:15]
.Lpost_getpc2946:
	s_add_u32 s14, s14, (.LBB1_11788-.Lpost_getpc2946)&4294967295
	s_addc_u32 s15, s15, (.LBB1_11788-.Lpost_getpc2946)>>32
	s_setpc_b64 s[14:15]
.LBB1_26125:
	s_movk_i32 s4, 0x80
	v_cmp_eq_u16_sdwa s[12:13], v13, s4 src0_sel:BYTE_0 src1_sel:DWORD
	s_mov_b64 s[4:5], -1
                                        ; implicit-def: $sgpr10
	s_and_saveexec_b64 s[8:9], s[12:13]
; %bb.26126:
	s_mov_b32 s10, 0x7f800001
	s_xor_b64 s[4:5], exec, -1
; %bb.26127:
	s_or_b64 exec, exec, s[8:9]
	s_and_b64 s[4:5], s[4:5], exec
	s_or_saveexec_b64 s[6:7], s[6:7]
	v_mov_b32_e32 v14, s10
	s_xor_b64 exec, exec, s[6:7]
	s_cbranch_execnz .LBB1_26128
; %bb.61965:
	s_getpc_b64 s[14:15]
.Lpost_getpc16646:
	s_add_u32 s14, s14, (.LBB1_11790-.Lpost_getpc16646)&4294967295
	s_addc_u32 s15, s15, (.LBB1_11790-.Lpost_getpc16646)>>32
	s_setpc_b64 s[14:15]
.LBB1_26128:
	v_mov_b32_e32 v14, 0
	v_cmp_ne_u16_sdwa s[8:9], v13, v14 src0_sel:BYTE_0 src1_sel:DWORD
	s_andn2_b64 s[4:5], s[4:5], exec
	s_and_b64 s[8:9], s[8:9], exec
	s_or_b64 s[4:5], s[4:5], s[8:9]
	s_or_b64 exec, exec, s[6:7]
	s_and_saveexec_b64 s[6:7], s[4:5]
	s_cbranch_execz .LBB1_34567
; %bb.61967:
	s_getpc_b64 s[14:15]
.Lpost_getpc16647:
	s_add_u32 s14, s14, (.LBB1_11791-.Lpost_getpc16647)&4294967295
	s_addc_u32 s15, s15, (.LBB1_11791-.Lpost_getpc16647)>>32
	s_setpc_b64 s[14:15]
.LBB1_34567:
	s_getpc_b64 s[14:15]
.Lpost_getpc2947:
	s_add_u32 s14, s14, (.LBB1_11792-.Lpost_getpc2947)&4294967295
	s_addc_u32 s15, s15, (.LBB1_11792-.Lpost_getpc2947)>>32
	s_setpc_b64 s[14:15]
.LBB1_26129:
	s_movk_i32 s4, 0x80
	v_cmp_eq_u16_e32 vcc, s4, v13
	s_mov_b64 s[4:5], -1
                                        ; implicit-def: $sgpr10
	s_and_saveexec_b64 s[8:9], vcc
; %bb.26130:
	s_mov_b32 s10, 0x7f800001
	s_xor_b64 s[4:5], exec, -1
; %bb.26131:
	s_or_b64 exec, exec, s[8:9]
	s_and_b64 s[4:5], s[4:5], exec
                                        ; implicit-def: $vgpr13
	s_or_saveexec_b64 s[6:7], s[6:7]
	v_mov_b32_e32 v12, s10
	s_xor_b64 exec, exec, s[6:7]
	s_cbranch_execnz .LBB1_26132
; %bb.61969:
	s_getpc_b64 s[14:15]
.Lpost_getpc16648:
	s_add_u32 s14, s14, (.LBB1_11794-.Lpost_getpc16648)&4294967295
	s_addc_u32 s15, s15, (.LBB1_11794-.Lpost_getpc16648)>>32
	s_setpc_b64 s[14:15]
.LBB1_26132:
	v_cmp_ne_u16_e32 vcc, 0, v13
	s_andn2_b64 s[4:5], s[4:5], exec
	s_and_b64 s[8:9], vcc, exec
	v_mov_b32_e32 v12, 0
	s_or_b64 s[4:5], s[4:5], s[8:9]
	s_or_b64 exec, exec, s[6:7]
	s_and_saveexec_b64 s[6:7], s[4:5]
	s_cbranch_execz .LBB1_34569
; %bb.61971:
	s_getpc_b64 s[14:15]
.Lpost_getpc16649:
	s_add_u32 s14, s14, (.LBB1_11795-.Lpost_getpc16649)&4294967295
	s_addc_u32 s15, s15, (.LBB1_11795-.Lpost_getpc16649)>>32
	s_setpc_b64 s[14:15]
.LBB1_34569:
	s_getpc_b64 s[14:15]
.Lpost_getpc2948:
	s_add_u32 s14, s14, (.LBB1_11796-.Lpost_getpc2948)&4294967295
	s_addc_u32 s15, s15, (.LBB1_11796-.Lpost_getpc2948)>>32
	s_setpc_b64 s[14:15]
.LBB1_26133:
	s_movk_i32 s4, 0x80
	v_cmp_eq_u16_e32 vcc, s4, v13
	s_mov_b64 s[4:5], -1
                                        ; implicit-def: $sgpr10
	s_and_saveexec_b64 s[8:9], vcc
; %bb.26134:
	s_mov_b32 s10, 0x7f800001
	s_xor_b64 s[4:5], exec, -1
; %bb.26135:
	s_or_b64 exec, exec, s[8:9]
	s_and_b64 s[4:5], s[4:5], exec
                                        ; implicit-def: $vgpr13
	s_or_saveexec_b64 s[6:7], s[6:7]
	v_mov_b32_e32 v14, s10
	s_xor_b64 exec, exec, s[6:7]
	s_cbranch_execnz .LBB1_26136
; %bb.61973:
	s_getpc_b64 s[14:15]
.Lpost_getpc16650:
	s_add_u32 s14, s14, (.LBB1_11798-.Lpost_getpc16650)&4294967295
	s_addc_u32 s15, s15, (.LBB1_11798-.Lpost_getpc16650)>>32
	s_setpc_b64 s[14:15]
.LBB1_26136:
	v_cmp_ne_u16_e32 vcc, 0, v13
	s_andn2_b64 s[4:5], s[4:5], exec
	s_and_b64 s[8:9], vcc, exec
	v_mov_b32_e32 v14, 0
	s_or_b64 s[4:5], s[4:5], s[8:9]
	s_or_b64 exec, exec, s[6:7]
	s_and_saveexec_b64 s[6:7], s[4:5]
	s_cbranch_execz .LBB1_34571
; %bb.61975:
	s_getpc_b64 s[14:15]
.Lpost_getpc16651:
	s_add_u32 s14, s14, (.LBB1_11799-.Lpost_getpc16651)&4294967295
	s_addc_u32 s15, s15, (.LBB1_11799-.Lpost_getpc16651)>>32
	s_setpc_b64 s[14:15]
.LBB1_34571:
	s_getpc_b64 s[14:15]
.Lpost_getpc2949:
	s_add_u32 s14, s14, (.LBB1_11800-.Lpost_getpc2949)&4294967295
	s_addc_u32 s15, s15, (.LBB1_11800-.Lpost_getpc2949)>>32
	s_setpc_b64 s[14:15]
.LBB1_26137:
	s_movk_i32 s4, 0x80
	v_cmp_eq_u16_sdwa s[12:13], v6, s4 src0_sel:BYTE_3 src1_sel:DWORD
	s_mov_b64 s[4:5], -1
                                        ; implicit-def: $sgpr10
	s_and_saveexec_b64 s[8:9], s[12:13]
; %bb.26138:
	s_mov_b32 s10, 0x7f800001
	s_xor_b64 s[4:5], exec, -1
; %bb.26139:
	s_or_b64 exec, exec, s[8:9]
	s_and_b64 s[4:5], s[4:5], exec
	s_or_saveexec_b64 s[6:7], s[6:7]
	v_mov_b32_e32 v12, s10
	s_xor_b64 exec, exec, s[6:7]
	s_cbranch_execnz .LBB1_26140
; %bb.61977:
	s_getpc_b64 s[14:15]
.Lpost_getpc16652:
	s_add_u32 s14, s14, (.LBB1_11802-.Lpost_getpc16652)&4294967295
	s_addc_u32 s15, s15, (.LBB1_11802-.Lpost_getpc16652)>>32
	s_setpc_b64 s[14:15]
.LBB1_26140:
	v_mov_b32_e32 v12, 0
	v_cmp_ne_u16_sdwa s[8:9], v6, v12 src0_sel:BYTE_3 src1_sel:DWORD
	s_andn2_b64 s[4:5], s[4:5], exec
	s_and_b64 s[8:9], s[8:9], exec
	s_or_b64 s[4:5], s[4:5], s[8:9]
	s_or_b64 exec, exec, s[6:7]
	s_and_saveexec_b64 s[6:7], s[4:5]
	s_cbranch_execz .LBB1_34573
; %bb.61979:
	s_getpc_b64 s[14:15]
.Lpost_getpc16653:
	s_add_u32 s14, s14, (.LBB1_11803-.Lpost_getpc16653)&4294967295
	s_addc_u32 s15, s15, (.LBB1_11803-.Lpost_getpc16653)>>32
	s_setpc_b64 s[14:15]
.LBB1_34573:
	s_getpc_b64 s[14:15]
.Lpost_getpc2950:
	s_add_u32 s14, s14, (.LBB1_11804-.Lpost_getpc2950)&4294967295
	s_addc_u32 s15, s15, (.LBB1_11804-.Lpost_getpc2950)>>32
	s_setpc_b64 s[14:15]
.LBB1_26141:
	s_movk_i32 s4, 0x80
	v_cmp_eq_u16_sdwa s[12:13], v2, s4 src0_sel:BYTE_3 src1_sel:DWORD
	s_mov_b64 s[4:5], -1
                                        ; implicit-def: $sgpr10
	s_and_saveexec_b64 s[8:9], s[12:13]
; %bb.26142:
	s_mov_b32 s10, 0x7f800001
	s_xor_b64 s[4:5], exec, -1
; %bb.26143:
	s_or_b64 exec, exec, s[8:9]
	s_and_b64 s[4:5], s[4:5], exec
	s_or_saveexec_b64 s[6:7], s[6:7]
	v_mov_b32_e32 v6, s10
	s_xor_b64 exec, exec, s[6:7]
	s_cbranch_execnz .LBB1_26144
; %bb.61981:
	s_getpc_b64 s[14:15]
.Lpost_getpc16654:
	s_add_u32 s14, s14, (.LBB1_11806-.Lpost_getpc16654)&4294967295
	s_addc_u32 s15, s15, (.LBB1_11806-.Lpost_getpc16654)>>32
	s_setpc_b64 s[14:15]
.LBB1_26144:
	v_mov_b32_e32 v6, 0
	v_cmp_ne_u16_sdwa s[8:9], v2, v6 src0_sel:BYTE_3 src1_sel:DWORD
	s_andn2_b64 s[4:5], s[4:5], exec
	s_and_b64 s[8:9], s[8:9], exec
	s_or_b64 s[4:5], s[4:5], s[8:9]
	s_or_b64 exec, exec, s[6:7]
	s_and_saveexec_b64 s[6:7], s[4:5]
	s_cbranch_execz .LBB1_34575
; %bb.61983:
	s_getpc_b64 s[14:15]
.Lpost_getpc16655:
	s_add_u32 s14, s14, (.LBB1_11807-.Lpost_getpc16655)&4294967295
	s_addc_u32 s15, s15, (.LBB1_11807-.Lpost_getpc16655)>>32
	s_setpc_b64 s[14:15]
.LBB1_34575:
	s_getpc_b64 s[14:15]
.Lpost_getpc2951:
	s_add_u32 s14, s14, (.LBB1_11808-.Lpost_getpc2951)&4294967295
	s_addc_u32 s15, s15, (.LBB1_11808-.Lpost_getpc2951)>>32
	s_setpc_b64 s[14:15]
.LBB1_26145:
	s_movk_i32 s4, 0x80
	v_cmp_eq_u16_sdwa s[12:13], v7, s4 src0_sel:BYTE_0 src1_sel:DWORD
	s_mov_b64 s[4:5], -1
                                        ; implicit-def: $sgpr10
	s_and_saveexec_b64 s[8:9], s[12:13]
; %bb.26146:
	s_mov_b32 s10, 0x7f800001
	s_xor_b64 s[4:5], exec, -1
; %bb.26147:
	s_or_b64 exec, exec, s[8:9]
	s_and_b64 s[4:5], s[4:5], exec
	s_or_saveexec_b64 s[6:7], s[6:7]
	v_mov_b32_e32 v2, s10
	s_xor_b64 exec, exec, s[6:7]
	s_cbranch_execnz .LBB1_26148
; %bb.61985:
	s_getpc_b64 s[14:15]
.Lpost_getpc16656:
	s_add_u32 s14, s14, (.LBB1_11810-.Lpost_getpc16656)&4294967295
	s_addc_u32 s15, s15, (.LBB1_11810-.Lpost_getpc16656)>>32
	s_setpc_b64 s[14:15]
.LBB1_26148:
	v_mov_b32_e32 v2, 0
	v_cmp_ne_u16_sdwa s[8:9], v7, v2 src0_sel:BYTE_0 src1_sel:DWORD
	s_andn2_b64 s[4:5], s[4:5], exec
	s_and_b64 s[8:9], s[8:9], exec
	s_or_b64 s[4:5], s[4:5], s[8:9]
	s_or_b64 exec, exec, s[6:7]
	s_and_saveexec_b64 s[6:7], s[4:5]
	s_cbranch_execz .LBB1_34577
; %bb.61987:
	s_getpc_b64 s[14:15]
.Lpost_getpc16657:
	s_add_u32 s14, s14, (.LBB1_11811-.Lpost_getpc16657)&4294967295
	s_addc_u32 s15, s15, (.LBB1_11811-.Lpost_getpc16657)>>32
	s_setpc_b64 s[14:15]
.LBB1_34577:
	s_getpc_b64 s[14:15]
.Lpost_getpc2952:
	s_add_u32 s14, s14, (.LBB1_11812-.Lpost_getpc2952)&4294967295
	s_addc_u32 s15, s15, (.LBB1_11812-.Lpost_getpc2952)>>32
	s_setpc_b64 s[14:15]
.LBB1_26149:
	s_movk_i32 s4, 0x80
	v_cmp_eq_u16_sdwa s[12:13], v3, s4 src0_sel:BYTE_0 src1_sel:DWORD
	s_mov_b64 s[4:5], -1
                                        ; implicit-def: $sgpr10
	s_and_saveexec_b64 s[8:9], s[12:13]
; %bb.26150:
	s_mov_b32 s10, 0x7f800001
	s_xor_b64 s[4:5], exec, -1
; %bb.26151:
	s_or_b64 exec, exec, s[8:9]
	s_and_b64 s[4:5], s[4:5], exec
	s_or_saveexec_b64 s[6:7], s[6:7]
	v_mov_b32_e32 v6, s10
	s_xor_b64 exec, exec, s[6:7]
	s_cbranch_execnz .LBB1_26152
; %bb.61989:
	s_getpc_b64 s[14:15]
.Lpost_getpc16658:
	s_add_u32 s14, s14, (.LBB1_11814-.Lpost_getpc16658)&4294967295
	s_addc_u32 s15, s15, (.LBB1_11814-.Lpost_getpc16658)>>32
	s_setpc_b64 s[14:15]
.LBB1_26152:
	v_mov_b32_e32 v6, 0
	v_cmp_ne_u16_sdwa s[8:9], v3, v6 src0_sel:BYTE_0 src1_sel:DWORD
	s_andn2_b64 s[4:5], s[4:5], exec
	s_and_b64 s[8:9], s[8:9], exec
	s_or_b64 s[4:5], s[4:5], s[8:9]
	s_or_b64 exec, exec, s[6:7]
	s_and_saveexec_b64 s[6:7], s[4:5]
	s_cbranch_execz .LBB1_34579
; %bb.61991:
	s_getpc_b64 s[14:15]
.Lpost_getpc16659:
	s_add_u32 s14, s14, (.LBB1_11815-.Lpost_getpc16659)&4294967295
	s_addc_u32 s15, s15, (.LBB1_11815-.Lpost_getpc16659)>>32
	s_setpc_b64 s[14:15]
.LBB1_34579:
	s_getpc_b64 s[14:15]
.Lpost_getpc2953:
	s_add_u32 s14, s14, (.LBB1_11816-.Lpost_getpc2953)&4294967295
	s_addc_u32 s15, s15, (.LBB1_11816-.Lpost_getpc2953)>>32
	s_setpc_b64 s[14:15]
.LBB1_26153:
	s_movk_i32 s4, 0x80
	v_cmp_eq_u16_sdwa s[12:13], v6, s4 src0_sel:BYTE_0 src1_sel:DWORD
	s_mov_b64 s[4:5], -1
                                        ; implicit-def: $sgpr10
	s_and_saveexec_b64 s[8:9], s[12:13]
; %bb.26154:
	s_mov_b32 s10, 0x7f800001
	s_xor_b64 s[4:5], exec, -1
; %bb.26155:
	s_or_b64 exec, exec, s[8:9]
	s_and_b64 s[4:5], s[4:5], exec
	s_or_saveexec_b64 s[6:7], s[6:7]
	v_mov_b32_e32 v2, s10
	s_xor_b64 exec, exec, s[6:7]
	s_cbranch_execnz .LBB1_26156
; %bb.61993:
	s_getpc_b64 s[14:15]
.Lpost_getpc16660:
	s_add_u32 s14, s14, (.LBB1_11818-.Lpost_getpc16660)&4294967295
	s_addc_u32 s15, s15, (.LBB1_11818-.Lpost_getpc16660)>>32
	s_setpc_b64 s[14:15]
.LBB1_26156:
	v_mov_b32_e32 v2, 0
	v_cmp_ne_u16_sdwa s[8:9], v6, v2 src0_sel:BYTE_0 src1_sel:DWORD
	s_andn2_b64 s[4:5], s[4:5], exec
	s_and_b64 s[8:9], s[8:9], exec
	s_or_b64 s[4:5], s[4:5], s[8:9]
	s_or_b64 exec, exec, s[6:7]
	s_and_saveexec_b64 s[6:7], s[4:5]
	s_cbranch_execz .LBB1_34581
; %bb.61995:
	s_getpc_b64 s[14:15]
.Lpost_getpc16661:
	s_add_u32 s14, s14, (.LBB1_11819-.Lpost_getpc16661)&4294967295
	s_addc_u32 s15, s15, (.LBB1_11819-.Lpost_getpc16661)>>32
	s_setpc_b64 s[14:15]
.LBB1_34581:
	s_getpc_b64 s[14:15]
.Lpost_getpc2954:
	s_add_u32 s14, s14, (.LBB1_11820-.Lpost_getpc2954)&4294967295
	s_addc_u32 s15, s15, (.LBB1_11820-.Lpost_getpc2954)>>32
	s_setpc_b64 s[14:15]
.LBB1_26157:
	s_movk_i32 s4, 0x80
	v_cmp_eq_u16_sdwa s[12:13], v6, s4 src0_sel:BYTE_0 src1_sel:DWORD
	s_mov_b64 s[4:5], -1
                                        ; implicit-def: $sgpr10
	s_and_saveexec_b64 s[8:9], s[12:13]
; %bb.26158:
	s_mov_b32 s10, 0x7f800001
	s_xor_b64 s[4:5], exec, -1
; %bb.26159:
	s_or_b64 exec, exec, s[8:9]
	s_and_b64 s[4:5], s[4:5], exec
	s_or_saveexec_b64 s[6:7], s[6:7]
	v_mov_b32_e32 v12, s10
	s_xor_b64 exec, exec, s[6:7]
	s_cbranch_execnz .LBB1_26160
; %bb.61997:
	s_getpc_b64 s[14:15]
.Lpost_getpc16662:
	s_add_u32 s14, s14, (.LBB1_11822-.Lpost_getpc16662)&4294967295
	s_addc_u32 s15, s15, (.LBB1_11822-.Lpost_getpc16662)>>32
	s_setpc_b64 s[14:15]
.LBB1_26160:
	v_mov_b32_e32 v12, 0
	v_cmp_ne_u16_sdwa s[8:9], v6, v12 src0_sel:BYTE_0 src1_sel:DWORD
	s_andn2_b64 s[4:5], s[4:5], exec
	s_and_b64 s[8:9], s[8:9], exec
	s_or_b64 s[4:5], s[4:5], s[8:9]
	s_or_b64 exec, exec, s[6:7]
	s_and_saveexec_b64 s[6:7], s[4:5]
	s_cbranch_execz .LBB1_34583
; %bb.61999:
	s_getpc_b64 s[14:15]
.Lpost_getpc16663:
	s_add_u32 s14, s14, (.LBB1_11823-.Lpost_getpc16663)&4294967295
	s_addc_u32 s15, s15, (.LBB1_11823-.Lpost_getpc16663)>>32
	s_setpc_b64 s[14:15]
.LBB1_34583:
	s_getpc_b64 s[14:15]
.Lpost_getpc2955:
	s_add_u32 s14, s14, (.LBB1_11824-.Lpost_getpc2955)&4294967295
	s_addc_u32 s15, s15, (.LBB1_11824-.Lpost_getpc2955)>>32
	s_setpc_b64 s[14:15]
.LBB1_26161:
	s_movk_i32 s4, 0x80
	v_cmp_eq_u16_e32 vcc, s4, v6
	s_mov_b64 s[4:5], -1
                                        ; implicit-def: $sgpr10
	s_and_saveexec_b64 s[8:9], vcc
; %bb.26162:
	s_mov_b32 s10, 0x7f800001
	s_xor_b64 s[4:5], exec, -1
; %bb.26163:
	s_or_b64 exec, exec, s[8:9]
	s_and_b64 s[4:5], s[4:5], exec
                                        ; implicit-def: $vgpr6
	s_or_saveexec_b64 s[6:7], s[6:7]
	v_mov_b32_e32 v2, s10
	s_xor_b64 exec, exec, s[6:7]
	s_cbranch_execnz .LBB1_26164
; %bb.62001:
	s_getpc_b64 s[14:15]
.Lpost_getpc16664:
	s_add_u32 s14, s14, (.LBB1_11826-.Lpost_getpc16664)&4294967295
	s_addc_u32 s15, s15, (.LBB1_11826-.Lpost_getpc16664)>>32
	s_setpc_b64 s[14:15]
.LBB1_26164:
	v_cmp_ne_u16_e32 vcc, 0, v6
	s_andn2_b64 s[4:5], s[4:5], exec
	s_and_b64 s[8:9], vcc, exec
	v_mov_b32_e32 v2, 0
	s_or_b64 s[4:5], s[4:5], s[8:9]
	s_or_b64 exec, exec, s[6:7]
	s_and_saveexec_b64 s[6:7], s[4:5]
	s_cbranch_execz .LBB1_34585
; %bb.62003:
	s_getpc_b64 s[14:15]
.Lpost_getpc16665:
	s_add_u32 s14, s14, (.LBB1_11827-.Lpost_getpc16665)&4294967295
	s_addc_u32 s15, s15, (.LBB1_11827-.Lpost_getpc16665)>>32
	s_setpc_b64 s[14:15]
.LBB1_34585:
	s_getpc_b64 s[14:15]
.Lpost_getpc2956:
	s_add_u32 s14, s14, (.LBB1_11828-.Lpost_getpc2956)&4294967295
	s_addc_u32 s15, s15, (.LBB1_11828-.Lpost_getpc2956)>>32
	s_setpc_b64 s[14:15]
.LBB1_26165:
	s_movk_i32 s4, 0x80
	v_cmp_eq_u16_e32 vcc, s4, v6
	s_mov_b64 s[4:5], -1
                                        ; implicit-def: $sgpr10
	s_and_saveexec_b64 s[8:9], vcc
; %bb.26166:
	s_mov_b32 s10, 0x7f800001
	s_xor_b64 s[4:5], exec, -1
; %bb.26167:
	s_or_b64 exec, exec, s[8:9]
	s_and_b64 s[4:5], s[4:5], exec
                                        ; implicit-def: $vgpr6
	s_or_saveexec_b64 s[6:7], s[6:7]
	v_mov_b32_e32 v12, s10
	s_xor_b64 exec, exec, s[6:7]
	s_cbranch_execnz .LBB1_26168
; %bb.62005:
	s_getpc_b64 s[14:15]
.Lpost_getpc16666:
	s_add_u32 s14, s14, (.LBB1_11830-.Lpost_getpc16666)&4294967295
	s_addc_u32 s15, s15, (.LBB1_11830-.Lpost_getpc16666)>>32
	s_setpc_b64 s[14:15]
.LBB1_26168:
	v_cmp_ne_u16_e32 vcc, 0, v6
	s_andn2_b64 s[4:5], s[4:5], exec
	s_and_b64 s[8:9], vcc, exec
	v_mov_b32_e32 v12, 0
	s_or_b64 s[4:5], s[4:5], s[8:9]
	s_or_b64 exec, exec, s[6:7]
	s_and_saveexec_b64 s[6:7], s[4:5]
	s_cbranch_execz .LBB1_34587
; %bb.62007:
	s_getpc_b64 s[14:15]
.Lpost_getpc16667:
	s_add_u32 s14, s14, (.LBB1_11831-.Lpost_getpc16667)&4294967295
	s_addc_u32 s15, s15, (.LBB1_11831-.Lpost_getpc16667)>>32
	s_setpc_b64 s[14:15]
.LBB1_34587:
	s_getpc_b64 s[14:15]
.Lpost_getpc2957:
	s_add_u32 s14, s14, (.LBB1_11832-.Lpost_getpc2957)&4294967295
	s_addc_u32 s15, s15, (.LBB1_11832-.Lpost_getpc2957)>>32
	s_setpc_b64 s[14:15]
.LBB1_26169:
	s_movk_i32 s4, 0x80
	v_cmp_eq_u16_sdwa s[12:13], v7, s4 src0_sel:BYTE_3 src1_sel:DWORD
	s_mov_b64 s[4:5], -1
                                        ; implicit-def: $sgpr10
	s_and_saveexec_b64 s[8:9], s[12:13]
; %bb.26170:
	s_mov_b32 s10, 0x7f800001
	s_xor_b64 s[4:5], exec, -1
; %bb.26171:
	s_or_b64 exec, exec, s[8:9]
	s_and_b64 s[4:5], s[4:5], exec
	s_or_saveexec_b64 s[6:7], s[6:7]
	v_mov_b32_e32 v2, s10
	s_xor_b64 exec, exec, s[6:7]
	s_cbranch_execnz .LBB1_26172
; %bb.62009:
	s_getpc_b64 s[14:15]
.Lpost_getpc16668:
	s_add_u32 s14, s14, (.LBB1_11834-.Lpost_getpc16668)&4294967295
	s_addc_u32 s15, s15, (.LBB1_11834-.Lpost_getpc16668)>>32
	s_setpc_b64 s[14:15]
.LBB1_26172:
	v_mov_b32_e32 v2, 0
	v_cmp_ne_u16_sdwa s[8:9], v7, v2 src0_sel:BYTE_3 src1_sel:DWORD
	s_andn2_b64 s[4:5], s[4:5], exec
	s_and_b64 s[8:9], s[8:9], exec
	s_or_b64 s[4:5], s[4:5], s[8:9]
	s_or_b64 exec, exec, s[6:7]
	s_and_saveexec_b64 s[6:7], s[4:5]
	s_cbranch_execz .LBB1_34589
; %bb.62011:
	s_getpc_b64 s[14:15]
.Lpost_getpc16669:
	s_add_u32 s14, s14, (.LBB1_11835-.Lpost_getpc16669)&4294967295
	s_addc_u32 s15, s15, (.LBB1_11835-.Lpost_getpc16669)>>32
	s_setpc_b64 s[14:15]
.LBB1_34589:
	s_getpc_b64 s[14:15]
.Lpost_getpc2958:
	s_add_u32 s14, s14, (.LBB1_11836-.Lpost_getpc2958)&4294967295
	s_addc_u32 s15, s15, (.LBB1_11836-.Lpost_getpc2958)>>32
	s_setpc_b64 s[14:15]
.LBB1_26173:
	s_movk_i32 s4, 0x80
	v_cmp_eq_u16_sdwa s[12:13], v3, s4 src0_sel:BYTE_3 src1_sel:DWORD
	s_mov_b64 s[4:5], -1
                                        ; implicit-def: $sgpr10
	s_and_saveexec_b64 s[8:9], s[12:13]
; %bb.26174:
	s_mov_b32 s10, 0x7f800001
	s_xor_b64 s[4:5], exec, -1
; %bb.26175:
	s_or_b64 exec, exec, s[8:9]
	s_and_b64 s[4:5], s[4:5], exec
	s_or_saveexec_b64 s[6:7], s[6:7]
	v_mov_b32_e32 v6, s10
	s_xor_b64 exec, exec, s[6:7]
	s_cbranch_execnz .LBB1_26176
; %bb.62013:
	s_getpc_b64 s[14:15]
.Lpost_getpc16670:
	s_add_u32 s14, s14, (.LBB1_11838-.Lpost_getpc16670)&4294967295
	s_addc_u32 s15, s15, (.LBB1_11838-.Lpost_getpc16670)>>32
	s_setpc_b64 s[14:15]
.LBB1_26176:
	v_mov_b32_e32 v6, 0
	v_cmp_ne_u16_sdwa s[8:9], v3, v6 src0_sel:BYTE_3 src1_sel:DWORD
	s_andn2_b64 s[4:5], s[4:5], exec
	s_and_b64 s[8:9], s[8:9], exec
	s_or_b64 s[4:5], s[4:5], s[8:9]
	s_or_b64 exec, exec, s[6:7]
	s_and_saveexec_b64 s[6:7], s[4:5]
	s_cbranch_execz .LBB1_34591
; %bb.62015:
	s_getpc_b64 s[14:15]
.Lpost_getpc16671:
	s_add_u32 s14, s14, (.LBB1_11839-.Lpost_getpc16671)&4294967295
	s_addc_u32 s15, s15, (.LBB1_11839-.Lpost_getpc16671)>>32
	s_setpc_b64 s[14:15]
.LBB1_34591:
	s_getpc_b64 s[14:15]
.Lpost_getpc2959:
	s_add_u32 s14, s14, (.LBB1_11840-.Lpost_getpc2959)&4294967295
	s_addc_u32 s15, s15, (.LBB1_11840-.Lpost_getpc2959)>>32
	s_setpc_b64 s[14:15]
.LBB1_26177:
	s_movk_i32 s4, 0x80
	v_cmp_eq_u16_sdwa s[12:13], v8, s4 src0_sel:BYTE_0 src1_sel:DWORD
	s_mov_b64 s[4:5], -1
                                        ; implicit-def: $sgpr10
	s_and_saveexec_b64 s[8:9], s[12:13]
; %bb.26178:
	s_mov_b32 s10, 0x7f800001
	s_xor_b64 s[4:5], exec, -1
; %bb.26179:
	s_or_b64 exec, exec, s[8:9]
	s_and_b64 s[4:5], s[4:5], exec
	s_or_saveexec_b64 s[6:7], s[6:7]
	v_mov_b32_e32 v2, s10
	s_xor_b64 exec, exec, s[6:7]
	s_cbranch_execnz .LBB1_26180
; %bb.62017:
	s_getpc_b64 s[14:15]
.Lpost_getpc16672:
	s_add_u32 s14, s14, (.LBB1_11842-.Lpost_getpc16672)&4294967295
	s_addc_u32 s15, s15, (.LBB1_11842-.Lpost_getpc16672)>>32
	s_setpc_b64 s[14:15]
.LBB1_26180:
	v_mov_b32_e32 v2, 0
	v_cmp_ne_u16_sdwa s[8:9], v8, v2 src0_sel:BYTE_0 src1_sel:DWORD
	s_andn2_b64 s[4:5], s[4:5], exec
	s_and_b64 s[8:9], s[8:9], exec
	s_or_b64 s[4:5], s[4:5], s[8:9]
	s_or_b64 exec, exec, s[6:7]
	s_and_saveexec_b64 s[6:7], s[4:5]
	s_cbranch_execz .LBB1_34593
; %bb.62019:
	s_getpc_b64 s[14:15]
.Lpost_getpc16673:
	s_add_u32 s14, s14, (.LBB1_11843-.Lpost_getpc16673)&4294967295
	s_addc_u32 s15, s15, (.LBB1_11843-.Lpost_getpc16673)>>32
	s_setpc_b64 s[14:15]
.LBB1_34593:
	s_getpc_b64 s[14:15]
.Lpost_getpc2960:
	s_add_u32 s14, s14, (.LBB1_11844-.Lpost_getpc2960)&4294967295
	s_addc_u32 s15, s15, (.LBB1_11844-.Lpost_getpc2960)>>32
	s_setpc_b64 s[14:15]
.LBB1_26181:
	s_movk_i32 s4, 0x80
	v_cmp_eq_u16_sdwa s[12:13], v4, s4 src0_sel:BYTE_0 src1_sel:DWORD
	s_mov_b64 s[4:5], -1
                                        ; implicit-def: $sgpr10
	s_and_saveexec_b64 s[8:9], s[12:13]
; %bb.26182:
	s_mov_b32 s10, 0x7f800001
	s_xor_b64 s[4:5], exec, -1
; %bb.26183:
	s_or_b64 exec, exec, s[8:9]
	s_and_b64 s[4:5], s[4:5], exec
	s_or_saveexec_b64 s[6:7], s[6:7]
	v_mov_b32_e32 v3, s10
	s_xor_b64 exec, exec, s[6:7]
	s_cbranch_execnz .LBB1_26184
; %bb.62021:
	s_getpc_b64 s[14:15]
.Lpost_getpc16674:
	s_add_u32 s14, s14, (.LBB1_11846-.Lpost_getpc16674)&4294967295
	s_addc_u32 s15, s15, (.LBB1_11846-.Lpost_getpc16674)>>32
	s_setpc_b64 s[14:15]
.LBB1_26184:
	v_mov_b32_e32 v3, 0
	v_cmp_ne_u16_sdwa s[8:9], v4, v3 src0_sel:BYTE_0 src1_sel:DWORD
	s_andn2_b64 s[4:5], s[4:5], exec
	s_and_b64 s[8:9], s[8:9], exec
	s_or_b64 s[4:5], s[4:5], s[8:9]
	s_or_b64 exec, exec, s[6:7]
	s_and_saveexec_b64 s[6:7], s[4:5]
	s_cbranch_execz .LBB1_34595
; %bb.62023:
	s_getpc_b64 s[14:15]
.Lpost_getpc16675:
	s_add_u32 s14, s14, (.LBB1_11847-.Lpost_getpc16675)&4294967295
	s_addc_u32 s15, s15, (.LBB1_11847-.Lpost_getpc16675)>>32
	s_setpc_b64 s[14:15]
.LBB1_34595:
	s_getpc_b64 s[14:15]
.Lpost_getpc2961:
	s_add_u32 s14, s14, (.LBB1_11848-.Lpost_getpc2961)&4294967295
	s_addc_u32 s15, s15, (.LBB1_11848-.Lpost_getpc2961)>>32
	s_setpc_b64 s[14:15]
.LBB1_26185:
	s_movk_i32 s4, 0x80
	v_cmp_eq_u16_sdwa s[12:13], v3, s4 src0_sel:BYTE_0 src1_sel:DWORD
	s_mov_b64 s[4:5], -1
                                        ; implicit-def: $sgpr10
	s_and_saveexec_b64 s[8:9], s[12:13]
; %bb.26186:
	s_mov_b32 s10, 0x7f800001
	s_xor_b64 s[4:5], exec, -1
; %bb.26187:
	s_or_b64 exec, exec, s[8:9]
	s_and_b64 s[4:5], s[4:5], exec
	s_or_saveexec_b64 s[6:7], s[6:7]
	v_mov_b32_e32 v2, s10
	s_xor_b64 exec, exec, s[6:7]
	s_cbranch_execnz .LBB1_26188
; %bb.62025:
	s_getpc_b64 s[14:15]
.Lpost_getpc16676:
	s_add_u32 s14, s14, (.LBB1_11850-.Lpost_getpc16676)&4294967295
	s_addc_u32 s15, s15, (.LBB1_11850-.Lpost_getpc16676)>>32
	s_setpc_b64 s[14:15]
.LBB1_26188:
	v_mov_b32_e32 v2, 0
	v_cmp_ne_u16_sdwa s[8:9], v3, v2 src0_sel:BYTE_0 src1_sel:DWORD
	s_andn2_b64 s[4:5], s[4:5], exec
	s_and_b64 s[8:9], s[8:9], exec
	s_or_b64 s[4:5], s[4:5], s[8:9]
	s_or_b64 exec, exec, s[6:7]
	s_and_saveexec_b64 s[6:7], s[4:5]
	s_cbranch_execz .LBB1_34597
; %bb.62027:
	s_getpc_b64 s[14:15]
.Lpost_getpc16677:
	s_add_u32 s14, s14, (.LBB1_11851-.Lpost_getpc16677)&4294967295
	s_addc_u32 s15, s15, (.LBB1_11851-.Lpost_getpc16677)>>32
	s_setpc_b64 s[14:15]
.LBB1_34597:
	s_getpc_b64 s[14:15]
.Lpost_getpc2962:
	s_add_u32 s14, s14, (.LBB1_11852-.Lpost_getpc2962)&4294967295
	s_addc_u32 s15, s15, (.LBB1_11852-.Lpost_getpc2962)>>32
	s_setpc_b64 s[14:15]
.LBB1_26189:
	s_movk_i32 s4, 0x80
	v_cmp_eq_u16_sdwa s[12:13], v3, s4 src0_sel:BYTE_0 src1_sel:DWORD
	s_mov_b64 s[4:5], -1
                                        ; implicit-def: $sgpr10
	s_and_saveexec_b64 s[8:9], s[12:13]
; %bb.26190:
	s_mov_b32 s10, 0x7f800001
	s_xor_b64 s[4:5], exec, -1
; %bb.26191:
	s_or_b64 exec, exec, s[8:9]
	s_and_b64 s[4:5], s[4:5], exec
	s_or_saveexec_b64 s[6:7], s[6:7]
	v_mov_b32_e32 v6, s10
	s_xor_b64 exec, exec, s[6:7]
	s_cbranch_execnz .LBB1_26192
; %bb.62029:
	s_getpc_b64 s[14:15]
.Lpost_getpc16678:
	s_add_u32 s14, s14, (.LBB1_11854-.Lpost_getpc16678)&4294967295
	s_addc_u32 s15, s15, (.LBB1_11854-.Lpost_getpc16678)>>32
	s_setpc_b64 s[14:15]
.LBB1_26192:
	v_mov_b32_e32 v6, 0
	v_cmp_ne_u16_sdwa s[8:9], v3, v6 src0_sel:BYTE_0 src1_sel:DWORD
	s_andn2_b64 s[4:5], s[4:5], exec
	s_and_b64 s[8:9], s[8:9], exec
	s_or_b64 s[4:5], s[4:5], s[8:9]
	s_or_b64 exec, exec, s[6:7]
	s_and_saveexec_b64 s[6:7], s[4:5]
	s_cbranch_execz .LBB1_34599
; %bb.62031:
	s_getpc_b64 s[14:15]
.Lpost_getpc16679:
	s_add_u32 s14, s14, (.LBB1_11855-.Lpost_getpc16679)&4294967295
	s_addc_u32 s15, s15, (.LBB1_11855-.Lpost_getpc16679)>>32
	s_setpc_b64 s[14:15]
.LBB1_34599:
	s_getpc_b64 s[14:15]
.Lpost_getpc2963:
	s_add_u32 s14, s14, (.LBB1_11856-.Lpost_getpc2963)&4294967295
	s_addc_u32 s15, s15, (.LBB1_11856-.Lpost_getpc2963)>>32
	s_setpc_b64 s[14:15]
.LBB1_26193:
	s_movk_i32 s4, 0x80
	v_cmp_eq_u16_e32 vcc, s4, v3
	s_mov_b64 s[4:5], -1
                                        ; implicit-def: $sgpr10
	s_and_saveexec_b64 s[8:9], vcc
; %bb.26194:
	s_mov_b32 s10, 0x7f800001
	s_xor_b64 s[4:5], exec, -1
; %bb.26195:
	s_or_b64 exec, exec, s[8:9]
	s_and_b64 s[4:5], s[4:5], exec
                                        ; implicit-def: $vgpr3
	s_or_saveexec_b64 s[6:7], s[6:7]
	v_mov_b32_e32 v2, s10
	s_xor_b64 exec, exec, s[6:7]
	s_cbranch_execnz .LBB1_26196
; %bb.62033:
	s_getpc_b64 s[14:15]
.Lpost_getpc16680:
	s_add_u32 s14, s14, (.LBB1_11858-.Lpost_getpc16680)&4294967295
	s_addc_u32 s15, s15, (.LBB1_11858-.Lpost_getpc16680)>>32
	s_setpc_b64 s[14:15]
.LBB1_26196:
	v_cmp_ne_u16_e32 vcc, 0, v3
	s_andn2_b64 s[4:5], s[4:5], exec
	s_and_b64 s[8:9], vcc, exec
	v_mov_b32_e32 v2, 0
	s_or_b64 s[4:5], s[4:5], s[8:9]
	s_or_b64 exec, exec, s[6:7]
	s_and_saveexec_b64 s[6:7], s[4:5]
	s_cbranch_execz .LBB1_34601
; %bb.62035:
	s_getpc_b64 s[14:15]
.Lpost_getpc16681:
	s_add_u32 s14, s14, (.LBB1_11859-.Lpost_getpc16681)&4294967295
	s_addc_u32 s15, s15, (.LBB1_11859-.Lpost_getpc16681)>>32
	s_setpc_b64 s[14:15]
.LBB1_34601:
	s_getpc_b64 s[14:15]
.Lpost_getpc2964:
	s_add_u32 s14, s14, (.LBB1_11860-.Lpost_getpc2964)&4294967295
	s_addc_u32 s15, s15, (.LBB1_11860-.Lpost_getpc2964)>>32
	s_setpc_b64 s[14:15]
.LBB1_26197:
	s_movk_i32 s4, 0x80
	v_cmp_eq_u16_e32 vcc, s4, v3
	s_mov_b64 s[4:5], -1
                                        ; implicit-def: $sgpr10
	s_and_saveexec_b64 s[8:9], vcc
; %bb.26198:
	s_mov_b32 s10, 0x7f800001
	s_xor_b64 s[4:5], exec, -1
; %bb.26199:
	s_or_b64 exec, exec, s[8:9]
	s_and_b64 s[4:5], s[4:5], exec
                                        ; implicit-def: $vgpr3
	s_or_saveexec_b64 s[6:7], s[6:7]
	v_mov_b32_e32 v6, s10
	s_xor_b64 exec, exec, s[6:7]
	s_cbranch_execnz .LBB1_26200
; %bb.62037:
	s_getpc_b64 s[14:15]
.Lpost_getpc16682:
	s_add_u32 s14, s14, (.LBB1_11862-.Lpost_getpc16682)&4294967295
	s_addc_u32 s15, s15, (.LBB1_11862-.Lpost_getpc16682)>>32
	s_setpc_b64 s[14:15]
.LBB1_26200:
	v_cmp_ne_u16_e32 vcc, 0, v3
	s_andn2_b64 s[4:5], s[4:5], exec
	s_and_b64 s[8:9], vcc, exec
	v_mov_b32_e32 v6, 0
	s_or_b64 s[4:5], s[4:5], s[8:9]
	s_or_b64 exec, exec, s[6:7]
	s_and_saveexec_b64 s[6:7], s[4:5]
	s_cbranch_execz .LBB1_34603
; %bb.62039:
	s_getpc_b64 s[14:15]
.Lpost_getpc16683:
	s_add_u32 s14, s14, (.LBB1_11863-.Lpost_getpc16683)&4294967295
	s_addc_u32 s15, s15, (.LBB1_11863-.Lpost_getpc16683)>>32
	s_setpc_b64 s[14:15]
.LBB1_34603:
	s_getpc_b64 s[14:15]
.Lpost_getpc2965:
	s_add_u32 s14, s14, (.LBB1_11864-.Lpost_getpc2965)&4294967295
	s_addc_u32 s15, s15, (.LBB1_11864-.Lpost_getpc2965)>>32
	s_setpc_b64 s[14:15]
.LBB1_26201:
	s_movk_i32 s4, 0x80
	v_cmp_eq_u16_sdwa s[12:13], v8, s4 src0_sel:BYTE_3 src1_sel:DWORD
	s_mov_b64 s[4:5], -1
                                        ; implicit-def: $sgpr10
	s_and_saveexec_b64 s[8:9], s[12:13]
; %bb.26202:
	s_mov_b32 s10, 0x7f800001
	s_xor_b64 s[4:5], exec, -1
; %bb.26203:
	s_or_b64 exec, exec, s[8:9]
	s_and_b64 s[4:5], s[4:5], exec
	s_or_saveexec_b64 s[6:7], s[6:7]
	v_mov_b32_e32 v2, s10
	s_xor_b64 exec, exec, s[6:7]
	s_cbranch_execnz .LBB1_26204
; %bb.62041:
	s_getpc_b64 s[14:15]
.Lpost_getpc16684:
	s_add_u32 s14, s14, (.LBB1_11866-.Lpost_getpc16684)&4294967295
	s_addc_u32 s15, s15, (.LBB1_11866-.Lpost_getpc16684)>>32
	s_setpc_b64 s[14:15]
.LBB1_26204:
	v_mov_b32_e32 v2, 0
	v_cmp_ne_u16_sdwa s[8:9], v8, v2 src0_sel:BYTE_3 src1_sel:DWORD
	s_andn2_b64 s[4:5], s[4:5], exec
	s_and_b64 s[8:9], s[8:9], exec
	s_or_b64 s[4:5], s[4:5], s[8:9]
	s_or_b64 exec, exec, s[6:7]
	s_and_saveexec_b64 s[6:7], s[4:5]
	s_cbranch_execz .LBB1_34605
; %bb.62043:
	s_getpc_b64 s[14:15]
.Lpost_getpc16685:
	s_add_u32 s14, s14, (.LBB1_11867-.Lpost_getpc16685)&4294967295
	s_addc_u32 s15, s15, (.LBB1_11867-.Lpost_getpc16685)>>32
	s_setpc_b64 s[14:15]
.LBB1_34605:
	s_getpc_b64 s[14:15]
.Lpost_getpc2966:
	s_add_u32 s14, s14, (.LBB1_11868-.Lpost_getpc2966)&4294967295
	s_addc_u32 s15, s15, (.LBB1_11868-.Lpost_getpc2966)>>32
	s_setpc_b64 s[14:15]
.LBB1_26205:
	s_movk_i32 s4, 0x80
	v_cmp_eq_u16_sdwa s[12:13], v4, s4 src0_sel:BYTE_3 src1_sel:DWORD
	s_mov_b64 s[4:5], -1
                                        ; implicit-def: $sgpr10
	s_and_saveexec_b64 s[8:9], s[12:13]
; %bb.26206:
	s_mov_b32 s10, 0x7f800001
	s_xor_b64 s[4:5], exec, -1
; %bb.26207:
	s_or_b64 exec, exec, s[8:9]
	s_and_b64 s[4:5], s[4:5], exec
	s_or_saveexec_b64 s[6:7], s[6:7]
	v_mov_b32_e32 v3, s10
	s_xor_b64 exec, exec, s[6:7]
	s_cbranch_execnz .LBB1_26208
; %bb.62045:
	s_getpc_b64 s[14:15]
.Lpost_getpc16686:
	s_add_u32 s14, s14, (.LBB1_11870-.Lpost_getpc16686)&4294967295
	s_addc_u32 s15, s15, (.LBB1_11870-.Lpost_getpc16686)>>32
	s_setpc_b64 s[14:15]
.LBB1_26208:
	v_mov_b32_e32 v3, 0
	v_cmp_ne_u16_sdwa s[8:9], v4, v3 src0_sel:BYTE_3 src1_sel:DWORD
	s_andn2_b64 s[4:5], s[4:5], exec
	s_and_b64 s[8:9], s[8:9], exec
	s_or_b64 s[4:5], s[4:5], s[8:9]
	s_or_b64 exec, exec, s[6:7]
	s_and_saveexec_b64 s[6:7], s[4:5]
	s_cbranch_execz .LBB1_34607
; %bb.62047:
	s_getpc_b64 s[14:15]
.Lpost_getpc16687:
	s_add_u32 s14, s14, (.LBB1_11871-.Lpost_getpc16687)&4294967295
	s_addc_u32 s15, s15, (.LBB1_11871-.Lpost_getpc16687)>>32
	s_setpc_b64 s[14:15]
.LBB1_34607:
	s_getpc_b64 s[14:15]
.Lpost_getpc2967:
	s_add_u32 s14, s14, (.LBB1_11872-.Lpost_getpc2967)&4294967295
	s_addc_u32 s15, s15, (.LBB1_11872-.Lpost_getpc2967)>>32
	s_setpc_b64 s[14:15]
.LBB1_26209:
	s_movk_i32 s4, 0x80
	v_cmp_eq_u16_sdwa s[12:13], v9, s4 src0_sel:BYTE_0 src1_sel:DWORD
	s_mov_b64 s[4:5], -1
                                        ; implicit-def: $sgpr10
	s_and_saveexec_b64 s[8:9], s[12:13]
; %bb.26210:
	s_mov_b32 s10, 0x7f800001
	s_xor_b64 s[4:5], exec, -1
; %bb.26211:
	s_or_b64 exec, exec, s[8:9]
	s_and_b64 s[4:5], s[4:5], exec
	s_or_saveexec_b64 s[6:7], s[6:7]
	v_mov_b32_e32 v2, s10
	s_xor_b64 exec, exec, s[6:7]
	s_cbranch_execnz .LBB1_26212
; %bb.62049:
	s_getpc_b64 s[14:15]
.Lpost_getpc16688:
	s_add_u32 s14, s14, (.LBB1_11874-.Lpost_getpc16688)&4294967295
	s_addc_u32 s15, s15, (.LBB1_11874-.Lpost_getpc16688)>>32
	s_setpc_b64 s[14:15]
.LBB1_26212:
	v_mov_b32_e32 v2, 0
	v_cmp_ne_u16_sdwa s[8:9], v9, v2 src0_sel:BYTE_0 src1_sel:DWORD
	s_andn2_b64 s[4:5], s[4:5], exec
	s_and_b64 s[8:9], s[8:9], exec
	s_or_b64 s[4:5], s[4:5], s[8:9]
	s_or_b64 exec, exec, s[6:7]
	s_and_saveexec_b64 s[6:7], s[4:5]
	s_cbranch_execz .LBB1_34609
; %bb.62051:
	s_getpc_b64 s[14:15]
.Lpost_getpc16689:
	s_add_u32 s14, s14, (.LBB1_11875-.Lpost_getpc16689)&4294967295
	s_addc_u32 s15, s15, (.LBB1_11875-.Lpost_getpc16689)>>32
	s_setpc_b64 s[14:15]
.LBB1_34609:
	s_getpc_b64 s[14:15]
.Lpost_getpc2968:
	s_add_u32 s14, s14, (.LBB1_11876-.Lpost_getpc2968)&4294967295
	s_addc_u32 s15, s15, (.LBB1_11876-.Lpost_getpc2968)>>32
	s_setpc_b64 s[14:15]
.LBB1_26213:
	s_movk_i32 s4, 0x80
	v_cmp_eq_u16_sdwa s[12:13], v5, s4 src0_sel:BYTE_0 src1_sel:DWORD
	s_mov_b64 s[4:5], -1
                                        ; implicit-def: $sgpr10
	s_and_saveexec_b64 s[8:9], s[12:13]
; %bb.26214:
	s_mov_b32 s10, 0x7f800001
	s_xor_b64 s[4:5], exec, -1
; %bb.26215:
	s_or_b64 exec, exec, s[8:9]
	s_and_b64 s[4:5], s[4:5], exec
	s_or_saveexec_b64 s[6:7], s[6:7]
	v_mov_b32_e32 v3, s10
	s_xor_b64 exec, exec, s[6:7]
	s_cbranch_execnz .LBB1_26216
; %bb.62053:
	s_getpc_b64 s[14:15]
.Lpost_getpc16690:
	s_add_u32 s14, s14, (.LBB1_11878-.Lpost_getpc16690)&4294967295
	s_addc_u32 s15, s15, (.LBB1_11878-.Lpost_getpc16690)>>32
	s_setpc_b64 s[14:15]
.LBB1_26216:
	v_mov_b32_e32 v3, 0
	v_cmp_ne_u16_sdwa s[8:9], v5, v3 src0_sel:BYTE_0 src1_sel:DWORD
	s_andn2_b64 s[4:5], s[4:5], exec
	s_and_b64 s[8:9], s[8:9], exec
	s_or_b64 s[4:5], s[4:5], s[8:9]
	s_or_b64 exec, exec, s[6:7]
	s_and_saveexec_b64 s[6:7], s[4:5]
	s_cbranch_execz .LBB1_34611
; %bb.62055:
	s_getpc_b64 s[14:15]
.Lpost_getpc16691:
	s_add_u32 s14, s14, (.LBB1_11879-.Lpost_getpc16691)&4294967295
	s_addc_u32 s15, s15, (.LBB1_11879-.Lpost_getpc16691)>>32
	s_setpc_b64 s[14:15]
.LBB1_34611:
	s_getpc_b64 s[14:15]
.Lpost_getpc2969:
	s_add_u32 s14, s14, (.LBB1_11880-.Lpost_getpc2969)&4294967295
	s_addc_u32 s15, s15, (.LBB1_11880-.Lpost_getpc2969)>>32
	s_setpc_b64 s[14:15]
.LBB1_26217:
	s_movk_i32 s4, 0x80
	v_cmp_eq_u16_sdwa s[12:13], v3, s4 src0_sel:BYTE_0 src1_sel:DWORD
	s_mov_b64 s[4:5], -1
                                        ; implicit-def: $sgpr10
	s_and_saveexec_b64 s[8:9], s[12:13]
; %bb.26218:
	s_mov_b32 s10, 0x7f800001
	s_xor_b64 s[4:5], exec, -1
; %bb.26219:
	s_or_b64 exec, exec, s[8:9]
	s_and_b64 s[4:5], s[4:5], exec
	s_or_saveexec_b64 s[6:7], s[6:7]
	v_mov_b32_e32 v2, s10
	s_xor_b64 exec, exec, s[6:7]
	s_cbranch_execnz .LBB1_26220
; %bb.62057:
	s_getpc_b64 s[14:15]
.Lpost_getpc16692:
	s_add_u32 s14, s14, (.LBB1_11882-.Lpost_getpc16692)&4294967295
	s_addc_u32 s15, s15, (.LBB1_11882-.Lpost_getpc16692)>>32
	s_setpc_b64 s[14:15]
.LBB1_26220:
	v_mov_b32_e32 v2, 0
	v_cmp_ne_u16_sdwa s[8:9], v3, v2 src0_sel:BYTE_0 src1_sel:DWORD
	s_andn2_b64 s[4:5], s[4:5], exec
	s_and_b64 s[8:9], s[8:9], exec
	s_or_b64 s[4:5], s[4:5], s[8:9]
	s_or_b64 exec, exec, s[6:7]
	s_and_saveexec_b64 s[6:7], s[4:5]
	s_cbranch_execz .LBB1_34613
; %bb.62059:
	s_getpc_b64 s[14:15]
.Lpost_getpc16693:
	s_add_u32 s14, s14, (.LBB1_11883-.Lpost_getpc16693)&4294967295
	s_addc_u32 s15, s15, (.LBB1_11883-.Lpost_getpc16693)>>32
	s_setpc_b64 s[14:15]
.LBB1_34613:
	s_getpc_b64 s[14:15]
.Lpost_getpc2970:
	s_add_u32 s14, s14, (.LBB1_11884-.Lpost_getpc2970)&4294967295
	s_addc_u32 s15, s15, (.LBB1_11884-.Lpost_getpc2970)>>32
	s_setpc_b64 s[14:15]
.LBB1_26221:
	s_movk_i32 s4, 0x80
	v_cmp_eq_u16_sdwa s[12:13], v3, s4 src0_sel:BYTE_0 src1_sel:DWORD
	s_mov_b64 s[4:5], -1
                                        ; implicit-def: $sgpr10
	s_and_saveexec_b64 s[8:9], s[12:13]
; %bb.26222:
	s_mov_b32 s10, 0x7f800001
	s_xor_b64 s[4:5], exec, -1
; %bb.26223:
	s_or_b64 exec, exec, s[8:9]
	s_and_b64 s[4:5], s[4:5], exec
	s_or_saveexec_b64 s[6:7], s[6:7]
	v_mov_b32_e32 v4, s10
	s_xor_b64 exec, exec, s[6:7]
	s_cbranch_execnz .LBB1_26224
; %bb.62061:
	s_getpc_b64 s[14:15]
.Lpost_getpc16694:
	s_add_u32 s14, s14, (.LBB1_11886-.Lpost_getpc16694)&4294967295
	s_addc_u32 s15, s15, (.LBB1_11886-.Lpost_getpc16694)>>32
	s_setpc_b64 s[14:15]
.LBB1_26224:
	v_mov_b32_e32 v4, 0
	v_cmp_ne_u16_sdwa s[8:9], v3, v4 src0_sel:BYTE_0 src1_sel:DWORD
	s_andn2_b64 s[4:5], s[4:5], exec
	s_and_b64 s[8:9], s[8:9], exec
	s_or_b64 s[4:5], s[4:5], s[8:9]
	s_or_b64 exec, exec, s[6:7]
	s_and_saveexec_b64 s[6:7], s[4:5]
	s_cbranch_execz .LBB1_34615
; %bb.62063:
	s_getpc_b64 s[14:15]
.Lpost_getpc16695:
	s_add_u32 s14, s14, (.LBB1_11887-.Lpost_getpc16695)&4294967295
	s_addc_u32 s15, s15, (.LBB1_11887-.Lpost_getpc16695)>>32
	s_setpc_b64 s[14:15]
.LBB1_34615:
	s_getpc_b64 s[14:15]
.Lpost_getpc2971:
	s_add_u32 s14, s14, (.LBB1_11888-.Lpost_getpc2971)&4294967295
	s_addc_u32 s15, s15, (.LBB1_11888-.Lpost_getpc2971)>>32
	s_setpc_b64 s[14:15]
.LBB1_26225:
	s_movk_i32 s4, 0x80
	v_cmp_eq_u16_e32 vcc, s4, v3
	s_mov_b64 s[4:5], -1
                                        ; implicit-def: $sgpr10
	s_and_saveexec_b64 s[8:9], vcc
; %bb.26226:
	s_mov_b32 s10, 0x7f800001
	s_xor_b64 s[4:5], exec, -1
; %bb.26227:
	s_or_b64 exec, exec, s[8:9]
	s_and_b64 s[4:5], s[4:5], exec
                                        ; implicit-def: $vgpr3
	s_or_saveexec_b64 s[6:7], s[6:7]
	v_mov_b32_e32 v2, s10
	s_xor_b64 exec, exec, s[6:7]
	s_cbranch_execnz .LBB1_26228
; %bb.62065:
	s_getpc_b64 s[14:15]
.Lpost_getpc16696:
	s_add_u32 s14, s14, (.LBB1_11890-.Lpost_getpc16696)&4294967295
	s_addc_u32 s15, s15, (.LBB1_11890-.Lpost_getpc16696)>>32
	s_setpc_b64 s[14:15]
.LBB1_26228:
	v_cmp_ne_u16_e32 vcc, 0, v3
	s_andn2_b64 s[4:5], s[4:5], exec
	s_and_b64 s[8:9], vcc, exec
	v_mov_b32_e32 v2, 0
	s_or_b64 s[4:5], s[4:5], s[8:9]
	s_or_b64 exec, exec, s[6:7]
	s_and_saveexec_b64 s[6:7], s[4:5]
	s_cbranch_execz .LBB1_34617
; %bb.62067:
	s_getpc_b64 s[14:15]
.Lpost_getpc16697:
	s_add_u32 s14, s14, (.LBB1_11891-.Lpost_getpc16697)&4294967295
	s_addc_u32 s15, s15, (.LBB1_11891-.Lpost_getpc16697)>>32
	s_setpc_b64 s[14:15]
.LBB1_34617:
	s_getpc_b64 s[14:15]
.Lpost_getpc2972:
	s_add_u32 s14, s14, (.LBB1_11892-.Lpost_getpc2972)&4294967295
	s_addc_u32 s15, s15, (.LBB1_11892-.Lpost_getpc2972)>>32
	s_setpc_b64 s[14:15]
.LBB1_26229:
	s_movk_i32 s4, 0x80
	v_cmp_eq_u16_e32 vcc, s4, v3
	s_mov_b64 s[4:5], -1
                                        ; implicit-def: $sgpr10
	s_and_saveexec_b64 s[8:9], vcc
; %bb.26230:
	s_mov_b32 s10, 0x7f800001
	s_xor_b64 s[4:5], exec, -1
; %bb.26231:
	s_or_b64 exec, exec, s[8:9]
	s_and_b64 s[4:5], s[4:5], exec
                                        ; implicit-def: $vgpr3
	s_or_saveexec_b64 s[6:7], s[6:7]
	v_mov_b32_e32 v4, s10
	s_xor_b64 exec, exec, s[6:7]
	s_cbranch_execnz .LBB1_26232
; %bb.62069:
	s_getpc_b64 s[14:15]
.Lpost_getpc16698:
	s_add_u32 s14, s14, (.LBB1_11894-.Lpost_getpc16698)&4294967295
	s_addc_u32 s15, s15, (.LBB1_11894-.Lpost_getpc16698)>>32
	s_setpc_b64 s[14:15]
.LBB1_26232:
	v_cmp_ne_u16_e32 vcc, 0, v3
	s_andn2_b64 s[4:5], s[4:5], exec
	s_and_b64 s[8:9], vcc, exec
	v_mov_b32_e32 v4, 0
	s_or_b64 s[4:5], s[4:5], s[8:9]
	s_or_b64 exec, exec, s[6:7]
	s_and_saveexec_b64 s[6:7], s[4:5]
	s_cbranch_execz .LBB1_34619
; %bb.62071:
	s_getpc_b64 s[14:15]
.Lpost_getpc16699:
	s_add_u32 s14, s14, (.LBB1_11895-.Lpost_getpc16699)&4294967295
	s_addc_u32 s15, s15, (.LBB1_11895-.Lpost_getpc16699)>>32
	s_setpc_b64 s[14:15]
.LBB1_34619:
	s_getpc_b64 s[14:15]
.Lpost_getpc2973:
	s_add_u32 s14, s14, (.LBB1_11896-.Lpost_getpc2973)&4294967295
	s_addc_u32 s15, s15, (.LBB1_11896-.Lpost_getpc2973)>>32
	s_setpc_b64 s[14:15]
.LBB1_26233:
	s_movk_i32 s4, 0x80
	v_cmp_eq_u16_sdwa s[12:13], v9, s4 src0_sel:BYTE_3 src1_sel:DWORD
	s_mov_b64 s[4:5], -1
                                        ; implicit-def: $sgpr10
	s_and_saveexec_b64 s[8:9], s[12:13]
; %bb.26234:
	s_mov_b32 s10, 0x7f800001
	s_xor_b64 s[4:5], exec, -1
; %bb.26235:
	s_or_b64 exec, exec, s[8:9]
	s_and_b64 s[4:5], s[4:5], exec
	s_or_saveexec_b64 s[6:7], s[6:7]
	v_mov_b32_e32 v2, s10
	s_xor_b64 exec, exec, s[6:7]
	s_cbranch_execnz .LBB1_26236
; %bb.62073:
	s_getpc_b64 s[14:15]
.Lpost_getpc16700:
	s_add_u32 s14, s14, (.LBB1_11898-.Lpost_getpc16700)&4294967295
	s_addc_u32 s15, s15, (.LBB1_11898-.Lpost_getpc16700)>>32
	s_setpc_b64 s[14:15]
.LBB1_26236:
	v_mov_b32_e32 v2, 0
	v_cmp_ne_u16_sdwa s[8:9], v9, v2 src0_sel:BYTE_3 src1_sel:DWORD
	s_andn2_b64 s[4:5], s[4:5], exec
	s_and_b64 s[8:9], s[8:9], exec
	s_or_b64 s[4:5], s[4:5], s[8:9]
	s_or_b64 exec, exec, s[6:7]
	s_and_saveexec_b64 s[6:7], s[4:5]
	s_cbranch_execz .LBB1_34621
; %bb.62075:
	s_getpc_b64 s[14:15]
.Lpost_getpc16701:
	s_add_u32 s14, s14, (.LBB1_11899-.Lpost_getpc16701)&4294967295
	s_addc_u32 s15, s15, (.LBB1_11899-.Lpost_getpc16701)>>32
	s_setpc_b64 s[14:15]
.LBB1_34621:
	s_getpc_b64 s[14:15]
.Lpost_getpc2974:
	s_add_u32 s14, s14, (.LBB1_11900-.Lpost_getpc2974)&4294967295
	s_addc_u32 s15, s15, (.LBB1_11900-.Lpost_getpc2974)>>32
	s_setpc_b64 s[14:15]
.LBB1_26237:
	s_movk_i32 s4, 0x80
	v_cmp_eq_u16_sdwa s[12:13], v5, s4 src0_sel:BYTE_3 src1_sel:DWORD
	s_mov_b64 s[4:5], -1
                                        ; implicit-def: $sgpr10
	s_and_saveexec_b64 s[8:9], s[12:13]
; %bb.26238:
	s_mov_b32 s10, 0x7f800001
	s_xor_b64 s[4:5], exec, -1
; %bb.26239:
	s_or_b64 exec, exec, s[8:9]
	s_and_b64 s[4:5], s[4:5], exec
	s_or_saveexec_b64 s[6:7], s[6:7]
	v_mov_b32_e32 v3, s10
	s_xor_b64 exec, exec, s[6:7]
	s_cbranch_execnz .LBB1_26240
; %bb.62077:
	s_getpc_b64 s[14:15]
.Lpost_getpc16702:
	s_add_u32 s14, s14, (.LBB1_11902-.Lpost_getpc16702)&4294967295
	s_addc_u32 s15, s15, (.LBB1_11902-.Lpost_getpc16702)>>32
	s_setpc_b64 s[14:15]
.LBB1_26240:
	v_mov_b32_e32 v3, 0
	v_cmp_ne_u16_sdwa s[8:9], v5, v3 src0_sel:BYTE_3 src1_sel:DWORD
	s_andn2_b64 s[4:5], s[4:5], exec
	s_and_b64 s[8:9], s[8:9], exec
	s_or_b64 s[4:5], s[4:5], s[8:9]
	s_or_b64 exec, exec, s[6:7]
	s_and_saveexec_b64 s[6:7], s[4:5]
	s_cbranch_execz .LBB1_34623
; %bb.62079:
	s_getpc_b64 s[14:15]
.Lpost_getpc16703:
	s_add_u32 s14, s14, (.LBB1_11903-.Lpost_getpc16703)&4294967295
	s_addc_u32 s15, s15, (.LBB1_11903-.Lpost_getpc16703)>>32
	s_setpc_b64 s[14:15]
.LBB1_34623:
	s_getpc_b64 s[14:15]
.Lpost_getpc2975:
	s_add_u32 s14, s14, (.LBB1_11904-.Lpost_getpc2975)&4294967295
	s_addc_u32 s15, s15, (.LBB1_11904-.Lpost_getpc2975)>>32
	s_setpc_b64 s[14:15]
.LBB1_26241:
	s_movk_i32 s4, 0x80
	v_cmp_eq_u16_sdwa s[12:13], v6, s4 src0_sel:BYTE_0 src1_sel:DWORD
	s_mov_b64 s[4:5], -1
                                        ; implicit-def: $sgpr10
	s_and_saveexec_b64 s[8:9], s[12:13]
; %bb.26242:
	s_mov_b32 s10, 0x7f800001
	s_xor_b64 s[4:5], exec, -1
; %bb.26243:
	s_or_b64 exec, exec, s[8:9]
	s_and_b64 s[4:5], s[4:5], exec
	s_or_saveexec_b64 s[6:7], s[6:7]
	v_mov_b32_e32 v12, s10
	s_xor_b64 exec, exec, s[6:7]
	s_cbranch_execnz .LBB1_26244
; %bb.62081:
	s_getpc_b64 s[14:15]
.Lpost_getpc16704:
	s_add_u32 s14, s14, (.LBB1_11906-.Lpost_getpc16704)&4294967295
	s_addc_u32 s15, s15, (.LBB1_11906-.Lpost_getpc16704)>>32
	s_setpc_b64 s[14:15]
.LBB1_26244:
	v_mov_b32_e32 v12, 0
	v_cmp_ne_u16_sdwa s[8:9], v6, v12 src0_sel:BYTE_0 src1_sel:DWORD
	s_andn2_b64 s[4:5], s[4:5], exec
	s_and_b64 s[8:9], s[8:9], exec
	s_or_b64 s[4:5], s[4:5], s[8:9]
	s_or_b64 exec, exec, s[6:7]
	s_and_saveexec_b64 s[6:7], s[4:5]
	s_cbranch_execz .LBB1_34625
; %bb.62083:
	s_getpc_b64 s[14:15]
.Lpost_getpc16705:
	s_add_u32 s14, s14, (.LBB1_11907-.Lpost_getpc16705)&4294967295
	s_addc_u32 s15, s15, (.LBB1_11907-.Lpost_getpc16705)>>32
	s_setpc_b64 s[14:15]
.LBB1_34625:
	s_getpc_b64 s[14:15]
.Lpost_getpc2976:
	s_add_u32 s14, s14, (.LBB1_11908-.Lpost_getpc2976)&4294967295
	s_addc_u32 s15, s15, (.LBB1_11908-.Lpost_getpc2976)>>32
	s_setpc_b64 s[14:15]
.LBB1_26245:
	s_movk_i32 s4, 0x80
	v_cmp_eq_u16_sdwa s[12:13], v2, s4 src0_sel:BYTE_0 src1_sel:DWORD
	s_mov_b64 s[4:5], -1
                                        ; implicit-def: $sgpr10
	s_and_saveexec_b64 s[8:9], s[12:13]
; %bb.26246:
	s_mov_b32 s10, 0x7f800001
	s_xor_b64 s[4:5], exec, -1
; %bb.26247:
	s_or_b64 exec, exec, s[8:9]
	s_and_b64 s[4:5], s[4:5], exec
	s_or_saveexec_b64 s[6:7], s[6:7]
	v_mov_b32_e32 v13, s10
	s_xor_b64 exec, exec, s[6:7]
	s_cbranch_execnz .LBB1_26248
; %bb.62085:
	s_getpc_b64 s[14:15]
.Lpost_getpc16706:
	s_add_u32 s14, s14, (.LBB1_11910-.Lpost_getpc16706)&4294967295
	s_addc_u32 s15, s15, (.LBB1_11910-.Lpost_getpc16706)>>32
	s_setpc_b64 s[14:15]
.LBB1_26248:
	v_mov_b32_e32 v13, 0
	v_cmp_ne_u16_sdwa s[8:9], v2, v13 src0_sel:BYTE_0 src1_sel:DWORD
	s_andn2_b64 s[4:5], s[4:5], exec
	s_and_b64 s[8:9], s[8:9], exec
	s_or_b64 s[4:5], s[4:5], s[8:9]
	s_or_b64 exec, exec, s[6:7]
	s_and_saveexec_b64 s[6:7], s[4:5]
	s_cbranch_execz .LBB1_34627
; %bb.62087:
	s_getpc_b64 s[14:15]
.Lpost_getpc16707:
	s_add_u32 s14, s14, (.LBB1_11911-.Lpost_getpc16707)&4294967295
	s_addc_u32 s15, s15, (.LBB1_11911-.Lpost_getpc16707)>>32
	s_setpc_b64 s[14:15]
.LBB1_34627:
	s_getpc_b64 s[14:15]
.Lpost_getpc2977:
	s_add_u32 s14, s14, (.LBB1_11912-.Lpost_getpc2977)&4294967295
	s_addc_u32 s15, s15, (.LBB1_11912-.Lpost_getpc2977)>>32
	s_setpc_b64 s[14:15]
.LBB1_26249:
	s_movk_i32 s4, 0x80
	v_cmp_eq_u16_sdwa s[12:13], v13, s4 src0_sel:BYTE_0 src1_sel:DWORD
	s_mov_b64 s[4:5], -1
                                        ; implicit-def: $sgpr10
	s_and_saveexec_b64 s[8:9], s[12:13]
; %bb.26250:
	s_mov_b32 s10, 0x7f800001
	s_xor_b64 s[4:5], exec, -1
; %bb.26251:
	s_or_b64 exec, exec, s[8:9]
	s_and_b64 s[4:5], s[4:5], exec
	s_or_saveexec_b64 s[6:7], s[6:7]
	v_mov_b32_e32 v12, s10
	s_xor_b64 exec, exec, s[6:7]
	s_cbranch_execnz .LBB1_26252
; %bb.62089:
	s_getpc_b64 s[14:15]
.Lpost_getpc16708:
	s_add_u32 s14, s14, (.LBB1_11914-.Lpost_getpc16708)&4294967295
	s_addc_u32 s15, s15, (.LBB1_11914-.Lpost_getpc16708)>>32
	s_setpc_b64 s[14:15]
.LBB1_26252:
	v_mov_b32_e32 v12, 0
	v_cmp_ne_u16_sdwa s[8:9], v13, v12 src0_sel:BYTE_0 src1_sel:DWORD
	s_andn2_b64 s[4:5], s[4:5], exec
	s_and_b64 s[8:9], s[8:9], exec
	s_or_b64 s[4:5], s[4:5], s[8:9]
	s_or_b64 exec, exec, s[6:7]
	s_and_saveexec_b64 s[6:7], s[4:5]
	s_cbranch_execz .LBB1_34629
; %bb.62091:
	s_getpc_b64 s[14:15]
.Lpost_getpc16709:
	s_add_u32 s14, s14, (.LBB1_11915-.Lpost_getpc16709)&4294967295
	s_addc_u32 s15, s15, (.LBB1_11915-.Lpost_getpc16709)>>32
	s_setpc_b64 s[14:15]
.LBB1_34629:
	s_getpc_b64 s[14:15]
.Lpost_getpc2978:
	s_add_u32 s14, s14, (.LBB1_11916-.Lpost_getpc2978)&4294967295
	s_addc_u32 s15, s15, (.LBB1_11916-.Lpost_getpc2978)>>32
	s_setpc_b64 s[14:15]
.LBB1_26253:
	s_movk_i32 s4, 0x80
	v_cmp_eq_u16_sdwa s[12:13], v13, s4 src0_sel:BYTE_0 src1_sel:DWORD
	s_mov_b64 s[4:5], -1
                                        ; implicit-def: $sgpr10
	s_and_saveexec_b64 s[8:9], s[12:13]
; %bb.26254:
	s_mov_b32 s10, 0x7f800001
	s_xor_b64 s[4:5], exec, -1
; %bb.26255:
	s_or_b64 exec, exec, s[8:9]
	s_and_b64 s[4:5], s[4:5], exec
	s_or_saveexec_b64 s[6:7], s[6:7]
	v_mov_b32_e32 v14, s10
	s_xor_b64 exec, exec, s[6:7]
	s_cbranch_execnz .LBB1_26256
; %bb.62093:
	s_getpc_b64 s[14:15]
.Lpost_getpc16710:
	s_add_u32 s14, s14, (.LBB1_11918-.Lpost_getpc16710)&4294967295
	s_addc_u32 s15, s15, (.LBB1_11918-.Lpost_getpc16710)>>32
	s_setpc_b64 s[14:15]
.LBB1_26256:
	v_mov_b32_e32 v14, 0
	v_cmp_ne_u16_sdwa s[8:9], v13, v14 src0_sel:BYTE_0 src1_sel:DWORD
	s_andn2_b64 s[4:5], s[4:5], exec
	s_and_b64 s[8:9], s[8:9], exec
	s_or_b64 s[4:5], s[4:5], s[8:9]
	s_or_b64 exec, exec, s[6:7]
	s_and_saveexec_b64 s[6:7], s[4:5]
	s_cbranch_execz .LBB1_34631
; %bb.62095:
	s_getpc_b64 s[14:15]
.Lpost_getpc16711:
	s_add_u32 s14, s14, (.LBB1_11919-.Lpost_getpc16711)&4294967295
	s_addc_u32 s15, s15, (.LBB1_11919-.Lpost_getpc16711)>>32
	s_setpc_b64 s[14:15]
.LBB1_34631:
	s_getpc_b64 s[14:15]
.Lpost_getpc2979:
	s_add_u32 s14, s14, (.LBB1_11920-.Lpost_getpc2979)&4294967295
	s_addc_u32 s15, s15, (.LBB1_11920-.Lpost_getpc2979)>>32
	s_setpc_b64 s[14:15]
.LBB1_26257:
	s_movk_i32 s4, 0x80
	v_cmp_eq_u16_e32 vcc, s4, v13
	s_mov_b64 s[4:5], -1
                                        ; implicit-def: $sgpr10
	s_and_saveexec_b64 s[8:9], vcc
; %bb.26258:
	s_mov_b32 s10, 0x7f800001
	s_xor_b64 s[4:5], exec, -1
; %bb.26259:
	s_or_b64 exec, exec, s[8:9]
	s_and_b64 s[4:5], s[4:5], exec
                                        ; implicit-def: $vgpr13
	s_or_saveexec_b64 s[6:7], s[6:7]
	v_mov_b32_e32 v12, s10
	s_xor_b64 exec, exec, s[6:7]
	s_cbranch_execnz .LBB1_26260
; %bb.62097:
	s_getpc_b64 s[14:15]
.Lpost_getpc16712:
	s_add_u32 s14, s14, (.LBB1_11922-.Lpost_getpc16712)&4294967295
	s_addc_u32 s15, s15, (.LBB1_11922-.Lpost_getpc16712)>>32
	s_setpc_b64 s[14:15]
.LBB1_26260:
	v_cmp_ne_u16_e32 vcc, 0, v13
	s_andn2_b64 s[4:5], s[4:5], exec
	s_and_b64 s[8:9], vcc, exec
	v_mov_b32_e32 v12, 0
	s_or_b64 s[4:5], s[4:5], s[8:9]
	s_or_b64 exec, exec, s[6:7]
	s_and_saveexec_b64 s[6:7], s[4:5]
	s_cbranch_execz .LBB1_34633
; %bb.62099:
	s_getpc_b64 s[14:15]
.Lpost_getpc16713:
	s_add_u32 s14, s14, (.LBB1_11923-.Lpost_getpc16713)&4294967295
	s_addc_u32 s15, s15, (.LBB1_11923-.Lpost_getpc16713)>>32
	s_setpc_b64 s[14:15]
.LBB1_34633:
	s_getpc_b64 s[14:15]
.Lpost_getpc2980:
	s_add_u32 s14, s14, (.LBB1_11924-.Lpost_getpc2980)&4294967295
	s_addc_u32 s15, s15, (.LBB1_11924-.Lpost_getpc2980)>>32
	s_setpc_b64 s[14:15]
.LBB1_26261:
	s_movk_i32 s4, 0x80
	v_cmp_eq_u16_e32 vcc, s4, v13
	s_mov_b64 s[4:5], -1
                                        ; implicit-def: $sgpr10
	s_and_saveexec_b64 s[8:9], vcc
; %bb.26262:
	s_mov_b32 s10, 0x7f800001
	s_xor_b64 s[4:5], exec, -1
; %bb.26263:
	s_or_b64 exec, exec, s[8:9]
	s_and_b64 s[4:5], s[4:5], exec
                                        ; implicit-def: $vgpr13
	s_or_saveexec_b64 s[6:7], s[6:7]
	v_mov_b32_e32 v14, s10
	s_xor_b64 exec, exec, s[6:7]
	s_cbranch_execnz .LBB1_26264
; %bb.62101:
	s_getpc_b64 s[14:15]
.Lpost_getpc16714:
	s_add_u32 s14, s14, (.LBB1_11926-.Lpost_getpc16714)&4294967295
	s_addc_u32 s15, s15, (.LBB1_11926-.Lpost_getpc16714)>>32
	s_setpc_b64 s[14:15]
.LBB1_26264:
	v_cmp_ne_u16_e32 vcc, 0, v13
	s_andn2_b64 s[4:5], s[4:5], exec
	s_and_b64 s[8:9], vcc, exec
	v_mov_b32_e32 v14, 0
	s_or_b64 s[4:5], s[4:5], s[8:9]
	s_or_b64 exec, exec, s[6:7]
	s_and_saveexec_b64 s[6:7], s[4:5]
	s_cbranch_execz .LBB1_34635
; %bb.62103:
	s_getpc_b64 s[14:15]
.Lpost_getpc16715:
	s_add_u32 s14, s14, (.LBB1_11927-.Lpost_getpc16715)&4294967295
	s_addc_u32 s15, s15, (.LBB1_11927-.Lpost_getpc16715)>>32
	s_setpc_b64 s[14:15]
.LBB1_34635:
	s_getpc_b64 s[14:15]
.Lpost_getpc2981:
	s_add_u32 s14, s14, (.LBB1_11928-.Lpost_getpc2981)&4294967295
	s_addc_u32 s15, s15, (.LBB1_11928-.Lpost_getpc2981)>>32
	s_setpc_b64 s[14:15]
.LBB1_26265:
	s_movk_i32 s4, 0x80
	v_cmp_eq_u16_sdwa s[12:13], v6, s4 src0_sel:BYTE_3 src1_sel:DWORD
	s_mov_b64 s[4:5], -1
                                        ; implicit-def: $sgpr10
	s_and_saveexec_b64 s[8:9], s[12:13]
; %bb.26266:
	s_mov_b32 s10, 0x7f800001
	s_xor_b64 s[4:5], exec, -1
; %bb.26267:
	s_or_b64 exec, exec, s[8:9]
	s_and_b64 s[4:5], s[4:5], exec
	s_or_saveexec_b64 s[6:7], s[6:7]
	v_mov_b32_e32 v12, s10
	s_xor_b64 exec, exec, s[6:7]
	s_cbranch_execnz .LBB1_26268
; %bb.62105:
	s_getpc_b64 s[14:15]
.Lpost_getpc16716:
	s_add_u32 s14, s14, (.LBB1_11930-.Lpost_getpc16716)&4294967295
	s_addc_u32 s15, s15, (.LBB1_11930-.Lpost_getpc16716)>>32
	s_setpc_b64 s[14:15]
.LBB1_26268:
	v_mov_b32_e32 v12, 0
	v_cmp_ne_u16_sdwa s[8:9], v6, v12 src0_sel:BYTE_3 src1_sel:DWORD
	s_andn2_b64 s[4:5], s[4:5], exec
	s_and_b64 s[8:9], s[8:9], exec
	s_or_b64 s[4:5], s[4:5], s[8:9]
	s_or_b64 exec, exec, s[6:7]
	s_and_saveexec_b64 s[6:7], s[4:5]
	s_cbranch_execz .LBB1_34637
; %bb.62107:
	s_getpc_b64 s[14:15]
.Lpost_getpc16717:
	s_add_u32 s14, s14, (.LBB1_11931-.Lpost_getpc16717)&4294967295
	s_addc_u32 s15, s15, (.LBB1_11931-.Lpost_getpc16717)>>32
	s_setpc_b64 s[14:15]
.LBB1_34637:
	s_getpc_b64 s[14:15]
.Lpost_getpc2982:
	s_add_u32 s14, s14, (.LBB1_11932-.Lpost_getpc2982)&4294967295
	s_addc_u32 s15, s15, (.LBB1_11932-.Lpost_getpc2982)>>32
	s_setpc_b64 s[14:15]
.LBB1_26269:
	s_movk_i32 s4, 0x80
	v_cmp_eq_u16_sdwa s[12:13], v2, s4 src0_sel:BYTE_3 src1_sel:DWORD
	s_mov_b64 s[4:5], -1
                                        ; implicit-def: $sgpr10
	s_and_saveexec_b64 s[8:9], s[12:13]
; %bb.26270:
	s_mov_b32 s10, 0x7f800001
	s_xor_b64 s[4:5], exec, -1
; %bb.26271:
	s_or_b64 exec, exec, s[8:9]
	s_and_b64 s[4:5], s[4:5], exec
	s_or_saveexec_b64 s[6:7], s[6:7]
	v_mov_b32_e32 v6, s10
	s_xor_b64 exec, exec, s[6:7]
	s_cbranch_execnz .LBB1_26272
; %bb.62109:
	s_getpc_b64 s[14:15]
.Lpost_getpc16718:
	s_add_u32 s14, s14, (.LBB1_11934-.Lpost_getpc16718)&4294967295
	s_addc_u32 s15, s15, (.LBB1_11934-.Lpost_getpc16718)>>32
	s_setpc_b64 s[14:15]
.LBB1_26272:
	v_mov_b32_e32 v6, 0
	v_cmp_ne_u16_sdwa s[8:9], v2, v6 src0_sel:BYTE_3 src1_sel:DWORD
	s_andn2_b64 s[4:5], s[4:5], exec
	s_and_b64 s[8:9], s[8:9], exec
	s_or_b64 s[4:5], s[4:5], s[8:9]
	s_or_b64 exec, exec, s[6:7]
	s_and_saveexec_b64 s[6:7], s[4:5]
	s_cbranch_execz .LBB1_34639
; %bb.62111:
	s_getpc_b64 s[14:15]
.Lpost_getpc16719:
	s_add_u32 s14, s14, (.LBB1_11935-.Lpost_getpc16719)&4294967295
	s_addc_u32 s15, s15, (.LBB1_11935-.Lpost_getpc16719)>>32
	s_setpc_b64 s[14:15]
.LBB1_34639:
	s_getpc_b64 s[14:15]
.Lpost_getpc2983:
	s_add_u32 s14, s14, (.LBB1_11936-.Lpost_getpc2983)&4294967295
	s_addc_u32 s15, s15, (.LBB1_11936-.Lpost_getpc2983)>>32
	s_setpc_b64 s[14:15]
.LBB1_26273:
	s_movk_i32 s4, 0x80
	v_cmp_eq_u16_sdwa s[12:13], v7, s4 src0_sel:BYTE_0 src1_sel:DWORD
	s_mov_b64 s[4:5], -1
                                        ; implicit-def: $sgpr10
	s_and_saveexec_b64 s[8:9], s[12:13]
; %bb.26274:
	s_mov_b32 s10, 0x7f800001
	s_xor_b64 s[4:5], exec, -1
; %bb.26275:
	s_or_b64 exec, exec, s[8:9]
	s_and_b64 s[4:5], s[4:5], exec
	s_or_saveexec_b64 s[6:7], s[6:7]
	v_mov_b32_e32 v2, s10
	s_xor_b64 exec, exec, s[6:7]
	s_cbranch_execnz .LBB1_26276
; %bb.62113:
	s_getpc_b64 s[14:15]
.Lpost_getpc16720:
	s_add_u32 s14, s14, (.LBB1_11938-.Lpost_getpc16720)&4294967295
	s_addc_u32 s15, s15, (.LBB1_11938-.Lpost_getpc16720)>>32
	s_setpc_b64 s[14:15]
.LBB1_26276:
	v_mov_b32_e32 v2, 0
	v_cmp_ne_u16_sdwa s[8:9], v7, v2 src0_sel:BYTE_0 src1_sel:DWORD
	s_andn2_b64 s[4:5], s[4:5], exec
	s_and_b64 s[8:9], s[8:9], exec
	s_or_b64 s[4:5], s[4:5], s[8:9]
	s_or_b64 exec, exec, s[6:7]
	s_and_saveexec_b64 s[6:7], s[4:5]
	s_cbranch_execz .LBB1_34641
; %bb.62115:
	s_getpc_b64 s[14:15]
.Lpost_getpc16721:
	s_add_u32 s14, s14, (.LBB1_11939-.Lpost_getpc16721)&4294967295
	s_addc_u32 s15, s15, (.LBB1_11939-.Lpost_getpc16721)>>32
	s_setpc_b64 s[14:15]
.LBB1_34641:
	s_getpc_b64 s[14:15]
.Lpost_getpc2984:
	s_add_u32 s14, s14, (.LBB1_11940-.Lpost_getpc2984)&4294967295
	s_addc_u32 s15, s15, (.LBB1_11940-.Lpost_getpc2984)>>32
	s_setpc_b64 s[14:15]
.LBB1_26277:
	s_movk_i32 s4, 0x80
	v_cmp_eq_u16_sdwa s[12:13], v3, s4 src0_sel:BYTE_0 src1_sel:DWORD
	s_mov_b64 s[4:5], -1
                                        ; implicit-def: $sgpr10
	s_and_saveexec_b64 s[8:9], s[12:13]
; %bb.26278:
	s_mov_b32 s10, 0x7f800001
	s_xor_b64 s[4:5], exec, -1
; %bb.26279:
	s_or_b64 exec, exec, s[8:9]
	s_and_b64 s[4:5], s[4:5], exec
	s_or_saveexec_b64 s[6:7], s[6:7]
	v_mov_b32_e32 v6, s10
	s_xor_b64 exec, exec, s[6:7]
	s_cbranch_execnz .LBB1_26280
; %bb.62117:
	s_getpc_b64 s[14:15]
.Lpost_getpc16722:
	s_add_u32 s14, s14, (.LBB1_11942-.Lpost_getpc16722)&4294967295
	s_addc_u32 s15, s15, (.LBB1_11942-.Lpost_getpc16722)>>32
	s_setpc_b64 s[14:15]
.LBB1_26280:
	v_mov_b32_e32 v6, 0
	v_cmp_ne_u16_sdwa s[8:9], v3, v6 src0_sel:BYTE_0 src1_sel:DWORD
	s_andn2_b64 s[4:5], s[4:5], exec
	s_and_b64 s[8:9], s[8:9], exec
	s_or_b64 s[4:5], s[4:5], s[8:9]
	s_or_b64 exec, exec, s[6:7]
	s_and_saveexec_b64 s[6:7], s[4:5]
	s_cbranch_execz .LBB1_34643
; %bb.62119:
	s_getpc_b64 s[14:15]
.Lpost_getpc16723:
	s_add_u32 s14, s14, (.LBB1_11943-.Lpost_getpc16723)&4294967295
	s_addc_u32 s15, s15, (.LBB1_11943-.Lpost_getpc16723)>>32
	s_setpc_b64 s[14:15]
.LBB1_34643:
	s_getpc_b64 s[14:15]
.Lpost_getpc2985:
	s_add_u32 s14, s14, (.LBB1_11944-.Lpost_getpc2985)&4294967295
	s_addc_u32 s15, s15, (.LBB1_11944-.Lpost_getpc2985)>>32
	s_setpc_b64 s[14:15]
.LBB1_26281:
	s_movk_i32 s4, 0x80
	v_cmp_eq_u16_sdwa s[12:13], v6, s4 src0_sel:BYTE_0 src1_sel:DWORD
	s_mov_b64 s[4:5], -1
                                        ; implicit-def: $sgpr10
	s_and_saveexec_b64 s[8:9], s[12:13]
; %bb.26282:
	s_mov_b32 s10, 0x7f800001
	s_xor_b64 s[4:5], exec, -1
; %bb.26283:
	s_or_b64 exec, exec, s[8:9]
	s_and_b64 s[4:5], s[4:5], exec
	s_or_saveexec_b64 s[6:7], s[6:7]
	v_mov_b32_e32 v2, s10
	s_xor_b64 exec, exec, s[6:7]
	s_cbranch_execnz .LBB1_26284
; %bb.62121:
	s_getpc_b64 s[14:15]
.Lpost_getpc16724:
	s_add_u32 s14, s14, (.LBB1_11946-.Lpost_getpc16724)&4294967295
	s_addc_u32 s15, s15, (.LBB1_11946-.Lpost_getpc16724)>>32
	s_setpc_b64 s[14:15]
.LBB1_26284:
	v_mov_b32_e32 v2, 0
	v_cmp_ne_u16_sdwa s[8:9], v6, v2 src0_sel:BYTE_0 src1_sel:DWORD
	s_andn2_b64 s[4:5], s[4:5], exec
	s_and_b64 s[8:9], s[8:9], exec
	s_or_b64 s[4:5], s[4:5], s[8:9]
	s_or_b64 exec, exec, s[6:7]
	s_and_saveexec_b64 s[6:7], s[4:5]
	s_cbranch_execz .LBB1_34645
; %bb.62123:
	s_getpc_b64 s[14:15]
.Lpost_getpc16725:
	s_add_u32 s14, s14, (.LBB1_11947-.Lpost_getpc16725)&4294967295
	s_addc_u32 s15, s15, (.LBB1_11947-.Lpost_getpc16725)>>32
	s_setpc_b64 s[14:15]
.LBB1_34645:
	s_getpc_b64 s[14:15]
.Lpost_getpc2986:
	s_add_u32 s14, s14, (.LBB1_11948-.Lpost_getpc2986)&4294967295
	s_addc_u32 s15, s15, (.LBB1_11948-.Lpost_getpc2986)>>32
	s_setpc_b64 s[14:15]
.LBB1_26285:
	s_movk_i32 s4, 0x80
	v_cmp_eq_u16_sdwa s[12:13], v6, s4 src0_sel:BYTE_0 src1_sel:DWORD
	s_mov_b64 s[4:5], -1
                                        ; implicit-def: $sgpr10
	s_and_saveexec_b64 s[8:9], s[12:13]
; %bb.26286:
	s_mov_b32 s10, 0x7f800001
	s_xor_b64 s[4:5], exec, -1
; %bb.26287:
	s_or_b64 exec, exec, s[8:9]
	s_and_b64 s[4:5], s[4:5], exec
	s_or_saveexec_b64 s[6:7], s[6:7]
	v_mov_b32_e32 v12, s10
	s_xor_b64 exec, exec, s[6:7]
	s_cbranch_execnz .LBB1_26288
; %bb.62125:
	s_getpc_b64 s[14:15]
.Lpost_getpc16726:
	s_add_u32 s14, s14, (.LBB1_11950-.Lpost_getpc16726)&4294967295
	s_addc_u32 s15, s15, (.LBB1_11950-.Lpost_getpc16726)>>32
	s_setpc_b64 s[14:15]
.LBB1_26288:
	v_mov_b32_e32 v12, 0
	v_cmp_ne_u16_sdwa s[8:9], v6, v12 src0_sel:BYTE_0 src1_sel:DWORD
	s_andn2_b64 s[4:5], s[4:5], exec
	s_and_b64 s[8:9], s[8:9], exec
	s_or_b64 s[4:5], s[4:5], s[8:9]
	s_or_b64 exec, exec, s[6:7]
	s_and_saveexec_b64 s[6:7], s[4:5]
	s_cbranch_execz .LBB1_34647
; %bb.62127:
	s_getpc_b64 s[14:15]
.Lpost_getpc16727:
	s_add_u32 s14, s14, (.LBB1_11951-.Lpost_getpc16727)&4294967295
	s_addc_u32 s15, s15, (.LBB1_11951-.Lpost_getpc16727)>>32
	s_setpc_b64 s[14:15]
.LBB1_34647:
	s_getpc_b64 s[14:15]
.Lpost_getpc2987:
	s_add_u32 s14, s14, (.LBB1_11952-.Lpost_getpc2987)&4294967295
	s_addc_u32 s15, s15, (.LBB1_11952-.Lpost_getpc2987)>>32
	s_setpc_b64 s[14:15]
.LBB1_26289:
	s_movk_i32 s4, 0x80
	v_cmp_eq_u16_e32 vcc, s4, v6
	s_mov_b64 s[4:5], -1
                                        ; implicit-def: $sgpr10
	s_and_saveexec_b64 s[8:9], vcc
; %bb.26290:
	s_mov_b32 s10, 0x7f800001
	s_xor_b64 s[4:5], exec, -1
; %bb.26291:
	s_or_b64 exec, exec, s[8:9]
	s_and_b64 s[4:5], s[4:5], exec
                                        ; implicit-def: $vgpr6
	s_or_saveexec_b64 s[6:7], s[6:7]
	v_mov_b32_e32 v2, s10
	s_xor_b64 exec, exec, s[6:7]
	s_cbranch_execnz .LBB1_26292
; %bb.62129:
	s_getpc_b64 s[14:15]
.Lpost_getpc16728:
	s_add_u32 s14, s14, (.LBB1_11954-.Lpost_getpc16728)&4294967295
	s_addc_u32 s15, s15, (.LBB1_11954-.Lpost_getpc16728)>>32
	s_setpc_b64 s[14:15]
.LBB1_26292:
	v_cmp_ne_u16_e32 vcc, 0, v6
	s_andn2_b64 s[4:5], s[4:5], exec
	s_and_b64 s[8:9], vcc, exec
	v_mov_b32_e32 v2, 0
	s_or_b64 s[4:5], s[4:5], s[8:9]
	s_or_b64 exec, exec, s[6:7]
	s_and_saveexec_b64 s[6:7], s[4:5]
	s_cbranch_execz .LBB1_34649
; %bb.62131:
	s_getpc_b64 s[14:15]
.Lpost_getpc16729:
	s_add_u32 s14, s14, (.LBB1_11955-.Lpost_getpc16729)&4294967295
	s_addc_u32 s15, s15, (.LBB1_11955-.Lpost_getpc16729)>>32
	s_setpc_b64 s[14:15]
.LBB1_34649:
	s_getpc_b64 s[14:15]
.Lpost_getpc2988:
	s_add_u32 s14, s14, (.LBB1_11956-.Lpost_getpc2988)&4294967295
	s_addc_u32 s15, s15, (.LBB1_11956-.Lpost_getpc2988)>>32
	s_setpc_b64 s[14:15]
.LBB1_26293:
	s_movk_i32 s4, 0x80
	v_cmp_eq_u16_e32 vcc, s4, v6
	s_mov_b64 s[4:5], -1
                                        ; implicit-def: $sgpr10
	s_and_saveexec_b64 s[8:9], vcc
; %bb.26294:
	s_mov_b32 s10, 0x7f800001
	s_xor_b64 s[4:5], exec, -1
; %bb.26295:
	s_or_b64 exec, exec, s[8:9]
	s_and_b64 s[4:5], s[4:5], exec
                                        ; implicit-def: $vgpr6
	s_or_saveexec_b64 s[6:7], s[6:7]
	v_mov_b32_e32 v12, s10
	s_xor_b64 exec, exec, s[6:7]
	s_cbranch_execnz .LBB1_26296
; %bb.62133:
	s_getpc_b64 s[14:15]
.Lpost_getpc16730:
	s_add_u32 s14, s14, (.LBB1_11958-.Lpost_getpc16730)&4294967295
	s_addc_u32 s15, s15, (.LBB1_11958-.Lpost_getpc16730)>>32
	s_setpc_b64 s[14:15]
.LBB1_26296:
	v_cmp_ne_u16_e32 vcc, 0, v6
	s_andn2_b64 s[4:5], s[4:5], exec
	s_and_b64 s[8:9], vcc, exec
	v_mov_b32_e32 v12, 0
	s_or_b64 s[4:5], s[4:5], s[8:9]
	s_or_b64 exec, exec, s[6:7]
	s_and_saveexec_b64 s[6:7], s[4:5]
	s_cbranch_execz .LBB1_34651
; %bb.62135:
	s_getpc_b64 s[14:15]
.Lpost_getpc16731:
	s_add_u32 s14, s14, (.LBB1_11959-.Lpost_getpc16731)&4294967295
	s_addc_u32 s15, s15, (.LBB1_11959-.Lpost_getpc16731)>>32
	s_setpc_b64 s[14:15]
.LBB1_34651:
	s_getpc_b64 s[14:15]
.Lpost_getpc2989:
	s_add_u32 s14, s14, (.LBB1_11960-.Lpost_getpc2989)&4294967295
	s_addc_u32 s15, s15, (.LBB1_11960-.Lpost_getpc2989)>>32
	s_setpc_b64 s[14:15]
.LBB1_26297:
	s_movk_i32 s4, 0x80
	v_cmp_eq_u16_sdwa s[12:13], v7, s4 src0_sel:BYTE_3 src1_sel:DWORD
	s_mov_b64 s[4:5], -1
                                        ; implicit-def: $sgpr10
	s_and_saveexec_b64 s[8:9], s[12:13]
; %bb.26298:
	s_mov_b32 s10, 0x7f800001
	s_xor_b64 s[4:5], exec, -1
; %bb.26299:
	s_or_b64 exec, exec, s[8:9]
	s_and_b64 s[4:5], s[4:5], exec
	s_or_saveexec_b64 s[6:7], s[6:7]
	v_mov_b32_e32 v2, s10
	s_xor_b64 exec, exec, s[6:7]
	s_cbranch_execnz .LBB1_26300
; %bb.62137:
	s_getpc_b64 s[14:15]
.Lpost_getpc16732:
	s_add_u32 s14, s14, (.LBB1_11962-.Lpost_getpc16732)&4294967295
	s_addc_u32 s15, s15, (.LBB1_11962-.Lpost_getpc16732)>>32
	s_setpc_b64 s[14:15]
.LBB1_26300:
	v_mov_b32_e32 v2, 0
	v_cmp_ne_u16_sdwa s[8:9], v7, v2 src0_sel:BYTE_3 src1_sel:DWORD
	s_andn2_b64 s[4:5], s[4:5], exec
	s_and_b64 s[8:9], s[8:9], exec
	s_or_b64 s[4:5], s[4:5], s[8:9]
	s_or_b64 exec, exec, s[6:7]
	s_and_saveexec_b64 s[6:7], s[4:5]
	s_cbranch_execz .LBB1_34653
; %bb.62139:
	s_getpc_b64 s[14:15]
.Lpost_getpc16733:
	s_add_u32 s14, s14, (.LBB1_11963-.Lpost_getpc16733)&4294967295
	s_addc_u32 s15, s15, (.LBB1_11963-.Lpost_getpc16733)>>32
	s_setpc_b64 s[14:15]
.LBB1_34653:
	s_getpc_b64 s[14:15]
.Lpost_getpc2990:
	s_add_u32 s14, s14, (.LBB1_11964-.Lpost_getpc2990)&4294967295
	s_addc_u32 s15, s15, (.LBB1_11964-.Lpost_getpc2990)>>32
	s_setpc_b64 s[14:15]
.LBB1_26301:
	s_movk_i32 s4, 0x80
	v_cmp_eq_u16_sdwa s[12:13], v3, s4 src0_sel:BYTE_3 src1_sel:DWORD
	s_mov_b64 s[4:5], -1
                                        ; implicit-def: $sgpr10
	s_and_saveexec_b64 s[8:9], s[12:13]
; %bb.26302:
	s_mov_b32 s10, 0x7f800001
	s_xor_b64 s[4:5], exec, -1
; %bb.26303:
	s_or_b64 exec, exec, s[8:9]
	s_and_b64 s[4:5], s[4:5], exec
	s_or_saveexec_b64 s[6:7], s[6:7]
	v_mov_b32_e32 v6, s10
	s_xor_b64 exec, exec, s[6:7]
	s_cbranch_execnz .LBB1_26304
; %bb.62141:
	s_getpc_b64 s[14:15]
.Lpost_getpc16734:
	s_add_u32 s14, s14, (.LBB1_11966-.Lpost_getpc16734)&4294967295
	s_addc_u32 s15, s15, (.LBB1_11966-.Lpost_getpc16734)>>32
	s_setpc_b64 s[14:15]
.LBB1_26304:
	v_mov_b32_e32 v6, 0
	v_cmp_ne_u16_sdwa s[8:9], v3, v6 src0_sel:BYTE_3 src1_sel:DWORD
	s_andn2_b64 s[4:5], s[4:5], exec
	s_and_b64 s[8:9], s[8:9], exec
	s_or_b64 s[4:5], s[4:5], s[8:9]
	s_or_b64 exec, exec, s[6:7]
	s_and_saveexec_b64 s[6:7], s[4:5]
	s_cbranch_execz .LBB1_34655
; %bb.62143:
	s_getpc_b64 s[14:15]
.Lpost_getpc16735:
	s_add_u32 s14, s14, (.LBB1_11967-.Lpost_getpc16735)&4294967295
	s_addc_u32 s15, s15, (.LBB1_11967-.Lpost_getpc16735)>>32
	s_setpc_b64 s[14:15]
.LBB1_34655:
	s_getpc_b64 s[14:15]
.Lpost_getpc2991:
	s_add_u32 s14, s14, (.LBB1_11968-.Lpost_getpc2991)&4294967295
	s_addc_u32 s15, s15, (.LBB1_11968-.Lpost_getpc2991)>>32
	s_setpc_b64 s[14:15]
.LBB1_26305:
	s_movk_i32 s4, 0x80
	v_cmp_eq_u16_sdwa s[12:13], v8, s4 src0_sel:BYTE_0 src1_sel:DWORD
	s_mov_b64 s[4:5], -1
                                        ; implicit-def: $sgpr10
	s_and_saveexec_b64 s[8:9], s[12:13]
; %bb.26306:
	s_mov_b32 s10, 0x7f800001
	s_xor_b64 s[4:5], exec, -1
; %bb.26307:
	s_or_b64 exec, exec, s[8:9]
	s_and_b64 s[4:5], s[4:5], exec
	s_or_saveexec_b64 s[6:7], s[6:7]
	v_mov_b32_e32 v2, s10
	s_xor_b64 exec, exec, s[6:7]
	s_cbranch_execnz .LBB1_26308
; %bb.62145:
	s_getpc_b64 s[14:15]
.Lpost_getpc16736:
	s_add_u32 s14, s14, (.LBB1_11970-.Lpost_getpc16736)&4294967295
	s_addc_u32 s15, s15, (.LBB1_11970-.Lpost_getpc16736)>>32
	s_setpc_b64 s[14:15]
.LBB1_26308:
	v_mov_b32_e32 v2, 0
	v_cmp_ne_u16_sdwa s[8:9], v8, v2 src0_sel:BYTE_0 src1_sel:DWORD
	s_andn2_b64 s[4:5], s[4:5], exec
	s_and_b64 s[8:9], s[8:9], exec
	s_or_b64 s[4:5], s[4:5], s[8:9]
	s_or_b64 exec, exec, s[6:7]
	s_and_saveexec_b64 s[6:7], s[4:5]
	s_cbranch_execz .LBB1_34657
; %bb.62147:
	s_getpc_b64 s[14:15]
.Lpost_getpc16737:
	s_add_u32 s14, s14, (.LBB1_11971-.Lpost_getpc16737)&4294967295
	s_addc_u32 s15, s15, (.LBB1_11971-.Lpost_getpc16737)>>32
	s_setpc_b64 s[14:15]
.LBB1_34657:
	s_getpc_b64 s[14:15]
.Lpost_getpc2992:
	s_add_u32 s14, s14, (.LBB1_11972-.Lpost_getpc2992)&4294967295
	s_addc_u32 s15, s15, (.LBB1_11972-.Lpost_getpc2992)>>32
	s_setpc_b64 s[14:15]
.LBB1_26309:
	s_movk_i32 s4, 0x80
	v_cmp_eq_u16_sdwa s[12:13], v4, s4 src0_sel:BYTE_0 src1_sel:DWORD
	s_mov_b64 s[4:5], -1
                                        ; implicit-def: $sgpr10
	s_and_saveexec_b64 s[8:9], s[12:13]
; %bb.26310:
	s_mov_b32 s10, 0x7f800001
	s_xor_b64 s[4:5], exec, -1
; %bb.26311:
	s_or_b64 exec, exec, s[8:9]
	s_and_b64 s[4:5], s[4:5], exec
	s_or_saveexec_b64 s[6:7], s[6:7]
	v_mov_b32_e32 v3, s10
	s_xor_b64 exec, exec, s[6:7]
	s_cbranch_execnz .LBB1_26312
; %bb.62149:
	s_getpc_b64 s[14:15]
.Lpost_getpc16738:
	s_add_u32 s14, s14, (.LBB1_11974-.Lpost_getpc16738)&4294967295
	s_addc_u32 s15, s15, (.LBB1_11974-.Lpost_getpc16738)>>32
	s_setpc_b64 s[14:15]
.LBB1_26312:
	v_mov_b32_e32 v3, 0
	v_cmp_ne_u16_sdwa s[8:9], v4, v3 src0_sel:BYTE_0 src1_sel:DWORD
	s_andn2_b64 s[4:5], s[4:5], exec
	s_and_b64 s[8:9], s[8:9], exec
	s_or_b64 s[4:5], s[4:5], s[8:9]
	s_or_b64 exec, exec, s[6:7]
	s_and_saveexec_b64 s[6:7], s[4:5]
	s_cbranch_execz .LBB1_34659
; %bb.62151:
	s_getpc_b64 s[14:15]
.Lpost_getpc16739:
	s_add_u32 s14, s14, (.LBB1_11975-.Lpost_getpc16739)&4294967295
	s_addc_u32 s15, s15, (.LBB1_11975-.Lpost_getpc16739)>>32
	s_setpc_b64 s[14:15]
.LBB1_34659:
	s_getpc_b64 s[14:15]
.Lpost_getpc2993:
	s_add_u32 s14, s14, (.LBB1_11976-.Lpost_getpc2993)&4294967295
	s_addc_u32 s15, s15, (.LBB1_11976-.Lpost_getpc2993)>>32
	s_setpc_b64 s[14:15]
.LBB1_26313:
	s_movk_i32 s4, 0x80
	v_cmp_eq_u16_sdwa s[12:13], v3, s4 src0_sel:BYTE_0 src1_sel:DWORD
	s_mov_b64 s[4:5], -1
                                        ; implicit-def: $sgpr10
	s_and_saveexec_b64 s[8:9], s[12:13]
; %bb.26314:
	s_mov_b32 s10, 0x7f800001
	s_xor_b64 s[4:5], exec, -1
; %bb.26315:
	s_or_b64 exec, exec, s[8:9]
	s_and_b64 s[4:5], s[4:5], exec
	s_or_saveexec_b64 s[6:7], s[6:7]
	v_mov_b32_e32 v2, s10
	s_xor_b64 exec, exec, s[6:7]
	s_cbranch_execnz .LBB1_26316
; %bb.62153:
	s_getpc_b64 s[14:15]
.Lpost_getpc16740:
	s_add_u32 s14, s14, (.LBB1_11978-.Lpost_getpc16740)&4294967295
	s_addc_u32 s15, s15, (.LBB1_11978-.Lpost_getpc16740)>>32
	s_setpc_b64 s[14:15]
.LBB1_26316:
	v_mov_b32_e32 v2, 0
	v_cmp_ne_u16_sdwa s[8:9], v3, v2 src0_sel:BYTE_0 src1_sel:DWORD
	s_andn2_b64 s[4:5], s[4:5], exec
	s_and_b64 s[8:9], s[8:9], exec
	s_or_b64 s[4:5], s[4:5], s[8:9]
	s_or_b64 exec, exec, s[6:7]
	s_and_saveexec_b64 s[6:7], s[4:5]
	s_cbranch_execz .LBB1_34661
; %bb.62155:
	s_getpc_b64 s[14:15]
.Lpost_getpc16741:
	s_add_u32 s14, s14, (.LBB1_11979-.Lpost_getpc16741)&4294967295
	s_addc_u32 s15, s15, (.LBB1_11979-.Lpost_getpc16741)>>32
	s_setpc_b64 s[14:15]
.LBB1_34661:
	s_getpc_b64 s[14:15]
.Lpost_getpc2994:
	s_add_u32 s14, s14, (.LBB1_11980-.Lpost_getpc2994)&4294967295
	s_addc_u32 s15, s15, (.LBB1_11980-.Lpost_getpc2994)>>32
	s_setpc_b64 s[14:15]
.LBB1_26317:
	s_movk_i32 s4, 0x80
	v_cmp_eq_u16_sdwa s[12:13], v3, s4 src0_sel:BYTE_0 src1_sel:DWORD
	s_mov_b64 s[4:5], -1
                                        ; implicit-def: $sgpr10
	s_and_saveexec_b64 s[8:9], s[12:13]
; %bb.26318:
	s_mov_b32 s10, 0x7f800001
	s_xor_b64 s[4:5], exec, -1
; %bb.26319:
	s_or_b64 exec, exec, s[8:9]
	s_and_b64 s[4:5], s[4:5], exec
	s_or_saveexec_b64 s[6:7], s[6:7]
	v_mov_b32_e32 v6, s10
	s_xor_b64 exec, exec, s[6:7]
	s_cbranch_execnz .LBB1_26320
; %bb.62157:
	s_getpc_b64 s[14:15]
.Lpost_getpc16742:
	s_add_u32 s14, s14, (.LBB1_11982-.Lpost_getpc16742)&4294967295
	s_addc_u32 s15, s15, (.LBB1_11982-.Lpost_getpc16742)>>32
	s_setpc_b64 s[14:15]
.LBB1_26320:
	v_mov_b32_e32 v6, 0
	v_cmp_ne_u16_sdwa s[8:9], v3, v6 src0_sel:BYTE_0 src1_sel:DWORD
	s_andn2_b64 s[4:5], s[4:5], exec
	s_and_b64 s[8:9], s[8:9], exec
	s_or_b64 s[4:5], s[4:5], s[8:9]
	s_or_b64 exec, exec, s[6:7]
	s_and_saveexec_b64 s[6:7], s[4:5]
	s_cbranch_execz .LBB1_34663
; %bb.62159:
	s_getpc_b64 s[14:15]
.Lpost_getpc16743:
	s_add_u32 s14, s14, (.LBB1_11983-.Lpost_getpc16743)&4294967295
	s_addc_u32 s15, s15, (.LBB1_11983-.Lpost_getpc16743)>>32
	s_setpc_b64 s[14:15]
.LBB1_34663:
	s_getpc_b64 s[14:15]
.Lpost_getpc2995:
	s_add_u32 s14, s14, (.LBB1_11984-.Lpost_getpc2995)&4294967295
	s_addc_u32 s15, s15, (.LBB1_11984-.Lpost_getpc2995)>>32
	s_setpc_b64 s[14:15]
.LBB1_26321:
	s_movk_i32 s4, 0x80
	v_cmp_eq_u16_e32 vcc, s4, v3
	s_mov_b64 s[4:5], -1
                                        ; implicit-def: $sgpr10
	s_and_saveexec_b64 s[8:9], vcc
; %bb.26322:
	s_mov_b32 s10, 0x7f800001
	s_xor_b64 s[4:5], exec, -1
; %bb.26323:
	s_or_b64 exec, exec, s[8:9]
	s_and_b64 s[4:5], s[4:5], exec
                                        ; implicit-def: $vgpr3
	s_or_saveexec_b64 s[6:7], s[6:7]
	v_mov_b32_e32 v2, s10
	s_xor_b64 exec, exec, s[6:7]
	s_cbranch_execnz .LBB1_26324
; %bb.62161:
	s_getpc_b64 s[14:15]
.Lpost_getpc16744:
	s_add_u32 s14, s14, (.LBB1_11986-.Lpost_getpc16744)&4294967295
	s_addc_u32 s15, s15, (.LBB1_11986-.Lpost_getpc16744)>>32
	s_setpc_b64 s[14:15]
.LBB1_26324:
	v_cmp_ne_u16_e32 vcc, 0, v3
	s_andn2_b64 s[4:5], s[4:5], exec
	s_and_b64 s[8:9], vcc, exec
	v_mov_b32_e32 v2, 0
	s_or_b64 s[4:5], s[4:5], s[8:9]
	s_or_b64 exec, exec, s[6:7]
	s_and_saveexec_b64 s[6:7], s[4:5]
	s_cbranch_execz .LBB1_34665
; %bb.62163:
	s_getpc_b64 s[14:15]
.Lpost_getpc16745:
	s_add_u32 s14, s14, (.LBB1_11987-.Lpost_getpc16745)&4294967295
	s_addc_u32 s15, s15, (.LBB1_11987-.Lpost_getpc16745)>>32
	s_setpc_b64 s[14:15]
.LBB1_34665:
	s_getpc_b64 s[14:15]
.Lpost_getpc2996:
	s_add_u32 s14, s14, (.LBB1_11988-.Lpost_getpc2996)&4294967295
	s_addc_u32 s15, s15, (.LBB1_11988-.Lpost_getpc2996)>>32
	s_setpc_b64 s[14:15]
.LBB1_26325:
	s_movk_i32 s4, 0x80
	v_cmp_eq_u16_e32 vcc, s4, v3
	s_mov_b64 s[4:5], -1
                                        ; implicit-def: $sgpr10
	s_and_saveexec_b64 s[8:9], vcc
; %bb.26326:
	s_mov_b32 s10, 0x7f800001
	s_xor_b64 s[4:5], exec, -1
; %bb.26327:
	s_or_b64 exec, exec, s[8:9]
	s_and_b64 s[4:5], s[4:5], exec
                                        ; implicit-def: $vgpr3
	s_or_saveexec_b64 s[6:7], s[6:7]
	v_mov_b32_e32 v6, s10
	s_xor_b64 exec, exec, s[6:7]
	s_cbranch_execnz .LBB1_26328
; %bb.62165:
	s_getpc_b64 s[14:15]
.Lpost_getpc16746:
	s_add_u32 s14, s14, (.LBB1_11990-.Lpost_getpc16746)&4294967295
	s_addc_u32 s15, s15, (.LBB1_11990-.Lpost_getpc16746)>>32
	s_setpc_b64 s[14:15]
.LBB1_26328:
	v_cmp_ne_u16_e32 vcc, 0, v3
	s_andn2_b64 s[4:5], s[4:5], exec
	s_and_b64 s[8:9], vcc, exec
	v_mov_b32_e32 v6, 0
	s_or_b64 s[4:5], s[4:5], s[8:9]
	s_or_b64 exec, exec, s[6:7]
	s_and_saveexec_b64 s[6:7], s[4:5]
	s_cbranch_execz .LBB1_34667
; %bb.62167:
	s_getpc_b64 s[14:15]
.Lpost_getpc16747:
	s_add_u32 s14, s14, (.LBB1_11991-.Lpost_getpc16747)&4294967295
	s_addc_u32 s15, s15, (.LBB1_11991-.Lpost_getpc16747)>>32
	s_setpc_b64 s[14:15]
.LBB1_34667:
	s_getpc_b64 s[14:15]
.Lpost_getpc2997:
	s_add_u32 s14, s14, (.LBB1_11992-.Lpost_getpc2997)&4294967295
	s_addc_u32 s15, s15, (.LBB1_11992-.Lpost_getpc2997)>>32
	s_setpc_b64 s[14:15]
.LBB1_26329:
	s_movk_i32 s4, 0x80
	v_cmp_eq_u16_sdwa s[12:13], v8, s4 src0_sel:BYTE_3 src1_sel:DWORD
	s_mov_b64 s[4:5], -1
                                        ; implicit-def: $sgpr10
	s_and_saveexec_b64 s[8:9], s[12:13]
; %bb.26330:
	s_mov_b32 s10, 0x7f800001
	s_xor_b64 s[4:5], exec, -1
; %bb.26331:
	s_or_b64 exec, exec, s[8:9]
	s_and_b64 s[4:5], s[4:5], exec
	s_or_saveexec_b64 s[6:7], s[6:7]
	v_mov_b32_e32 v2, s10
	s_xor_b64 exec, exec, s[6:7]
	s_cbranch_execnz .LBB1_26332
; %bb.62169:
	s_getpc_b64 s[14:15]
.Lpost_getpc16748:
	s_add_u32 s14, s14, (.LBB1_11994-.Lpost_getpc16748)&4294967295
	s_addc_u32 s15, s15, (.LBB1_11994-.Lpost_getpc16748)>>32
	s_setpc_b64 s[14:15]
.LBB1_26332:
	v_mov_b32_e32 v2, 0
	v_cmp_ne_u16_sdwa s[8:9], v8, v2 src0_sel:BYTE_3 src1_sel:DWORD
	s_andn2_b64 s[4:5], s[4:5], exec
	s_and_b64 s[8:9], s[8:9], exec
	s_or_b64 s[4:5], s[4:5], s[8:9]
	s_or_b64 exec, exec, s[6:7]
	s_and_saveexec_b64 s[6:7], s[4:5]
	s_cbranch_execz .LBB1_34669
; %bb.62171:
	s_getpc_b64 s[14:15]
.Lpost_getpc16749:
	s_add_u32 s14, s14, (.LBB1_11995-.Lpost_getpc16749)&4294967295
	s_addc_u32 s15, s15, (.LBB1_11995-.Lpost_getpc16749)>>32
	s_setpc_b64 s[14:15]
.LBB1_34669:
	s_getpc_b64 s[14:15]
.Lpost_getpc2998:
	s_add_u32 s14, s14, (.LBB1_11996-.Lpost_getpc2998)&4294967295
	s_addc_u32 s15, s15, (.LBB1_11996-.Lpost_getpc2998)>>32
	s_setpc_b64 s[14:15]
.LBB1_26333:
	s_movk_i32 s4, 0x80
	v_cmp_eq_u16_sdwa s[12:13], v4, s4 src0_sel:BYTE_3 src1_sel:DWORD
	s_mov_b64 s[4:5], -1
                                        ; implicit-def: $sgpr10
	s_and_saveexec_b64 s[8:9], s[12:13]
; %bb.26334:
	s_mov_b32 s10, 0x7f800001
	s_xor_b64 s[4:5], exec, -1
; %bb.26335:
	s_or_b64 exec, exec, s[8:9]
	s_and_b64 s[4:5], s[4:5], exec
	s_or_saveexec_b64 s[6:7], s[6:7]
	v_mov_b32_e32 v3, s10
	s_xor_b64 exec, exec, s[6:7]
	s_cbranch_execnz .LBB1_26336
; %bb.62173:
	s_getpc_b64 s[14:15]
.Lpost_getpc16750:
	s_add_u32 s14, s14, (.LBB1_11998-.Lpost_getpc16750)&4294967295
	s_addc_u32 s15, s15, (.LBB1_11998-.Lpost_getpc16750)>>32
	s_setpc_b64 s[14:15]
.LBB1_26336:
	v_mov_b32_e32 v3, 0
	v_cmp_ne_u16_sdwa s[8:9], v4, v3 src0_sel:BYTE_3 src1_sel:DWORD
	s_andn2_b64 s[4:5], s[4:5], exec
	s_and_b64 s[8:9], s[8:9], exec
	s_or_b64 s[4:5], s[4:5], s[8:9]
	s_or_b64 exec, exec, s[6:7]
	s_and_saveexec_b64 s[6:7], s[4:5]
	s_cbranch_execz .LBB1_34671
; %bb.62175:
	s_getpc_b64 s[14:15]
.Lpost_getpc16751:
	s_add_u32 s14, s14, (.LBB1_11999-.Lpost_getpc16751)&4294967295
	s_addc_u32 s15, s15, (.LBB1_11999-.Lpost_getpc16751)>>32
	s_setpc_b64 s[14:15]
.LBB1_34671:
	s_getpc_b64 s[14:15]
.Lpost_getpc2999:
	s_add_u32 s14, s14, (.LBB1_12000-.Lpost_getpc2999)&4294967295
	s_addc_u32 s15, s15, (.LBB1_12000-.Lpost_getpc2999)>>32
	s_setpc_b64 s[14:15]
.LBB1_26337:
	s_movk_i32 s4, 0x80
	v_cmp_eq_u16_sdwa s[12:13], v9, s4 src0_sel:BYTE_0 src1_sel:DWORD
	s_mov_b64 s[4:5], -1
                                        ; implicit-def: $sgpr10
	s_and_saveexec_b64 s[8:9], s[12:13]
; %bb.26338:
	s_mov_b32 s10, 0x7f800001
	s_xor_b64 s[4:5], exec, -1
; %bb.26339:
	s_or_b64 exec, exec, s[8:9]
	s_and_b64 s[4:5], s[4:5], exec
	s_or_saveexec_b64 s[6:7], s[6:7]
	v_mov_b32_e32 v2, s10
	s_xor_b64 exec, exec, s[6:7]
	s_cbranch_execnz .LBB1_26340
; %bb.62177:
	s_getpc_b64 s[14:15]
.Lpost_getpc16752:
	s_add_u32 s14, s14, (.LBB1_12002-.Lpost_getpc16752)&4294967295
	s_addc_u32 s15, s15, (.LBB1_12002-.Lpost_getpc16752)>>32
	s_setpc_b64 s[14:15]
.LBB1_26340:
	v_mov_b32_e32 v2, 0
	v_cmp_ne_u16_sdwa s[8:9], v9, v2 src0_sel:BYTE_0 src1_sel:DWORD
	s_andn2_b64 s[4:5], s[4:5], exec
	s_and_b64 s[8:9], s[8:9], exec
	s_or_b64 s[4:5], s[4:5], s[8:9]
	s_or_b64 exec, exec, s[6:7]
	s_and_saveexec_b64 s[6:7], s[4:5]
	s_cbranch_execz .LBB1_34673
; %bb.62179:
	s_getpc_b64 s[14:15]
.Lpost_getpc16753:
	s_add_u32 s14, s14, (.LBB1_12003-.Lpost_getpc16753)&4294967295
	s_addc_u32 s15, s15, (.LBB1_12003-.Lpost_getpc16753)>>32
	s_setpc_b64 s[14:15]
.LBB1_34673:
	s_getpc_b64 s[14:15]
.Lpost_getpc3000:
	s_add_u32 s14, s14, (.LBB1_12004-.Lpost_getpc3000)&4294967295
	s_addc_u32 s15, s15, (.LBB1_12004-.Lpost_getpc3000)>>32
	s_setpc_b64 s[14:15]
.LBB1_26341:
	s_movk_i32 s4, 0x80
	v_cmp_eq_u16_sdwa s[12:13], v5, s4 src0_sel:BYTE_0 src1_sel:DWORD
	s_mov_b64 s[4:5], -1
                                        ; implicit-def: $sgpr10
	s_and_saveexec_b64 s[8:9], s[12:13]
; %bb.26342:
	s_mov_b32 s10, 0x7f800001
	s_xor_b64 s[4:5], exec, -1
; %bb.26343:
	s_or_b64 exec, exec, s[8:9]
	s_and_b64 s[4:5], s[4:5], exec
	s_or_saveexec_b64 s[6:7], s[6:7]
	v_mov_b32_e32 v3, s10
	s_xor_b64 exec, exec, s[6:7]
	s_cbranch_execnz .LBB1_26344
; %bb.62181:
	s_getpc_b64 s[14:15]
.Lpost_getpc16754:
	s_add_u32 s14, s14, (.LBB1_12006-.Lpost_getpc16754)&4294967295
	s_addc_u32 s15, s15, (.LBB1_12006-.Lpost_getpc16754)>>32
	s_setpc_b64 s[14:15]
.LBB1_26344:
	v_mov_b32_e32 v3, 0
	v_cmp_ne_u16_sdwa s[8:9], v5, v3 src0_sel:BYTE_0 src1_sel:DWORD
	s_andn2_b64 s[4:5], s[4:5], exec
	s_and_b64 s[8:9], s[8:9], exec
	s_or_b64 s[4:5], s[4:5], s[8:9]
	s_or_b64 exec, exec, s[6:7]
	s_and_saveexec_b64 s[6:7], s[4:5]
	s_cbranch_execz .LBB1_34675
; %bb.62183:
	s_getpc_b64 s[14:15]
.Lpost_getpc16755:
	s_add_u32 s14, s14, (.LBB1_12007-.Lpost_getpc16755)&4294967295
	s_addc_u32 s15, s15, (.LBB1_12007-.Lpost_getpc16755)>>32
	s_setpc_b64 s[14:15]
.LBB1_34675:
	s_getpc_b64 s[14:15]
.Lpost_getpc3001:
	s_add_u32 s14, s14, (.LBB1_12008-.Lpost_getpc3001)&4294967295
	s_addc_u32 s15, s15, (.LBB1_12008-.Lpost_getpc3001)>>32
	s_setpc_b64 s[14:15]
.LBB1_26345:
	s_movk_i32 s4, 0x80
	v_cmp_eq_u16_sdwa s[12:13], v3, s4 src0_sel:BYTE_0 src1_sel:DWORD
	s_mov_b64 s[4:5], -1
                                        ; implicit-def: $sgpr10
	s_and_saveexec_b64 s[8:9], s[12:13]
; %bb.26346:
	s_mov_b32 s10, 0x7f800001
	s_xor_b64 s[4:5], exec, -1
; %bb.26347:
	s_or_b64 exec, exec, s[8:9]
	s_and_b64 s[4:5], s[4:5], exec
	s_or_saveexec_b64 s[6:7], s[6:7]
	v_mov_b32_e32 v2, s10
	s_xor_b64 exec, exec, s[6:7]
	s_cbranch_execnz .LBB1_26348
; %bb.62185:
	s_getpc_b64 s[14:15]
.Lpost_getpc16756:
	s_add_u32 s14, s14, (.LBB1_12010-.Lpost_getpc16756)&4294967295
	s_addc_u32 s15, s15, (.LBB1_12010-.Lpost_getpc16756)>>32
	s_setpc_b64 s[14:15]
.LBB1_26348:
	v_mov_b32_e32 v2, 0
	v_cmp_ne_u16_sdwa s[8:9], v3, v2 src0_sel:BYTE_0 src1_sel:DWORD
	s_andn2_b64 s[4:5], s[4:5], exec
	s_and_b64 s[8:9], s[8:9], exec
	s_or_b64 s[4:5], s[4:5], s[8:9]
	s_or_b64 exec, exec, s[6:7]
	s_and_saveexec_b64 s[6:7], s[4:5]
	s_cbranch_execz .LBB1_34677
; %bb.62187:
	s_getpc_b64 s[14:15]
.Lpost_getpc16757:
	s_add_u32 s14, s14, (.LBB1_12011-.Lpost_getpc16757)&4294967295
	s_addc_u32 s15, s15, (.LBB1_12011-.Lpost_getpc16757)>>32
	s_setpc_b64 s[14:15]
.LBB1_34677:
	s_getpc_b64 s[14:15]
.Lpost_getpc3002:
	s_add_u32 s14, s14, (.LBB1_12012-.Lpost_getpc3002)&4294967295
	s_addc_u32 s15, s15, (.LBB1_12012-.Lpost_getpc3002)>>32
	s_setpc_b64 s[14:15]
.LBB1_26349:
	s_movk_i32 s4, 0x80
	v_cmp_eq_u16_sdwa s[12:13], v3, s4 src0_sel:BYTE_0 src1_sel:DWORD
	s_mov_b64 s[4:5], -1
                                        ; implicit-def: $sgpr10
	s_and_saveexec_b64 s[8:9], s[12:13]
; %bb.26350:
	s_mov_b32 s10, 0x7f800001
	s_xor_b64 s[4:5], exec, -1
; %bb.26351:
	s_or_b64 exec, exec, s[8:9]
	s_and_b64 s[4:5], s[4:5], exec
	s_or_saveexec_b64 s[6:7], s[6:7]
	v_mov_b32_e32 v4, s10
	s_xor_b64 exec, exec, s[6:7]
	s_cbranch_execnz .LBB1_26352
; %bb.62189:
	s_getpc_b64 s[14:15]
.Lpost_getpc16758:
	s_add_u32 s14, s14, (.LBB1_12014-.Lpost_getpc16758)&4294967295
	s_addc_u32 s15, s15, (.LBB1_12014-.Lpost_getpc16758)>>32
	s_setpc_b64 s[14:15]
.LBB1_26352:
	v_mov_b32_e32 v4, 0
	v_cmp_ne_u16_sdwa s[8:9], v3, v4 src0_sel:BYTE_0 src1_sel:DWORD
	s_andn2_b64 s[4:5], s[4:5], exec
	s_and_b64 s[8:9], s[8:9], exec
	s_or_b64 s[4:5], s[4:5], s[8:9]
	s_or_b64 exec, exec, s[6:7]
	s_and_saveexec_b64 s[6:7], s[4:5]
	s_cbranch_execz .LBB1_34679
; %bb.62191:
	s_getpc_b64 s[14:15]
.Lpost_getpc16759:
	s_add_u32 s14, s14, (.LBB1_12015-.Lpost_getpc16759)&4294967295
	s_addc_u32 s15, s15, (.LBB1_12015-.Lpost_getpc16759)>>32
	s_setpc_b64 s[14:15]
.LBB1_34679:
	s_getpc_b64 s[14:15]
.Lpost_getpc3003:
	s_add_u32 s14, s14, (.LBB1_12016-.Lpost_getpc3003)&4294967295
	s_addc_u32 s15, s15, (.LBB1_12016-.Lpost_getpc3003)>>32
	s_setpc_b64 s[14:15]
.LBB1_26353:
	s_movk_i32 s4, 0x80
	v_cmp_eq_u16_e32 vcc, s4, v3
	s_mov_b64 s[4:5], -1
                                        ; implicit-def: $sgpr10
	s_and_saveexec_b64 s[8:9], vcc
; %bb.26354:
	s_mov_b32 s10, 0x7f800001
	s_xor_b64 s[4:5], exec, -1
; %bb.26355:
	s_or_b64 exec, exec, s[8:9]
	s_and_b64 s[4:5], s[4:5], exec
                                        ; implicit-def: $vgpr3
	s_or_saveexec_b64 s[6:7], s[6:7]
	v_mov_b32_e32 v2, s10
	s_xor_b64 exec, exec, s[6:7]
	s_cbranch_execnz .LBB1_26356
; %bb.62193:
	s_getpc_b64 s[14:15]
.Lpost_getpc16760:
	s_add_u32 s14, s14, (.LBB1_12018-.Lpost_getpc16760)&4294967295
	s_addc_u32 s15, s15, (.LBB1_12018-.Lpost_getpc16760)>>32
	s_setpc_b64 s[14:15]
.LBB1_26356:
	v_cmp_ne_u16_e32 vcc, 0, v3
	s_andn2_b64 s[4:5], s[4:5], exec
	s_and_b64 s[8:9], vcc, exec
	v_mov_b32_e32 v2, 0
	s_or_b64 s[4:5], s[4:5], s[8:9]
	s_or_b64 exec, exec, s[6:7]
	s_and_saveexec_b64 s[6:7], s[4:5]
	s_cbranch_execz .LBB1_34681
; %bb.62195:
	s_getpc_b64 s[14:15]
.Lpost_getpc16761:
	s_add_u32 s14, s14, (.LBB1_12019-.Lpost_getpc16761)&4294967295
	s_addc_u32 s15, s15, (.LBB1_12019-.Lpost_getpc16761)>>32
	s_setpc_b64 s[14:15]
.LBB1_34681:
	s_getpc_b64 s[14:15]
.Lpost_getpc3004:
	s_add_u32 s14, s14, (.LBB1_12020-.Lpost_getpc3004)&4294967295
	s_addc_u32 s15, s15, (.LBB1_12020-.Lpost_getpc3004)>>32
	s_setpc_b64 s[14:15]
.LBB1_26357:
	s_movk_i32 s4, 0x80
	v_cmp_eq_u16_e32 vcc, s4, v3
	s_mov_b64 s[4:5], -1
                                        ; implicit-def: $sgpr10
	s_and_saveexec_b64 s[8:9], vcc
; %bb.26358:
	s_mov_b32 s10, 0x7f800001
	s_xor_b64 s[4:5], exec, -1
; %bb.26359:
	s_or_b64 exec, exec, s[8:9]
	s_and_b64 s[4:5], s[4:5], exec
                                        ; implicit-def: $vgpr3
	s_or_saveexec_b64 s[6:7], s[6:7]
	v_mov_b32_e32 v4, s10
	s_xor_b64 exec, exec, s[6:7]
	s_cbranch_execnz .LBB1_26360
; %bb.62197:
	s_getpc_b64 s[14:15]
.Lpost_getpc16762:
	s_add_u32 s14, s14, (.LBB1_12022-.Lpost_getpc16762)&4294967295
	s_addc_u32 s15, s15, (.LBB1_12022-.Lpost_getpc16762)>>32
	s_setpc_b64 s[14:15]
.LBB1_26360:
	v_cmp_ne_u16_e32 vcc, 0, v3
	s_andn2_b64 s[4:5], s[4:5], exec
	s_and_b64 s[8:9], vcc, exec
	v_mov_b32_e32 v4, 0
	s_or_b64 s[4:5], s[4:5], s[8:9]
	s_or_b64 exec, exec, s[6:7]
	s_and_saveexec_b64 s[6:7], s[4:5]
	s_cbranch_execz .LBB1_34683
; %bb.62199:
	s_getpc_b64 s[14:15]
.Lpost_getpc16763:
	s_add_u32 s14, s14, (.LBB1_12023-.Lpost_getpc16763)&4294967295
	s_addc_u32 s15, s15, (.LBB1_12023-.Lpost_getpc16763)>>32
	s_setpc_b64 s[14:15]
.LBB1_34683:
	s_getpc_b64 s[14:15]
.Lpost_getpc3005:
	s_add_u32 s14, s14, (.LBB1_12024-.Lpost_getpc3005)&4294967295
	s_addc_u32 s15, s15, (.LBB1_12024-.Lpost_getpc3005)>>32
	s_setpc_b64 s[14:15]
.LBB1_26361:
	s_movk_i32 s4, 0x80
	v_cmp_eq_u16_sdwa s[12:13], v9, s4 src0_sel:BYTE_3 src1_sel:DWORD
	s_mov_b64 s[4:5], -1
                                        ; implicit-def: $sgpr10
	s_and_saveexec_b64 s[8:9], s[12:13]
; %bb.26362:
	s_mov_b32 s10, 0x7f800001
	s_xor_b64 s[4:5], exec, -1
; %bb.26363:
	s_or_b64 exec, exec, s[8:9]
	s_and_b64 s[4:5], s[4:5], exec
	s_or_saveexec_b64 s[6:7], s[6:7]
	v_mov_b32_e32 v2, s10
	s_xor_b64 exec, exec, s[6:7]
	s_cbranch_execnz .LBB1_26364
; %bb.62201:
	s_getpc_b64 s[14:15]
.Lpost_getpc16764:
	s_add_u32 s14, s14, (.LBB1_12026-.Lpost_getpc16764)&4294967295
	s_addc_u32 s15, s15, (.LBB1_12026-.Lpost_getpc16764)>>32
	s_setpc_b64 s[14:15]
.LBB1_26364:
	v_mov_b32_e32 v2, 0
	v_cmp_ne_u16_sdwa s[8:9], v9, v2 src0_sel:BYTE_3 src1_sel:DWORD
	s_andn2_b64 s[4:5], s[4:5], exec
	s_and_b64 s[8:9], s[8:9], exec
	s_or_b64 s[4:5], s[4:5], s[8:9]
	s_or_b64 exec, exec, s[6:7]
	s_and_saveexec_b64 s[6:7], s[4:5]
	s_cbranch_execz .LBB1_34685
; %bb.62203:
	s_getpc_b64 s[14:15]
.Lpost_getpc16765:
	s_add_u32 s14, s14, (.LBB1_12027-.Lpost_getpc16765)&4294967295
	s_addc_u32 s15, s15, (.LBB1_12027-.Lpost_getpc16765)>>32
	s_setpc_b64 s[14:15]
.LBB1_34685:
	s_getpc_b64 s[14:15]
.Lpost_getpc3006:
	s_add_u32 s14, s14, (.LBB1_12028-.Lpost_getpc3006)&4294967295
	s_addc_u32 s15, s15, (.LBB1_12028-.Lpost_getpc3006)>>32
	s_setpc_b64 s[14:15]
.LBB1_26365:
	s_movk_i32 s4, 0x80
	v_cmp_eq_u16_sdwa s[12:13], v5, s4 src0_sel:BYTE_3 src1_sel:DWORD
	s_mov_b64 s[4:5], -1
                                        ; implicit-def: $sgpr10
	s_and_saveexec_b64 s[8:9], s[12:13]
; %bb.26366:
	s_mov_b32 s10, 0x7f800001
	s_xor_b64 s[4:5], exec, -1
; %bb.26367:
	s_or_b64 exec, exec, s[8:9]
	s_and_b64 s[4:5], s[4:5], exec
	s_or_saveexec_b64 s[6:7], s[6:7]
	v_mov_b32_e32 v3, s10
	s_xor_b64 exec, exec, s[6:7]
	s_cbranch_execnz .LBB1_26368
; %bb.62205:
	s_getpc_b64 s[14:15]
.Lpost_getpc16766:
	s_add_u32 s14, s14, (.LBB1_12030-.Lpost_getpc16766)&4294967295
	s_addc_u32 s15, s15, (.LBB1_12030-.Lpost_getpc16766)>>32
	s_setpc_b64 s[14:15]
.LBB1_26368:
	v_mov_b32_e32 v3, 0
	v_cmp_ne_u16_sdwa s[8:9], v5, v3 src0_sel:BYTE_3 src1_sel:DWORD
	s_andn2_b64 s[4:5], s[4:5], exec
	s_and_b64 s[8:9], s[8:9], exec
	s_or_b64 s[4:5], s[4:5], s[8:9]
	s_or_b64 exec, exec, s[6:7]
	s_and_saveexec_b64 s[6:7], s[4:5]
	s_cbranch_execz .LBB1_34687
; %bb.62207:
	s_getpc_b64 s[14:15]
.Lpost_getpc16767:
	s_add_u32 s14, s14, (.LBB1_12031-.Lpost_getpc16767)&4294967295
	s_addc_u32 s15, s15, (.LBB1_12031-.Lpost_getpc16767)>>32
	s_setpc_b64 s[14:15]
.LBB1_34687:
	s_getpc_b64 s[14:15]
.Lpost_getpc3007:
	s_add_u32 s14, s14, (.LBB1_12032-.Lpost_getpc3007)&4294967295
	s_addc_u32 s15, s15, (.LBB1_12032-.Lpost_getpc3007)>>32
	s_setpc_b64 s[14:15]
.LBB1_26369:
	s_movk_i32 s4, 0x80
	v_cmp_eq_u16_sdwa s[12:13], v6, s4 src0_sel:BYTE_0 src1_sel:DWORD
	s_mov_b64 s[4:5], -1
                                        ; implicit-def: $sgpr10
	s_and_saveexec_b64 s[8:9], s[12:13]
; %bb.26370:
	s_mov_b32 s10, 0x7f800001
	s_xor_b64 s[4:5], exec, -1
; %bb.26371:
	s_or_b64 exec, exec, s[8:9]
	s_and_b64 s[4:5], s[4:5], exec
	s_or_saveexec_b64 s[6:7], s[6:7]
	v_mov_b32_e32 v12, s10
	s_xor_b64 exec, exec, s[6:7]
	s_cbranch_execnz .LBB1_26372
; %bb.62209:
	s_getpc_b64 s[14:15]
.Lpost_getpc16768:
	s_add_u32 s14, s14, (.LBB1_12034-.Lpost_getpc16768)&4294967295
	s_addc_u32 s15, s15, (.LBB1_12034-.Lpost_getpc16768)>>32
	s_setpc_b64 s[14:15]
.LBB1_26372:
	v_mov_b32_e32 v12, 0
	v_cmp_ne_u16_sdwa s[8:9], v6, v12 src0_sel:BYTE_0 src1_sel:DWORD
	s_andn2_b64 s[4:5], s[4:5], exec
	s_and_b64 s[8:9], s[8:9], exec
	s_or_b64 s[4:5], s[4:5], s[8:9]
	s_or_b64 exec, exec, s[6:7]
	s_and_saveexec_b64 s[6:7], s[4:5]
	s_cbranch_execz .LBB1_34689
; %bb.62211:
	s_getpc_b64 s[14:15]
.Lpost_getpc16769:
	s_add_u32 s14, s14, (.LBB1_12035-.Lpost_getpc16769)&4294967295
	s_addc_u32 s15, s15, (.LBB1_12035-.Lpost_getpc16769)>>32
	s_setpc_b64 s[14:15]
.LBB1_34689:
	s_getpc_b64 s[14:15]
.Lpost_getpc3008:
	s_add_u32 s14, s14, (.LBB1_12036-.Lpost_getpc3008)&4294967295
	s_addc_u32 s15, s15, (.LBB1_12036-.Lpost_getpc3008)>>32
	s_setpc_b64 s[14:15]
.LBB1_26373:
	s_movk_i32 s4, 0x80
	v_cmp_eq_u16_sdwa s[12:13], v2, s4 src0_sel:BYTE_0 src1_sel:DWORD
	s_mov_b64 s[4:5], -1
                                        ; implicit-def: $sgpr10
	s_and_saveexec_b64 s[8:9], s[12:13]
; %bb.26374:
	s_mov_b32 s10, 0x7f800001
	s_xor_b64 s[4:5], exec, -1
; %bb.26375:
	s_or_b64 exec, exec, s[8:9]
	s_and_b64 s[4:5], s[4:5], exec
	s_or_saveexec_b64 s[6:7], s[6:7]
	v_mov_b32_e32 v13, s10
	s_xor_b64 exec, exec, s[6:7]
	s_cbranch_execnz .LBB1_26376
; %bb.62213:
	s_getpc_b64 s[14:15]
.Lpost_getpc16770:
	s_add_u32 s14, s14, (.LBB1_12038-.Lpost_getpc16770)&4294967295
	s_addc_u32 s15, s15, (.LBB1_12038-.Lpost_getpc16770)>>32
	s_setpc_b64 s[14:15]
.LBB1_26376:
	v_mov_b32_e32 v13, 0
	v_cmp_ne_u16_sdwa s[8:9], v2, v13 src0_sel:BYTE_0 src1_sel:DWORD
	s_andn2_b64 s[4:5], s[4:5], exec
	s_and_b64 s[8:9], s[8:9], exec
	s_or_b64 s[4:5], s[4:5], s[8:9]
	s_or_b64 exec, exec, s[6:7]
	s_and_saveexec_b64 s[6:7], s[4:5]
	s_cbranch_execz .LBB1_34691
; %bb.62215:
	s_getpc_b64 s[14:15]
.Lpost_getpc16771:
	s_add_u32 s14, s14, (.LBB1_12039-.Lpost_getpc16771)&4294967295
	s_addc_u32 s15, s15, (.LBB1_12039-.Lpost_getpc16771)>>32
	s_setpc_b64 s[14:15]
.LBB1_34691:
	s_getpc_b64 s[14:15]
.Lpost_getpc3009:
	s_add_u32 s14, s14, (.LBB1_12040-.Lpost_getpc3009)&4294967295
	s_addc_u32 s15, s15, (.LBB1_12040-.Lpost_getpc3009)>>32
	s_setpc_b64 s[14:15]
.LBB1_26377:
	s_movk_i32 s4, 0x80
	v_cmp_eq_u16_sdwa s[12:13], v13, s4 src0_sel:BYTE_0 src1_sel:DWORD
	s_mov_b64 s[4:5], -1
                                        ; implicit-def: $sgpr10
	s_and_saveexec_b64 s[8:9], s[12:13]
; %bb.26378:
	s_mov_b32 s10, 0x7f800001
	s_xor_b64 s[4:5], exec, -1
; %bb.26379:
	s_or_b64 exec, exec, s[8:9]
	s_and_b64 s[4:5], s[4:5], exec
	s_or_saveexec_b64 s[6:7], s[6:7]
	v_mov_b32_e32 v12, s10
	s_xor_b64 exec, exec, s[6:7]
	s_cbranch_execnz .LBB1_26380
; %bb.62217:
	s_getpc_b64 s[14:15]
.Lpost_getpc16772:
	s_add_u32 s14, s14, (.LBB1_12042-.Lpost_getpc16772)&4294967295
	s_addc_u32 s15, s15, (.LBB1_12042-.Lpost_getpc16772)>>32
	s_setpc_b64 s[14:15]
.LBB1_26380:
	v_mov_b32_e32 v12, 0
	v_cmp_ne_u16_sdwa s[8:9], v13, v12 src0_sel:BYTE_0 src1_sel:DWORD
	s_andn2_b64 s[4:5], s[4:5], exec
	s_and_b64 s[8:9], s[8:9], exec
	s_or_b64 s[4:5], s[4:5], s[8:9]
	s_or_b64 exec, exec, s[6:7]
	s_and_saveexec_b64 s[6:7], s[4:5]
	s_cbranch_execz .LBB1_34693
; %bb.62219:
	s_getpc_b64 s[14:15]
.Lpost_getpc16773:
	s_add_u32 s14, s14, (.LBB1_12043-.Lpost_getpc16773)&4294967295
	s_addc_u32 s15, s15, (.LBB1_12043-.Lpost_getpc16773)>>32
	s_setpc_b64 s[14:15]
.LBB1_34693:
	s_getpc_b64 s[14:15]
.Lpost_getpc3010:
	s_add_u32 s14, s14, (.LBB1_12044-.Lpost_getpc3010)&4294967295
	s_addc_u32 s15, s15, (.LBB1_12044-.Lpost_getpc3010)>>32
	s_setpc_b64 s[14:15]
.LBB1_26381:
	s_movk_i32 s4, 0x80
	v_cmp_eq_u16_sdwa s[12:13], v13, s4 src0_sel:BYTE_0 src1_sel:DWORD
	s_mov_b64 s[4:5], -1
                                        ; implicit-def: $sgpr10
	s_and_saveexec_b64 s[8:9], s[12:13]
; %bb.26382:
	s_mov_b32 s10, 0x7f800001
	s_xor_b64 s[4:5], exec, -1
; %bb.26383:
	s_or_b64 exec, exec, s[8:9]
	s_and_b64 s[4:5], s[4:5], exec
	s_or_saveexec_b64 s[6:7], s[6:7]
	v_mov_b32_e32 v14, s10
	s_xor_b64 exec, exec, s[6:7]
	s_cbranch_execnz .LBB1_26384
; %bb.62221:
	s_getpc_b64 s[14:15]
.Lpost_getpc16774:
	s_add_u32 s14, s14, (.LBB1_12046-.Lpost_getpc16774)&4294967295
	s_addc_u32 s15, s15, (.LBB1_12046-.Lpost_getpc16774)>>32
	s_setpc_b64 s[14:15]
.LBB1_26384:
	v_mov_b32_e32 v14, 0
	v_cmp_ne_u16_sdwa s[8:9], v13, v14 src0_sel:BYTE_0 src1_sel:DWORD
	s_andn2_b64 s[4:5], s[4:5], exec
	s_and_b64 s[8:9], s[8:9], exec
	s_or_b64 s[4:5], s[4:5], s[8:9]
	s_or_b64 exec, exec, s[6:7]
	s_and_saveexec_b64 s[6:7], s[4:5]
	s_cbranch_execz .LBB1_34695
; %bb.62223:
	s_getpc_b64 s[14:15]
.Lpost_getpc16775:
	s_add_u32 s14, s14, (.LBB1_12047-.Lpost_getpc16775)&4294967295
	s_addc_u32 s15, s15, (.LBB1_12047-.Lpost_getpc16775)>>32
	s_setpc_b64 s[14:15]
.LBB1_34695:
	s_getpc_b64 s[14:15]
.Lpost_getpc3011:
	s_add_u32 s14, s14, (.LBB1_12048-.Lpost_getpc3011)&4294967295
	s_addc_u32 s15, s15, (.LBB1_12048-.Lpost_getpc3011)>>32
	s_setpc_b64 s[14:15]
.LBB1_26385:
	s_movk_i32 s4, 0x80
	v_cmp_eq_u16_e32 vcc, s4, v13
	s_mov_b64 s[4:5], -1
                                        ; implicit-def: $sgpr10
	s_and_saveexec_b64 s[8:9], vcc
; %bb.26386:
	s_mov_b32 s10, 0x7f800001
	s_xor_b64 s[4:5], exec, -1
; %bb.26387:
	s_or_b64 exec, exec, s[8:9]
	s_and_b64 s[4:5], s[4:5], exec
                                        ; implicit-def: $vgpr13
	s_or_saveexec_b64 s[6:7], s[6:7]
	v_mov_b32_e32 v12, s10
	s_xor_b64 exec, exec, s[6:7]
	s_cbranch_execnz .LBB1_26388
; %bb.62225:
	s_getpc_b64 s[14:15]
.Lpost_getpc16776:
	s_add_u32 s14, s14, (.LBB1_12050-.Lpost_getpc16776)&4294967295
	s_addc_u32 s15, s15, (.LBB1_12050-.Lpost_getpc16776)>>32
	s_setpc_b64 s[14:15]
.LBB1_26388:
	v_cmp_ne_u16_e32 vcc, 0, v13
	s_andn2_b64 s[4:5], s[4:5], exec
	s_and_b64 s[8:9], vcc, exec
	v_mov_b32_e32 v12, 0
	s_or_b64 s[4:5], s[4:5], s[8:9]
	s_or_b64 exec, exec, s[6:7]
	s_and_saveexec_b64 s[6:7], s[4:5]
	s_cbranch_execz .LBB1_34697
; %bb.62227:
	s_getpc_b64 s[14:15]
.Lpost_getpc16777:
	s_add_u32 s14, s14, (.LBB1_12051-.Lpost_getpc16777)&4294967295
	s_addc_u32 s15, s15, (.LBB1_12051-.Lpost_getpc16777)>>32
	s_setpc_b64 s[14:15]
.LBB1_34697:
	s_getpc_b64 s[14:15]
.Lpost_getpc3012:
	s_add_u32 s14, s14, (.LBB1_12052-.Lpost_getpc3012)&4294967295
	s_addc_u32 s15, s15, (.LBB1_12052-.Lpost_getpc3012)>>32
	s_setpc_b64 s[14:15]
.LBB1_26389:
	s_movk_i32 s4, 0x80
	v_cmp_eq_u16_e32 vcc, s4, v13
	s_mov_b64 s[4:5], -1
                                        ; implicit-def: $sgpr10
	s_and_saveexec_b64 s[8:9], vcc
; %bb.26390:
	s_mov_b32 s10, 0x7f800001
	s_xor_b64 s[4:5], exec, -1
; %bb.26391:
	s_or_b64 exec, exec, s[8:9]
	s_and_b64 s[4:5], s[4:5], exec
                                        ; implicit-def: $vgpr13
	s_or_saveexec_b64 s[6:7], s[6:7]
	v_mov_b32_e32 v14, s10
	s_xor_b64 exec, exec, s[6:7]
	s_cbranch_execnz .LBB1_26392
; %bb.62229:
	s_getpc_b64 s[14:15]
.Lpost_getpc16778:
	s_add_u32 s14, s14, (.LBB1_12054-.Lpost_getpc16778)&4294967295
	s_addc_u32 s15, s15, (.LBB1_12054-.Lpost_getpc16778)>>32
	s_setpc_b64 s[14:15]
.LBB1_26392:
	v_cmp_ne_u16_e32 vcc, 0, v13
	s_andn2_b64 s[4:5], s[4:5], exec
	s_and_b64 s[8:9], vcc, exec
	v_mov_b32_e32 v14, 0
	s_or_b64 s[4:5], s[4:5], s[8:9]
	s_or_b64 exec, exec, s[6:7]
	s_and_saveexec_b64 s[6:7], s[4:5]
	s_cbranch_execz .LBB1_34699
; %bb.62231:
	s_getpc_b64 s[14:15]
.Lpost_getpc16779:
	s_add_u32 s14, s14, (.LBB1_12055-.Lpost_getpc16779)&4294967295
	s_addc_u32 s15, s15, (.LBB1_12055-.Lpost_getpc16779)>>32
	s_setpc_b64 s[14:15]
.LBB1_34699:
	s_getpc_b64 s[14:15]
.Lpost_getpc3013:
	s_add_u32 s14, s14, (.LBB1_12056-.Lpost_getpc3013)&4294967295
	s_addc_u32 s15, s15, (.LBB1_12056-.Lpost_getpc3013)>>32
	s_setpc_b64 s[14:15]
.LBB1_26393:
	s_movk_i32 s4, 0x80
	v_cmp_eq_u16_sdwa s[12:13], v6, s4 src0_sel:BYTE_3 src1_sel:DWORD
	s_mov_b64 s[4:5], -1
                                        ; implicit-def: $sgpr10
	s_and_saveexec_b64 s[8:9], s[12:13]
; %bb.26394:
	s_mov_b32 s10, 0x7f800001
	s_xor_b64 s[4:5], exec, -1
; %bb.26395:
	s_or_b64 exec, exec, s[8:9]
	s_and_b64 s[4:5], s[4:5], exec
	s_or_saveexec_b64 s[6:7], s[6:7]
	v_mov_b32_e32 v12, s10
	s_xor_b64 exec, exec, s[6:7]
	s_cbranch_execnz .LBB1_26396
; %bb.62233:
	s_getpc_b64 s[14:15]
.Lpost_getpc16780:
	s_add_u32 s14, s14, (.LBB1_12058-.Lpost_getpc16780)&4294967295
	s_addc_u32 s15, s15, (.LBB1_12058-.Lpost_getpc16780)>>32
	s_setpc_b64 s[14:15]
.LBB1_26396:
	v_mov_b32_e32 v12, 0
	v_cmp_ne_u16_sdwa s[8:9], v6, v12 src0_sel:BYTE_3 src1_sel:DWORD
	s_andn2_b64 s[4:5], s[4:5], exec
	s_and_b64 s[8:9], s[8:9], exec
	s_or_b64 s[4:5], s[4:5], s[8:9]
	s_or_b64 exec, exec, s[6:7]
	s_and_saveexec_b64 s[6:7], s[4:5]
	s_cbranch_execz .LBB1_34701
; %bb.62235:
	s_getpc_b64 s[14:15]
.Lpost_getpc16781:
	s_add_u32 s14, s14, (.LBB1_12059-.Lpost_getpc16781)&4294967295
	s_addc_u32 s15, s15, (.LBB1_12059-.Lpost_getpc16781)>>32
	s_setpc_b64 s[14:15]
.LBB1_34701:
	s_getpc_b64 s[14:15]
.Lpost_getpc3014:
	s_add_u32 s14, s14, (.LBB1_12060-.Lpost_getpc3014)&4294967295
	s_addc_u32 s15, s15, (.LBB1_12060-.Lpost_getpc3014)>>32
	s_setpc_b64 s[14:15]
.LBB1_26397:
	s_movk_i32 s4, 0x80
	v_cmp_eq_u16_sdwa s[12:13], v2, s4 src0_sel:BYTE_3 src1_sel:DWORD
	s_mov_b64 s[4:5], -1
                                        ; implicit-def: $sgpr10
	s_and_saveexec_b64 s[8:9], s[12:13]
; %bb.26398:
	s_mov_b32 s10, 0x7f800001
	s_xor_b64 s[4:5], exec, -1
; %bb.26399:
	s_or_b64 exec, exec, s[8:9]
	s_and_b64 s[4:5], s[4:5], exec
	s_or_saveexec_b64 s[6:7], s[6:7]
	v_mov_b32_e32 v6, s10
	s_xor_b64 exec, exec, s[6:7]
	s_cbranch_execnz .LBB1_26400
; %bb.62237:
	s_getpc_b64 s[14:15]
.Lpost_getpc16782:
	s_add_u32 s14, s14, (.LBB1_12062-.Lpost_getpc16782)&4294967295
	s_addc_u32 s15, s15, (.LBB1_12062-.Lpost_getpc16782)>>32
	s_setpc_b64 s[14:15]
.LBB1_26400:
	v_mov_b32_e32 v6, 0
	v_cmp_ne_u16_sdwa s[8:9], v2, v6 src0_sel:BYTE_3 src1_sel:DWORD
	s_andn2_b64 s[4:5], s[4:5], exec
	s_and_b64 s[8:9], s[8:9], exec
	s_or_b64 s[4:5], s[4:5], s[8:9]
	s_or_b64 exec, exec, s[6:7]
	s_and_saveexec_b64 s[6:7], s[4:5]
	s_cbranch_execz .LBB1_34703
; %bb.62239:
	s_getpc_b64 s[14:15]
.Lpost_getpc16783:
	s_add_u32 s14, s14, (.LBB1_12063-.Lpost_getpc16783)&4294967295
	s_addc_u32 s15, s15, (.LBB1_12063-.Lpost_getpc16783)>>32
	s_setpc_b64 s[14:15]
.LBB1_34703:
	s_getpc_b64 s[14:15]
.Lpost_getpc3015:
	s_add_u32 s14, s14, (.LBB1_12064-.Lpost_getpc3015)&4294967295
	s_addc_u32 s15, s15, (.LBB1_12064-.Lpost_getpc3015)>>32
	s_setpc_b64 s[14:15]
.LBB1_26401:
	s_movk_i32 s4, 0x80
	v_cmp_eq_u16_sdwa s[12:13], v7, s4 src0_sel:BYTE_0 src1_sel:DWORD
	s_mov_b64 s[4:5], -1
                                        ; implicit-def: $sgpr10
	s_and_saveexec_b64 s[8:9], s[12:13]
; %bb.26402:
	s_mov_b32 s10, 0x7f800001
	s_xor_b64 s[4:5], exec, -1
; %bb.26403:
	s_or_b64 exec, exec, s[8:9]
	s_and_b64 s[4:5], s[4:5], exec
	s_or_saveexec_b64 s[6:7], s[6:7]
	v_mov_b32_e32 v2, s10
	s_xor_b64 exec, exec, s[6:7]
	s_cbranch_execnz .LBB1_26404
; %bb.62241:
	s_getpc_b64 s[14:15]
.Lpost_getpc16784:
	s_add_u32 s14, s14, (.LBB1_12066-.Lpost_getpc16784)&4294967295
	s_addc_u32 s15, s15, (.LBB1_12066-.Lpost_getpc16784)>>32
	s_setpc_b64 s[14:15]
.LBB1_26404:
	v_mov_b32_e32 v2, 0
	v_cmp_ne_u16_sdwa s[8:9], v7, v2 src0_sel:BYTE_0 src1_sel:DWORD
	s_andn2_b64 s[4:5], s[4:5], exec
	s_and_b64 s[8:9], s[8:9], exec
	s_or_b64 s[4:5], s[4:5], s[8:9]
	s_or_b64 exec, exec, s[6:7]
	s_and_saveexec_b64 s[6:7], s[4:5]
	s_cbranch_execz .LBB1_34705
; %bb.62243:
	s_getpc_b64 s[14:15]
.Lpost_getpc16785:
	s_add_u32 s14, s14, (.LBB1_12067-.Lpost_getpc16785)&4294967295
	s_addc_u32 s15, s15, (.LBB1_12067-.Lpost_getpc16785)>>32
	s_setpc_b64 s[14:15]
.LBB1_34705:
	s_getpc_b64 s[14:15]
.Lpost_getpc3016:
	s_add_u32 s14, s14, (.LBB1_12068-.Lpost_getpc3016)&4294967295
	s_addc_u32 s15, s15, (.LBB1_12068-.Lpost_getpc3016)>>32
	s_setpc_b64 s[14:15]
.LBB1_26405:
	s_movk_i32 s4, 0x80
	v_cmp_eq_u16_sdwa s[12:13], v3, s4 src0_sel:BYTE_0 src1_sel:DWORD
	s_mov_b64 s[4:5], -1
                                        ; implicit-def: $sgpr10
	s_and_saveexec_b64 s[8:9], s[12:13]
; %bb.26406:
	s_mov_b32 s10, 0x7f800001
	s_xor_b64 s[4:5], exec, -1
; %bb.26407:
	s_or_b64 exec, exec, s[8:9]
	s_and_b64 s[4:5], s[4:5], exec
	s_or_saveexec_b64 s[6:7], s[6:7]
	v_mov_b32_e32 v6, s10
	s_xor_b64 exec, exec, s[6:7]
	s_cbranch_execnz .LBB1_26408
; %bb.62245:
	s_getpc_b64 s[14:15]
.Lpost_getpc16786:
	s_add_u32 s14, s14, (.LBB1_12070-.Lpost_getpc16786)&4294967295
	s_addc_u32 s15, s15, (.LBB1_12070-.Lpost_getpc16786)>>32
	s_setpc_b64 s[14:15]
.LBB1_26408:
	v_mov_b32_e32 v6, 0
	v_cmp_ne_u16_sdwa s[8:9], v3, v6 src0_sel:BYTE_0 src1_sel:DWORD
	s_andn2_b64 s[4:5], s[4:5], exec
	s_and_b64 s[8:9], s[8:9], exec
	s_or_b64 s[4:5], s[4:5], s[8:9]
	s_or_b64 exec, exec, s[6:7]
	s_and_saveexec_b64 s[6:7], s[4:5]
	s_cbranch_execz .LBB1_34707
; %bb.62247:
	s_getpc_b64 s[14:15]
.Lpost_getpc16787:
	s_add_u32 s14, s14, (.LBB1_12071-.Lpost_getpc16787)&4294967295
	s_addc_u32 s15, s15, (.LBB1_12071-.Lpost_getpc16787)>>32
	s_setpc_b64 s[14:15]
.LBB1_34707:
	s_getpc_b64 s[14:15]
.Lpost_getpc3017:
	s_add_u32 s14, s14, (.LBB1_12072-.Lpost_getpc3017)&4294967295
	s_addc_u32 s15, s15, (.LBB1_12072-.Lpost_getpc3017)>>32
	s_setpc_b64 s[14:15]
.LBB1_26409:
	s_movk_i32 s4, 0x80
	v_cmp_eq_u16_sdwa s[12:13], v6, s4 src0_sel:BYTE_0 src1_sel:DWORD
	s_mov_b64 s[4:5], -1
                                        ; implicit-def: $sgpr10
	s_and_saveexec_b64 s[8:9], s[12:13]
; %bb.26410:
	s_mov_b32 s10, 0x7f800001
	s_xor_b64 s[4:5], exec, -1
; %bb.26411:
	s_or_b64 exec, exec, s[8:9]
	s_and_b64 s[4:5], s[4:5], exec
	s_or_saveexec_b64 s[6:7], s[6:7]
	v_mov_b32_e32 v2, s10
	s_xor_b64 exec, exec, s[6:7]
	s_cbranch_execnz .LBB1_26412
; %bb.62249:
	s_getpc_b64 s[14:15]
.Lpost_getpc16788:
	s_add_u32 s14, s14, (.LBB1_12074-.Lpost_getpc16788)&4294967295
	s_addc_u32 s15, s15, (.LBB1_12074-.Lpost_getpc16788)>>32
	s_setpc_b64 s[14:15]
.LBB1_26412:
	v_mov_b32_e32 v2, 0
	v_cmp_ne_u16_sdwa s[8:9], v6, v2 src0_sel:BYTE_0 src1_sel:DWORD
	s_andn2_b64 s[4:5], s[4:5], exec
	s_and_b64 s[8:9], s[8:9], exec
	s_or_b64 s[4:5], s[4:5], s[8:9]
	s_or_b64 exec, exec, s[6:7]
	s_and_saveexec_b64 s[6:7], s[4:5]
	s_cbranch_execz .LBB1_34709
; %bb.62251:
	s_getpc_b64 s[14:15]
.Lpost_getpc16789:
	s_add_u32 s14, s14, (.LBB1_12075-.Lpost_getpc16789)&4294967295
	s_addc_u32 s15, s15, (.LBB1_12075-.Lpost_getpc16789)>>32
	s_setpc_b64 s[14:15]
.LBB1_34709:
	s_getpc_b64 s[14:15]
.Lpost_getpc3018:
	s_add_u32 s14, s14, (.LBB1_12076-.Lpost_getpc3018)&4294967295
	s_addc_u32 s15, s15, (.LBB1_12076-.Lpost_getpc3018)>>32
	s_setpc_b64 s[14:15]
.LBB1_26413:
	s_movk_i32 s4, 0x80
	v_cmp_eq_u16_sdwa s[12:13], v6, s4 src0_sel:BYTE_0 src1_sel:DWORD
	s_mov_b64 s[4:5], -1
                                        ; implicit-def: $sgpr10
	s_and_saveexec_b64 s[8:9], s[12:13]
; %bb.26414:
	s_mov_b32 s10, 0x7f800001
	s_xor_b64 s[4:5], exec, -1
; %bb.26415:
	s_or_b64 exec, exec, s[8:9]
	s_and_b64 s[4:5], s[4:5], exec
	s_or_saveexec_b64 s[6:7], s[6:7]
	v_mov_b32_e32 v12, s10
	s_xor_b64 exec, exec, s[6:7]
	s_cbranch_execnz .LBB1_26416
; %bb.62253:
	s_getpc_b64 s[14:15]
.Lpost_getpc16790:
	s_add_u32 s14, s14, (.LBB1_12078-.Lpost_getpc16790)&4294967295
	s_addc_u32 s15, s15, (.LBB1_12078-.Lpost_getpc16790)>>32
	s_setpc_b64 s[14:15]
.LBB1_26416:
	v_mov_b32_e32 v12, 0
	v_cmp_ne_u16_sdwa s[8:9], v6, v12 src0_sel:BYTE_0 src1_sel:DWORD
	s_andn2_b64 s[4:5], s[4:5], exec
	s_and_b64 s[8:9], s[8:9], exec
	s_or_b64 s[4:5], s[4:5], s[8:9]
	s_or_b64 exec, exec, s[6:7]
	s_and_saveexec_b64 s[6:7], s[4:5]
	s_cbranch_execz .LBB1_34711
; %bb.62255:
	s_getpc_b64 s[14:15]
.Lpost_getpc16791:
	s_add_u32 s14, s14, (.LBB1_12079-.Lpost_getpc16791)&4294967295
	s_addc_u32 s15, s15, (.LBB1_12079-.Lpost_getpc16791)>>32
	s_setpc_b64 s[14:15]
.LBB1_34711:
	s_getpc_b64 s[14:15]
.Lpost_getpc3019:
	s_add_u32 s14, s14, (.LBB1_12080-.Lpost_getpc3019)&4294967295
	s_addc_u32 s15, s15, (.LBB1_12080-.Lpost_getpc3019)>>32
	s_setpc_b64 s[14:15]
.LBB1_26417:
	s_movk_i32 s4, 0x80
	v_cmp_eq_u16_e32 vcc, s4, v6
	s_mov_b64 s[4:5], -1
                                        ; implicit-def: $sgpr10
	s_and_saveexec_b64 s[8:9], vcc
; %bb.26418:
	s_mov_b32 s10, 0x7f800001
	s_xor_b64 s[4:5], exec, -1
; %bb.26419:
	s_or_b64 exec, exec, s[8:9]
	s_and_b64 s[4:5], s[4:5], exec
                                        ; implicit-def: $vgpr6
	s_or_saveexec_b64 s[6:7], s[6:7]
	v_mov_b32_e32 v2, s10
	s_xor_b64 exec, exec, s[6:7]
	s_cbranch_execnz .LBB1_26420
; %bb.62257:
	s_getpc_b64 s[14:15]
.Lpost_getpc16792:
	s_add_u32 s14, s14, (.LBB1_12082-.Lpost_getpc16792)&4294967295
	s_addc_u32 s15, s15, (.LBB1_12082-.Lpost_getpc16792)>>32
	s_setpc_b64 s[14:15]
.LBB1_26420:
	v_cmp_ne_u16_e32 vcc, 0, v6
	s_andn2_b64 s[4:5], s[4:5], exec
	s_and_b64 s[8:9], vcc, exec
	v_mov_b32_e32 v2, 0
	s_or_b64 s[4:5], s[4:5], s[8:9]
	s_or_b64 exec, exec, s[6:7]
	s_and_saveexec_b64 s[6:7], s[4:5]
	s_cbranch_execz .LBB1_34713
; %bb.62259:
	s_getpc_b64 s[14:15]
.Lpost_getpc16793:
	s_add_u32 s14, s14, (.LBB1_12083-.Lpost_getpc16793)&4294967295
	s_addc_u32 s15, s15, (.LBB1_12083-.Lpost_getpc16793)>>32
	s_setpc_b64 s[14:15]
.LBB1_34713:
	s_getpc_b64 s[14:15]
.Lpost_getpc3020:
	s_add_u32 s14, s14, (.LBB1_12084-.Lpost_getpc3020)&4294967295
	s_addc_u32 s15, s15, (.LBB1_12084-.Lpost_getpc3020)>>32
	s_setpc_b64 s[14:15]
.LBB1_26421:
	s_movk_i32 s4, 0x80
	v_cmp_eq_u16_e32 vcc, s4, v6
	s_mov_b64 s[4:5], -1
                                        ; implicit-def: $sgpr10
	s_and_saveexec_b64 s[8:9], vcc
; %bb.26422:
	s_mov_b32 s10, 0x7f800001
	s_xor_b64 s[4:5], exec, -1
; %bb.26423:
	s_or_b64 exec, exec, s[8:9]
	s_and_b64 s[4:5], s[4:5], exec
                                        ; implicit-def: $vgpr6
	s_or_saveexec_b64 s[6:7], s[6:7]
	v_mov_b32_e32 v12, s10
	s_xor_b64 exec, exec, s[6:7]
	s_cbranch_execnz .LBB1_26424
; %bb.62261:
	s_getpc_b64 s[14:15]
.Lpost_getpc16794:
	s_add_u32 s14, s14, (.LBB1_12086-.Lpost_getpc16794)&4294967295
	s_addc_u32 s15, s15, (.LBB1_12086-.Lpost_getpc16794)>>32
	s_setpc_b64 s[14:15]
.LBB1_26424:
	v_cmp_ne_u16_e32 vcc, 0, v6
	s_andn2_b64 s[4:5], s[4:5], exec
	s_and_b64 s[8:9], vcc, exec
	v_mov_b32_e32 v12, 0
	s_or_b64 s[4:5], s[4:5], s[8:9]
	s_or_b64 exec, exec, s[6:7]
	s_and_saveexec_b64 s[6:7], s[4:5]
	s_cbranch_execz .LBB1_34715
; %bb.62263:
	s_getpc_b64 s[14:15]
.Lpost_getpc16795:
	s_add_u32 s14, s14, (.LBB1_12087-.Lpost_getpc16795)&4294967295
	s_addc_u32 s15, s15, (.LBB1_12087-.Lpost_getpc16795)>>32
	s_setpc_b64 s[14:15]
.LBB1_34715:
	s_getpc_b64 s[14:15]
.Lpost_getpc3021:
	s_add_u32 s14, s14, (.LBB1_12088-.Lpost_getpc3021)&4294967295
	s_addc_u32 s15, s15, (.LBB1_12088-.Lpost_getpc3021)>>32
	s_setpc_b64 s[14:15]
.LBB1_26425:
	s_movk_i32 s4, 0x80
	v_cmp_eq_u16_sdwa s[12:13], v7, s4 src0_sel:BYTE_3 src1_sel:DWORD
	s_mov_b64 s[4:5], -1
                                        ; implicit-def: $sgpr10
	s_and_saveexec_b64 s[8:9], s[12:13]
; %bb.26426:
	s_mov_b32 s10, 0x7f800001
	s_xor_b64 s[4:5], exec, -1
; %bb.26427:
	s_or_b64 exec, exec, s[8:9]
	s_and_b64 s[4:5], s[4:5], exec
	s_or_saveexec_b64 s[6:7], s[6:7]
	v_mov_b32_e32 v2, s10
	s_xor_b64 exec, exec, s[6:7]
	s_cbranch_execnz .LBB1_26428
; %bb.62265:
	s_getpc_b64 s[14:15]
.Lpost_getpc16796:
	s_add_u32 s14, s14, (.LBB1_12090-.Lpost_getpc16796)&4294967295
	s_addc_u32 s15, s15, (.LBB1_12090-.Lpost_getpc16796)>>32
	s_setpc_b64 s[14:15]
.LBB1_26428:
	v_mov_b32_e32 v2, 0
	v_cmp_ne_u16_sdwa s[8:9], v7, v2 src0_sel:BYTE_3 src1_sel:DWORD
	s_andn2_b64 s[4:5], s[4:5], exec
	s_and_b64 s[8:9], s[8:9], exec
	s_or_b64 s[4:5], s[4:5], s[8:9]
	s_or_b64 exec, exec, s[6:7]
	s_and_saveexec_b64 s[6:7], s[4:5]
	s_cbranch_execz .LBB1_34717
; %bb.62267:
	s_getpc_b64 s[14:15]
.Lpost_getpc16797:
	s_add_u32 s14, s14, (.LBB1_12091-.Lpost_getpc16797)&4294967295
	s_addc_u32 s15, s15, (.LBB1_12091-.Lpost_getpc16797)>>32
	s_setpc_b64 s[14:15]
.LBB1_34717:
	s_getpc_b64 s[14:15]
.Lpost_getpc3022:
	s_add_u32 s14, s14, (.LBB1_12092-.Lpost_getpc3022)&4294967295
	s_addc_u32 s15, s15, (.LBB1_12092-.Lpost_getpc3022)>>32
	s_setpc_b64 s[14:15]
.LBB1_26429:
	s_movk_i32 s4, 0x80
	v_cmp_eq_u16_sdwa s[12:13], v3, s4 src0_sel:BYTE_3 src1_sel:DWORD
	s_mov_b64 s[4:5], -1
                                        ; implicit-def: $sgpr10
	s_and_saveexec_b64 s[8:9], s[12:13]
; %bb.26430:
	s_mov_b32 s10, 0x7f800001
	s_xor_b64 s[4:5], exec, -1
; %bb.26431:
	s_or_b64 exec, exec, s[8:9]
	s_and_b64 s[4:5], s[4:5], exec
	s_or_saveexec_b64 s[6:7], s[6:7]
	v_mov_b32_e32 v6, s10
	s_xor_b64 exec, exec, s[6:7]
	s_cbranch_execnz .LBB1_26432
; %bb.62269:
	s_getpc_b64 s[14:15]
.Lpost_getpc16798:
	s_add_u32 s14, s14, (.LBB1_12094-.Lpost_getpc16798)&4294967295
	s_addc_u32 s15, s15, (.LBB1_12094-.Lpost_getpc16798)>>32
	s_setpc_b64 s[14:15]
.LBB1_26432:
	v_mov_b32_e32 v6, 0
	v_cmp_ne_u16_sdwa s[8:9], v3, v6 src0_sel:BYTE_3 src1_sel:DWORD
	s_andn2_b64 s[4:5], s[4:5], exec
	s_and_b64 s[8:9], s[8:9], exec
	s_or_b64 s[4:5], s[4:5], s[8:9]
	s_or_b64 exec, exec, s[6:7]
	s_and_saveexec_b64 s[6:7], s[4:5]
	s_cbranch_execz .LBB1_34719
; %bb.62271:
	s_getpc_b64 s[14:15]
.Lpost_getpc16799:
	s_add_u32 s14, s14, (.LBB1_12095-.Lpost_getpc16799)&4294967295
	s_addc_u32 s15, s15, (.LBB1_12095-.Lpost_getpc16799)>>32
	s_setpc_b64 s[14:15]
.LBB1_34719:
	s_getpc_b64 s[14:15]
.Lpost_getpc3023:
	s_add_u32 s14, s14, (.LBB1_12096-.Lpost_getpc3023)&4294967295
	s_addc_u32 s15, s15, (.LBB1_12096-.Lpost_getpc3023)>>32
	s_setpc_b64 s[14:15]
.LBB1_26433:
	s_movk_i32 s4, 0x80
	v_cmp_eq_u16_sdwa s[12:13], v8, s4 src0_sel:BYTE_0 src1_sel:DWORD
	s_mov_b64 s[4:5], -1
                                        ; implicit-def: $sgpr10
	s_and_saveexec_b64 s[8:9], s[12:13]
; %bb.26434:
	s_mov_b32 s10, 0x7f800001
	s_xor_b64 s[4:5], exec, -1
; %bb.26435:
	s_or_b64 exec, exec, s[8:9]
	s_and_b64 s[4:5], s[4:5], exec
	s_or_saveexec_b64 s[6:7], s[6:7]
	v_mov_b32_e32 v2, s10
	s_xor_b64 exec, exec, s[6:7]
	s_cbranch_execnz .LBB1_26436
; %bb.62273:
	s_getpc_b64 s[14:15]
.Lpost_getpc16800:
	s_add_u32 s14, s14, (.LBB1_12098-.Lpost_getpc16800)&4294967295
	s_addc_u32 s15, s15, (.LBB1_12098-.Lpost_getpc16800)>>32
	s_setpc_b64 s[14:15]
.LBB1_26436:
	v_mov_b32_e32 v2, 0
	v_cmp_ne_u16_sdwa s[8:9], v8, v2 src0_sel:BYTE_0 src1_sel:DWORD
	s_andn2_b64 s[4:5], s[4:5], exec
	s_and_b64 s[8:9], s[8:9], exec
	s_or_b64 s[4:5], s[4:5], s[8:9]
	s_or_b64 exec, exec, s[6:7]
	s_and_saveexec_b64 s[6:7], s[4:5]
	s_cbranch_execz .LBB1_34721
; %bb.62275:
	s_getpc_b64 s[14:15]
.Lpost_getpc16801:
	s_add_u32 s14, s14, (.LBB1_12099-.Lpost_getpc16801)&4294967295
	s_addc_u32 s15, s15, (.LBB1_12099-.Lpost_getpc16801)>>32
	s_setpc_b64 s[14:15]
.LBB1_34721:
	s_getpc_b64 s[14:15]
.Lpost_getpc3024:
	s_add_u32 s14, s14, (.LBB1_12100-.Lpost_getpc3024)&4294967295
	s_addc_u32 s15, s15, (.LBB1_12100-.Lpost_getpc3024)>>32
	s_setpc_b64 s[14:15]
.LBB1_26437:
	s_movk_i32 s4, 0x80
	v_cmp_eq_u16_sdwa s[12:13], v4, s4 src0_sel:BYTE_0 src1_sel:DWORD
	s_mov_b64 s[4:5], -1
                                        ; implicit-def: $sgpr10
	s_and_saveexec_b64 s[8:9], s[12:13]
; %bb.26438:
	s_mov_b32 s10, 0x7f800001
	s_xor_b64 s[4:5], exec, -1
; %bb.26439:
	s_or_b64 exec, exec, s[8:9]
	s_and_b64 s[4:5], s[4:5], exec
	s_or_saveexec_b64 s[6:7], s[6:7]
	v_mov_b32_e32 v3, s10
	s_xor_b64 exec, exec, s[6:7]
	s_cbranch_execnz .LBB1_26440
; %bb.62277:
	s_getpc_b64 s[14:15]
.Lpost_getpc16802:
	s_add_u32 s14, s14, (.LBB1_12102-.Lpost_getpc16802)&4294967295
	s_addc_u32 s15, s15, (.LBB1_12102-.Lpost_getpc16802)>>32
	s_setpc_b64 s[14:15]
.LBB1_26440:
	v_mov_b32_e32 v3, 0
	v_cmp_ne_u16_sdwa s[8:9], v4, v3 src0_sel:BYTE_0 src1_sel:DWORD
	s_andn2_b64 s[4:5], s[4:5], exec
	s_and_b64 s[8:9], s[8:9], exec
	s_or_b64 s[4:5], s[4:5], s[8:9]
	s_or_b64 exec, exec, s[6:7]
	s_and_saveexec_b64 s[6:7], s[4:5]
	s_cbranch_execz .LBB1_34723
; %bb.62279:
	s_getpc_b64 s[14:15]
.Lpost_getpc16803:
	s_add_u32 s14, s14, (.LBB1_12103-.Lpost_getpc16803)&4294967295
	s_addc_u32 s15, s15, (.LBB1_12103-.Lpost_getpc16803)>>32
	s_setpc_b64 s[14:15]
.LBB1_34723:
	s_getpc_b64 s[14:15]
.Lpost_getpc3025:
	s_add_u32 s14, s14, (.LBB1_12104-.Lpost_getpc3025)&4294967295
	s_addc_u32 s15, s15, (.LBB1_12104-.Lpost_getpc3025)>>32
	s_setpc_b64 s[14:15]
.LBB1_26441:
	s_movk_i32 s4, 0x80
	v_cmp_eq_u16_sdwa s[12:13], v3, s4 src0_sel:BYTE_0 src1_sel:DWORD
	s_mov_b64 s[4:5], -1
                                        ; implicit-def: $sgpr10
	s_and_saveexec_b64 s[8:9], s[12:13]
; %bb.26442:
	s_mov_b32 s10, 0x7f800001
	s_xor_b64 s[4:5], exec, -1
; %bb.26443:
	s_or_b64 exec, exec, s[8:9]
	s_and_b64 s[4:5], s[4:5], exec
	s_or_saveexec_b64 s[6:7], s[6:7]
	v_mov_b32_e32 v2, s10
	s_xor_b64 exec, exec, s[6:7]
	s_cbranch_execnz .LBB1_26444
; %bb.62281:
	s_getpc_b64 s[14:15]
.Lpost_getpc16804:
	s_add_u32 s14, s14, (.LBB1_12106-.Lpost_getpc16804)&4294967295
	s_addc_u32 s15, s15, (.LBB1_12106-.Lpost_getpc16804)>>32
	s_setpc_b64 s[14:15]
.LBB1_26444:
	v_mov_b32_e32 v2, 0
	v_cmp_ne_u16_sdwa s[8:9], v3, v2 src0_sel:BYTE_0 src1_sel:DWORD
	s_andn2_b64 s[4:5], s[4:5], exec
	s_and_b64 s[8:9], s[8:9], exec
	s_or_b64 s[4:5], s[4:5], s[8:9]
	s_or_b64 exec, exec, s[6:7]
	s_and_saveexec_b64 s[6:7], s[4:5]
	s_cbranch_execz .LBB1_34725
; %bb.62283:
	s_getpc_b64 s[14:15]
.Lpost_getpc16805:
	s_add_u32 s14, s14, (.LBB1_12107-.Lpost_getpc16805)&4294967295
	s_addc_u32 s15, s15, (.LBB1_12107-.Lpost_getpc16805)>>32
	s_setpc_b64 s[14:15]
.LBB1_34725:
	s_getpc_b64 s[14:15]
.Lpost_getpc3026:
	s_add_u32 s14, s14, (.LBB1_12108-.Lpost_getpc3026)&4294967295
	s_addc_u32 s15, s15, (.LBB1_12108-.Lpost_getpc3026)>>32
	s_setpc_b64 s[14:15]
.LBB1_26445:
	s_movk_i32 s4, 0x80
	v_cmp_eq_u16_sdwa s[12:13], v3, s4 src0_sel:BYTE_0 src1_sel:DWORD
	s_mov_b64 s[4:5], -1
                                        ; implicit-def: $sgpr10
	s_and_saveexec_b64 s[8:9], s[12:13]
; %bb.26446:
	s_mov_b32 s10, 0x7f800001
	s_xor_b64 s[4:5], exec, -1
; %bb.26447:
	s_or_b64 exec, exec, s[8:9]
	s_and_b64 s[4:5], s[4:5], exec
	s_or_saveexec_b64 s[6:7], s[6:7]
	v_mov_b32_e32 v6, s10
	s_xor_b64 exec, exec, s[6:7]
	s_cbranch_execnz .LBB1_26448
; %bb.62285:
	s_getpc_b64 s[14:15]
.Lpost_getpc16806:
	s_add_u32 s14, s14, (.LBB1_12110-.Lpost_getpc16806)&4294967295
	s_addc_u32 s15, s15, (.LBB1_12110-.Lpost_getpc16806)>>32
	s_setpc_b64 s[14:15]
.LBB1_26448:
	v_mov_b32_e32 v6, 0
	v_cmp_ne_u16_sdwa s[8:9], v3, v6 src0_sel:BYTE_0 src1_sel:DWORD
	s_andn2_b64 s[4:5], s[4:5], exec
	s_and_b64 s[8:9], s[8:9], exec
	s_or_b64 s[4:5], s[4:5], s[8:9]
	s_or_b64 exec, exec, s[6:7]
	s_and_saveexec_b64 s[6:7], s[4:5]
	s_cbranch_execz .LBB1_34727
; %bb.62287:
	s_getpc_b64 s[14:15]
.Lpost_getpc16807:
	s_add_u32 s14, s14, (.LBB1_12111-.Lpost_getpc16807)&4294967295
	s_addc_u32 s15, s15, (.LBB1_12111-.Lpost_getpc16807)>>32
	s_setpc_b64 s[14:15]
.LBB1_34727:
	s_getpc_b64 s[14:15]
.Lpost_getpc3027:
	s_add_u32 s14, s14, (.LBB1_12112-.Lpost_getpc3027)&4294967295
	s_addc_u32 s15, s15, (.LBB1_12112-.Lpost_getpc3027)>>32
	s_setpc_b64 s[14:15]
.LBB1_26449:
	s_movk_i32 s4, 0x80
	v_cmp_eq_u16_e32 vcc, s4, v3
	s_mov_b64 s[4:5], -1
                                        ; implicit-def: $sgpr10
	s_and_saveexec_b64 s[8:9], vcc
; %bb.26450:
	s_mov_b32 s10, 0x7f800001
	s_xor_b64 s[4:5], exec, -1
; %bb.26451:
	s_or_b64 exec, exec, s[8:9]
	s_and_b64 s[4:5], s[4:5], exec
                                        ; implicit-def: $vgpr3
	s_or_saveexec_b64 s[6:7], s[6:7]
	v_mov_b32_e32 v2, s10
	s_xor_b64 exec, exec, s[6:7]
	s_cbranch_execnz .LBB1_26452
; %bb.62289:
	s_getpc_b64 s[14:15]
.Lpost_getpc16808:
	s_add_u32 s14, s14, (.LBB1_12114-.Lpost_getpc16808)&4294967295
	s_addc_u32 s15, s15, (.LBB1_12114-.Lpost_getpc16808)>>32
	s_setpc_b64 s[14:15]
.LBB1_26452:
	v_cmp_ne_u16_e32 vcc, 0, v3
	s_andn2_b64 s[4:5], s[4:5], exec
	s_and_b64 s[8:9], vcc, exec
	v_mov_b32_e32 v2, 0
	s_or_b64 s[4:5], s[4:5], s[8:9]
	s_or_b64 exec, exec, s[6:7]
	s_and_saveexec_b64 s[6:7], s[4:5]
	s_cbranch_execz .LBB1_34729
; %bb.62291:
	s_getpc_b64 s[14:15]
.Lpost_getpc16809:
	s_add_u32 s14, s14, (.LBB1_12115-.Lpost_getpc16809)&4294967295
	s_addc_u32 s15, s15, (.LBB1_12115-.Lpost_getpc16809)>>32
	s_setpc_b64 s[14:15]
.LBB1_34729:
	s_getpc_b64 s[14:15]
.Lpost_getpc3028:
	s_add_u32 s14, s14, (.LBB1_12116-.Lpost_getpc3028)&4294967295
	s_addc_u32 s15, s15, (.LBB1_12116-.Lpost_getpc3028)>>32
	s_setpc_b64 s[14:15]
.LBB1_26453:
	s_movk_i32 s4, 0x80
	v_cmp_eq_u16_e32 vcc, s4, v3
	s_mov_b64 s[4:5], -1
                                        ; implicit-def: $sgpr10
	s_and_saveexec_b64 s[8:9], vcc
; %bb.26454:
	s_mov_b32 s10, 0x7f800001
	s_xor_b64 s[4:5], exec, -1
; %bb.26455:
	s_or_b64 exec, exec, s[8:9]
	s_and_b64 s[4:5], s[4:5], exec
                                        ; implicit-def: $vgpr3
	s_or_saveexec_b64 s[6:7], s[6:7]
	v_mov_b32_e32 v6, s10
	s_xor_b64 exec, exec, s[6:7]
	s_cbranch_execnz .LBB1_26456
; %bb.62293:
	s_getpc_b64 s[14:15]
.Lpost_getpc16810:
	s_add_u32 s14, s14, (.LBB1_12118-.Lpost_getpc16810)&4294967295
	s_addc_u32 s15, s15, (.LBB1_12118-.Lpost_getpc16810)>>32
	s_setpc_b64 s[14:15]
.LBB1_26456:
	v_cmp_ne_u16_e32 vcc, 0, v3
	s_andn2_b64 s[4:5], s[4:5], exec
	s_and_b64 s[8:9], vcc, exec
	v_mov_b32_e32 v6, 0
	s_or_b64 s[4:5], s[4:5], s[8:9]
	s_or_b64 exec, exec, s[6:7]
	s_and_saveexec_b64 s[6:7], s[4:5]
	s_cbranch_execz .LBB1_34731
; %bb.62295:
	s_getpc_b64 s[14:15]
.Lpost_getpc16811:
	s_add_u32 s14, s14, (.LBB1_12119-.Lpost_getpc16811)&4294967295
	s_addc_u32 s15, s15, (.LBB1_12119-.Lpost_getpc16811)>>32
	s_setpc_b64 s[14:15]
.LBB1_34731:
	s_getpc_b64 s[14:15]
.Lpost_getpc3029:
	s_add_u32 s14, s14, (.LBB1_12120-.Lpost_getpc3029)&4294967295
	s_addc_u32 s15, s15, (.LBB1_12120-.Lpost_getpc3029)>>32
	s_setpc_b64 s[14:15]
.LBB1_26457:
	s_movk_i32 s4, 0x80
	v_cmp_eq_u16_sdwa s[12:13], v8, s4 src0_sel:BYTE_3 src1_sel:DWORD
	s_mov_b64 s[4:5], -1
                                        ; implicit-def: $sgpr10
	s_and_saveexec_b64 s[8:9], s[12:13]
; %bb.26458:
	s_mov_b32 s10, 0x7f800001
	s_xor_b64 s[4:5], exec, -1
; %bb.26459:
	s_or_b64 exec, exec, s[8:9]
	s_and_b64 s[4:5], s[4:5], exec
	s_or_saveexec_b64 s[6:7], s[6:7]
	v_mov_b32_e32 v2, s10
	s_xor_b64 exec, exec, s[6:7]
	s_cbranch_execnz .LBB1_26460
; %bb.62297:
	s_getpc_b64 s[14:15]
.Lpost_getpc16812:
	s_add_u32 s14, s14, (.LBB1_12122-.Lpost_getpc16812)&4294967295
	s_addc_u32 s15, s15, (.LBB1_12122-.Lpost_getpc16812)>>32
	s_setpc_b64 s[14:15]
.LBB1_26460:
	v_mov_b32_e32 v2, 0
	v_cmp_ne_u16_sdwa s[8:9], v8, v2 src0_sel:BYTE_3 src1_sel:DWORD
	s_andn2_b64 s[4:5], s[4:5], exec
	s_and_b64 s[8:9], s[8:9], exec
	s_or_b64 s[4:5], s[4:5], s[8:9]
	s_or_b64 exec, exec, s[6:7]
	s_and_saveexec_b64 s[6:7], s[4:5]
	s_cbranch_execz .LBB1_34733
; %bb.62299:
	s_getpc_b64 s[14:15]
.Lpost_getpc16813:
	s_add_u32 s14, s14, (.LBB1_12123-.Lpost_getpc16813)&4294967295
	s_addc_u32 s15, s15, (.LBB1_12123-.Lpost_getpc16813)>>32
	s_setpc_b64 s[14:15]
.LBB1_34733:
	s_getpc_b64 s[14:15]
.Lpost_getpc3030:
	s_add_u32 s14, s14, (.LBB1_12124-.Lpost_getpc3030)&4294967295
	s_addc_u32 s15, s15, (.LBB1_12124-.Lpost_getpc3030)>>32
	s_setpc_b64 s[14:15]
.LBB1_26461:
	s_movk_i32 s4, 0x80
	v_cmp_eq_u16_sdwa s[12:13], v4, s4 src0_sel:BYTE_3 src1_sel:DWORD
	s_mov_b64 s[4:5], -1
                                        ; implicit-def: $sgpr10
	s_and_saveexec_b64 s[8:9], s[12:13]
; %bb.26462:
	s_mov_b32 s10, 0x7f800001
	s_xor_b64 s[4:5], exec, -1
; %bb.26463:
	s_or_b64 exec, exec, s[8:9]
	s_and_b64 s[4:5], s[4:5], exec
	s_or_saveexec_b64 s[6:7], s[6:7]
	v_mov_b32_e32 v3, s10
	s_xor_b64 exec, exec, s[6:7]
	s_cbranch_execnz .LBB1_26464
; %bb.62301:
	s_getpc_b64 s[14:15]
.Lpost_getpc16814:
	s_add_u32 s14, s14, (.LBB1_12126-.Lpost_getpc16814)&4294967295
	s_addc_u32 s15, s15, (.LBB1_12126-.Lpost_getpc16814)>>32
	s_setpc_b64 s[14:15]
.LBB1_26464:
	v_mov_b32_e32 v3, 0
	v_cmp_ne_u16_sdwa s[8:9], v4, v3 src0_sel:BYTE_3 src1_sel:DWORD
	s_andn2_b64 s[4:5], s[4:5], exec
	s_and_b64 s[8:9], s[8:9], exec
	s_or_b64 s[4:5], s[4:5], s[8:9]
	s_or_b64 exec, exec, s[6:7]
	s_and_saveexec_b64 s[6:7], s[4:5]
	s_cbranch_execz .LBB1_34735
; %bb.62303:
	s_getpc_b64 s[14:15]
.Lpost_getpc16815:
	s_add_u32 s14, s14, (.LBB1_12127-.Lpost_getpc16815)&4294967295
	s_addc_u32 s15, s15, (.LBB1_12127-.Lpost_getpc16815)>>32
	s_setpc_b64 s[14:15]
.LBB1_34735:
	s_getpc_b64 s[14:15]
.Lpost_getpc3031:
	s_add_u32 s14, s14, (.LBB1_12128-.Lpost_getpc3031)&4294967295
	s_addc_u32 s15, s15, (.LBB1_12128-.Lpost_getpc3031)>>32
	s_setpc_b64 s[14:15]
.LBB1_26465:
	s_movk_i32 s4, 0x80
	v_cmp_eq_u16_sdwa s[12:13], v9, s4 src0_sel:BYTE_0 src1_sel:DWORD
	s_mov_b64 s[4:5], -1
                                        ; implicit-def: $sgpr10
	s_and_saveexec_b64 s[8:9], s[12:13]
; %bb.26466:
	s_mov_b32 s10, 0x7f800001
	s_xor_b64 s[4:5], exec, -1
; %bb.26467:
	s_or_b64 exec, exec, s[8:9]
	s_and_b64 s[4:5], s[4:5], exec
	s_or_saveexec_b64 s[6:7], s[6:7]
	v_mov_b32_e32 v2, s10
	s_xor_b64 exec, exec, s[6:7]
	s_cbranch_execnz .LBB1_26468
; %bb.62305:
	s_getpc_b64 s[14:15]
.Lpost_getpc16816:
	s_add_u32 s14, s14, (.LBB1_12130-.Lpost_getpc16816)&4294967295
	s_addc_u32 s15, s15, (.LBB1_12130-.Lpost_getpc16816)>>32
	s_setpc_b64 s[14:15]
.LBB1_26468:
	v_mov_b32_e32 v2, 0
	v_cmp_ne_u16_sdwa s[8:9], v9, v2 src0_sel:BYTE_0 src1_sel:DWORD
	s_andn2_b64 s[4:5], s[4:5], exec
	s_and_b64 s[8:9], s[8:9], exec
	s_or_b64 s[4:5], s[4:5], s[8:9]
	s_or_b64 exec, exec, s[6:7]
	s_and_saveexec_b64 s[6:7], s[4:5]
	s_cbranch_execz .LBB1_34737
; %bb.62307:
	s_getpc_b64 s[14:15]
.Lpost_getpc16817:
	s_add_u32 s14, s14, (.LBB1_12131-.Lpost_getpc16817)&4294967295
	s_addc_u32 s15, s15, (.LBB1_12131-.Lpost_getpc16817)>>32
	s_setpc_b64 s[14:15]
.LBB1_34737:
	s_getpc_b64 s[14:15]
.Lpost_getpc3032:
	s_add_u32 s14, s14, (.LBB1_12132-.Lpost_getpc3032)&4294967295
	s_addc_u32 s15, s15, (.LBB1_12132-.Lpost_getpc3032)>>32
	s_setpc_b64 s[14:15]
.LBB1_26469:
	s_movk_i32 s4, 0x80
	v_cmp_eq_u16_sdwa s[12:13], v5, s4 src0_sel:BYTE_0 src1_sel:DWORD
	s_mov_b64 s[4:5], -1
                                        ; implicit-def: $sgpr10
	s_and_saveexec_b64 s[8:9], s[12:13]
; %bb.26470:
	s_mov_b32 s10, 0x7f800001
	s_xor_b64 s[4:5], exec, -1
; %bb.26471:
	s_or_b64 exec, exec, s[8:9]
	s_and_b64 s[4:5], s[4:5], exec
	s_or_saveexec_b64 s[6:7], s[6:7]
	v_mov_b32_e32 v3, s10
	s_xor_b64 exec, exec, s[6:7]
	s_cbranch_execnz .LBB1_26472
; %bb.62309:
	s_getpc_b64 s[14:15]
.Lpost_getpc16818:
	s_add_u32 s14, s14, (.LBB1_12134-.Lpost_getpc16818)&4294967295
	s_addc_u32 s15, s15, (.LBB1_12134-.Lpost_getpc16818)>>32
	s_setpc_b64 s[14:15]
.LBB1_26472:
	v_mov_b32_e32 v3, 0
	v_cmp_ne_u16_sdwa s[8:9], v5, v3 src0_sel:BYTE_0 src1_sel:DWORD
	s_andn2_b64 s[4:5], s[4:5], exec
	s_and_b64 s[8:9], s[8:9], exec
	s_or_b64 s[4:5], s[4:5], s[8:9]
	s_or_b64 exec, exec, s[6:7]
	s_and_saveexec_b64 s[6:7], s[4:5]
	s_cbranch_execz .LBB1_34739
; %bb.62311:
	s_getpc_b64 s[14:15]
.Lpost_getpc16819:
	s_add_u32 s14, s14, (.LBB1_12135-.Lpost_getpc16819)&4294967295
	s_addc_u32 s15, s15, (.LBB1_12135-.Lpost_getpc16819)>>32
	s_setpc_b64 s[14:15]
.LBB1_34739:
	s_getpc_b64 s[14:15]
.Lpost_getpc3033:
	s_add_u32 s14, s14, (.LBB1_12136-.Lpost_getpc3033)&4294967295
	s_addc_u32 s15, s15, (.LBB1_12136-.Lpost_getpc3033)>>32
	s_setpc_b64 s[14:15]
.LBB1_26473:
	s_movk_i32 s4, 0x80
	v_cmp_eq_u16_sdwa s[12:13], v3, s4 src0_sel:BYTE_0 src1_sel:DWORD
	s_mov_b64 s[4:5], -1
                                        ; implicit-def: $sgpr10
	s_and_saveexec_b64 s[8:9], s[12:13]
; %bb.26474:
	s_mov_b32 s10, 0x7f800001
	s_xor_b64 s[4:5], exec, -1
; %bb.26475:
	s_or_b64 exec, exec, s[8:9]
	s_and_b64 s[4:5], s[4:5], exec
	s_or_saveexec_b64 s[6:7], s[6:7]
	v_mov_b32_e32 v2, s10
	s_xor_b64 exec, exec, s[6:7]
	s_cbranch_execnz .LBB1_26476
; %bb.62313:
	s_getpc_b64 s[14:15]
.Lpost_getpc16820:
	s_add_u32 s14, s14, (.LBB1_12138-.Lpost_getpc16820)&4294967295
	s_addc_u32 s15, s15, (.LBB1_12138-.Lpost_getpc16820)>>32
	s_setpc_b64 s[14:15]
.LBB1_26476:
	v_mov_b32_e32 v2, 0
	v_cmp_ne_u16_sdwa s[8:9], v3, v2 src0_sel:BYTE_0 src1_sel:DWORD
	s_andn2_b64 s[4:5], s[4:5], exec
	s_and_b64 s[8:9], s[8:9], exec
	s_or_b64 s[4:5], s[4:5], s[8:9]
	s_or_b64 exec, exec, s[6:7]
	s_and_saveexec_b64 s[6:7], s[4:5]
	s_cbranch_execz .LBB1_34741
; %bb.62315:
	s_getpc_b64 s[14:15]
.Lpost_getpc16821:
	s_add_u32 s14, s14, (.LBB1_12139-.Lpost_getpc16821)&4294967295
	s_addc_u32 s15, s15, (.LBB1_12139-.Lpost_getpc16821)>>32
	s_setpc_b64 s[14:15]
.LBB1_34741:
	s_getpc_b64 s[14:15]
.Lpost_getpc3034:
	s_add_u32 s14, s14, (.LBB1_12140-.Lpost_getpc3034)&4294967295
	s_addc_u32 s15, s15, (.LBB1_12140-.Lpost_getpc3034)>>32
	s_setpc_b64 s[14:15]
.LBB1_26477:
	s_movk_i32 s4, 0x80
	v_cmp_eq_u16_sdwa s[12:13], v3, s4 src0_sel:BYTE_0 src1_sel:DWORD
	s_mov_b64 s[4:5], -1
                                        ; implicit-def: $sgpr10
	s_and_saveexec_b64 s[8:9], s[12:13]
; %bb.26478:
	s_mov_b32 s10, 0x7f800001
	s_xor_b64 s[4:5], exec, -1
; %bb.26479:
	s_or_b64 exec, exec, s[8:9]
	s_and_b64 s[4:5], s[4:5], exec
	s_or_saveexec_b64 s[6:7], s[6:7]
	v_mov_b32_e32 v4, s10
	s_xor_b64 exec, exec, s[6:7]
	s_cbranch_execnz .LBB1_26480
; %bb.62317:
	s_getpc_b64 s[14:15]
.Lpost_getpc16822:
	s_add_u32 s14, s14, (.LBB1_12142-.Lpost_getpc16822)&4294967295
	s_addc_u32 s15, s15, (.LBB1_12142-.Lpost_getpc16822)>>32
	s_setpc_b64 s[14:15]
.LBB1_26480:
	v_mov_b32_e32 v4, 0
	v_cmp_ne_u16_sdwa s[8:9], v3, v4 src0_sel:BYTE_0 src1_sel:DWORD
	s_andn2_b64 s[4:5], s[4:5], exec
	s_and_b64 s[8:9], s[8:9], exec
	s_or_b64 s[4:5], s[4:5], s[8:9]
	s_or_b64 exec, exec, s[6:7]
	s_and_saveexec_b64 s[6:7], s[4:5]
	s_cbranch_execz .LBB1_34743
; %bb.62319:
	s_getpc_b64 s[14:15]
.Lpost_getpc16823:
	s_add_u32 s14, s14, (.LBB1_12143-.Lpost_getpc16823)&4294967295
	s_addc_u32 s15, s15, (.LBB1_12143-.Lpost_getpc16823)>>32
	s_setpc_b64 s[14:15]
.LBB1_34743:
	s_getpc_b64 s[14:15]
.Lpost_getpc3035:
	s_add_u32 s14, s14, (.LBB1_12144-.Lpost_getpc3035)&4294967295
	s_addc_u32 s15, s15, (.LBB1_12144-.Lpost_getpc3035)>>32
	s_setpc_b64 s[14:15]
.LBB1_26481:
	s_movk_i32 s4, 0x80
	v_cmp_eq_u16_e32 vcc, s4, v3
	s_mov_b64 s[4:5], -1
                                        ; implicit-def: $sgpr10
	s_and_saveexec_b64 s[8:9], vcc
; %bb.26482:
	s_mov_b32 s10, 0x7f800001
	s_xor_b64 s[4:5], exec, -1
; %bb.26483:
	s_or_b64 exec, exec, s[8:9]
	s_and_b64 s[4:5], s[4:5], exec
                                        ; implicit-def: $vgpr3
	s_or_saveexec_b64 s[6:7], s[6:7]
	v_mov_b32_e32 v2, s10
	s_xor_b64 exec, exec, s[6:7]
	s_cbranch_execnz .LBB1_26484
; %bb.62321:
	s_getpc_b64 s[14:15]
.Lpost_getpc16824:
	s_add_u32 s14, s14, (.LBB1_12146-.Lpost_getpc16824)&4294967295
	s_addc_u32 s15, s15, (.LBB1_12146-.Lpost_getpc16824)>>32
	s_setpc_b64 s[14:15]
.LBB1_26484:
	v_cmp_ne_u16_e32 vcc, 0, v3
	s_andn2_b64 s[4:5], s[4:5], exec
	s_and_b64 s[8:9], vcc, exec
	v_mov_b32_e32 v2, 0
	s_or_b64 s[4:5], s[4:5], s[8:9]
	s_or_b64 exec, exec, s[6:7]
	s_and_saveexec_b64 s[6:7], s[4:5]
	s_cbranch_execz .LBB1_34745
; %bb.62323:
	s_getpc_b64 s[14:15]
.Lpost_getpc16825:
	s_add_u32 s14, s14, (.LBB1_12147-.Lpost_getpc16825)&4294967295
	s_addc_u32 s15, s15, (.LBB1_12147-.Lpost_getpc16825)>>32
	s_setpc_b64 s[14:15]
.LBB1_34745:
	s_getpc_b64 s[14:15]
.Lpost_getpc3036:
	s_add_u32 s14, s14, (.LBB1_12148-.Lpost_getpc3036)&4294967295
	s_addc_u32 s15, s15, (.LBB1_12148-.Lpost_getpc3036)>>32
	s_setpc_b64 s[14:15]
.LBB1_26485:
	s_movk_i32 s4, 0x80
	v_cmp_eq_u16_e32 vcc, s4, v3
	s_mov_b64 s[4:5], -1
                                        ; implicit-def: $sgpr10
	s_and_saveexec_b64 s[8:9], vcc
; %bb.26486:
	s_mov_b32 s10, 0x7f800001
	s_xor_b64 s[4:5], exec, -1
; %bb.26487:
	s_or_b64 exec, exec, s[8:9]
	s_and_b64 s[4:5], s[4:5], exec
                                        ; implicit-def: $vgpr3
	s_or_saveexec_b64 s[6:7], s[6:7]
	v_mov_b32_e32 v4, s10
	s_xor_b64 exec, exec, s[6:7]
	s_cbranch_execnz .LBB1_26488
; %bb.62325:
	s_getpc_b64 s[14:15]
.Lpost_getpc16826:
	s_add_u32 s14, s14, (.LBB1_12150-.Lpost_getpc16826)&4294967295
	s_addc_u32 s15, s15, (.LBB1_12150-.Lpost_getpc16826)>>32
	s_setpc_b64 s[14:15]
.LBB1_26488:
	v_cmp_ne_u16_e32 vcc, 0, v3
	s_andn2_b64 s[4:5], s[4:5], exec
	s_and_b64 s[8:9], vcc, exec
	v_mov_b32_e32 v4, 0
	s_or_b64 s[4:5], s[4:5], s[8:9]
	s_or_b64 exec, exec, s[6:7]
	s_and_saveexec_b64 s[6:7], s[4:5]
	s_cbranch_execz .LBB1_34747
; %bb.62327:
	s_getpc_b64 s[14:15]
.Lpost_getpc16827:
	s_add_u32 s14, s14, (.LBB1_12151-.Lpost_getpc16827)&4294967295
	s_addc_u32 s15, s15, (.LBB1_12151-.Lpost_getpc16827)>>32
	s_setpc_b64 s[14:15]
.LBB1_34747:
	s_getpc_b64 s[14:15]
.Lpost_getpc3037:
	s_add_u32 s14, s14, (.LBB1_12152-.Lpost_getpc3037)&4294967295
	s_addc_u32 s15, s15, (.LBB1_12152-.Lpost_getpc3037)>>32
	s_setpc_b64 s[14:15]
.LBB1_26489:
	s_movk_i32 s4, 0x80
	v_cmp_eq_u16_sdwa s[12:13], v9, s4 src0_sel:BYTE_3 src1_sel:DWORD
	s_mov_b64 s[4:5], -1
                                        ; implicit-def: $sgpr10
	s_and_saveexec_b64 s[8:9], s[12:13]
; %bb.26490:
	s_mov_b32 s10, 0x7f800001
	s_xor_b64 s[4:5], exec, -1
; %bb.26491:
	s_or_b64 exec, exec, s[8:9]
	s_and_b64 s[4:5], s[4:5], exec
	s_or_saveexec_b64 s[6:7], s[6:7]
	v_mov_b32_e32 v2, s10
	s_xor_b64 exec, exec, s[6:7]
	s_cbranch_execnz .LBB1_26492
; %bb.62329:
	s_getpc_b64 s[14:15]
.Lpost_getpc16828:
	s_add_u32 s14, s14, (.LBB1_12154-.Lpost_getpc16828)&4294967295
	s_addc_u32 s15, s15, (.LBB1_12154-.Lpost_getpc16828)>>32
	s_setpc_b64 s[14:15]
.LBB1_26492:
	v_mov_b32_e32 v2, 0
	v_cmp_ne_u16_sdwa s[8:9], v9, v2 src0_sel:BYTE_3 src1_sel:DWORD
	s_andn2_b64 s[4:5], s[4:5], exec
	s_and_b64 s[8:9], s[8:9], exec
	s_or_b64 s[4:5], s[4:5], s[8:9]
	s_or_b64 exec, exec, s[6:7]
	s_and_saveexec_b64 s[6:7], s[4:5]
	s_cbranch_execz .LBB1_34749
; %bb.62331:
	s_getpc_b64 s[14:15]
.Lpost_getpc16829:
	s_add_u32 s14, s14, (.LBB1_12155-.Lpost_getpc16829)&4294967295
	s_addc_u32 s15, s15, (.LBB1_12155-.Lpost_getpc16829)>>32
	s_setpc_b64 s[14:15]
.LBB1_34749:
	s_getpc_b64 s[14:15]
.Lpost_getpc3038:
	s_add_u32 s14, s14, (.LBB1_12156-.Lpost_getpc3038)&4294967295
	s_addc_u32 s15, s15, (.LBB1_12156-.Lpost_getpc3038)>>32
	s_setpc_b64 s[14:15]
.LBB1_26493:
	s_movk_i32 s4, 0x80
	v_cmp_eq_u16_sdwa s[12:13], v5, s4 src0_sel:BYTE_3 src1_sel:DWORD
	s_mov_b64 s[4:5], -1
                                        ; implicit-def: $sgpr10
	s_and_saveexec_b64 s[8:9], s[12:13]
; %bb.26494:
	s_mov_b32 s10, 0x7f800001
	s_xor_b64 s[4:5], exec, -1
; %bb.26495:
	s_or_b64 exec, exec, s[8:9]
	s_and_b64 s[4:5], s[4:5], exec
	s_or_saveexec_b64 s[6:7], s[6:7]
	v_mov_b32_e32 v3, s10
	s_xor_b64 exec, exec, s[6:7]
	s_cbranch_execnz .LBB1_26496
; %bb.62333:
	s_getpc_b64 s[14:15]
.Lpost_getpc16830:
	s_add_u32 s14, s14, (.LBB1_12158-.Lpost_getpc16830)&4294967295
	s_addc_u32 s15, s15, (.LBB1_12158-.Lpost_getpc16830)>>32
	s_setpc_b64 s[14:15]
.LBB1_26496:
	v_mov_b32_e32 v3, 0
	v_cmp_ne_u16_sdwa s[8:9], v5, v3 src0_sel:BYTE_3 src1_sel:DWORD
	s_andn2_b64 s[4:5], s[4:5], exec
	s_and_b64 s[8:9], s[8:9], exec
	s_or_b64 s[4:5], s[4:5], s[8:9]
	s_or_b64 exec, exec, s[6:7]
	s_and_saveexec_b64 s[6:7], s[4:5]
	s_cbranch_execz .LBB1_34751
; %bb.62335:
	s_getpc_b64 s[14:15]
.Lpost_getpc16831:
	s_add_u32 s14, s14, (.LBB1_12159-.Lpost_getpc16831)&4294967295
	s_addc_u32 s15, s15, (.LBB1_12159-.Lpost_getpc16831)>>32
	s_setpc_b64 s[14:15]
.LBB1_34751:
	s_getpc_b64 s[14:15]
.Lpost_getpc3039:
	s_add_u32 s14, s14, (.LBB1_12160-.Lpost_getpc3039)&4294967295
	s_addc_u32 s15, s15, (.LBB1_12160-.Lpost_getpc3039)>>32
	s_setpc_b64 s[14:15]
.LBB1_26497:
	s_movk_i32 s4, 0x80
	v_cmp_eq_u16_sdwa s[12:13], v6, s4 src0_sel:BYTE_0 src1_sel:DWORD
	s_mov_b64 s[4:5], -1
                                        ; implicit-def: $sgpr10
	s_and_saveexec_b64 s[8:9], s[12:13]
; %bb.26498:
	s_mov_b32 s10, 0x7f800001
	s_xor_b64 s[4:5], exec, -1
; %bb.26499:
	s_or_b64 exec, exec, s[8:9]
	s_and_b64 s[4:5], s[4:5], exec
	s_or_saveexec_b64 s[6:7], s[6:7]
	v_mov_b32_e32 v12, s10
	s_xor_b64 exec, exec, s[6:7]
	s_cbranch_execnz .LBB1_26500
; %bb.62337:
	s_getpc_b64 s[14:15]
.Lpost_getpc16832:
	s_add_u32 s14, s14, (.LBB1_12162-.Lpost_getpc16832)&4294967295
	s_addc_u32 s15, s15, (.LBB1_12162-.Lpost_getpc16832)>>32
	s_setpc_b64 s[14:15]
.LBB1_26500:
	v_mov_b32_e32 v12, 0
	v_cmp_ne_u16_sdwa s[8:9], v6, v12 src0_sel:BYTE_0 src1_sel:DWORD
	s_andn2_b64 s[4:5], s[4:5], exec
	s_and_b64 s[8:9], s[8:9], exec
	s_or_b64 s[4:5], s[4:5], s[8:9]
	s_or_b64 exec, exec, s[6:7]
	s_and_saveexec_b64 s[6:7], s[4:5]
	s_cbranch_execz .LBB1_34753
; %bb.62339:
	s_getpc_b64 s[14:15]
.Lpost_getpc16833:
	s_add_u32 s14, s14, (.LBB1_12163-.Lpost_getpc16833)&4294967295
	s_addc_u32 s15, s15, (.LBB1_12163-.Lpost_getpc16833)>>32
	s_setpc_b64 s[14:15]
.LBB1_34753:
	s_getpc_b64 s[14:15]
.Lpost_getpc3040:
	s_add_u32 s14, s14, (.LBB1_12164-.Lpost_getpc3040)&4294967295
	s_addc_u32 s15, s15, (.LBB1_12164-.Lpost_getpc3040)>>32
	s_setpc_b64 s[14:15]
.LBB1_26501:
	s_movk_i32 s4, 0x80
	v_cmp_eq_u16_sdwa s[12:13], v2, s4 src0_sel:BYTE_0 src1_sel:DWORD
	s_mov_b64 s[4:5], -1
                                        ; implicit-def: $sgpr10
	s_and_saveexec_b64 s[8:9], s[12:13]
; %bb.26502:
	s_mov_b32 s10, 0x7f800001
	s_xor_b64 s[4:5], exec, -1
; %bb.26503:
	s_or_b64 exec, exec, s[8:9]
	s_and_b64 s[4:5], s[4:5], exec
	s_or_saveexec_b64 s[6:7], s[6:7]
	v_mov_b32_e32 v13, s10
	s_xor_b64 exec, exec, s[6:7]
	s_cbranch_execnz .LBB1_26504
; %bb.62341:
	s_getpc_b64 s[14:15]
.Lpost_getpc16834:
	s_add_u32 s14, s14, (.LBB1_12166-.Lpost_getpc16834)&4294967295
	s_addc_u32 s15, s15, (.LBB1_12166-.Lpost_getpc16834)>>32
	s_setpc_b64 s[14:15]
.LBB1_26504:
	v_mov_b32_e32 v13, 0
	v_cmp_ne_u16_sdwa s[8:9], v2, v13 src0_sel:BYTE_0 src1_sel:DWORD
	s_andn2_b64 s[4:5], s[4:5], exec
	s_and_b64 s[8:9], s[8:9], exec
	s_or_b64 s[4:5], s[4:5], s[8:9]
	s_or_b64 exec, exec, s[6:7]
	s_and_saveexec_b64 s[6:7], s[4:5]
	s_cbranch_execz .LBB1_34755
; %bb.62343:
	s_getpc_b64 s[14:15]
.Lpost_getpc16835:
	s_add_u32 s14, s14, (.LBB1_12167-.Lpost_getpc16835)&4294967295
	s_addc_u32 s15, s15, (.LBB1_12167-.Lpost_getpc16835)>>32
	s_setpc_b64 s[14:15]
.LBB1_34755:
	s_getpc_b64 s[14:15]
.Lpost_getpc3041:
	s_add_u32 s14, s14, (.LBB1_12168-.Lpost_getpc3041)&4294967295
	s_addc_u32 s15, s15, (.LBB1_12168-.Lpost_getpc3041)>>32
	s_setpc_b64 s[14:15]
.LBB1_26505:
	s_movk_i32 s4, 0x80
	v_cmp_eq_u16_sdwa s[12:13], v13, s4 src0_sel:BYTE_0 src1_sel:DWORD
	s_mov_b64 s[4:5], -1
                                        ; implicit-def: $sgpr10
	s_and_saveexec_b64 s[8:9], s[12:13]
; %bb.26506:
	s_mov_b32 s10, 0x7f800001
	s_xor_b64 s[4:5], exec, -1
; %bb.26507:
	s_or_b64 exec, exec, s[8:9]
	s_and_b64 s[4:5], s[4:5], exec
	s_or_saveexec_b64 s[6:7], s[6:7]
	v_mov_b32_e32 v12, s10
	s_xor_b64 exec, exec, s[6:7]
	s_cbranch_execnz .LBB1_26508
; %bb.62345:
	s_getpc_b64 s[14:15]
.Lpost_getpc16836:
	s_add_u32 s14, s14, (.LBB1_12170-.Lpost_getpc16836)&4294967295
	s_addc_u32 s15, s15, (.LBB1_12170-.Lpost_getpc16836)>>32
	s_setpc_b64 s[14:15]
.LBB1_26508:
	v_mov_b32_e32 v12, 0
	v_cmp_ne_u16_sdwa s[8:9], v13, v12 src0_sel:BYTE_0 src1_sel:DWORD
	s_andn2_b64 s[4:5], s[4:5], exec
	s_and_b64 s[8:9], s[8:9], exec
	s_or_b64 s[4:5], s[4:5], s[8:9]
	s_or_b64 exec, exec, s[6:7]
	s_and_saveexec_b64 s[6:7], s[4:5]
	s_cbranch_execz .LBB1_34757
; %bb.62347:
	s_getpc_b64 s[14:15]
.Lpost_getpc16837:
	s_add_u32 s14, s14, (.LBB1_12171-.Lpost_getpc16837)&4294967295
	s_addc_u32 s15, s15, (.LBB1_12171-.Lpost_getpc16837)>>32
	s_setpc_b64 s[14:15]
.LBB1_34757:
	s_getpc_b64 s[14:15]
.Lpost_getpc3042:
	s_add_u32 s14, s14, (.LBB1_12172-.Lpost_getpc3042)&4294967295
	s_addc_u32 s15, s15, (.LBB1_12172-.Lpost_getpc3042)>>32
	s_setpc_b64 s[14:15]
.LBB1_26509:
	s_movk_i32 s4, 0x80
	v_cmp_eq_u16_sdwa s[12:13], v13, s4 src0_sel:BYTE_0 src1_sel:DWORD
	s_mov_b64 s[4:5], -1
                                        ; implicit-def: $sgpr10
	s_and_saveexec_b64 s[8:9], s[12:13]
; %bb.26510:
	s_mov_b32 s10, 0x7f800001
	s_xor_b64 s[4:5], exec, -1
; %bb.26511:
	s_or_b64 exec, exec, s[8:9]
	s_and_b64 s[4:5], s[4:5], exec
	s_or_saveexec_b64 s[6:7], s[6:7]
	v_mov_b32_e32 v14, s10
	s_xor_b64 exec, exec, s[6:7]
	s_cbranch_execnz .LBB1_26512
; %bb.62349:
	s_getpc_b64 s[14:15]
.Lpost_getpc16838:
	s_add_u32 s14, s14, (.LBB1_12174-.Lpost_getpc16838)&4294967295
	s_addc_u32 s15, s15, (.LBB1_12174-.Lpost_getpc16838)>>32
	s_setpc_b64 s[14:15]
.LBB1_26512:
	v_mov_b32_e32 v14, 0
	v_cmp_ne_u16_sdwa s[8:9], v13, v14 src0_sel:BYTE_0 src1_sel:DWORD
	s_andn2_b64 s[4:5], s[4:5], exec
	s_and_b64 s[8:9], s[8:9], exec
	s_or_b64 s[4:5], s[4:5], s[8:9]
	s_or_b64 exec, exec, s[6:7]
	s_and_saveexec_b64 s[6:7], s[4:5]
	s_cbranch_execz .LBB1_34759
; %bb.62351:
	s_getpc_b64 s[14:15]
.Lpost_getpc16839:
	s_add_u32 s14, s14, (.LBB1_12175-.Lpost_getpc16839)&4294967295
	s_addc_u32 s15, s15, (.LBB1_12175-.Lpost_getpc16839)>>32
	s_setpc_b64 s[14:15]
.LBB1_34759:
	s_getpc_b64 s[14:15]
.Lpost_getpc3043:
	s_add_u32 s14, s14, (.LBB1_12176-.Lpost_getpc3043)&4294967295
	s_addc_u32 s15, s15, (.LBB1_12176-.Lpost_getpc3043)>>32
	s_setpc_b64 s[14:15]
.LBB1_26513:
	s_movk_i32 s4, 0x80
	v_cmp_eq_u16_e32 vcc, s4, v13
	s_mov_b64 s[4:5], -1
                                        ; implicit-def: $sgpr10
	s_and_saveexec_b64 s[8:9], vcc
; %bb.26514:
	s_mov_b32 s10, 0x7f800001
	s_xor_b64 s[4:5], exec, -1
; %bb.26515:
	s_or_b64 exec, exec, s[8:9]
	s_and_b64 s[4:5], s[4:5], exec
                                        ; implicit-def: $vgpr13
	s_or_saveexec_b64 s[6:7], s[6:7]
	v_mov_b32_e32 v12, s10
	s_xor_b64 exec, exec, s[6:7]
	s_cbranch_execnz .LBB1_26516
; %bb.62353:
	s_getpc_b64 s[14:15]
.Lpost_getpc16840:
	s_add_u32 s14, s14, (.LBB1_12178-.Lpost_getpc16840)&4294967295
	s_addc_u32 s15, s15, (.LBB1_12178-.Lpost_getpc16840)>>32
	s_setpc_b64 s[14:15]
.LBB1_26516:
	v_cmp_ne_u16_e32 vcc, 0, v13
	s_andn2_b64 s[4:5], s[4:5], exec
	s_and_b64 s[8:9], vcc, exec
	v_mov_b32_e32 v12, 0
	s_or_b64 s[4:5], s[4:5], s[8:9]
	s_or_b64 exec, exec, s[6:7]
	s_and_saveexec_b64 s[6:7], s[4:5]
	s_cbranch_execz .LBB1_34761
; %bb.62355:
	s_getpc_b64 s[14:15]
.Lpost_getpc16841:
	s_add_u32 s14, s14, (.LBB1_12179-.Lpost_getpc16841)&4294967295
	s_addc_u32 s15, s15, (.LBB1_12179-.Lpost_getpc16841)>>32
	s_setpc_b64 s[14:15]
.LBB1_34761:
	s_getpc_b64 s[14:15]
.Lpost_getpc3044:
	s_add_u32 s14, s14, (.LBB1_12180-.Lpost_getpc3044)&4294967295
	s_addc_u32 s15, s15, (.LBB1_12180-.Lpost_getpc3044)>>32
	s_setpc_b64 s[14:15]
.LBB1_26517:
	s_movk_i32 s4, 0x80
	v_cmp_eq_u16_e32 vcc, s4, v13
	s_mov_b64 s[4:5], -1
                                        ; implicit-def: $sgpr10
	s_and_saveexec_b64 s[8:9], vcc
; %bb.26518:
	s_mov_b32 s10, 0x7f800001
	s_xor_b64 s[4:5], exec, -1
; %bb.26519:
	s_or_b64 exec, exec, s[8:9]
	s_and_b64 s[4:5], s[4:5], exec
                                        ; implicit-def: $vgpr13
	s_or_saveexec_b64 s[6:7], s[6:7]
	v_mov_b32_e32 v14, s10
	s_xor_b64 exec, exec, s[6:7]
	s_cbranch_execnz .LBB1_26520
; %bb.62357:
	s_getpc_b64 s[14:15]
.Lpost_getpc16842:
	s_add_u32 s14, s14, (.LBB1_12182-.Lpost_getpc16842)&4294967295
	s_addc_u32 s15, s15, (.LBB1_12182-.Lpost_getpc16842)>>32
	s_setpc_b64 s[14:15]
.LBB1_26520:
	v_cmp_ne_u16_e32 vcc, 0, v13
	s_andn2_b64 s[4:5], s[4:5], exec
	s_and_b64 s[8:9], vcc, exec
	v_mov_b32_e32 v14, 0
	s_or_b64 s[4:5], s[4:5], s[8:9]
	s_or_b64 exec, exec, s[6:7]
	s_and_saveexec_b64 s[6:7], s[4:5]
	s_cbranch_execz .LBB1_34763
; %bb.62359:
	s_getpc_b64 s[14:15]
.Lpost_getpc16843:
	s_add_u32 s14, s14, (.LBB1_12183-.Lpost_getpc16843)&4294967295
	s_addc_u32 s15, s15, (.LBB1_12183-.Lpost_getpc16843)>>32
	s_setpc_b64 s[14:15]
.LBB1_34763:
	s_getpc_b64 s[14:15]
.Lpost_getpc3045:
	s_add_u32 s14, s14, (.LBB1_12184-.Lpost_getpc3045)&4294967295
	s_addc_u32 s15, s15, (.LBB1_12184-.Lpost_getpc3045)>>32
	s_setpc_b64 s[14:15]
.LBB1_26521:
	s_movk_i32 s4, 0x80
	v_cmp_eq_u16_sdwa s[12:13], v6, s4 src0_sel:BYTE_3 src1_sel:DWORD
	s_mov_b64 s[4:5], -1
                                        ; implicit-def: $sgpr10
	s_and_saveexec_b64 s[8:9], s[12:13]
; %bb.26522:
	s_mov_b32 s10, 0x7f800001
	s_xor_b64 s[4:5], exec, -1
; %bb.26523:
	s_or_b64 exec, exec, s[8:9]
	s_and_b64 s[4:5], s[4:5], exec
	s_or_saveexec_b64 s[6:7], s[6:7]
	v_mov_b32_e32 v12, s10
	s_xor_b64 exec, exec, s[6:7]
	s_cbranch_execnz .LBB1_26524
; %bb.62361:
	s_getpc_b64 s[14:15]
.Lpost_getpc16844:
	s_add_u32 s14, s14, (.LBB1_12186-.Lpost_getpc16844)&4294967295
	s_addc_u32 s15, s15, (.LBB1_12186-.Lpost_getpc16844)>>32
	s_setpc_b64 s[14:15]
.LBB1_26524:
	v_mov_b32_e32 v12, 0
	v_cmp_ne_u16_sdwa s[8:9], v6, v12 src0_sel:BYTE_3 src1_sel:DWORD
	s_andn2_b64 s[4:5], s[4:5], exec
	s_and_b64 s[8:9], s[8:9], exec
	s_or_b64 s[4:5], s[4:5], s[8:9]
	s_or_b64 exec, exec, s[6:7]
	s_and_saveexec_b64 s[6:7], s[4:5]
	s_cbranch_execz .LBB1_34765
; %bb.62363:
	s_getpc_b64 s[14:15]
.Lpost_getpc16845:
	s_add_u32 s14, s14, (.LBB1_12187-.Lpost_getpc16845)&4294967295
	s_addc_u32 s15, s15, (.LBB1_12187-.Lpost_getpc16845)>>32
	s_setpc_b64 s[14:15]
.LBB1_34765:
	s_getpc_b64 s[14:15]
.Lpost_getpc3046:
	s_add_u32 s14, s14, (.LBB1_12188-.Lpost_getpc3046)&4294967295
	s_addc_u32 s15, s15, (.LBB1_12188-.Lpost_getpc3046)>>32
	s_setpc_b64 s[14:15]
.LBB1_26525:
	s_movk_i32 s4, 0x80
	v_cmp_eq_u16_sdwa s[12:13], v2, s4 src0_sel:BYTE_3 src1_sel:DWORD
	s_mov_b64 s[4:5], -1
                                        ; implicit-def: $sgpr10
	s_and_saveexec_b64 s[8:9], s[12:13]
; %bb.26526:
	s_mov_b32 s10, 0x7f800001
	s_xor_b64 s[4:5], exec, -1
; %bb.26527:
	s_or_b64 exec, exec, s[8:9]
	s_and_b64 s[4:5], s[4:5], exec
	s_or_saveexec_b64 s[6:7], s[6:7]
	v_mov_b32_e32 v6, s10
	s_xor_b64 exec, exec, s[6:7]
	s_cbranch_execnz .LBB1_26528
; %bb.62365:
	s_getpc_b64 s[14:15]
.Lpost_getpc16846:
	s_add_u32 s14, s14, (.LBB1_12190-.Lpost_getpc16846)&4294967295
	s_addc_u32 s15, s15, (.LBB1_12190-.Lpost_getpc16846)>>32
	s_setpc_b64 s[14:15]
.LBB1_26528:
	v_mov_b32_e32 v6, 0
	v_cmp_ne_u16_sdwa s[8:9], v2, v6 src0_sel:BYTE_3 src1_sel:DWORD
	s_andn2_b64 s[4:5], s[4:5], exec
	s_and_b64 s[8:9], s[8:9], exec
	s_or_b64 s[4:5], s[4:5], s[8:9]
	s_or_b64 exec, exec, s[6:7]
	s_and_saveexec_b64 s[6:7], s[4:5]
	s_cbranch_execz .LBB1_34767
; %bb.62367:
	s_getpc_b64 s[14:15]
.Lpost_getpc16847:
	s_add_u32 s14, s14, (.LBB1_12191-.Lpost_getpc16847)&4294967295
	s_addc_u32 s15, s15, (.LBB1_12191-.Lpost_getpc16847)>>32
	s_setpc_b64 s[14:15]
.LBB1_34767:
	s_getpc_b64 s[14:15]
.Lpost_getpc3047:
	s_add_u32 s14, s14, (.LBB1_12192-.Lpost_getpc3047)&4294967295
	s_addc_u32 s15, s15, (.LBB1_12192-.Lpost_getpc3047)>>32
	s_setpc_b64 s[14:15]
.LBB1_26529:
	s_movk_i32 s4, 0x80
	v_cmp_eq_u16_sdwa s[12:13], v7, s4 src0_sel:BYTE_0 src1_sel:DWORD
	s_mov_b64 s[4:5], -1
                                        ; implicit-def: $sgpr10
	s_and_saveexec_b64 s[8:9], s[12:13]
; %bb.26530:
	s_mov_b32 s10, 0x7f800001
	s_xor_b64 s[4:5], exec, -1
; %bb.26531:
	s_or_b64 exec, exec, s[8:9]
	s_and_b64 s[4:5], s[4:5], exec
	s_or_saveexec_b64 s[6:7], s[6:7]
	v_mov_b32_e32 v2, s10
	s_xor_b64 exec, exec, s[6:7]
	s_cbranch_execnz .LBB1_26532
; %bb.62369:
	s_getpc_b64 s[14:15]
.Lpost_getpc16848:
	s_add_u32 s14, s14, (.LBB1_12194-.Lpost_getpc16848)&4294967295
	s_addc_u32 s15, s15, (.LBB1_12194-.Lpost_getpc16848)>>32
	s_setpc_b64 s[14:15]
.LBB1_26532:
	v_mov_b32_e32 v2, 0
	v_cmp_ne_u16_sdwa s[8:9], v7, v2 src0_sel:BYTE_0 src1_sel:DWORD
	s_andn2_b64 s[4:5], s[4:5], exec
	s_and_b64 s[8:9], s[8:9], exec
	s_or_b64 s[4:5], s[4:5], s[8:9]
	s_or_b64 exec, exec, s[6:7]
	s_and_saveexec_b64 s[6:7], s[4:5]
	s_cbranch_execz .LBB1_34769
; %bb.62371:
	s_getpc_b64 s[14:15]
.Lpost_getpc16849:
	s_add_u32 s14, s14, (.LBB1_12195-.Lpost_getpc16849)&4294967295
	s_addc_u32 s15, s15, (.LBB1_12195-.Lpost_getpc16849)>>32
	s_setpc_b64 s[14:15]
.LBB1_34769:
	s_getpc_b64 s[14:15]
.Lpost_getpc3048:
	s_add_u32 s14, s14, (.LBB1_12196-.Lpost_getpc3048)&4294967295
	s_addc_u32 s15, s15, (.LBB1_12196-.Lpost_getpc3048)>>32
	s_setpc_b64 s[14:15]
.LBB1_26533:
	s_movk_i32 s4, 0x80
	v_cmp_eq_u16_sdwa s[12:13], v3, s4 src0_sel:BYTE_0 src1_sel:DWORD
	s_mov_b64 s[4:5], -1
                                        ; implicit-def: $sgpr10
	s_and_saveexec_b64 s[8:9], s[12:13]
; %bb.26534:
	s_mov_b32 s10, 0x7f800001
	s_xor_b64 s[4:5], exec, -1
; %bb.26535:
	s_or_b64 exec, exec, s[8:9]
	s_and_b64 s[4:5], s[4:5], exec
	s_or_saveexec_b64 s[6:7], s[6:7]
	v_mov_b32_e32 v6, s10
	s_xor_b64 exec, exec, s[6:7]
	s_cbranch_execnz .LBB1_26536
; %bb.62373:
	s_getpc_b64 s[14:15]
.Lpost_getpc16850:
	s_add_u32 s14, s14, (.LBB1_12198-.Lpost_getpc16850)&4294967295
	s_addc_u32 s15, s15, (.LBB1_12198-.Lpost_getpc16850)>>32
	s_setpc_b64 s[14:15]
.LBB1_26536:
	v_mov_b32_e32 v6, 0
	v_cmp_ne_u16_sdwa s[8:9], v3, v6 src0_sel:BYTE_0 src1_sel:DWORD
	s_andn2_b64 s[4:5], s[4:5], exec
	s_and_b64 s[8:9], s[8:9], exec
	s_or_b64 s[4:5], s[4:5], s[8:9]
	s_or_b64 exec, exec, s[6:7]
	s_and_saveexec_b64 s[6:7], s[4:5]
	s_cbranch_execz .LBB1_34771
; %bb.62375:
	s_getpc_b64 s[14:15]
.Lpost_getpc16851:
	s_add_u32 s14, s14, (.LBB1_12199-.Lpost_getpc16851)&4294967295
	s_addc_u32 s15, s15, (.LBB1_12199-.Lpost_getpc16851)>>32
	s_setpc_b64 s[14:15]
.LBB1_34771:
	s_getpc_b64 s[14:15]
.Lpost_getpc3049:
	s_add_u32 s14, s14, (.LBB1_12200-.Lpost_getpc3049)&4294967295
	s_addc_u32 s15, s15, (.LBB1_12200-.Lpost_getpc3049)>>32
	s_setpc_b64 s[14:15]
.LBB1_26537:
	s_movk_i32 s4, 0x80
	v_cmp_eq_u16_sdwa s[12:13], v6, s4 src0_sel:BYTE_0 src1_sel:DWORD
	s_mov_b64 s[4:5], -1
                                        ; implicit-def: $sgpr10
	s_and_saveexec_b64 s[8:9], s[12:13]
; %bb.26538:
	s_mov_b32 s10, 0x7f800001
	s_xor_b64 s[4:5], exec, -1
; %bb.26539:
	s_or_b64 exec, exec, s[8:9]
	s_and_b64 s[4:5], s[4:5], exec
	s_or_saveexec_b64 s[6:7], s[6:7]
	v_mov_b32_e32 v2, s10
	s_xor_b64 exec, exec, s[6:7]
	s_cbranch_execnz .LBB1_26540
; %bb.62377:
	s_getpc_b64 s[14:15]
.Lpost_getpc16852:
	s_add_u32 s14, s14, (.LBB1_12202-.Lpost_getpc16852)&4294967295
	s_addc_u32 s15, s15, (.LBB1_12202-.Lpost_getpc16852)>>32
	s_setpc_b64 s[14:15]
.LBB1_26540:
	v_mov_b32_e32 v2, 0
	v_cmp_ne_u16_sdwa s[8:9], v6, v2 src0_sel:BYTE_0 src1_sel:DWORD
	s_andn2_b64 s[4:5], s[4:5], exec
	s_and_b64 s[8:9], s[8:9], exec
	s_or_b64 s[4:5], s[4:5], s[8:9]
	s_or_b64 exec, exec, s[6:7]
	s_and_saveexec_b64 s[6:7], s[4:5]
	s_cbranch_execz .LBB1_34773
; %bb.62379:
	s_getpc_b64 s[14:15]
.Lpost_getpc16853:
	s_add_u32 s14, s14, (.LBB1_12203-.Lpost_getpc16853)&4294967295
	s_addc_u32 s15, s15, (.LBB1_12203-.Lpost_getpc16853)>>32
	s_setpc_b64 s[14:15]
.LBB1_34773:
	s_getpc_b64 s[14:15]
.Lpost_getpc3050:
	s_add_u32 s14, s14, (.LBB1_12204-.Lpost_getpc3050)&4294967295
	s_addc_u32 s15, s15, (.LBB1_12204-.Lpost_getpc3050)>>32
	s_setpc_b64 s[14:15]
.LBB1_26541:
	s_movk_i32 s4, 0x80
	v_cmp_eq_u16_sdwa s[12:13], v6, s4 src0_sel:BYTE_0 src1_sel:DWORD
	s_mov_b64 s[4:5], -1
                                        ; implicit-def: $sgpr10
	s_and_saveexec_b64 s[8:9], s[12:13]
; %bb.26542:
	s_mov_b32 s10, 0x7f800001
	s_xor_b64 s[4:5], exec, -1
; %bb.26543:
	s_or_b64 exec, exec, s[8:9]
	s_and_b64 s[4:5], s[4:5], exec
	s_or_saveexec_b64 s[6:7], s[6:7]
	v_mov_b32_e32 v12, s10
	s_xor_b64 exec, exec, s[6:7]
	s_cbranch_execnz .LBB1_26544
; %bb.62381:
	s_getpc_b64 s[14:15]
.Lpost_getpc16854:
	s_add_u32 s14, s14, (.LBB1_12206-.Lpost_getpc16854)&4294967295
	s_addc_u32 s15, s15, (.LBB1_12206-.Lpost_getpc16854)>>32
	s_setpc_b64 s[14:15]
.LBB1_26544:
	v_mov_b32_e32 v12, 0
	v_cmp_ne_u16_sdwa s[8:9], v6, v12 src0_sel:BYTE_0 src1_sel:DWORD
	s_andn2_b64 s[4:5], s[4:5], exec
	s_and_b64 s[8:9], s[8:9], exec
	s_or_b64 s[4:5], s[4:5], s[8:9]
	s_or_b64 exec, exec, s[6:7]
	s_and_saveexec_b64 s[6:7], s[4:5]
	s_cbranch_execz .LBB1_34775
; %bb.62383:
	s_getpc_b64 s[14:15]
.Lpost_getpc16855:
	s_add_u32 s14, s14, (.LBB1_12207-.Lpost_getpc16855)&4294967295
	s_addc_u32 s15, s15, (.LBB1_12207-.Lpost_getpc16855)>>32
	s_setpc_b64 s[14:15]
.LBB1_34775:
	s_getpc_b64 s[14:15]
.Lpost_getpc3051:
	s_add_u32 s14, s14, (.LBB1_12208-.Lpost_getpc3051)&4294967295
	s_addc_u32 s15, s15, (.LBB1_12208-.Lpost_getpc3051)>>32
	s_setpc_b64 s[14:15]
.LBB1_26545:
	s_movk_i32 s4, 0x80
	v_cmp_eq_u16_e32 vcc, s4, v6
	s_mov_b64 s[4:5], -1
                                        ; implicit-def: $sgpr10
	s_and_saveexec_b64 s[8:9], vcc
; %bb.26546:
	s_mov_b32 s10, 0x7f800001
	s_xor_b64 s[4:5], exec, -1
; %bb.26547:
	s_or_b64 exec, exec, s[8:9]
	s_and_b64 s[4:5], s[4:5], exec
                                        ; implicit-def: $vgpr6
	s_or_saveexec_b64 s[6:7], s[6:7]
	v_mov_b32_e32 v2, s10
	s_xor_b64 exec, exec, s[6:7]
	s_cbranch_execnz .LBB1_26548
; %bb.62385:
	s_getpc_b64 s[14:15]
.Lpost_getpc16856:
	s_add_u32 s14, s14, (.LBB1_12210-.Lpost_getpc16856)&4294967295
	s_addc_u32 s15, s15, (.LBB1_12210-.Lpost_getpc16856)>>32
	s_setpc_b64 s[14:15]
.LBB1_26548:
	v_cmp_ne_u16_e32 vcc, 0, v6
	s_andn2_b64 s[4:5], s[4:5], exec
	s_and_b64 s[8:9], vcc, exec
	v_mov_b32_e32 v2, 0
	s_or_b64 s[4:5], s[4:5], s[8:9]
	s_or_b64 exec, exec, s[6:7]
	s_and_saveexec_b64 s[6:7], s[4:5]
	s_cbranch_execz .LBB1_34777
; %bb.62387:
	s_getpc_b64 s[14:15]
.Lpost_getpc16857:
	s_add_u32 s14, s14, (.LBB1_12211-.Lpost_getpc16857)&4294967295
	s_addc_u32 s15, s15, (.LBB1_12211-.Lpost_getpc16857)>>32
	s_setpc_b64 s[14:15]
.LBB1_34777:
	s_getpc_b64 s[14:15]
.Lpost_getpc3052:
	s_add_u32 s14, s14, (.LBB1_12212-.Lpost_getpc3052)&4294967295
	s_addc_u32 s15, s15, (.LBB1_12212-.Lpost_getpc3052)>>32
	s_setpc_b64 s[14:15]
.LBB1_26549:
	s_movk_i32 s4, 0x80
	v_cmp_eq_u16_e32 vcc, s4, v6
	s_mov_b64 s[4:5], -1
                                        ; implicit-def: $sgpr10
	s_and_saveexec_b64 s[8:9], vcc
; %bb.26550:
	s_mov_b32 s10, 0x7f800001
	s_xor_b64 s[4:5], exec, -1
; %bb.26551:
	s_or_b64 exec, exec, s[8:9]
	s_and_b64 s[4:5], s[4:5], exec
                                        ; implicit-def: $vgpr6
	s_or_saveexec_b64 s[6:7], s[6:7]
	v_mov_b32_e32 v12, s10
	s_xor_b64 exec, exec, s[6:7]
	s_cbranch_execnz .LBB1_26552
; %bb.62389:
	s_getpc_b64 s[14:15]
.Lpost_getpc16858:
	s_add_u32 s14, s14, (.LBB1_12214-.Lpost_getpc16858)&4294967295
	s_addc_u32 s15, s15, (.LBB1_12214-.Lpost_getpc16858)>>32
	s_setpc_b64 s[14:15]
.LBB1_26552:
	v_cmp_ne_u16_e32 vcc, 0, v6
	s_andn2_b64 s[4:5], s[4:5], exec
	s_and_b64 s[8:9], vcc, exec
	v_mov_b32_e32 v12, 0
	s_or_b64 s[4:5], s[4:5], s[8:9]
	s_or_b64 exec, exec, s[6:7]
	s_and_saveexec_b64 s[6:7], s[4:5]
	s_cbranch_execz .LBB1_34779
; %bb.62391:
	s_getpc_b64 s[14:15]
.Lpost_getpc16859:
	s_add_u32 s14, s14, (.LBB1_12215-.Lpost_getpc16859)&4294967295
	s_addc_u32 s15, s15, (.LBB1_12215-.Lpost_getpc16859)>>32
	s_setpc_b64 s[14:15]
.LBB1_34779:
	s_getpc_b64 s[14:15]
.Lpost_getpc3053:
	s_add_u32 s14, s14, (.LBB1_12216-.Lpost_getpc3053)&4294967295
	s_addc_u32 s15, s15, (.LBB1_12216-.Lpost_getpc3053)>>32
	s_setpc_b64 s[14:15]
.LBB1_26553:
	s_movk_i32 s4, 0x80
	v_cmp_eq_u16_sdwa s[12:13], v7, s4 src0_sel:BYTE_3 src1_sel:DWORD
	s_mov_b64 s[4:5], -1
                                        ; implicit-def: $sgpr10
	s_and_saveexec_b64 s[8:9], s[12:13]
; %bb.26554:
	s_mov_b32 s10, 0x7f800001
	s_xor_b64 s[4:5], exec, -1
; %bb.26555:
	s_or_b64 exec, exec, s[8:9]
	s_and_b64 s[4:5], s[4:5], exec
	s_or_saveexec_b64 s[6:7], s[6:7]
	v_mov_b32_e32 v2, s10
	s_xor_b64 exec, exec, s[6:7]
	s_cbranch_execnz .LBB1_26556
; %bb.62393:
	s_getpc_b64 s[14:15]
.Lpost_getpc16860:
	s_add_u32 s14, s14, (.LBB1_12218-.Lpost_getpc16860)&4294967295
	s_addc_u32 s15, s15, (.LBB1_12218-.Lpost_getpc16860)>>32
	s_setpc_b64 s[14:15]
.LBB1_26556:
	v_mov_b32_e32 v2, 0
	v_cmp_ne_u16_sdwa s[8:9], v7, v2 src0_sel:BYTE_3 src1_sel:DWORD
	s_andn2_b64 s[4:5], s[4:5], exec
	s_and_b64 s[8:9], s[8:9], exec
	s_or_b64 s[4:5], s[4:5], s[8:9]
	s_or_b64 exec, exec, s[6:7]
	s_and_saveexec_b64 s[6:7], s[4:5]
	s_cbranch_execz .LBB1_34781
; %bb.62395:
	s_getpc_b64 s[14:15]
.Lpost_getpc16861:
	s_add_u32 s14, s14, (.LBB1_12219-.Lpost_getpc16861)&4294967295
	s_addc_u32 s15, s15, (.LBB1_12219-.Lpost_getpc16861)>>32
	s_setpc_b64 s[14:15]
.LBB1_34781:
	s_getpc_b64 s[14:15]
.Lpost_getpc3054:
	s_add_u32 s14, s14, (.LBB1_12220-.Lpost_getpc3054)&4294967295
	s_addc_u32 s15, s15, (.LBB1_12220-.Lpost_getpc3054)>>32
	s_setpc_b64 s[14:15]
.LBB1_26557:
	s_movk_i32 s4, 0x80
	v_cmp_eq_u16_sdwa s[12:13], v3, s4 src0_sel:BYTE_3 src1_sel:DWORD
	s_mov_b64 s[4:5], -1
                                        ; implicit-def: $sgpr10
	s_and_saveexec_b64 s[8:9], s[12:13]
; %bb.26558:
	s_mov_b32 s10, 0x7f800001
	s_xor_b64 s[4:5], exec, -1
; %bb.26559:
	s_or_b64 exec, exec, s[8:9]
	s_and_b64 s[4:5], s[4:5], exec
	s_or_saveexec_b64 s[6:7], s[6:7]
	v_mov_b32_e32 v6, s10
	s_xor_b64 exec, exec, s[6:7]
	s_cbranch_execnz .LBB1_26560
; %bb.62397:
	s_getpc_b64 s[14:15]
.Lpost_getpc16862:
	s_add_u32 s14, s14, (.LBB1_12222-.Lpost_getpc16862)&4294967295
	s_addc_u32 s15, s15, (.LBB1_12222-.Lpost_getpc16862)>>32
	s_setpc_b64 s[14:15]
.LBB1_26560:
	v_mov_b32_e32 v6, 0
	v_cmp_ne_u16_sdwa s[8:9], v3, v6 src0_sel:BYTE_3 src1_sel:DWORD
	s_andn2_b64 s[4:5], s[4:5], exec
	s_and_b64 s[8:9], s[8:9], exec
	s_or_b64 s[4:5], s[4:5], s[8:9]
	s_or_b64 exec, exec, s[6:7]
	s_and_saveexec_b64 s[6:7], s[4:5]
	s_cbranch_execz .LBB1_34783
; %bb.62399:
	s_getpc_b64 s[14:15]
.Lpost_getpc16863:
	s_add_u32 s14, s14, (.LBB1_12223-.Lpost_getpc16863)&4294967295
	s_addc_u32 s15, s15, (.LBB1_12223-.Lpost_getpc16863)>>32
	s_setpc_b64 s[14:15]
.LBB1_34783:
	s_getpc_b64 s[14:15]
.Lpost_getpc3055:
	s_add_u32 s14, s14, (.LBB1_12224-.Lpost_getpc3055)&4294967295
	s_addc_u32 s15, s15, (.LBB1_12224-.Lpost_getpc3055)>>32
	s_setpc_b64 s[14:15]
.LBB1_26561:
	s_movk_i32 s4, 0x80
	v_cmp_eq_u16_sdwa s[12:13], v8, s4 src0_sel:BYTE_0 src1_sel:DWORD
	s_mov_b64 s[4:5], -1
                                        ; implicit-def: $sgpr10
	s_and_saveexec_b64 s[8:9], s[12:13]
; %bb.26562:
	s_mov_b32 s10, 0x7f800001
	s_xor_b64 s[4:5], exec, -1
; %bb.26563:
	s_or_b64 exec, exec, s[8:9]
	s_and_b64 s[4:5], s[4:5], exec
	s_or_saveexec_b64 s[6:7], s[6:7]
	v_mov_b32_e32 v2, s10
	s_xor_b64 exec, exec, s[6:7]
	s_cbranch_execnz .LBB1_26564
; %bb.62401:
	s_getpc_b64 s[14:15]
.Lpost_getpc16864:
	s_add_u32 s14, s14, (.LBB1_12226-.Lpost_getpc16864)&4294967295
	s_addc_u32 s15, s15, (.LBB1_12226-.Lpost_getpc16864)>>32
	s_setpc_b64 s[14:15]
.LBB1_26564:
	v_mov_b32_e32 v2, 0
	v_cmp_ne_u16_sdwa s[8:9], v8, v2 src0_sel:BYTE_0 src1_sel:DWORD
	s_andn2_b64 s[4:5], s[4:5], exec
	s_and_b64 s[8:9], s[8:9], exec
	s_or_b64 s[4:5], s[4:5], s[8:9]
	s_or_b64 exec, exec, s[6:7]
	s_and_saveexec_b64 s[6:7], s[4:5]
	s_cbranch_execz .LBB1_34785
; %bb.62403:
	s_getpc_b64 s[14:15]
.Lpost_getpc16865:
	s_add_u32 s14, s14, (.LBB1_12227-.Lpost_getpc16865)&4294967295
	s_addc_u32 s15, s15, (.LBB1_12227-.Lpost_getpc16865)>>32
	s_setpc_b64 s[14:15]
.LBB1_34785:
	s_getpc_b64 s[14:15]
.Lpost_getpc3056:
	s_add_u32 s14, s14, (.LBB1_12228-.Lpost_getpc3056)&4294967295
	s_addc_u32 s15, s15, (.LBB1_12228-.Lpost_getpc3056)>>32
	s_setpc_b64 s[14:15]
.LBB1_26565:
	s_movk_i32 s4, 0x80
	v_cmp_eq_u16_sdwa s[12:13], v4, s4 src0_sel:BYTE_0 src1_sel:DWORD
	s_mov_b64 s[4:5], -1
                                        ; implicit-def: $sgpr10
	s_and_saveexec_b64 s[8:9], s[12:13]
; %bb.26566:
	s_mov_b32 s10, 0x7f800001
	s_xor_b64 s[4:5], exec, -1
; %bb.26567:
	s_or_b64 exec, exec, s[8:9]
	s_and_b64 s[4:5], s[4:5], exec
	s_or_saveexec_b64 s[6:7], s[6:7]
	v_mov_b32_e32 v3, s10
	s_xor_b64 exec, exec, s[6:7]
	s_cbranch_execnz .LBB1_26568
; %bb.62405:
	s_getpc_b64 s[14:15]
.Lpost_getpc16866:
	s_add_u32 s14, s14, (.LBB1_12230-.Lpost_getpc16866)&4294967295
	s_addc_u32 s15, s15, (.LBB1_12230-.Lpost_getpc16866)>>32
	s_setpc_b64 s[14:15]
.LBB1_26568:
	v_mov_b32_e32 v3, 0
	v_cmp_ne_u16_sdwa s[8:9], v4, v3 src0_sel:BYTE_0 src1_sel:DWORD
	s_andn2_b64 s[4:5], s[4:5], exec
	s_and_b64 s[8:9], s[8:9], exec
	s_or_b64 s[4:5], s[4:5], s[8:9]
	s_or_b64 exec, exec, s[6:7]
	s_and_saveexec_b64 s[6:7], s[4:5]
	s_cbranch_execz .LBB1_34787
; %bb.62407:
	s_getpc_b64 s[14:15]
.Lpost_getpc16867:
	s_add_u32 s14, s14, (.LBB1_12231-.Lpost_getpc16867)&4294967295
	s_addc_u32 s15, s15, (.LBB1_12231-.Lpost_getpc16867)>>32
	s_setpc_b64 s[14:15]
.LBB1_34787:
	s_getpc_b64 s[14:15]
.Lpost_getpc3057:
	s_add_u32 s14, s14, (.LBB1_12232-.Lpost_getpc3057)&4294967295
	s_addc_u32 s15, s15, (.LBB1_12232-.Lpost_getpc3057)>>32
	s_setpc_b64 s[14:15]
.LBB1_26569:
	s_movk_i32 s4, 0x80
	v_cmp_eq_u16_sdwa s[12:13], v3, s4 src0_sel:BYTE_0 src1_sel:DWORD
	s_mov_b64 s[4:5], -1
                                        ; implicit-def: $sgpr10
	s_and_saveexec_b64 s[8:9], s[12:13]
; %bb.26570:
	s_mov_b32 s10, 0x7f800001
	s_xor_b64 s[4:5], exec, -1
; %bb.26571:
	s_or_b64 exec, exec, s[8:9]
	s_and_b64 s[4:5], s[4:5], exec
	s_or_saveexec_b64 s[6:7], s[6:7]
	v_mov_b32_e32 v2, s10
	s_xor_b64 exec, exec, s[6:7]
	s_cbranch_execnz .LBB1_26572
; %bb.62409:
	s_getpc_b64 s[14:15]
.Lpost_getpc16868:
	s_add_u32 s14, s14, (.LBB1_12234-.Lpost_getpc16868)&4294967295
	s_addc_u32 s15, s15, (.LBB1_12234-.Lpost_getpc16868)>>32
	s_setpc_b64 s[14:15]
.LBB1_26572:
	v_mov_b32_e32 v2, 0
	v_cmp_ne_u16_sdwa s[8:9], v3, v2 src0_sel:BYTE_0 src1_sel:DWORD
	s_andn2_b64 s[4:5], s[4:5], exec
	s_and_b64 s[8:9], s[8:9], exec
	s_or_b64 s[4:5], s[4:5], s[8:9]
	s_or_b64 exec, exec, s[6:7]
	s_and_saveexec_b64 s[6:7], s[4:5]
	s_cbranch_execz .LBB1_34789
; %bb.62411:
	s_getpc_b64 s[14:15]
.Lpost_getpc16869:
	s_add_u32 s14, s14, (.LBB1_12235-.Lpost_getpc16869)&4294967295
	s_addc_u32 s15, s15, (.LBB1_12235-.Lpost_getpc16869)>>32
	s_setpc_b64 s[14:15]
.LBB1_34789:
	s_getpc_b64 s[14:15]
.Lpost_getpc3058:
	s_add_u32 s14, s14, (.LBB1_12236-.Lpost_getpc3058)&4294967295
	s_addc_u32 s15, s15, (.LBB1_12236-.Lpost_getpc3058)>>32
	s_setpc_b64 s[14:15]
.LBB1_26573:
	s_movk_i32 s4, 0x80
	v_cmp_eq_u16_sdwa s[12:13], v3, s4 src0_sel:BYTE_0 src1_sel:DWORD
	s_mov_b64 s[4:5], -1
                                        ; implicit-def: $sgpr10
	s_and_saveexec_b64 s[8:9], s[12:13]
; %bb.26574:
	s_mov_b32 s10, 0x7f800001
	s_xor_b64 s[4:5], exec, -1
; %bb.26575:
	s_or_b64 exec, exec, s[8:9]
	s_and_b64 s[4:5], s[4:5], exec
	s_or_saveexec_b64 s[6:7], s[6:7]
	v_mov_b32_e32 v6, s10
	s_xor_b64 exec, exec, s[6:7]
	s_cbranch_execnz .LBB1_26576
; %bb.62413:
	s_getpc_b64 s[14:15]
.Lpost_getpc16870:
	s_add_u32 s14, s14, (.LBB1_12238-.Lpost_getpc16870)&4294967295
	s_addc_u32 s15, s15, (.LBB1_12238-.Lpost_getpc16870)>>32
	s_setpc_b64 s[14:15]
.LBB1_26576:
	v_mov_b32_e32 v6, 0
	v_cmp_ne_u16_sdwa s[8:9], v3, v6 src0_sel:BYTE_0 src1_sel:DWORD
	s_andn2_b64 s[4:5], s[4:5], exec
	s_and_b64 s[8:9], s[8:9], exec
	s_or_b64 s[4:5], s[4:5], s[8:9]
	s_or_b64 exec, exec, s[6:7]
	s_and_saveexec_b64 s[6:7], s[4:5]
	s_cbranch_execz .LBB1_34791
; %bb.62415:
	s_getpc_b64 s[14:15]
.Lpost_getpc16871:
	s_add_u32 s14, s14, (.LBB1_12239-.Lpost_getpc16871)&4294967295
	s_addc_u32 s15, s15, (.LBB1_12239-.Lpost_getpc16871)>>32
	s_setpc_b64 s[14:15]
.LBB1_34791:
	s_getpc_b64 s[14:15]
.Lpost_getpc3059:
	s_add_u32 s14, s14, (.LBB1_12240-.Lpost_getpc3059)&4294967295
	s_addc_u32 s15, s15, (.LBB1_12240-.Lpost_getpc3059)>>32
	s_setpc_b64 s[14:15]
.LBB1_26577:
	s_movk_i32 s4, 0x80
	v_cmp_eq_u16_e32 vcc, s4, v3
	s_mov_b64 s[4:5], -1
                                        ; implicit-def: $sgpr10
	s_and_saveexec_b64 s[8:9], vcc
; %bb.26578:
	s_mov_b32 s10, 0x7f800001
	s_xor_b64 s[4:5], exec, -1
; %bb.26579:
	s_or_b64 exec, exec, s[8:9]
	s_and_b64 s[4:5], s[4:5], exec
                                        ; implicit-def: $vgpr3
	s_or_saveexec_b64 s[6:7], s[6:7]
	v_mov_b32_e32 v2, s10
	s_xor_b64 exec, exec, s[6:7]
	s_cbranch_execnz .LBB1_26580
; %bb.62417:
	s_getpc_b64 s[14:15]
.Lpost_getpc16872:
	s_add_u32 s14, s14, (.LBB1_12242-.Lpost_getpc16872)&4294967295
	s_addc_u32 s15, s15, (.LBB1_12242-.Lpost_getpc16872)>>32
	s_setpc_b64 s[14:15]
.LBB1_26580:
	v_cmp_ne_u16_e32 vcc, 0, v3
	s_andn2_b64 s[4:5], s[4:5], exec
	s_and_b64 s[8:9], vcc, exec
	v_mov_b32_e32 v2, 0
	s_or_b64 s[4:5], s[4:5], s[8:9]
	s_or_b64 exec, exec, s[6:7]
	s_and_saveexec_b64 s[6:7], s[4:5]
	s_cbranch_execz .LBB1_34793
; %bb.62419:
	s_getpc_b64 s[14:15]
.Lpost_getpc16873:
	s_add_u32 s14, s14, (.LBB1_12243-.Lpost_getpc16873)&4294967295
	s_addc_u32 s15, s15, (.LBB1_12243-.Lpost_getpc16873)>>32
	s_setpc_b64 s[14:15]
.LBB1_34793:
	s_getpc_b64 s[14:15]
.Lpost_getpc3060:
	s_add_u32 s14, s14, (.LBB1_12244-.Lpost_getpc3060)&4294967295
	s_addc_u32 s15, s15, (.LBB1_12244-.Lpost_getpc3060)>>32
	s_setpc_b64 s[14:15]
.LBB1_26581:
	s_movk_i32 s4, 0x80
	v_cmp_eq_u16_e32 vcc, s4, v3
	s_mov_b64 s[4:5], -1
                                        ; implicit-def: $sgpr10
	s_and_saveexec_b64 s[8:9], vcc
; %bb.26582:
	s_mov_b32 s10, 0x7f800001
	s_xor_b64 s[4:5], exec, -1
; %bb.26583:
	s_or_b64 exec, exec, s[8:9]
	s_and_b64 s[4:5], s[4:5], exec
                                        ; implicit-def: $vgpr3
	s_or_saveexec_b64 s[6:7], s[6:7]
	v_mov_b32_e32 v6, s10
	s_xor_b64 exec, exec, s[6:7]
	s_cbranch_execnz .LBB1_26584
; %bb.62421:
	s_getpc_b64 s[14:15]
.Lpost_getpc16874:
	s_add_u32 s14, s14, (.LBB1_12246-.Lpost_getpc16874)&4294967295
	s_addc_u32 s15, s15, (.LBB1_12246-.Lpost_getpc16874)>>32
	s_setpc_b64 s[14:15]
.LBB1_26584:
	v_cmp_ne_u16_e32 vcc, 0, v3
	s_andn2_b64 s[4:5], s[4:5], exec
	s_and_b64 s[8:9], vcc, exec
	v_mov_b32_e32 v6, 0
	s_or_b64 s[4:5], s[4:5], s[8:9]
	s_or_b64 exec, exec, s[6:7]
	s_and_saveexec_b64 s[6:7], s[4:5]
	s_cbranch_execz .LBB1_34795
; %bb.62423:
	s_getpc_b64 s[14:15]
.Lpost_getpc16875:
	s_add_u32 s14, s14, (.LBB1_12247-.Lpost_getpc16875)&4294967295
	s_addc_u32 s15, s15, (.LBB1_12247-.Lpost_getpc16875)>>32
	s_setpc_b64 s[14:15]
.LBB1_34795:
	s_getpc_b64 s[14:15]
.Lpost_getpc3061:
	s_add_u32 s14, s14, (.LBB1_12248-.Lpost_getpc3061)&4294967295
	s_addc_u32 s15, s15, (.LBB1_12248-.Lpost_getpc3061)>>32
	s_setpc_b64 s[14:15]
.LBB1_26585:
	s_movk_i32 s4, 0x80
	v_cmp_eq_u16_sdwa s[12:13], v8, s4 src0_sel:BYTE_3 src1_sel:DWORD
	s_mov_b64 s[4:5], -1
                                        ; implicit-def: $sgpr10
	s_and_saveexec_b64 s[8:9], s[12:13]
; %bb.26586:
	s_mov_b32 s10, 0x7f800001
	s_xor_b64 s[4:5], exec, -1
; %bb.26587:
	s_or_b64 exec, exec, s[8:9]
	s_and_b64 s[4:5], s[4:5], exec
	s_or_saveexec_b64 s[6:7], s[6:7]
	v_mov_b32_e32 v2, s10
	s_xor_b64 exec, exec, s[6:7]
	s_cbranch_execnz .LBB1_26588
; %bb.62425:
	s_getpc_b64 s[14:15]
.Lpost_getpc16876:
	s_add_u32 s14, s14, (.LBB1_12250-.Lpost_getpc16876)&4294967295
	s_addc_u32 s15, s15, (.LBB1_12250-.Lpost_getpc16876)>>32
	s_setpc_b64 s[14:15]
.LBB1_26588:
	v_mov_b32_e32 v2, 0
	v_cmp_ne_u16_sdwa s[8:9], v8, v2 src0_sel:BYTE_3 src1_sel:DWORD
	s_andn2_b64 s[4:5], s[4:5], exec
	s_and_b64 s[8:9], s[8:9], exec
	s_or_b64 s[4:5], s[4:5], s[8:9]
	s_or_b64 exec, exec, s[6:7]
	s_and_saveexec_b64 s[6:7], s[4:5]
	s_cbranch_execz .LBB1_34797
; %bb.62427:
	s_getpc_b64 s[14:15]
.Lpost_getpc16877:
	s_add_u32 s14, s14, (.LBB1_12251-.Lpost_getpc16877)&4294967295
	s_addc_u32 s15, s15, (.LBB1_12251-.Lpost_getpc16877)>>32
	s_setpc_b64 s[14:15]
.LBB1_34797:
	s_getpc_b64 s[14:15]
.Lpost_getpc3062:
	s_add_u32 s14, s14, (.LBB1_12252-.Lpost_getpc3062)&4294967295
	s_addc_u32 s15, s15, (.LBB1_12252-.Lpost_getpc3062)>>32
	s_setpc_b64 s[14:15]
.LBB1_26589:
	s_movk_i32 s4, 0x80
	v_cmp_eq_u16_sdwa s[12:13], v4, s4 src0_sel:BYTE_3 src1_sel:DWORD
	s_mov_b64 s[4:5], -1
                                        ; implicit-def: $sgpr10
	s_and_saveexec_b64 s[8:9], s[12:13]
; %bb.26590:
	s_mov_b32 s10, 0x7f800001
	s_xor_b64 s[4:5], exec, -1
; %bb.26591:
	s_or_b64 exec, exec, s[8:9]
	s_and_b64 s[4:5], s[4:5], exec
	s_or_saveexec_b64 s[6:7], s[6:7]
	v_mov_b32_e32 v3, s10
	s_xor_b64 exec, exec, s[6:7]
	s_cbranch_execnz .LBB1_26592
; %bb.62429:
	s_getpc_b64 s[14:15]
.Lpost_getpc16878:
	s_add_u32 s14, s14, (.LBB1_12254-.Lpost_getpc16878)&4294967295
	s_addc_u32 s15, s15, (.LBB1_12254-.Lpost_getpc16878)>>32
	s_setpc_b64 s[14:15]
.LBB1_26592:
	v_mov_b32_e32 v3, 0
	v_cmp_ne_u16_sdwa s[8:9], v4, v3 src0_sel:BYTE_3 src1_sel:DWORD
	s_andn2_b64 s[4:5], s[4:5], exec
	s_and_b64 s[8:9], s[8:9], exec
	s_or_b64 s[4:5], s[4:5], s[8:9]
	s_or_b64 exec, exec, s[6:7]
	s_and_saveexec_b64 s[6:7], s[4:5]
	s_cbranch_execz .LBB1_34799
; %bb.62431:
	s_getpc_b64 s[14:15]
.Lpost_getpc16879:
	s_add_u32 s14, s14, (.LBB1_12255-.Lpost_getpc16879)&4294967295
	s_addc_u32 s15, s15, (.LBB1_12255-.Lpost_getpc16879)>>32
	s_setpc_b64 s[14:15]
.LBB1_34799:
	s_getpc_b64 s[14:15]
.Lpost_getpc3063:
	s_add_u32 s14, s14, (.LBB1_12256-.Lpost_getpc3063)&4294967295
	s_addc_u32 s15, s15, (.LBB1_12256-.Lpost_getpc3063)>>32
	s_setpc_b64 s[14:15]
.LBB1_26593:
	s_movk_i32 s4, 0x80
	v_cmp_eq_u16_sdwa s[12:13], v9, s4 src0_sel:BYTE_0 src1_sel:DWORD
	s_mov_b64 s[4:5], -1
                                        ; implicit-def: $sgpr10
	s_and_saveexec_b64 s[8:9], s[12:13]
; %bb.26594:
	s_mov_b32 s10, 0x7f800001
	s_xor_b64 s[4:5], exec, -1
; %bb.26595:
	s_or_b64 exec, exec, s[8:9]
	s_and_b64 s[4:5], s[4:5], exec
	s_or_saveexec_b64 s[6:7], s[6:7]
	v_mov_b32_e32 v2, s10
	s_xor_b64 exec, exec, s[6:7]
	s_cbranch_execnz .LBB1_26596
; %bb.62433:
	s_getpc_b64 s[14:15]
.Lpost_getpc16880:
	s_add_u32 s14, s14, (.LBB1_12258-.Lpost_getpc16880)&4294967295
	s_addc_u32 s15, s15, (.LBB1_12258-.Lpost_getpc16880)>>32
	s_setpc_b64 s[14:15]
.LBB1_26596:
	v_mov_b32_e32 v2, 0
	v_cmp_ne_u16_sdwa s[8:9], v9, v2 src0_sel:BYTE_0 src1_sel:DWORD
	s_andn2_b64 s[4:5], s[4:5], exec
	s_and_b64 s[8:9], s[8:9], exec
	s_or_b64 s[4:5], s[4:5], s[8:9]
	s_or_b64 exec, exec, s[6:7]
	s_and_saveexec_b64 s[6:7], s[4:5]
	s_cbranch_execz .LBB1_34801
; %bb.62435:
	s_getpc_b64 s[14:15]
.Lpost_getpc16881:
	s_add_u32 s14, s14, (.LBB1_12259-.Lpost_getpc16881)&4294967295
	s_addc_u32 s15, s15, (.LBB1_12259-.Lpost_getpc16881)>>32
	s_setpc_b64 s[14:15]
.LBB1_34801:
	s_getpc_b64 s[14:15]
.Lpost_getpc3064:
	s_add_u32 s14, s14, (.LBB1_12260-.Lpost_getpc3064)&4294967295
	s_addc_u32 s15, s15, (.LBB1_12260-.Lpost_getpc3064)>>32
	s_setpc_b64 s[14:15]
.LBB1_26597:
	s_movk_i32 s4, 0x80
	v_cmp_eq_u16_sdwa s[12:13], v5, s4 src0_sel:BYTE_0 src1_sel:DWORD
	s_mov_b64 s[4:5], -1
                                        ; implicit-def: $sgpr10
	s_and_saveexec_b64 s[8:9], s[12:13]
; %bb.26598:
	s_mov_b32 s10, 0x7f800001
	s_xor_b64 s[4:5], exec, -1
; %bb.26599:
	s_or_b64 exec, exec, s[8:9]
	s_and_b64 s[4:5], s[4:5], exec
	s_or_saveexec_b64 s[6:7], s[6:7]
	v_mov_b32_e32 v3, s10
	s_xor_b64 exec, exec, s[6:7]
	s_cbranch_execnz .LBB1_26600
; %bb.62437:
	s_getpc_b64 s[14:15]
.Lpost_getpc16882:
	s_add_u32 s14, s14, (.LBB1_12262-.Lpost_getpc16882)&4294967295
	s_addc_u32 s15, s15, (.LBB1_12262-.Lpost_getpc16882)>>32
	s_setpc_b64 s[14:15]
.LBB1_26600:
	v_mov_b32_e32 v3, 0
	v_cmp_ne_u16_sdwa s[8:9], v5, v3 src0_sel:BYTE_0 src1_sel:DWORD
	s_andn2_b64 s[4:5], s[4:5], exec
	s_and_b64 s[8:9], s[8:9], exec
	s_or_b64 s[4:5], s[4:5], s[8:9]
	s_or_b64 exec, exec, s[6:7]
	s_and_saveexec_b64 s[6:7], s[4:5]
	s_cbranch_execz .LBB1_34803
; %bb.62439:
	s_getpc_b64 s[14:15]
.Lpost_getpc16883:
	s_add_u32 s14, s14, (.LBB1_12263-.Lpost_getpc16883)&4294967295
	s_addc_u32 s15, s15, (.LBB1_12263-.Lpost_getpc16883)>>32
	s_setpc_b64 s[14:15]
.LBB1_34803:
	s_getpc_b64 s[14:15]
.Lpost_getpc3065:
	s_add_u32 s14, s14, (.LBB1_12264-.Lpost_getpc3065)&4294967295
	s_addc_u32 s15, s15, (.LBB1_12264-.Lpost_getpc3065)>>32
	s_setpc_b64 s[14:15]
.LBB1_26601:
	s_movk_i32 s4, 0x80
	v_cmp_eq_u16_sdwa s[12:13], v3, s4 src0_sel:BYTE_0 src1_sel:DWORD
	s_mov_b64 s[4:5], -1
                                        ; implicit-def: $sgpr10
	s_and_saveexec_b64 s[8:9], s[12:13]
; %bb.26602:
	s_mov_b32 s10, 0x7f800001
	s_xor_b64 s[4:5], exec, -1
; %bb.26603:
	s_or_b64 exec, exec, s[8:9]
	s_and_b64 s[4:5], s[4:5], exec
	s_or_saveexec_b64 s[6:7], s[6:7]
	v_mov_b32_e32 v2, s10
	s_xor_b64 exec, exec, s[6:7]
	s_cbranch_execnz .LBB1_26604
; %bb.62441:
	s_getpc_b64 s[14:15]
.Lpost_getpc16884:
	s_add_u32 s14, s14, (.LBB1_12266-.Lpost_getpc16884)&4294967295
	s_addc_u32 s15, s15, (.LBB1_12266-.Lpost_getpc16884)>>32
	s_setpc_b64 s[14:15]
.LBB1_26604:
	v_mov_b32_e32 v2, 0
	v_cmp_ne_u16_sdwa s[8:9], v3, v2 src0_sel:BYTE_0 src1_sel:DWORD
	s_andn2_b64 s[4:5], s[4:5], exec
	s_and_b64 s[8:9], s[8:9], exec
	s_or_b64 s[4:5], s[4:5], s[8:9]
	s_or_b64 exec, exec, s[6:7]
	s_and_saveexec_b64 s[6:7], s[4:5]
	s_cbranch_execz .LBB1_34805
; %bb.62443:
	s_getpc_b64 s[14:15]
.Lpost_getpc16885:
	s_add_u32 s14, s14, (.LBB1_12267-.Lpost_getpc16885)&4294967295
	s_addc_u32 s15, s15, (.LBB1_12267-.Lpost_getpc16885)>>32
	s_setpc_b64 s[14:15]
.LBB1_34805:
	s_getpc_b64 s[14:15]
.Lpost_getpc3066:
	s_add_u32 s14, s14, (.LBB1_12268-.Lpost_getpc3066)&4294967295
	s_addc_u32 s15, s15, (.LBB1_12268-.Lpost_getpc3066)>>32
	s_setpc_b64 s[14:15]
.LBB1_26605:
	s_movk_i32 s4, 0x80
	v_cmp_eq_u16_sdwa s[12:13], v3, s4 src0_sel:BYTE_0 src1_sel:DWORD
	s_mov_b64 s[4:5], -1
                                        ; implicit-def: $sgpr10
	s_and_saveexec_b64 s[8:9], s[12:13]
; %bb.26606:
	s_mov_b32 s10, 0x7f800001
	s_xor_b64 s[4:5], exec, -1
; %bb.26607:
	s_or_b64 exec, exec, s[8:9]
	s_and_b64 s[4:5], s[4:5], exec
	s_or_saveexec_b64 s[6:7], s[6:7]
	v_mov_b32_e32 v4, s10
	s_xor_b64 exec, exec, s[6:7]
	s_cbranch_execnz .LBB1_26608
; %bb.62445:
	s_getpc_b64 s[14:15]
.Lpost_getpc16886:
	s_add_u32 s14, s14, (.LBB1_12270-.Lpost_getpc16886)&4294967295
	s_addc_u32 s15, s15, (.LBB1_12270-.Lpost_getpc16886)>>32
	s_setpc_b64 s[14:15]
.LBB1_26608:
	v_mov_b32_e32 v4, 0
	v_cmp_ne_u16_sdwa s[8:9], v3, v4 src0_sel:BYTE_0 src1_sel:DWORD
	s_andn2_b64 s[4:5], s[4:5], exec
	s_and_b64 s[8:9], s[8:9], exec
	s_or_b64 s[4:5], s[4:5], s[8:9]
	s_or_b64 exec, exec, s[6:7]
	s_and_saveexec_b64 s[6:7], s[4:5]
	s_cbranch_execz .LBB1_34807
; %bb.62447:
	s_getpc_b64 s[14:15]
.Lpost_getpc16887:
	s_add_u32 s14, s14, (.LBB1_12271-.Lpost_getpc16887)&4294967295
	s_addc_u32 s15, s15, (.LBB1_12271-.Lpost_getpc16887)>>32
	s_setpc_b64 s[14:15]
.LBB1_34807:
	s_getpc_b64 s[14:15]
.Lpost_getpc3067:
	s_add_u32 s14, s14, (.LBB1_12272-.Lpost_getpc3067)&4294967295
	s_addc_u32 s15, s15, (.LBB1_12272-.Lpost_getpc3067)>>32
	s_setpc_b64 s[14:15]
.LBB1_26609:
	s_movk_i32 s4, 0x80
	v_cmp_eq_u16_e32 vcc, s4, v3
	s_mov_b64 s[4:5], -1
                                        ; implicit-def: $sgpr10
	s_and_saveexec_b64 s[8:9], vcc
; %bb.26610:
	s_mov_b32 s10, 0x7f800001
	s_xor_b64 s[4:5], exec, -1
; %bb.26611:
	s_or_b64 exec, exec, s[8:9]
	s_and_b64 s[4:5], s[4:5], exec
                                        ; implicit-def: $vgpr3
	s_or_saveexec_b64 s[6:7], s[6:7]
	v_mov_b32_e32 v2, s10
	s_xor_b64 exec, exec, s[6:7]
	s_cbranch_execnz .LBB1_26612
; %bb.62449:
	s_getpc_b64 s[14:15]
.Lpost_getpc16888:
	s_add_u32 s14, s14, (.LBB1_12274-.Lpost_getpc16888)&4294967295
	s_addc_u32 s15, s15, (.LBB1_12274-.Lpost_getpc16888)>>32
	s_setpc_b64 s[14:15]
.LBB1_26612:
	v_cmp_ne_u16_e32 vcc, 0, v3
	s_andn2_b64 s[4:5], s[4:5], exec
	s_and_b64 s[8:9], vcc, exec
	v_mov_b32_e32 v2, 0
	s_or_b64 s[4:5], s[4:5], s[8:9]
	s_or_b64 exec, exec, s[6:7]
	s_and_saveexec_b64 s[6:7], s[4:5]
	s_cbranch_execz .LBB1_34809
; %bb.62451:
	s_getpc_b64 s[14:15]
.Lpost_getpc16889:
	s_add_u32 s14, s14, (.LBB1_12275-.Lpost_getpc16889)&4294967295
	s_addc_u32 s15, s15, (.LBB1_12275-.Lpost_getpc16889)>>32
	s_setpc_b64 s[14:15]
.LBB1_34809:
	s_getpc_b64 s[14:15]
.Lpost_getpc3068:
	s_add_u32 s14, s14, (.LBB1_12276-.Lpost_getpc3068)&4294967295
	s_addc_u32 s15, s15, (.LBB1_12276-.Lpost_getpc3068)>>32
	s_setpc_b64 s[14:15]
.LBB1_26613:
	s_movk_i32 s4, 0x80
	v_cmp_eq_u16_e32 vcc, s4, v3
	s_mov_b64 s[4:5], -1
                                        ; implicit-def: $sgpr10
	s_and_saveexec_b64 s[8:9], vcc
; %bb.26614:
	s_mov_b32 s10, 0x7f800001
	s_xor_b64 s[4:5], exec, -1
; %bb.26615:
	s_or_b64 exec, exec, s[8:9]
	s_and_b64 s[4:5], s[4:5], exec
                                        ; implicit-def: $vgpr3
	s_or_saveexec_b64 s[6:7], s[6:7]
	v_mov_b32_e32 v4, s10
	s_xor_b64 exec, exec, s[6:7]
	s_cbranch_execnz .LBB1_26616
; %bb.62453:
	s_getpc_b64 s[14:15]
.Lpost_getpc16890:
	s_add_u32 s14, s14, (.LBB1_12278-.Lpost_getpc16890)&4294967295
	s_addc_u32 s15, s15, (.LBB1_12278-.Lpost_getpc16890)>>32
	s_setpc_b64 s[14:15]
.LBB1_26616:
	v_cmp_ne_u16_e32 vcc, 0, v3
	s_andn2_b64 s[4:5], s[4:5], exec
	s_and_b64 s[8:9], vcc, exec
	v_mov_b32_e32 v4, 0
	s_or_b64 s[4:5], s[4:5], s[8:9]
	s_or_b64 exec, exec, s[6:7]
	s_and_saveexec_b64 s[6:7], s[4:5]
	s_cbranch_execz .LBB1_34811
; %bb.62455:
	s_getpc_b64 s[14:15]
.Lpost_getpc16891:
	s_add_u32 s14, s14, (.LBB1_12279-.Lpost_getpc16891)&4294967295
	s_addc_u32 s15, s15, (.LBB1_12279-.Lpost_getpc16891)>>32
	s_setpc_b64 s[14:15]
.LBB1_34811:
	s_getpc_b64 s[14:15]
.Lpost_getpc3069:
	s_add_u32 s14, s14, (.LBB1_12280-.Lpost_getpc3069)&4294967295
	s_addc_u32 s15, s15, (.LBB1_12280-.Lpost_getpc3069)>>32
	s_setpc_b64 s[14:15]
.LBB1_26617:
	s_movk_i32 s4, 0x80
	v_cmp_eq_u16_sdwa s[12:13], v9, s4 src0_sel:BYTE_3 src1_sel:DWORD
	s_mov_b64 s[4:5], -1
                                        ; implicit-def: $sgpr10
	s_and_saveexec_b64 s[8:9], s[12:13]
; %bb.26618:
	s_mov_b32 s10, 0x7f800001
	s_xor_b64 s[4:5], exec, -1
; %bb.26619:
	s_or_b64 exec, exec, s[8:9]
	s_and_b64 s[4:5], s[4:5], exec
	s_or_saveexec_b64 s[6:7], s[6:7]
	v_mov_b32_e32 v2, s10
	s_xor_b64 exec, exec, s[6:7]
	s_cbranch_execnz .LBB1_26620
; %bb.62457:
	s_getpc_b64 s[14:15]
.Lpost_getpc16892:
	s_add_u32 s14, s14, (.LBB1_12282-.Lpost_getpc16892)&4294967295
	s_addc_u32 s15, s15, (.LBB1_12282-.Lpost_getpc16892)>>32
	s_setpc_b64 s[14:15]
.LBB1_26620:
	v_mov_b32_e32 v2, 0
	v_cmp_ne_u16_sdwa s[8:9], v9, v2 src0_sel:BYTE_3 src1_sel:DWORD
	s_andn2_b64 s[4:5], s[4:5], exec
	s_and_b64 s[8:9], s[8:9], exec
	s_or_b64 s[4:5], s[4:5], s[8:9]
	s_or_b64 exec, exec, s[6:7]
	s_and_saveexec_b64 s[6:7], s[4:5]
	s_cbranch_execz .LBB1_34813
; %bb.62459:
	s_getpc_b64 s[14:15]
.Lpost_getpc16893:
	s_add_u32 s14, s14, (.LBB1_12283-.Lpost_getpc16893)&4294967295
	s_addc_u32 s15, s15, (.LBB1_12283-.Lpost_getpc16893)>>32
	s_setpc_b64 s[14:15]
.LBB1_34813:
	s_getpc_b64 s[14:15]
.Lpost_getpc3070:
	s_add_u32 s14, s14, (.LBB1_12284-.Lpost_getpc3070)&4294967295
	s_addc_u32 s15, s15, (.LBB1_12284-.Lpost_getpc3070)>>32
	s_setpc_b64 s[14:15]
.LBB1_26621:
	s_movk_i32 s4, 0x80
	v_cmp_eq_u16_sdwa s[12:13], v5, s4 src0_sel:BYTE_3 src1_sel:DWORD
	s_mov_b64 s[4:5], -1
                                        ; implicit-def: $sgpr10
	s_and_saveexec_b64 s[8:9], s[12:13]
; %bb.26622:
	s_mov_b32 s10, 0x7f800001
	s_xor_b64 s[4:5], exec, -1
; %bb.26623:
	s_or_b64 exec, exec, s[8:9]
	s_and_b64 s[4:5], s[4:5], exec
	s_or_saveexec_b64 s[6:7], s[6:7]
	v_mov_b32_e32 v3, s10
	s_xor_b64 exec, exec, s[6:7]
	s_cbranch_execnz .LBB1_26624
; %bb.62461:
	s_getpc_b64 s[14:15]
.Lpost_getpc16894:
	s_add_u32 s14, s14, (.LBB1_12286-.Lpost_getpc16894)&4294967295
	s_addc_u32 s15, s15, (.LBB1_12286-.Lpost_getpc16894)>>32
	s_setpc_b64 s[14:15]
.LBB1_26624:
	v_mov_b32_e32 v3, 0
	v_cmp_ne_u16_sdwa s[8:9], v5, v3 src0_sel:BYTE_3 src1_sel:DWORD
	s_andn2_b64 s[4:5], s[4:5], exec
	s_and_b64 s[8:9], s[8:9], exec
	s_or_b64 s[4:5], s[4:5], s[8:9]
	s_or_b64 exec, exec, s[6:7]
	s_and_saveexec_b64 s[6:7], s[4:5]
	s_cbranch_execz .LBB1_34815
; %bb.62463:
	s_getpc_b64 s[14:15]
.Lpost_getpc16895:
	s_add_u32 s14, s14, (.LBB1_12287-.Lpost_getpc16895)&4294967295
	s_addc_u32 s15, s15, (.LBB1_12287-.Lpost_getpc16895)>>32
	s_setpc_b64 s[14:15]
.LBB1_34815:
	s_getpc_b64 s[14:15]
.Lpost_getpc3071:
	s_add_u32 s14, s14, (.LBB1_12288-.Lpost_getpc3071)&4294967295
	s_addc_u32 s15, s15, (.LBB1_12288-.Lpost_getpc3071)>>32
	s_setpc_b64 s[14:15]
.LBB1_26625:
	s_movk_i32 s4, 0x80
	v_cmp_eq_u16_sdwa s[12:13], v6, s4 src0_sel:BYTE_0 src1_sel:DWORD
	s_mov_b64 s[4:5], -1
                                        ; implicit-def: $sgpr10
	s_and_saveexec_b64 s[8:9], s[12:13]
; %bb.26626:
	s_mov_b32 s10, 0x7f800001
	s_xor_b64 s[4:5], exec, -1
; %bb.26627:
	s_or_b64 exec, exec, s[8:9]
	s_and_b64 s[4:5], s[4:5], exec
	s_or_saveexec_b64 s[6:7], s[6:7]
	v_mov_b32_e32 v12, s10
	s_xor_b64 exec, exec, s[6:7]
	s_cbranch_execnz .LBB1_26628
; %bb.62465:
	s_getpc_b64 s[14:15]
.Lpost_getpc16896:
	s_add_u32 s14, s14, (.LBB1_12290-.Lpost_getpc16896)&4294967295
	s_addc_u32 s15, s15, (.LBB1_12290-.Lpost_getpc16896)>>32
	s_setpc_b64 s[14:15]
.LBB1_26628:
	v_mov_b32_e32 v12, 0
	v_cmp_ne_u16_sdwa s[8:9], v6, v12 src0_sel:BYTE_0 src1_sel:DWORD
	s_andn2_b64 s[4:5], s[4:5], exec
	s_and_b64 s[8:9], s[8:9], exec
	s_or_b64 s[4:5], s[4:5], s[8:9]
	s_or_b64 exec, exec, s[6:7]
	s_and_saveexec_b64 s[6:7], s[4:5]
	s_cbranch_execz .LBB1_34817
; %bb.62467:
	s_getpc_b64 s[14:15]
.Lpost_getpc16897:
	s_add_u32 s14, s14, (.LBB1_12291-.Lpost_getpc16897)&4294967295
	s_addc_u32 s15, s15, (.LBB1_12291-.Lpost_getpc16897)>>32
	s_setpc_b64 s[14:15]
.LBB1_34817:
	s_getpc_b64 s[14:15]
.Lpost_getpc3072:
	s_add_u32 s14, s14, (.LBB1_12292-.Lpost_getpc3072)&4294967295
	s_addc_u32 s15, s15, (.LBB1_12292-.Lpost_getpc3072)>>32
	s_setpc_b64 s[14:15]
.LBB1_26629:
	s_movk_i32 s4, 0x80
	v_cmp_eq_u16_sdwa s[12:13], v2, s4 src0_sel:BYTE_0 src1_sel:DWORD
	s_mov_b64 s[4:5], -1
                                        ; implicit-def: $sgpr10
	s_and_saveexec_b64 s[8:9], s[12:13]
; %bb.26630:
	s_mov_b32 s10, 0x7f800001
	s_xor_b64 s[4:5], exec, -1
; %bb.26631:
	s_or_b64 exec, exec, s[8:9]
	s_and_b64 s[4:5], s[4:5], exec
	s_or_saveexec_b64 s[6:7], s[6:7]
	v_mov_b32_e32 v13, s10
	s_xor_b64 exec, exec, s[6:7]
	s_cbranch_execnz .LBB1_26632
; %bb.62469:
	s_getpc_b64 s[14:15]
.Lpost_getpc16898:
	s_add_u32 s14, s14, (.LBB1_12294-.Lpost_getpc16898)&4294967295
	s_addc_u32 s15, s15, (.LBB1_12294-.Lpost_getpc16898)>>32
	s_setpc_b64 s[14:15]
.LBB1_26632:
	v_mov_b32_e32 v13, 0
	v_cmp_ne_u16_sdwa s[8:9], v2, v13 src0_sel:BYTE_0 src1_sel:DWORD
	s_andn2_b64 s[4:5], s[4:5], exec
	s_and_b64 s[8:9], s[8:9], exec
	s_or_b64 s[4:5], s[4:5], s[8:9]
	s_or_b64 exec, exec, s[6:7]
	s_and_saveexec_b64 s[6:7], s[4:5]
	s_cbranch_execz .LBB1_34819
; %bb.62471:
	s_getpc_b64 s[14:15]
.Lpost_getpc16899:
	s_add_u32 s14, s14, (.LBB1_12295-.Lpost_getpc16899)&4294967295
	s_addc_u32 s15, s15, (.LBB1_12295-.Lpost_getpc16899)>>32
	s_setpc_b64 s[14:15]
.LBB1_34819:
	s_getpc_b64 s[14:15]
.Lpost_getpc3073:
	s_add_u32 s14, s14, (.LBB1_12296-.Lpost_getpc3073)&4294967295
	s_addc_u32 s15, s15, (.LBB1_12296-.Lpost_getpc3073)>>32
	s_setpc_b64 s[14:15]
.LBB1_26633:
	s_movk_i32 s4, 0x80
	v_cmp_eq_u16_sdwa s[12:13], v13, s4 src0_sel:BYTE_0 src1_sel:DWORD
	s_mov_b64 s[4:5], -1
                                        ; implicit-def: $sgpr10
	s_and_saveexec_b64 s[8:9], s[12:13]
; %bb.26634:
	s_mov_b32 s10, 0x7f800001
	s_xor_b64 s[4:5], exec, -1
; %bb.26635:
	s_or_b64 exec, exec, s[8:9]
	s_and_b64 s[4:5], s[4:5], exec
	s_or_saveexec_b64 s[6:7], s[6:7]
	v_mov_b32_e32 v12, s10
	s_xor_b64 exec, exec, s[6:7]
	s_cbranch_execnz .LBB1_26636
; %bb.62473:
	s_getpc_b64 s[14:15]
.Lpost_getpc16900:
	s_add_u32 s14, s14, (.LBB1_12298-.Lpost_getpc16900)&4294967295
	s_addc_u32 s15, s15, (.LBB1_12298-.Lpost_getpc16900)>>32
	s_setpc_b64 s[14:15]
.LBB1_26636:
	v_mov_b32_e32 v12, 0
	v_cmp_ne_u16_sdwa s[8:9], v13, v12 src0_sel:BYTE_0 src1_sel:DWORD
	s_andn2_b64 s[4:5], s[4:5], exec
	s_and_b64 s[8:9], s[8:9], exec
	s_or_b64 s[4:5], s[4:5], s[8:9]
	s_or_b64 exec, exec, s[6:7]
	s_and_saveexec_b64 s[6:7], s[4:5]
	s_cbranch_execz .LBB1_34821
; %bb.62475:
	s_getpc_b64 s[14:15]
.Lpost_getpc16901:
	s_add_u32 s14, s14, (.LBB1_12299-.Lpost_getpc16901)&4294967295
	s_addc_u32 s15, s15, (.LBB1_12299-.Lpost_getpc16901)>>32
	s_setpc_b64 s[14:15]
.LBB1_34821:
	s_getpc_b64 s[14:15]
.Lpost_getpc3074:
	s_add_u32 s14, s14, (.LBB1_12300-.Lpost_getpc3074)&4294967295
	s_addc_u32 s15, s15, (.LBB1_12300-.Lpost_getpc3074)>>32
	s_setpc_b64 s[14:15]
.LBB1_26637:
	s_movk_i32 s4, 0x80
	v_cmp_eq_u16_sdwa s[12:13], v13, s4 src0_sel:BYTE_0 src1_sel:DWORD
	s_mov_b64 s[4:5], -1
                                        ; implicit-def: $sgpr10
	s_and_saveexec_b64 s[8:9], s[12:13]
; %bb.26638:
	s_mov_b32 s10, 0x7f800001
	s_xor_b64 s[4:5], exec, -1
; %bb.26639:
	s_or_b64 exec, exec, s[8:9]
	s_and_b64 s[4:5], s[4:5], exec
	s_or_saveexec_b64 s[6:7], s[6:7]
	v_mov_b32_e32 v14, s10
	s_xor_b64 exec, exec, s[6:7]
	s_cbranch_execnz .LBB1_26640
; %bb.62477:
	s_getpc_b64 s[14:15]
.Lpost_getpc16902:
	s_add_u32 s14, s14, (.LBB1_12302-.Lpost_getpc16902)&4294967295
	s_addc_u32 s15, s15, (.LBB1_12302-.Lpost_getpc16902)>>32
	s_setpc_b64 s[14:15]
.LBB1_26640:
	v_mov_b32_e32 v14, 0
	v_cmp_ne_u16_sdwa s[8:9], v13, v14 src0_sel:BYTE_0 src1_sel:DWORD
	s_andn2_b64 s[4:5], s[4:5], exec
	s_and_b64 s[8:9], s[8:9], exec
	s_or_b64 s[4:5], s[4:5], s[8:9]
	s_or_b64 exec, exec, s[6:7]
	s_and_saveexec_b64 s[6:7], s[4:5]
	s_cbranch_execz .LBB1_34823
; %bb.62479:
	s_getpc_b64 s[14:15]
.Lpost_getpc16903:
	s_add_u32 s14, s14, (.LBB1_12303-.Lpost_getpc16903)&4294967295
	s_addc_u32 s15, s15, (.LBB1_12303-.Lpost_getpc16903)>>32
	s_setpc_b64 s[14:15]
.LBB1_34823:
	s_getpc_b64 s[14:15]
.Lpost_getpc3075:
	s_add_u32 s14, s14, (.LBB1_12304-.Lpost_getpc3075)&4294967295
	s_addc_u32 s15, s15, (.LBB1_12304-.Lpost_getpc3075)>>32
	s_setpc_b64 s[14:15]
.LBB1_26641:
	s_movk_i32 s4, 0x80
	v_cmp_eq_u16_e32 vcc, s4, v13
	s_mov_b64 s[4:5], -1
                                        ; implicit-def: $sgpr10
	s_and_saveexec_b64 s[8:9], vcc
; %bb.26642:
	s_mov_b32 s10, 0x7f800001
	s_xor_b64 s[4:5], exec, -1
; %bb.26643:
	s_or_b64 exec, exec, s[8:9]
	s_and_b64 s[4:5], s[4:5], exec
                                        ; implicit-def: $vgpr13
	s_or_saveexec_b64 s[6:7], s[6:7]
	v_mov_b32_e32 v12, s10
	s_xor_b64 exec, exec, s[6:7]
	s_cbranch_execnz .LBB1_26644
; %bb.62481:
	s_getpc_b64 s[14:15]
.Lpost_getpc16904:
	s_add_u32 s14, s14, (.LBB1_12306-.Lpost_getpc16904)&4294967295
	s_addc_u32 s15, s15, (.LBB1_12306-.Lpost_getpc16904)>>32
	s_setpc_b64 s[14:15]
.LBB1_26644:
	v_cmp_ne_u16_e32 vcc, 0, v13
	s_andn2_b64 s[4:5], s[4:5], exec
	s_and_b64 s[8:9], vcc, exec
	v_mov_b32_e32 v12, 0
	s_or_b64 s[4:5], s[4:5], s[8:9]
	s_or_b64 exec, exec, s[6:7]
	s_and_saveexec_b64 s[6:7], s[4:5]
	s_cbranch_execz .LBB1_34825
; %bb.62483:
	s_getpc_b64 s[14:15]
.Lpost_getpc16905:
	s_add_u32 s14, s14, (.LBB1_12307-.Lpost_getpc16905)&4294967295
	s_addc_u32 s15, s15, (.LBB1_12307-.Lpost_getpc16905)>>32
	s_setpc_b64 s[14:15]
.LBB1_34825:
	s_getpc_b64 s[14:15]
.Lpost_getpc3076:
	s_add_u32 s14, s14, (.LBB1_12308-.Lpost_getpc3076)&4294967295
	s_addc_u32 s15, s15, (.LBB1_12308-.Lpost_getpc3076)>>32
	s_setpc_b64 s[14:15]
.LBB1_26645:
	s_movk_i32 s4, 0x80
	v_cmp_eq_u16_e32 vcc, s4, v13
	s_mov_b64 s[4:5], -1
                                        ; implicit-def: $sgpr10
	s_and_saveexec_b64 s[8:9], vcc
; %bb.26646:
	s_mov_b32 s10, 0x7f800001
	s_xor_b64 s[4:5], exec, -1
; %bb.26647:
	s_or_b64 exec, exec, s[8:9]
	s_and_b64 s[4:5], s[4:5], exec
                                        ; implicit-def: $vgpr13
	s_or_saveexec_b64 s[6:7], s[6:7]
	v_mov_b32_e32 v14, s10
	s_xor_b64 exec, exec, s[6:7]
	s_cbranch_execnz .LBB1_26648
; %bb.62485:
	s_getpc_b64 s[14:15]
.Lpost_getpc16906:
	s_add_u32 s14, s14, (.LBB1_12310-.Lpost_getpc16906)&4294967295
	s_addc_u32 s15, s15, (.LBB1_12310-.Lpost_getpc16906)>>32
	s_setpc_b64 s[14:15]
.LBB1_26648:
	v_cmp_ne_u16_e32 vcc, 0, v13
	s_andn2_b64 s[4:5], s[4:5], exec
	s_and_b64 s[8:9], vcc, exec
	v_mov_b32_e32 v14, 0
	s_or_b64 s[4:5], s[4:5], s[8:9]
	s_or_b64 exec, exec, s[6:7]
	s_and_saveexec_b64 s[6:7], s[4:5]
	s_cbranch_execz .LBB1_34827
; %bb.62487:
	s_getpc_b64 s[14:15]
.Lpost_getpc16907:
	s_add_u32 s14, s14, (.LBB1_12311-.Lpost_getpc16907)&4294967295
	s_addc_u32 s15, s15, (.LBB1_12311-.Lpost_getpc16907)>>32
	s_setpc_b64 s[14:15]
.LBB1_34827:
	s_getpc_b64 s[14:15]
.Lpost_getpc3077:
	s_add_u32 s14, s14, (.LBB1_12312-.Lpost_getpc3077)&4294967295
	s_addc_u32 s15, s15, (.LBB1_12312-.Lpost_getpc3077)>>32
	s_setpc_b64 s[14:15]
.LBB1_26649:
	s_movk_i32 s4, 0x80
	v_cmp_eq_u16_sdwa s[12:13], v6, s4 src0_sel:BYTE_3 src1_sel:DWORD
	s_mov_b64 s[4:5], -1
                                        ; implicit-def: $sgpr10
	s_and_saveexec_b64 s[8:9], s[12:13]
; %bb.26650:
	s_mov_b32 s10, 0x7f800001
	s_xor_b64 s[4:5], exec, -1
; %bb.26651:
	s_or_b64 exec, exec, s[8:9]
	s_and_b64 s[4:5], s[4:5], exec
	s_or_saveexec_b64 s[6:7], s[6:7]
	v_mov_b32_e32 v12, s10
	s_xor_b64 exec, exec, s[6:7]
	s_cbranch_execnz .LBB1_26652
; %bb.62489:
	s_getpc_b64 s[14:15]
.Lpost_getpc16908:
	s_add_u32 s14, s14, (.LBB1_12314-.Lpost_getpc16908)&4294967295
	s_addc_u32 s15, s15, (.LBB1_12314-.Lpost_getpc16908)>>32
	s_setpc_b64 s[14:15]
.LBB1_26652:
	v_mov_b32_e32 v12, 0
	v_cmp_ne_u16_sdwa s[8:9], v6, v12 src0_sel:BYTE_3 src1_sel:DWORD
	s_andn2_b64 s[4:5], s[4:5], exec
	s_and_b64 s[8:9], s[8:9], exec
	s_or_b64 s[4:5], s[4:5], s[8:9]
	s_or_b64 exec, exec, s[6:7]
	s_and_saveexec_b64 s[6:7], s[4:5]
	s_cbranch_execz .LBB1_34829
; %bb.62491:
	s_getpc_b64 s[14:15]
.Lpost_getpc16909:
	s_add_u32 s14, s14, (.LBB1_12315-.Lpost_getpc16909)&4294967295
	s_addc_u32 s15, s15, (.LBB1_12315-.Lpost_getpc16909)>>32
	s_setpc_b64 s[14:15]
.LBB1_34829:
	s_getpc_b64 s[14:15]
.Lpost_getpc3078:
	s_add_u32 s14, s14, (.LBB1_12316-.Lpost_getpc3078)&4294967295
	s_addc_u32 s15, s15, (.LBB1_12316-.Lpost_getpc3078)>>32
	s_setpc_b64 s[14:15]
.LBB1_26653:
	s_movk_i32 s4, 0x80
	v_cmp_eq_u16_sdwa s[12:13], v2, s4 src0_sel:BYTE_3 src1_sel:DWORD
	s_mov_b64 s[4:5], -1
                                        ; implicit-def: $sgpr10
	s_and_saveexec_b64 s[8:9], s[12:13]
; %bb.26654:
	s_mov_b32 s10, 0x7f800001
	s_xor_b64 s[4:5], exec, -1
; %bb.26655:
	s_or_b64 exec, exec, s[8:9]
	s_and_b64 s[4:5], s[4:5], exec
	s_or_saveexec_b64 s[6:7], s[6:7]
	v_mov_b32_e32 v6, s10
	s_xor_b64 exec, exec, s[6:7]
	s_cbranch_execnz .LBB1_26656
; %bb.62493:
	s_getpc_b64 s[14:15]
.Lpost_getpc16910:
	s_add_u32 s14, s14, (.LBB1_12318-.Lpost_getpc16910)&4294967295
	s_addc_u32 s15, s15, (.LBB1_12318-.Lpost_getpc16910)>>32
	s_setpc_b64 s[14:15]
.LBB1_26656:
	v_mov_b32_e32 v6, 0
	v_cmp_ne_u16_sdwa s[8:9], v2, v6 src0_sel:BYTE_3 src1_sel:DWORD
	s_andn2_b64 s[4:5], s[4:5], exec
	s_and_b64 s[8:9], s[8:9], exec
	s_or_b64 s[4:5], s[4:5], s[8:9]
	s_or_b64 exec, exec, s[6:7]
	s_and_saveexec_b64 s[6:7], s[4:5]
	s_cbranch_execz .LBB1_34831
; %bb.62495:
	s_getpc_b64 s[14:15]
.Lpost_getpc16911:
	s_add_u32 s14, s14, (.LBB1_12319-.Lpost_getpc16911)&4294967295
	s_addc_u32 s15, s15, (.LBB1_12319-.Lpost_getpc16911)>>32
	s_setpc_b64 s[14:15]
.LBB1_34831:
	s_getpc_b64 s[14:15]
.Lpost_getpc3079:
	s_add_u32 s14, s14, (.LBB1_12320-.Lpost_getpc3079)&4294967295
	s_addc_u32 s15, s15, (.LBB1_12320-.Lpost_getpc3079)>>32
	s_setpc_b64 s[14:15]
.LBB1_26657:
	s_movk_i32 s4, 0x80
	v_cmp_eq_u16_sdwa s[12:13], v7, s4 src0_sel:BYTE_0 src1_sel:DWORD
	s_mov_b64 s[4:5], -1
                                        ; implicit-def: $sgpr10
	s_and_saveexec_b64 s[8:9], s[12:13]
; %bb.26658:
	s_mov_b32 s10, 0x7f800001
	s_xor_b64 s[4:5], exec, -1
; %bb.26659:
	s_or_b64 exec, exec, s[8:9]
	s_and_b64 s[4:5], s[4:5], exec
	s_or_saveexec_b64 s[6:7], s[6:7]
	v_mov_b32_e32 v2, s10
	s_xor_b64 exec, exec, s[6:7]
	s_cbranch_execnz .LBB1_26660
; %bb.62497:
	s_getpc_b64 s[14:15]
.Lpost_getpc16912:
	s_add_u32 s14, s14, (.LBB1_12322-.Lpost_getpc16912)&4294967295
	s_addc_u32 s15, s15, (.LBB1_12322-.Lpost_getpc16912)>>32
	s_setpc_b64 s[14:15]
.LBB1_26660:
	v_mov_b32_e32 v2, 0
	v_cmp_ne_u16_sdwa s[8:9], v7, v2 src0_sel:BYTE_0 src1_sel:DWORD
	s_andn2_b64 s[4:5], s[4:5], exec
	s_and_b64 s[8:9], s[8:9], exec
	s_or_b64 s[4:5], s[4:5], s[8:9]
	s_or_b64 exec, exec, s[6:7]
	s_and_saveexec_b64 s[6:7], s[4:5]
	s_cbranch_execz .LBB1_34833
; %bb.62499:
	s_getpc_b64 s[14:15]
.Lpost_getpc16913:
	s_add_u32 s14, s14, (.LBB1_12323-.Lpost_getpc16913)&4294967295
	s_addc_u32 s15, s15, (.LBB1_12323-.Lpost_getpc16913)>>32
	s_setpc_b64 s[14:15]
.LBB1_34833:
	s_getpc_b64 s[14:15]
.Lpost_getpc3080:
	s_add_u32 s14, s14, (.LBB1_12324-.Lpost_getpc3080)&4294967295
	s_addc_u32 s15, s15, (.LBB1_12324-.Lpost_getpc3080)>>32
	s_setpc_b64 s[14:15]
.LBB1_26661:
	s_movk_i32 s4, 0x80
	v_cmp_eq_u16_sdwa s[12:13], v3, s4 src0_sel:BYTE_0 src1_sel:DWORD
	s_mov_b64 s[4:5], -1
                                        ; implicit-def: $sgpr10
	s_and_saveexec_b64 s[8:9], s[12:13]
; %bb.26662:
	s_mov_b32 s10, 0x7f800001
	s_xor_b64 s[4:5], exec, -1
; %bb.26663:
	s_or_b64 exec, exec, s[8:9]
	s_and_b64 s[4:5], s[4:5], exec
	s_or_saveexec_b64 s[6:7], s[6:7]
	v_mov_b32_e32 v6, s10
	s_xor_b64 exec, exec, s[6:7]
	s_cbranch_execnz .LBB1_26664
; %bb.62501:
	s_getpc_b64 s[14:15]
.Lpost_getpc16914:
	s_add_u32 s14, s14, (.LBB1_12326-.Lpost_getpc16914)&4294967295
	s_addc_u32 s15, s15, (.LBB1_12326-.Lpost_getpc16914)>>32
	s_setpc_b64 s[14:15]
.LBB1_26664:
	v_mov_b32_e32 v6, 0
	v_cmp_ne_u16_sdwa s[8:9], v3, v6 src0_sel:BYTE_0 src1_sel:DWORD
	s_andn2_b64 s[4:5], s[4:5], exec
	s_and_b64 s[8:9], s[8:9], exec
	s_or_b64 s[4:5], s[4:5], s[8:9]
	s_or_b64 exec, exec, s[6:7]
	s_and_saveexec_b64 s[6:7], s[4:5]
	s_cbranch_execz .LBB1_34835
; %bb.62503:
	s_getpc_b64 s[14:15]
.Lpost_getpc16915:
	s_add_u32 s14, s14, (.LBB1_12327-.Lpost_getpc16915)&4294967295
	s_addc_u32 s15, s15, (.LBB1_12327-.Lpost_getpc16915)>>32
	s_setpc_b64 s[14:15]
.LBB1_34835:
	s_getpc_b64 s[14:15]
.Lpost_getpc3081:
	s_add_u32 s14, s14, (.LBB1_12328-.Lpost_getpc3081)&4294967295
	s_addc_u32 s15, s15, (.LBB1_12328-.Lpost_getpc3081)>>32
	s_setpc_b64 s[14:15]
.LBB1_26665:
	s_movk_i32 s4, 0x80
	v_cmp_eq_u16_sdwa s[12:13], v6, s4 src0_sel:BYTE_0 src1_sel:DWORD
	s_mov_b64 s[4:5], -1
                                        ; implicit-def: $sgpr10
	s_and_saveexec_b64 s[8:9], s[12:13]
; %bb.26666:
	s_mov_b32 s10, 0x7f800001
	s_xor_b64 s[4:5], exec, -1
; %bb.26667:
	s_or_b64 exec, exec, s[8:9]
	s_and_b64 s[4:5], s[4:5], exec
	s_or_saveexec_b64 s[6:7], s[6:7]
	v_mov_b32_e32 v2, s10
	s_xor_b64 exec, exec, s[6:7]
	s_cbranch_execnz .LBB1_26668
; %bb.62505:
	s_getpc_b64 s[14:15]
.Lpost_getpc16916:
	s_add_u32 s14, s14, (.LBB1_12330-.Lpost_getpc16916)&4294967295
	s_addc_u32 s15, s15, (.LBB1_12330-.Lpost_getpc16916)>>32
	s_setpc_b64 s[14:15]
.LBB1_26668:
	v_mov_b32_e32 v2, 0
	v_cmp_ne_u16_sdwa s[8:9], v6, v2 src0_sel:BYTE_0 src1_sel:DWORD
	s_andn2_b64 s[4:5], s[4:5], exec
	s_and_b64 s[8:9], s[8:9], exec
	s_or_b64 s[4:5], s[4:5], s[8:9]
	s_or_b64 exec, exec, s[6:7]
	s_and_saveexec_b64 s[6:7], s[4:5]
	s_cbranch_execz .LBB1_34837
; %bb.62507:
	s_getpc_b64 s[14:15]
.Lpost_getpc16917:
	s_add_u32 s14, s14, (.LBB1_12331-.Lpost_getpc16917)&4294967295
	s_addc_u32 s15, s15, (.LBB1_12331-.Lpost_getpc16917)>>32
	s_setpc_b64 s[14:15]
.LBB1_34837:
	s_getpc_b64 s[14:15]
.Lpost_getpc3082:
	s_add_u32 s14, s14, (.LBB1_12332-.Lpost_getpc3082)&4294967295
	s_addc_u32 s15, s15, (.LBB1_12332-.Lpost_getpc3082)>>32
	s_setpc_b64 s[14:15]
.LBB1_26669:
	s_movk_i32 s4, 0x80
	v_cmp_eq_u16_sdwa s[12:13], v6, s4 src0_sel:BYTE_0 src1_sel:DWORD
	s_mov_b64 s[4:5], -1
                                        ; implicit-def: $sgpr10
	s_and_saveexec_b64 s[8:9], s[12:13]
; %bb.26670:
	s_mov_b32 s10, 0x7f800001
	s_xor_b64 s[4:5], exec, -1
; %bb.26671:
	s_or_b64 exec, exec, s[8:9]
	s_and_b64 s[4:5], s[4:5], exec
	s_or_saveexec_b64 s[6:7], s[6:7]
	v_mov_b32_e32 v12, s10
	s_xor_b64 exec, exec, s[6:7]
	s_cbranch_execnz .LBB1_26672
; %bb.62509:
	s_getpc_b64 s[14:15]
.Lpost_getpc16918:
	s_add_u32 s14, s14, (.LBB1_12334-.Lpost_getpc16918)&4294967295
	s_addc_u32 s15, s15, (.LBB1_12334-.Lpost_getpc16918)>>32
	s_setpc_b64 s[14:15]
.LBB1_26672:
	v_mov_b32_e32 v12, 0
	v_cmp_ne_u16_sdwa s[8:9], v6, v12 src0_sel:BYTE_0 src1_sel:DWORD
	s_andn2_b64 s[4:5], s[4:5], exec
	s_and_b64 s[8:9], s[8:9], exec
	s_or_b64 s[4:5], s[4:5], s[8:9]
	s_or_b64 exec, exec, s[6:7]
	s_and_saveexec_b64 s[6:7], s[4:5]
	s_cbranch_execz .LBB1_34839
; %bb.62511:
	s_getpc_b64 s[14:15]
.Lpost_getpc16919:
	s_add_u32 s14, s14, (.LBB1_12335-.Lpost_getpc16919)&4294967295
	s_addc_u32 s15, s15, (.LBB1_12335-.Lpost_getpc16919)>>32
	s_setpc_b64 s[14:15]
.LBB1_34839:
	s_getpc_b64 s[14:15]
.Lpost_getpc3083:
	s_add_u32 s14, s14, (.LBB1_12336-.Lpost_getpc3083)&4294967295
	s_addc_u32 s15, s15, (.LBB1_12336-.Lpost_getpc3083)>>32
	s_setpc_b64 s[14:15]
.LBB1_26673:
	s_movk_i32 s4, 0x80
	v_cmp_eq_u16_e32 vcc, s4, v6
	s_mov_b64 s[4:5], -1
                                        ; implicit-def: $sgpr10
	s_and_saveexec_b64 s[8:9], vcc
; %bb.26674:
	s_mov_b32 s10, 0x7f800001
	s_xor_b64 s[4:5], exec, -1
; %bb.26675:
	s_or_b64 exec, exec, s[8:9]
	s_and_b64 s[4:5], s[4:5], exec
                                        ; implicit-def: $vgpr6
	s_or_saveexec_b64 s[6:7], s[6:7]
	v_mov_b32_e32 v2, s10
	s_xor_b64 exec, exec, s[6:7]
	s_cbranch_execnz .LBB1_26676
; %bb.62513:
	s_getpc_b64 s[14:15]
.Lpost_getpc16920:
	s_add_u32 s14, s14, (.LBB1_12338-.Lpost_getpc16920)&4294967295
	s_addc_u32 s15, s15, (.LBB1_12338-.Lpost_getpc16920)>>32
	s_setpc_b64 s[14:15]
.LBB1_26676:
	v_cmp_ne_u16_e32 vcc, 0, v6
	s_andn2_b64 s[4:5], s[4:5], exec
	s_and_b64 s[8:9], vcc, exec
	v_mov_b32_e32 v2, 0
	s_or_b64 s[4:5], s[4:5], s[8:9]
	s_or_b64 exec, exec, s[6:7]
	s_and_saveexec_b64 s[6:7], s[4:5]
	s_cbranch_execz .LBB1_34841
; %bb.62515:
	s_getpc_b64 s[14:15]
.Lpost_getpc16921:
	s_add_u32 s14, s14, (.LBB1_12339-.Lpost_getpc16921)&4294967295
	s_addc_u32 s15, s15, (.LBB1_12339-.Lpost_getpc16921)>>32
	s_setpc_b64 s[14:15]
.LBB1_34841:
	s_getpc_b64 s[14:15]
.Lpost_getpc3084:
	s_add_u32 s14, s14, (.LBB1_12340-.Lpost_getpc3084)&4294967295
	s_addc_u32 s15, s15, (.LBB1_12340-.Lpost_getpc3084)>>32
	s_setpc_b64 s[14:15]
.LBB1_26677:
	s_movk_i32 s4, 0x80
	v_cmp_eq_u16_e32 vcc, s4, v6
	s_mov_b64 s[4:5], -1
                                        ; implicit-def: $sgpr10
	s_and_saveexec_b64 s[8:9], vcc
; %bb.26678:
	s_mov_b32 s10, 0x7f800001
	s_xor_b64 s[4:5], exec, -1
; %bb.26679:
	s_or_b64 exec, exec, s[8:9]
	s_and_b64 s[4:5], s[4:5], exec
                                        ; implicit-def: $vgpr6
	s_or_saveexec_b64 s[6:7], s[6:7]
	v_mov_b32_e32 v12, s10
	s_xor_b64 exec, exec, s[6:7]
	s_cbranch_execnz .LBB1_26680
; %bb.62517:
	s_getpc_b64 s[14:15]
.Lpost_getpc16922:
	s_add_u32 s14, s14, (.LBB1_12342-.Lpost_getpc16922)&4294967295
	s_addc_u32 s15, s15, (.LBB1_12342-.Lpost_getpc16922)>>32
	s_setpc_b64 s[14:15]
.LBB1_26680:
	v_cmp_ne_u16_e32 vcc, 0, v6
	s_andn2_b64 s[4:5], s[4:5], exec
	s_and_b64 s[8:9], vcc, exec
	v_mov_b32_e32 v12, 0
	s_or_b64 s[4:5], s[4:5], s[8:9]
	s_or_b64 exec, exec, s[6:7]
	s_and_saveexec_b64 s[6:7], s[4:5]
	s_cbranch_execz .LBB1_34843
; %bb.62519:
	s_getpc_b64 s[14:15]
.Lpost_getpc16923:
	s_add_u32 s14, s14, (.LBB1_12343-.Lpost_getpc16923)&4294967295
	s_addc_u32 s15, s15, (.LBB1_12343-.Lpost_getpc16923)>>32
	s_setpc_b64 s[14:15]
.LBB1_34843:
	s_getpc_b64 s[14:15]
.Lpost_getpc3085:
	s_add_u32 s14, s14, (.LBB1_12344-.Lpost_getpc3085)&4294967295
	s_addc_u32 s15, s15, (.LBB1_12344-.Lpost_getpc3085)>>32
	s_setpc_b64 s[14:15]
.LBB1_26681:
	s_movk_i32 s4, 0x80
	v_cmp_eq_u16_sdwa s[12:13], v7, s4 src0_sel:BYTE_3 src1_sel:DWORD
	s_mov_b64 s[4:5], -1
                                        ; implicit-def: $sgpr10
	s_and_saveexec_b64 s[8:9], s[12:13]
; %bb.26682:
	s_mov_b32 s10, 0x7f800001
	s_xor_b64 s[4:5], exec, -1
; %bb.26683:
	s_or_b64 exec, exec, s[8:9]
	s_and_b64 s[4:5], s[4:5], exec
	s_or_saveexec_b64 s[6:7], s[6:7]
	v_mov_b32_e32 v2, s10
	s_xor_b64 exec, exec, s[6:7]
	s_cbranch_execnz .LBB1_26684
; %bb.62521:
	s_getpc_b64 s[14:15]
.Lpost_getpc16924:
	s_add_u32 s14, s14, (.LBB1_12346-.Lpost_getpc16924)&4294967295
	s_addc_u32 s15, s15, (.LBB1_12346-.Lpost_getpc16924)>>32
	s_setpc_b64 s[14:15]
.LBB1_26684:
	v_mov_b32_e32 v2, 0
	v_cmp_ne_u16_sdwa s[8:9], v7, v2 src0_sel:BYTE_3 src1_sel:DWORD
	s_andn2_b64 s[4:5], s[4:5], exec
	s_and_b64 s[8:9], s[8:9], exec
	s_or_b64 s[4:5], s[4:5], s[8:9]
	s_or_b64 exec, exec, s[6:7]
	s_and_saveexec_b64 s[6:7], s[4:5]
	s_cbranch_execz .LBB1_34845
; %bb.62523:
	s_getpc_b64 s[14:15]
.Lpost_getpc16925:
	s_add_u32 s14, s14, (.LBB1_12347-.Lpost_getpc16925)&4294967295
	s_addc_u32 s15, s15, (.LBB1_12347-.Lpost_getpc16925)>>32
	s_setpc_b64 s[14:15]
.LBB1_34845:
	s_getpc_b64 s[14:15]
.Lpost_getpc3086:
	s_add_u32 s14, s14, (.LBB1_12348-.Lpost_getpc3086)&4294967295
	s_addc_u32 s15, s15, (.LBB1_12348-.Lpost_getpc3086)>>32
	s_setpc_b64 s[14:15]
.LBB1_26685:
	s_movk_i32 s4, 0x80
	v_cmp_eq_u16_sdwa s[12:13], v3, s4 src0_sel:BYTE_3 src1_sel:DWORD
	s_mov_b64 s[4:5], -1
                                        ; implicit-def: $sgpr10
	s_and_saveexec_b64 s[8:9], s[12:13]
; %bb.26686:
	s_mov_b32 s10, 0x7f800001
	s_xor_b64 s[4:5], exec, -1
; %bb.26687:
	s_or_b64 exec, exec, s[8:9]
	s_and_b64 s[4:5], s[4:5], exec
	s_or_saveexec_b64 s[6:7], s[6:7]
	v_mov_b32_e32 v6, s10
	s_xor_b64 exec, exec, s[6:7]
	s_cbranch_execnz .LBB1_26688
; %bb.62525:
	s_getpc_b64 s[14:15]
.Lpost_getpc16926:
	s_add_u32 s14, s14, (.LBB1_12350-.Lpost_getpc16926)&4294967295
	s_addc_u32 s15, s15, (.LBB1_12350-.Lpost_getpc16926)>>32
	s_setpc_b64 s[14:15]
.LBB1_26688:
	v_mov_b32_e32 v6, 0
	v_cmp_ne_u16_sdwa s[8:9], v3, v6 src0_sel:BYTE_3 src1_sel:DWORD
	s_andn2_b64 s[4:5], s[4:5], exec
	s_and_b64 s[8:9], s[8:9], exec
	s_or_b64 s[4:5], s[4:5], s[8:9]
	s_or_b64 exec, exec, s[6:7]
	s_and_saveexec_b64 s[6:7], s[4:5]
	s_cbranch_execz .LBB1_34847
; %bb.62527:
	s_getpc_b64 s[14:15]
.Lpost_getpc16927:
	s_add_u32 s14, s14, (.LBB1_12351-.Lpost_getpc16927)&4294967295
	s_addc_u32 s15, s15, (.LBB1_12351-.Lpost_getpc16927)>>32
	s_setpc_b64 s[14:15]
.LBB1_34847:
	s_getpc_b64 s[14:15]
.Lpost_getpc3087:
	s_add_u32 s14, s14, (.LBB1_12352-.Lpost_getpc3087)&4294967295
	s_addc_u32 s15, s15, (.LBB1_12352-.Lpost_getpc3087)>>32
	s_setpc_b64 s[14:15]
.LBB1_26689:
	s_movk_i32 s4, 0x80
	v_cmp_eq_u16_sdwa s[12:13], v8, s4 src0_sel:BYTE_0 src1_sel:DWORD
	s_mov_b64 s[4:5], -1
                                        ; implicit-def: $sgpr10
	s_and_saveexec_b64 s[8:9], s[12:13]
; %bb.26690:
	s_mov_b32 s10, 0x7f800001
	s_xor_b64 s[4:5], exec, -1
; %bb.26691:
	s_or_b64 exec, exec, s[8:9]
	s_and_b64 s[4:5], s[4:5], exec
	s_or_saveexec_b64 s[6:7], s[6:7]
	v_mov_b32_e32 v2, s10
	s_xor_b64 exec, exec, s[6:7]
	s_cbranch_execnz .LBB1_26692
; %bb.62529:
	s_getpc_b64 s[14:15]
.Lpost_getpc16928:
	s_add_u32 s14, s14, (.LBB1_12354-.Lpost_getpc16928)&4294967295
	s_addc_u32 s15, s15, (.LBB1_12354-.Lpost_getpc16928)>>32
	s_setpc_b64 s[14:15]
.LBB1_26692:
	v_mov_b32_e32 v2, 0
	v_cmp_ne_u16_sdwa s[8:9], v8, v2 src0_sel:BYTE_0 src1_sel:DWORD
	s_andn2_b64 s[4:5], s[4:5], exec
	s_and_b64 s[8:9], s[8:9], exec
	s_or_b64 s[4:5], s[4:5], s[8:9]
	s_or_b64 exec, exec, s[6:7]
	s_and_saveexec_b64 s[6:7], s[4:5]
	s_cbranch_execz .LBB1_34849
; %bb.62531:
	s_getpc_b64 s[14:15]
.Lpost_getpc16929:
	s_add_u32 s14, s14, (.LBB1_12355-.Lpost_getpc16929)&4294967295
	s_addc_u32 s15, s15, (.LBB1_12355-.Lpost_getpc16929)>>32
	s_setpc_b64 s[14:15]
.LBB1_34849:
	s_getpc_b64 s[14:15]
.Lpost_getpc3088:
	s_add_u32 s14, s14, (.LBB1_12356-.Lpost_getpc3088)&4294967295
	s_addc_u32 s15, s15, (.LBB1_12356-.Lpost_getpc3088)>>32
	s_setpc_b64 s[14:15]
.LBB1_26693:
	s_movk_i32 s4, 0x80
	v_cmp_eq_u16_sdwa s[12:13], v4, s4 src0_sel:BYTE_0 src1_sel:DWORD
	s_mov_b64 s[4:5], -1
                                        ; implicit-def: $sgpr10
	s_and_saveexec_b64 s[8:9], s[12:13]
; %bb.26694:
	s_mov_b32 s10, 0x7f800001
	s_xor_b64 s[4:5], exec, -1
; %bb.26695:
	s_or_b64 exec, exec, s[8:9]
	s_and_b64 s[4:5], s[4:5], exec
	s_or_saveexec_b64 s[6:7], s[6:7]
	v_mov_b32_e32 v3, s10
	s_xor_b64 exec, exec, s[6:7]
	s_cbranch_execnz .LBB1_26696
; %bb.62533:
	s_getpc_b64 s[14:15]
.Lpost_getpc16930:
	s_add_u32 s14, s14, (.LBB1_12358-.Lpost_getpc16930)&4294967295
	s_addc_u32 s15, s15, (.LBB1_12358-.Lpost_getpc16930)>>32
	s_setpc_b64 s[14:15]
.LBB1_26696:
	v_mov_b32_e32 v3, 0
	v_cmp_ne_u16_sdwa s[8:9], v4, v3 src0_sel:BYTE_0 src1_sel:DWORD
	s_andn2_b64 s[4:5], s[4:5], exec
	s_and_b64 s[8:9], s[8:9], exec
	s_or_b64 s[4:5], s[4:5], s[8:9]
	s_or_b64 exec, exec, s[6:7]
	s_and_saveexec_b64 s[6:7], s[4:5]
	s_cbranch_execz .LBB1_34851
; %bb.62535:
	s_getpc_b64 s[14:15]
.Lpost_getpc16931:
	s_add_u32 s14, s14, (.LBB1_12359-.Lpost_getpc16931)&4294967295
	s_addc_u32 s15, s15, (.LBB1_12359-.Lpost_getpc16931)>>32
	s_setpc_b64 s[14:15]
.LBB1_34851:
	s_getpc_b64 s[14:15]
.Lpost_getpc3089:
	s_add_u32 s14, s14, (.LBB1_12360-.Lpost_getpc3089)&4294967295
	s_addc_u32 s15, s15, (.LBB1_12360-.Lpost_getpc3089)>>32
	s_setpc_b64 s[14:15]
.LBB1_26697:
	s_movk_i32 s4, 0x80
	v_cmp_eq_u16_sdwa s[12:13], v3, s4 src0_sel:BYTE_0 src1_sel:DWORD
	s_mov_b64 s[4:5], -1
                                        ; implicit-def: $sgpr10
	s_and_saveexec_b64 s[8:9], s[12:13]
; %bb.26698:
	s_mov_b32 s10, 0x7f800001
	s_xor_b64 s[4:5], exec, -1
; %bb.26699:
	s_or_b64 exec, exec, s[8:9]
	s_and_b64 s[4:5], s[4:5], exec
	s_or_saveexec_b64 s[6:7], s[6:7]
	v_mov_b32_e32 v2, s10
	s_xor_b64 exec, exec, s[6:7]
	s_cbranch_execnz .LBB1_26700
; %bb.62537:
	s_getpc_b64 s[14:15]
.Lpost_getpc16932:
	s_add_u32 s14, s14, (.LBB1_12362-.Lpost_getpc16932)&4294967295
	s_addc_u32 s15, s15, (.LBB1_12362-.Lpost_getpc16932)>>32
	s_setpc_b64 s[14:15]
.LBB1_26700:
	v_mov_b32_e32 v2, 0
	v_cmp_ne_u16_sdwa s[8:9], v3, v2 src0_sel:BYTE_0 src1_sel:DWORD
	s_andn2_b64 s[4:5], s[4:5], exec
	s_and_b64 s[8:9], s[8:9], exec
	s_or_b64 s[4:5], s[4:5], s[8:9]
	s_or_b64 exec, exec, s[6:7]
	s_and_saveexec_b64 s[6:7], s[4:5]
	s_cbranch_execz .LBB1_34853
; %bb.62539:
	s_getpc_b64 s[14:15]
.Lpost_getpc16933:
	s_add_u32 s14, s14, (.LBB1_12363-.Lpost_getpc16933)&4294967295
	s_addc_u32 s15, s15, (.LBB1_12363-.Lpost_getpc16933)>>32
	s_setpc_b64 s[14:15]
.LBB1_34853:
	s_getpc_b64 s[14:15]
.Lpost_getpc3090:
	s_add_u32 s14, s14, (.LBB1_12364-.Lpost_getpc3090)&4294967295
	s_addc_u32 s15, s15, (.LBB1_12364-.Lpost_getpc3090)>>32
	s_setpc_b64 s[14:15]
.LBB1_26701:
	s_movk_i32 s4, 0x80
	v_cmp_eq_u16_sdwa s[12:13], v3, s4 src0_sel:BYTE_0 src1_sel:DWORD
	s_mov_b64 s[4:5], -1
                                        ; implicit-def: $sgpr10
	s_and_saveexec_b64 s[8:9], s[12:13]
; %bb.26702:
	s_mov_b32 s10, 0x7f800001
	s_xor_b64 s[4:5], exec, -1
; %bb.26703:
	s_or_b64 exec, exec, s[8:9]
	s_and_b64 s[4:5], s[4:5], exec
	s_or_saveexec_b64 s[6:7], s[6:7]
	v_mov_b32_e32 v6, s10
	s_xor_b64 exec, exec, s[6:7]
	s_cbranch_execnz .LBB1_26704
; %bb.62541:
	s_getpc_b64 s[14:15]
.Lpost_getpc16934:
	s_add_u32 s14, s14, (.LBB1_12366-.Lpost_getpc16934)&4294967295
	s_addc_u32 s15, s15, (.LBB1_12366-.Lpost_getpc16934)>>32
	s_setpc_b64 s[14:15]
.LBB1_26704:
	v_mov_b32_e32 v6, 0
	v_cmp_ne_u16_sdwa s[8:9], v3, v6 src0_sel:BYTE_0 src1_sel:DWORD
	s_andn2_b64 s[4:5], s[4:5], exec
	s_and_b64 s[8:9], s[8:9], exec
	s_or_b64 s[4:5], s[4:5], s[8:9]
	s_or_b64 exec, exec, s[6:7]
	s_and_saveexec_b64 s[6:7], s[4:5]
	s_cbranch_execz .LBB1_34855
; %bb.62543:
	s_getpc_b64 s[14:15]
.Lpost_getpc16935:
	s_add_u32 s14, s14, (.LBB1_12367-.Lpost_getpc16935)&4294967295
	s_addc_u32 s15, s15, (.LBB1_12367-.Lpost_getpc16935)>>32
	s_setpc_b64 s[14:15]
.LBB1_34855:
	s_getpc_b64 s[14:15]
.Lpost_getpc3091:
	s_add_u32 s14, s14, (.LBB1_12368-.Lpost_getpc3091)&4294967295
	s_addc_u32 s15, s15, (.LBB1_12368-.Lpost_getpc3091)>>32
	s_setpc_b64 s[14:15]
.LBB1_26705:
	s_movk_i32 s4, 0x80
	v_cmp_eq_u16_e32 vcc, s4, v3
	s_mov_b64 s[4:5], -1
                                        ; implicit-def: $sgpr10
	s_and_saveexec_b64 s[8:9], vcc
; %bb.26706:
	s_mov_b32 s10, 0x7f800001
	s_xor_b64 s[4:5], exec, -1
; %bb.26707:
	s_or_b64 exec, exec, s[8:9]
	s_and_b64 s[4:5], s[4:5], exec
                                        ; implicit-def: $vgpr3
	s_or_saveexec_b64 s[6:7], s[6:7]
	v_mov_b32_e32 v2, s10
	s_xor_b64 exec, exec, s[6:7]
	s_cbranch_execnz .LBB1_26708
; %bb.62545:
	s_getpc_b64 s[14:15]
.Lpost_getpc16936:
	s_add_u32 s14, s14, (.LBB1_12370-.Lpost_getpc16936)&4294967295
	s_addc_u32 s15, s15, (.LBB1_12370-.Lpost_getpc16936)>>32
	s_setpc_b64 s[14:15]
.LBB1_26708:
	v_cmp_ne_u16_e32 vcc, 0, v3
	s_andn2_b64 s[4:5], s[4:5], exec
	s_and_b64 s[8:9], vcc, exec
	v_mov_b32_e32 v2, 0
	s_or_b64 s[4:5], s[4:5], s[8:9]
	s_or_b64 exec, exec, s[6:7]
	s_and_saveexec_b64 s[6:7], s[4:5]
	s_cbranch_execz .LBB1_34857
; %bb.62547:
	s_getpc_b64 s[14:15]
.Lpost_getpc16937:
	s_add_u32 s14, s14, (.LBB1_12371-.Lpost_getpc16937)&4294967295
	s_addc_u32 s15, s15, (.LBB1_12371-.Lpost_getpc16937)>>32
	s_setpc_b64 s[14:15]
.LBB1_34857:
	s_getpc_b64 s[14:15]
.Lpost_getpc3092:
	s_add_u32 s14, s14, (.LBB1_12372-.Lpost_getpc3092)&4294967295
	s_addc_u32 s15, s15, (.LBB1_12372-.Lpost_getpc3092)>>32
	s_setpc_b64 s[14:15]
.LBB1_26709:
	s_movk_i32 s4, 0x80
	v_cmp_eq_u16_e32 vcc, s4, v3
	s_mov_b64 s[4:5], -1
                                        ; implicit-def: $sgpr10
	s_and_saveexec_b64 s[8:9], vcc
; %bb.26710:
	s_mov_b32 s10, 0x7f800001
	s_xor_b64 s[4:5], exec, -1
; %bb.26711:
	s_or_b64 exec, exec, s[8:9]
	s_and_b64 s[4:5], s[4:5], exec
                                        ; implicit-def: $vgpr3
	s_or_saveexec_b64 s[6:7], s[6:7]
	v_mov_b32_e32 v6, s10
	s_xor_b64 exec, exec, s[6:7]
	s_cbranch_execnz .LBB1_26712
; %bb.62549:
	s_getpc_b64 s[14:15]
.Lpost_getpc16938:
	s_add_u32 s14, s14, (.LBB1_12374-.Lpost_getpc16938)&4294967295
	s_addc_u32 s15, s15, (.LBB1_12374-.Lpost_getpc16938)>>32
	s_setpc_b64 s[14:15]
.LBB1_26712:
	v_cmp_ne_u16_e32 vcc, 0, v3
	s_andn2_b64 s[4:5], s[4:5], exec
	s_and_b64 s[8:9], vcc, exec
	v_mov_b32_e32 v6, 0
	s_or_b64 s[4:5], s[4:5], s[8:9]
	s_or_b64 exec, exec, s[6:7]
	s_and_saveexec_b64 s[6:7], s[4:5]
	s_cbranch_execz .LBB1_34859
; %bb.62551:
	s_getpc_b64 s[14:15]
.Lpost_getpc16939:
	s_add_u32 s14, s14, (.LBB1_12375-.Lpost_getpc16939)&4294967295
	s_addc_u32 s15, s15, (.LBB1_12375-.Lpost_getpc16939)>>32
	s_setpc_b64 s[14:15]
.LBB1_34859:
	s_getpc_b64 s[14:15]
.Lpost_getpc3093:
	s_add_u32 s14, s14, (.LBB1_12376-.Lpost_getpc3093)&4294967295
	s_addc_u32 s15, s15, (.LBB1_12376-.Lpost_getpc3093)>>32
	s_setpc_b64 s[14:15]
.LBB1_26713:
	s_movk_i32 s4, 0x80
	v_cmp_eq_u16_sdwa s[12:13], v8, s4 src0_sel:BYTE_3 src1_sel:DWORD
	s_mov_b64 s[4:5], -1
                                        ; implicit-def: $sgpr10
	s_and_saveexec_b64 s[8:9], s[12:13]
; %bb.26714:
	s_mov_b32 s10, 0x7f800001
	s_xor_b64 s[4:5], exec, -1
; %bb.26715:
	s_or_b64 exec, exec, s[8:9]
	s_and_b64 s[4:5], s[4:5], exec
	s_or_saveexec_b64 s[6:7], s[6:7]
	v_mov_b32_e32 v2, s10
	s_xor_b64 exec, exec, s[6:7]
	s_cbranch_execnz .LBB1_26716
; %bb.62553:
	s_getpc_b64 s[14:15]
.Lpost_getpc16940:
	s_add_u32 s14, s14, (.LBB1_12378-.Lpost_getpc16940)&4294967295
	s_addc_u32 s15, s15, (.LBB1_12378-.Lpost_getpc16940)>>32
	s_setpc_b64 s[14:15]
.LBB1_26716:
	v_mov_b32_e32 v2, 0
	v_cmp_ne_u16_sdwa s[8:9], v8, v2 src0_sel:BYTE_3 src1_sel:DWORD
	s_andn2_b64 s[4:5], s[4:5], exec
	s_and_b64 s[8:9], s[8:9], exec
	s_or_b64 s[4:5], s[4:5], s[8:9]
	s_or_b64 exec, exec, s[6:7]
	s_and_saveexec_b64 s[6:7], s[4:5]
	s_cbranch_execz .LBB1_34861
; %bb.62555:
	s_getpc_b64 s[14:15]
.Lpost_getpc16941:
	s_add_u32 s14, s14, (.LBB1_12379-.Lpost_getpc16941)&4294967295
	s_addc_u32 s15, s15, (.LBB1_12379-.Lpost_getpc16941)>>32
	s_setpc_b64 s[14:15]
.LBB1_34861:
	s_getpc_b64 s[14:15]
.Lpost_getpc3094:
	s_add_u32 s14, s14, (.LBB1_12380-.Lpost_getpc3094)&4294967295
	s_addc_u32 s15, s15, (.LBB1_12380-.Lpost_getpc3094)>>32
	s_setpc_b64 s[14:15]
.LBB1_26717:
	s_movk_i32 s4, 0x80
	v_cmp_eq_u16_sdwa s[12:13], v4, s4 src0_sel:BYTE_3 src1_sel:DWORD
	s_mov_b64 s[4:5], -1
                                        ; implicit-def: $sgpr10
	s_and_saveexec_b64 s[8:9], s[12:13]
; %bb.26718:
	s_mov_b32 s10, 0x7f800001
	s_xor_b64 s[4:5], exec, -1
; %bb.26719:
	s_or_b64 exec, exec, s[8:9]
	s_and_b64 s[4:5], s[4:5], exec
	s_or_saveexec_b64 s[6:7], s[6:7]
	v_mov_b32_e32 v3, s10
	s_xor_b64 exec, exec, s[6:7]
	s_cbranch_execnz .LBB1_26720
; %bb.62557:
	s_getpc_b64 s[14:15]
.Lpost_getpc16942:
	s_add_u32 s14, s14, (.LBB1_12382-.Lpost_getpc16942)&4294967295
	s_addc_u32 s15, s15, (.LBB1_12382-.Lpost_getpc16942)>>32
	s_setpc_b64 s[14:15]
.LBB1_26720:
	v_mov_b32_e32 v3, 0
	v_cmp_ne_u16_sdwa s[8:9], v4, v3 src0_sel:BYTE_3 src1_sel:DWORD
	s_andn2_b64 s[4:5], s[4:5], exec
	s_and_b64 s[8:9], s[8:9], exec
	s_or_b64 s[4:5], s[4:5], s[8:9]
	s_or_b64 exec, exec, s[6:7]
	s_and_saveexec_b64 s[6:7], s[4:5]
	s_cbranch_execz .LBB1_34863
; %bb.62559:
	s_getpc_b64 s[14:15]
.Lpost_getpc16943:
	s_add_u32 s14, s14, (.LBB1_12383-.Lpost_getpc16943)&4294967295
	s_addc_u32 s15, s15, (.LBB1_12383-.Lpost_getpc16943)>>32
	s_setpc_b64 s[14:15]
.LBB1_34863:
	s_getpc_b64 s[14:15]
.Lpost_getpc3095:
	s_add_u32 s14, s14, (.LBB1_12384-.Lpost_getpc3095)&4294967295
	s_addc_u32 s15, s15, (.LBB1_12384-.Lpost_getpc3095)>>32
	s_setpc_b64 s[14:15]
.LBB1_26721:
	s_movk_i32 s4, 0x80
	v_cmp_eq_u16_sdwa s[12:13], v9, s4 src0_sel:BYTE_0 src1_sel:DWORD
	s_mov_b64 s[4:5], -1
                                        ; implicit-def: $sgpr10
	s_and_saveexec_b64 s[8:9], s[12:13]
; %bb.26722:
	s_mov_b32 s10, 0x7f800001
	s_xor_b64 s[4:5], exec, -1
; %bb.26723:
	s_or_b64 exec, exec, s[8:9]
	s_and_b64 s[4:5], s[4:5], exec
	s_or_saveexec_b64 s[6:7], s[6:7]
	v_mov_b32_e32 v2, s10
	s_xor_b64 exec, exec, s[6:7]
	s_cbranch_execnz .LBB1_26724
; %bb.62561:
	s_getpc_b64 s[14:15]
.Lpost_getpc16944:
	s_add_u32 s14, s14, (.LBB1_12386-.Lpost_getpc16944)&4294967295
	s_addc_u32 s15, s15, (.LBB1_12386-.Lpost_getpc16944)>>32
	s_setpc_b64 s[14:15]
.LBB1_26724:
	v_mov_b32_e32 v2, 0
	v_cmp_ne_u16_sdwa s[8:9], v9, v2 src0_sel:BYTE_0 src1_sel:DWORD
	s_andn2_b64 s[4:5], s[4:5], exec
	s_and_b64 s[8:9], s[8:9], exec
	s_or_b64 s[4:5], s[4:5], s[8:9]
	s_or_b64 exec, exec, s[6:7]
	s_and_saveexec_b64 s[6:7], s[4:5]
	s_cbranch_execz .LBB1_34865
; %bb.62563:
	s_getpc_b64 s[14:15]
.Lpost_getpc16945:
	s_add_u32 s14, s14, (.LBB1_12387-.Lpost_getpc16945)&4294967295
	s_addc_u32 s15, s15, (.LBB1_12387-.Lpost_getpc16945)>>32
	s_setpc_b64 s[14:15]
.LBB1_34865:
	s_getpc_b64 s[14:15]
.Lpost_getpc3096:
	s_add_u32 s14, s14, (.LBB1_12388-.Lpost_getpc3096)&4294967295
	s_addc_u32 s15, s15, (.LBB1_12388-.Lpost_getpc3096)>>32
	s_setpc_b64 s[14:15]
.LBB1_26725:
	s_movk_i32 s4, 0x80
	v_cmp_eq_u16_sdwa s[12:13], v5, s4 src0_sel:BYTE_0 src1_sel:DWORD
	s_mov_b64 s[4:5], -1
                                        ; implicit-def: $sgpr10
	s_and_saveexec_b64 s[8:9], s[12:13]
; %bb.26726:
	s_mov_b32 s10, 0x7f800001
	s_xor_b64 s[4:5], exec, -1
; %bb.26727:
	s_or_b64 exec, exec, s[8:9]
	s_and_b64 s[4:5], s[4:5], exec
	s_or_saveexec_b64 s[6:7], s[6:7]
	v_mov_b32_e32 v3, s10
	s_xor_b64 exec, exec, s[6:7]
	s_cbranch_execnz .LBB1_26728
; %bb.62565:
	s_getpc_b64 s[14:15]
.Lpost_getpc16946:
	s_add_u32 s14, s14, (.LBB1_12390-.Lpost_getpc16946)&4294967295
	s_addc_u32 s15, s15, (.LBB1_12390-.Lpost_getpc16946)>>32
	s_setpc_b64 s[14:15]
.LBB1_26728:
	v_mov_b32_e32 v3, 0
	v_cmp_ne_u16_sdwa s[8:9], v5, v3 src0_sel:BYTE_0 src1_sel:DWORD
	s_andn2_b64 s[4:5], s[4:5], exec
	s_and_b64 s[8:9], s[8:9], exec
	s_or_b64 s[4:5], s[4:5], s[8:9]
	s_or_b64 exec, exec, s[6:7]
	s_and_saveexec_b64 s[6:7], s[4:5]
	s_cbranch_execz .LBB1_34867
; %bb.62567:
	s_getpc_b64 s[14:15]
.Lpost_getpc16947:
	s_add_u32 s14, s14, (.LBB1_12391-.Lpost_getpc16947)&4294967295
	s_addc_u32 s15, s15, (.LBB1_12391-.Lpost_getpc16947)>>32
	s_setpc_b64 s[14:15]
.LBB1_34867:
	s_getpc_b64 s[14:15]
.Lpost_getpc3097:
	s_add_u32 s14, s14, (.LBB1_12392-.Lpost_getpc3097)&4294967295
	s_addc_u32 s15, s15, (.LBB1_12392-.Lpost_getpc3097)>>32
	s_setpc_b64 s[14:15]
.LBB1_26729:
	s_movk_i32 s4, 0x80
	v_cmp_eq_u16_sdwa s[12:13], v3, s4 src0_sel:BYTE_0 src1_sel:DWORD
	s_mov_b64 s[4:5], -1
                                        ; implicit-def: $sgpr10
	s_and_saveexec_b64 s[8:9], s[12:13]
; %bb.26730:
	s_mov_b32 s10, 0x7f800001
	s_xor_b64 s[4:5], exec, -1
; %bb.26731:
	s_or_b64 exec, exec, s[8:9]
	s_and_b64 s[4:5], s[4:5], exec
	s_or_saveexec_b64 s[6:7], s[6:7]
	v_mov_b32_e32 v2, s10
	s_xor_b64 exec, exec, s[6:7]
	s_cbranch_execnz .LBB1_26732
; %bb.62569:
	s_getpc_b64 s[14:15]
.Lpost_getpc16948:
	s_add_u32 s14, s14, (.LBB1_12394-.Lpost_getpc16948)&4294967295
	s_addc_u32 s15, s15, (.LBB1_12394-.Lpost_getpc16948)>>32
	s_setpc_b64 s[14:15]
.LBB1_26732:
	v_mov_b32_e32 v2, 0
	v_cmp_ne_u16_sdwa s[8:9], v3, v2 src0_sel:BYTE_0 src1_sel:DWORD
	s_andn2_b64 s[4:5], s[4:5], exec
	s_and_b64 s[8:9], s[8:9], exec
	s_or_b64 s[4:5], s[4:5], s[8:9]
	s_or_b64 exec, exec, s[6:7]
	s_and_saveexec_b64 s[6:7], s[4:5]
	s_cbranch_execz .LBB1_34869
; %bb.62571:
	s_getpc_b64 s[14:15]
.Lpost_getpc16949:
	s_add_u32 s14, s14, (.LBB1_12395-.Lpost_getpc16949)&4294967295
	s_addc_u32 s15, s15, (.LBB1_12395-.Lpost_getpc16949)>>32
	s_setpc_b64 s[14:15]
.LBB1_34869:
	s_getpc_b64 s[14:15]
.Lpost_getpc3098:
	s_add_u32 s14, s14, (.LBB1_12396-.Lpost_getpc3098)&4294967295
	s_addc_u32 s15, s15, (.LBB1_12396-.Lpost_getpc3098)>>32
	s_setpc_b64 s[14:15]
.LBB1_26733:
	s_movk_i32 s4, 0x80
	v_cmp_eq_u16_sdwa s[12:13], v3, s4 src0_sel:BYTE_0 src1_sel:DWORD
	s_mov_b64 s[4:5], -1
                                        ; implicit-def: $sgpr10
	s_and_saveexec_b64 s[8:9], s[12:13]
; %bb.26734:
	s_mov_b32 s10, 0x7f800001
	s_xor_b64 s[4:5], exec, -1
; %bb.26735:
	s_or_b64 exec, exec, s[8:9]
	s_and_b64 s[4:5], s[4:5], exec
	s_or_saveexec_b64 s[6:7], s[6:7]
	v_mov_b32_e32 v4, s10
	s_xor_b64 exec, exec, s[6:7]
	s_cbranch_execnz .LBB1_26736
; %bb.62573:
	s_getpc_b64 s[14:15]
.Lpost_getpc16950:
	s_add_u32 s14, s14, (.LBB1_12398-.Lpost_getpc16950)&4294967295
	s_addc_u32 s15, s15, (.LBB1_12398-.Lpost_getpc16950)>>32
	s_setpc_b64 s[14:15]
.LBB1_26736:
	v_mov_b32_e32 v4, 0
	v_cmp_ne_u16_sdwa s[8:9], v3, v4 src0_sel:BYTE_0 src1_sel:DWORD
	s_andn2_b64 s[4:5], s[4:5], exec
	s_and_b64 s[8:9], s[8:9], exec
	s_or_b64 s[4:5], s[4:5], s[8:9]
	s_or_b64 exec, exec, s[6:7]
	s_and_saveexec_b64 s[6:7], s[4:5]
	s_cbranch_execz .LBB1_34871
; %bb.62575:
	s_getpc_b64 s[14:15]
.Lpost_getpc16951:
	s_add_u32 s14, s14, (.LBB1_12399-.Lpost_getpc16951)&4294967295
	s_addc_u32 s15, s15, (.LBB1_12399-.Lpost_getpc16951)>>32
	s_setpc_b64 s[14:15]
.LBB1_34871:
	s_getpc_b64 s[14:15]
.Lpost_getpc3099:
	s_add_u32 s14, s14, (.LBB1_12400-.Lpost_getpc3099)&4294967295
	s_addc_u32 s15, s15, (.LBB1_12400-.Lpost_getpc3099)>>32
	s_setpc_b64 s[14:15]
.LBB1_26737:
	s_movk_i32 s4, 0x80
	v_cmp_eq_u16_e32 vcc, s4, v3
	s_mov_b64 s[4:5], -1
                                        ; implicit-def: $sgpr10
	s_and_saveexec_b64 s[8:9], vcc
; %bb.26738:
	s_mov_b32 s10, 0x7f800001
	s_xor_b64 s[4:5], exec, -1
; %bb.26739:
	s_or_b64 exec, exec, s[8:9]
	s_and_b64 s[4:5], s[4:5], exec
                                        ; implicit-def: $vgpr3
	s_or_saveexec_b64 s[6:7], s[6:7]
	v_mov_b32_e32 v2, s10
	s_xor_b64 exec, exec, s[6:7]
	s_cbranch_execnz .LBB1_26740
; %bb.62577:
	s_getpc_b64 s[14:15]
.Lpost_getpc16952:
	s_add_u32 s14, s14, (.LBB1_12402-.Lpost_getpc16952)&4294967295
	s_addc_u32 s15, s15, (.LBB1_12402-.Lpost_getpc16952)>>32
	s_setpc_b64 s[14:15]
.LBB1_26740:
	v_cmp_ne_u16_e32 vcc, 0, v3
	s_andn2_b64 s[4:5], s[4:5], exec
	s_and_b64 s[8:9], vcc, exec
	v_mov_b32_e32 v2, 0
	s_or_b64 s[4:5], s[4:5], s[8:9]
	s_or_b64 exec, exec, s[6:7]
	s_and_saveexec_b64 s[6:7], s[4:5]
	s_cbranch_execz .LBB1_34873
; %bb.62579:
	s_getpc_b64 s[14:15]
.Lpost_getpc16953:
	s_add_u32 s14, s14, (.LBB1_12403-.Lpost_getpc16953)&4294967295
	s_addc_u32 s15, s15, (.LBB1_12403-.Lpost_getpc16953)>>32
	s_setpc_b64 s[14:15]
.LBB1_34873:
	s_getpc_b64 s[14:15]
.Lpost_getpc3100:
	s_add_u32 s14, s14, (.LBB1_12404-.Lpost_getpc3100)&4294967295
	s_addc_u32 s15, s15, (.LBB1_12404-.Lpost_getpc3100)>>32
	s_setpc_b64 s[14:15]
.LBB1_26741:
	s_movk_i32 s4, 0x80
	v_cmp_eq_u16_e32 vcc, s4, v3
	s_mov_b64 s[4:5], -1
                                        ; implicit-def: $sgpr10
	s_and_saveexec_b64 s[8:9], vcc
; %bb.26742:
	s_mov_b32 s10, 0x7f800001
	s_xor_b64 s[4:5], exec, -1
; %bb.26743:
	s_or_b64 exec, exec, s[8:9]
	s_and_b64 s[4:5], s[4:5], exec
                                        ; implicit-def: $vgpr3
	s_or_saveexec_b64 s[6:7], s[6:7]
	v_mov_b32_e32 v4, s10
	s_xor_b64 exec, exec, s[6:7]
	s_cbranch_execnz .LBB1_26744
; %bb.62581:
	s_getpc_b64 s[14:15]
.Lpost_getpc16954:
	s_add_u32 s14, s14, (.LBB1_12406-.Lpost_getpc16954)&4294967295
	s_addc_u32 s15, s15, (.LBB1_12406-.Lpost_getpc16954)>>32
	s_setpc_b64 s[14:15]
.LBB1_26744:
	v_cmp_ne_u16_e32 vcc, 0, v3
	s_andn2_b64 s[4:5], s[4:5], exec
	s_and_b64 s[8:9], vcc, exec
	v_mov_b32_e32 v4, 0
	s_or_b64 s[4:5], s[4:5], s[8:9]
	s_or_b64 exec, exec, s[6:7]
	s_and_saveexec_b64 s[6:7], s[4:5]
	s_cbranch_execz .LBB1_34875
; %bb.62583:
	s_getpc_b64 s[14:15]
.Lpost_getpc16955:
	s_add_u32 s14, s14, (.LBB1_12407-.Lpost_getpc16955)&4294967295
	s_addc_u32 s15, s15, (.LBB1_12407-.Lpost_getpc16955)>>32
	s_setpc_b64 s[14:15]
.LBB1_34875:
	s_getpc_b64 s[14:15]
.Lpost_getpc3101:
	s_add_u32 s14, s14, (.LBB1_12408-.Lpost_getpc3101)&4294967295
	s_addc_u32 s15, s15, (.LBB1_12408-.Lpost_getpc3101)>>32
	s_setpc_b64 s[14:15]
.LBB1_26745:
	s_movk_i32 s4, 0x80
	v_cmp_eq_u16_sdwa s[12:13], v9, s4 src0_sel:BYTE_3 src1_sel:DWORD
	s_mov_b64 s[4:5], -1
                                        ; implicit-def: $sgpr10
	s_and_saveexec_b64 s[8:9], s[12:13]
; %bb.26746:
	s_mov_b32 s10, 0x7f800001
	s_xor_b64 s[4:5], exec, -1
; %bb.26747:
	s_or_b64 exec, exec, s[8:9]
	s_and_b64 s[4:5], s[4:5], exec
	s_or_saveexec_b64 s[6:7], s[6:7]
	v_mov_b32_e32 v2, s10
	s_xor_b64 exec, exec, s[6:7]
	s_cbranch_execnz .LBB1_26748
; %bb.62585:
	s_getpc_b64 s[14:15]
.Lpost_getpc16956:
	s_add_u32 s14, s14, (.LBB1_12410-.Lpost_getpc16956)&4294967295
	s_addc_u32 s15, s15, (.LBB1_12410-.Lpost_getpc16956)>>32
	s_setpc_b64 s[14:15]
.LBB1_26748:
	v_mov_b32_e32 v2, 0
	v_cmp_ne_u16_sdwa s[8:9], v9, v2 src0_sel:BYTE_3 src1_sel:DWORD
	s_andn2_b64 s[4:5], s[4:5], exec
	s_and_b64 s[8:9], s[8:9], exec
	s_or_b64 s[4:5], s[4:5], s[8:9]
	s_or_b64 exec, exec, s[6:7]
	s_and_saveexec_b64 s[6:7], s[4:5]
	s_cbranch_execz .LBB1_34877
; %bb.62587:
	s_getpc_b64 s[14:15]
.Lpost_getpc16957:
	s_add_u32 s14, s14, (.LBB1_12411-.Lpost_getpc16957)&4294967295
	s_addc_u32 s15, s15, (.LBB1_12411-.Lpost_getpc16957)>>32
	s_setpc_b64 s[14:15]
.LBB1_34877:
	s_getpc_b64 s[14:15]
.Lpost_getpc3102:
	s_add_u32 s14, s14, (.LBB1_12412-.Lpost_getpc3102)&4294967295
	s_addc_u32 s15, s15, (.LBB1_12412-.Lpost_getpc3102)>>32
	s_setpc_b64 s[14:15]
.LBB1_26749:
	s_movk_i32 s4, 0x80
	v_cmp_eq_u16_sdwa s[12:13], v5, s4 src0_sel:BYTE_3 src1_sel:DWORD
	s_mov_b64 s[4:5], -1
                                        ; implicit-def: $sgpr10
	s_and_saveexec_b64 s[8:9], s[12:13]
; %bb.26750:
	s_mov_b32 s10, 0x7f800001
	s_xor_b64 s[4:5], exec, -1
; %bb.26751:
	s_or_b64 exec, exec, s[8:9]
	s_and_b64 s[4:5], s[4:5], exec
	s_or_saveexec_b64 s[6:7], s[6:7]
	v_mov_b32_e32 v3, s10
	s_xor_b64 exec, exec, s[6:7]
	s_cbranch_execnz .LBB1_26752
; %bb.62589:
	s_getpc_b64 s[14:15]
.Lpost_getpc16958:
	s_add_u32 s14, s14, (.LBB1_12414-.Lpost_getpc16958)&4294967295
	s_addc_u32 s15, s15, (.LBB1_12414-.Lpost_getpc16958)>>32
	s_setpc_b64 s[14:15]
.LBB1_26752:
	v_mov_b32_e32 v3, 0
	v_cmp_ne_u16_sdwa s[8:9], v5, v3 src0_sel:BYTE_3 src1_sel:DWORD
	s_andn2_b64 s[4:5], s[4:5], exec
	s_and_b64 s[8:9], s[8:9], exec
	s_or_b64 s[4:5], s[4:5], s[8:9]
	s_or_b64 exec, exec, s[6:7]
	s_and_saveexec_b64 s[6:7], s[4:5]
	s_cbranch_execz .LBB1_34879
; %bb.62591:
	s_getpc_b64 s[14:15]
.Lpost_getpc16959:
	s_add_u32 s14, s14, (.LBB1_12415-.Lpost_getpc16959)&4294967295
	s_addc_u32 s15, s15, (.LBB1_12415-.Lpost_getpc16959)>>32
	s_setpc_b64 s[14:15]
.LBB1_34879:
	s_getpc_b64 s[14:15]
.Lpost_getpc3103:
	s_add_u32 s14, s14, (.LBB1_12416-.Lpost_getpc3103)&4294967295
	s_addc_u32 s15, s15, (.LBB1_12416-.Lpost_getpc3103)>>32
	s_setpc_b64 s[14:15]
.LBB1_26753:
	s_movk_i32 s4, 0x80
	v_cmp_eq_u16_sdwa s[12:13], v6, s4 src0_sel:BYTE_0 src1_sel:DWORD
	s_mov_b64 s[4:5], -1
                                        ; implicit-def: $sgpr10
	s_and_saveexec_b64 s[8:9], s[12:13]
; %bb.26754:
	s_mov_b32 s10, 0x7f800001
	s_xor_b64 s[4:5], exec, -1
; %bb.26755:
	s_or_b64 exec, exec, s[8:9]
	s_and_b64 s[4:5], s[4:5], exec
	s_or_saveexec_b64 s[6:7], s[6:7]
	v_mov_b32_e32 v12, s10
	s_xor_b64 exec, exec, s[6:7]
	s_cbranch_execnz .LBB1_26756
; %bb.62593:
	s_getpc_b64 s[14:15]
.Lpost_getpc16960:
	s_add_u32 s14, s14, (.LBB1_12418-.Lpost_getpc16960)&4294967295
	s_addc_u32 s15, s15, (.LBB1_12418-.Lpost_getpc16960)>>32
	s_setpc_b64 s[14:15]
.LBB1_26756:
	v_mov_b32_e32 v12, 0
	v_cmp_ne_u16_sdwa s[8:9], v6, v12 src0_sel:BYTE_0 src1_sel:DWORD
	s_andn2_b64 s[4:5], s[4:5], exec
	s_and_b64 s[8:9], s[8:9], exec
	s_or_b64 s[4:5], s[4:5], s[8:9]
	s_or_b64 exec, exec, s[6:7]
	s_and_saveexec_b64 s[6:7], s[4:5]
	s_cbranch_execz .LBB1_34881
; %bb.62595:
	s_getpc_b64 s[14:15]
.Lpost_getpc16961:
	s_add_u32 s14, s14, (.LBB1_12419-.Lpost_getpc16961)&4294967295
	s_addc_u32 s15, s15, (.LBB1_12419-.Lpost_getpc16961)>>32
	s_setpc_b64 s[14:15]
.LBB1_34881:
	s_getpc_b64 s[14:15]
.Lpost_getpc3104:
	s_add_u32 s14, s14, (.LBB1_12420-.Lpost_getpc3104)&4294967295
	s_addc_u32 s15, s15, (.LBB1_12420-.Lpost_getpc3104)>>32
	s_setpc_b64 s[14:15]
.LBB1_26757:
	s_movk_i32 s4, 0x80
	v_cmp_eq_u16_sdwa s[12:13], v2, s4 src0_sel:BYTE_0 src1_sel:DWORD
	s_mov_b64 s[4:5], -1
                                        ; implicit-def: $sgpr10
	s_and_saveexec_b64 s[8:9], s[12:13]
; %bb.26758:
	s_mov_b32 s10, 0x7f800001
	s_xor_b64 s[4:5], exec, -1
; %bb.26759:
	s_or_b64 exec, exec, s[8:9]
	s_and_b64 s[4:5], s[4:5], exec
	s_or_saveexec_b64 s[6:7], s[6:7]
	v_mov_b32_e32 v13, s10
	s_xor_b64 exec, exec, s[6:7]
	s_cbranch_execnz .LBB1_26760
; %bb.62597:
	s_getpc_b64 s[14:15]
.Lpost_getpc16962:
	s_add_u32 s14, s14, (.LBB1_12422-.Lpost_getpc16962)&4294967295
	s_addc_u32 s15, s15, (.LBB1_12422-.Lpost_getpc16962)>>32
	s_setpc_b64 s[14:15]
.LBB1_26760:
	v_mov_b32_e32 v13, 0
	v_cmp_ne_u16_sdwa s[8:9], v2, v13 src0_sel:BYTE_0 src1_sel:DWORD
	s_andn2_b64 s[4:5], s[4:5], exec
	s_and_b64 s[8:9], s[8:9], exec
	s_or_b64 s[4:5], s[4:5], s[8:9]
	s_or_b64 exec, exec, s[6:7]
	s_and_saveexec_b64 s[6:7], s[4:5]
	s_cbranch_execz .LBB1_34883
; %bb.62599:
	s_getpc_b64 s[14:15]
.Lpost_getpc16963:
	s_add_u32 s14, s14, (.LBB1_12423-.Lpost_getpc16963)&4294967295
	s_addc_u32 s15, s15, (.LBB1_12423-.Lpost_getpc16963)>>32
	s_setpc_b64 s[14:15]
.LBB1_34883:
	s_getpc_b64 s[14:15]
.Lpost_getpc3105:
	s_add_u32 s14, s14, (.LBB1_12424-.Lpost_getpc3105)&4294967295
	s_addc_u32 s15, s15, (.LBB1_12424-.Lpost_getpc3105)>>32
	s_setpc_b64 s[14:15]
.LBB1_26761:
	s_movk_i32 s4, 0x80
	v_cmp_eq_u16_sdwa s[12:13], v13, s4 src0_sel:BYTE_0 src1_sel:DWORD
	s_mov_b64 s[4:5], -1
                                        ; implicit-def: $sgpr10
	s_and_saveexec_b64 s[8:9], s[12:13]
; %bb.26762:
	s_mov_b32 s10, 0x7f800001
	s_xor_b64 s[4:5], exec, -1
; %bb.26763:
	s_or_b64 exec, exec, s[8:9]
	s_and_b64 s[4:5], s[4:5], exec
	s_or_saveexec_b64 s[6:7], s[6:7]
	v_mov_b32_e32 v12, s10
	s_xor_b64 exec, exec, s[6:7]
	s_cbranch_execnz .LBB1_26764
; %bb.62601:
	s_getpc_b64 s[14:15]
.Lpost_getpc16964:
	s_add_u32 s14, s14, (.LBB1_12426-.Lpost_getpc16964)&4294967295
	s_addc_u32 s15, s15, (.LBB1_12426-.Lpost_getpc16964)>>32
	s_setpc_b64 s[14:15]
.LBB1_26764:
	v_mov_b32_e32 v12, 0
	v_cmp_ne_u16_sdwa s[8:9], v13, v12 src0_sel:BYTE_0 src1_sel:DWORD
	s_andn2_b64 s[4:5], s[4:5], exec
	s_and_b64 s[8:9], s[8:9], exec
	s_or_b64 s[4:5], s[4:5], s[8:9]
	s_or_b64 exec, exec, s[6:7]
	s_and_saveexec_b64 s[6:7], s[4:5]
	s_cbranch_execz .LBB1_34885
; %bb.62603:
	s_getpc_b64 s[14:15]
.Lpost_getpc16965:
	s_add_u32 s14, s14, (.LBB1_12427-.Lpost_getpc16965)&4294967295
	s_addc_u32 s15, s15, (.LBB1_12427-.Lpost_getpc16965)>>32
	s_setpc_b64 s[14:15]
.LBB1_34885:
	s_getpc_b64 s[14:15]
.Lpost_getpc3106:
	s_add_u32 s14, s14, (.LBB1_12428-.Lpost_getpc3106)&4294967295
	s_addc_u32 s15, s15, (.LBB1_12428-.Lpost_getpc3106)>>32
	s_setpc_b64 s[14:15]
.LBB1_26765:
	s_movk_i32 s4, 0x80
	v_cmp_eq_u16_sdwa s[12:13], v13, s4 src0_sel:BYTE_0 src1_sel:DWORD
	s_mov_b64 s[4:5], -1
                                        ; implicit-def: $sgpr10
	s_and_saveexec_b64 s[8:9], s[12:13]
; %bb.26766:
	s_mov_b32 s10, 0x7f800001
	s_xor_b64 s[4:5], exec, -1
; %bb.26767:
	s_or_b64 exec, exec, s[8:9]
	s_and_b64 s[4:5], s[4:5], exec
	s_or_saveexec_b64 s[6:7], s[6:7]
	v_mov_b32_e32 v14, s10
	s_xor_b64 exec, exec, s[6:7]
	s_cbranch_execnz .LBB1_26768
; %bb.62605:
	s_getpc_b64 s[14:15]
.Lpost_getpc16966:
	s_add_u32 s14, s14, (.LBB1_12430-.Lpost_getpc16966)&4294967295
	s_addc_u32 s15, s15, (.LBB1_12430-.Lpost_getpc16966)>>32
	s_setpc_b64 s[14:15]
.LBB1_26768:
	v_mov_b32_e32 v14, 0
	v_cmp_ne_u16_sdwa s[8:9], v13, v14 src0_sel:BYTE_0 src1_sel:DWORD
	s_andn2_b64 s[4:5], s[4:5], exec
	s_and_b64 s[8:9], s[8:9], exec
	s_or_b64 s[4:5], s[4:5], s[8:9]
	s_or_b64 exec, exec, s[6:7]
	s_and_saveexec_b64 s[6:7], s[4:5]
	s_cbranch_execz .LBB1_34887
; %bb.62607:
	s_getpc_b64 s[14:15]
.Lpost_getpc16967:
	s_add_u32 s14, s14, (.LBB1_12431-.Lpost_getpc16967)&4294967295
	s_addc_u32 s15, s15, (.LBB1_12431-.Lpost_getpc16967)>>32
	s_setpc_b64 s[14:15]
.LBB1_34887:
	s_getpc_b64 s[14:15]
.Lpost_getpc3107:
	s_add_u32 s14, s14, (.LBB1_12432-.Lpost_getpc3107)&4294967295
	s_addc_u32 s15, s15, (.LBB1_12432-.Lpost_getpc3107)>>32
	s_setpc_b64 s[14:15]
.LBB1_26769:
	s_movk_i32 s4, 0x80
	v_cmp_eq_u16_e32 vcc, s4, v13
	s_mov_b64 s[4:5], -1
                                        ; implicit-def: $sgpr10
	s_and_saveexec_b64 s[8:9], vcc
; %bb.26770:
	s_mov_b32 s10, 0x7f800001
	s_xor_b64 s[4:5], exec, -1
; %bb.26771:
	s_or_b64 exec, exec, s[8:9]
	s_and_b64 s[4:5], s[4:5], exec
                                        ; implicit-def: $vgpr13
	s_or_saveexec_b64 s[6:7], s[6:7]
	v_mov_b32_e32 v12, s10
	s_xor_b64 exec, exec, s[6:7]
	s_cbranch_execnz .LBB1_26772
; %bb.62609:
	s_getpc_b64 s[14:15]
.Lpost_getpc16968:
	s_add_u32 s14, s14, (.LBB1_12434-.Lpost_getpc16968)&4294967295
	s_addc_u32 s15, s15, (.LBB1_12434-.Lpost_getpc16968)>>32
	s_setpc_b64 s[14:15]
.LBB1_26772:
	v_cmp_ne_u16_e32 vcc, 0, v13
	s_andn2_b64 s[4:5], s[4:5], exec
	s_and_b64 s[8:9], vcc, exec
	v_mov_b32_e32 v12, 0
	s_or_b64 s[4:5], s[4:5], s[8:9]
	s_or_b64 exec, exec, s[6:7]
	s_and_saveexec_b64 s[6:7], s[4:5]
	s_cbranch_execz .LBB1_34889
; %bb.62611:
	s_getpc_b64 s[14:15]
.Lpost_getpc16969:
	s_add_u32 s14, s14, (.LBB1_12435-.Lpost_getpc16969)&4294967295
	s_addc_u32 s15, s15, (.LBB1_12435-.Lpost_getpc16969)>>32
	s_setpc_b64 s[14:15]
.LBB1_34889:
	s_getpc_b64 s[14:15]
.Lpost_getpc3108:
	s_add_u32 s14, s14, (.LBB1_12436-.Lpost_getpc3108)&4294967295
	s_addc_u32 s15, s15, (.LBB1_12436-.Lpost_getpc3108)>>32
	s_setpc_b64 s[14:15]
.LBB1_26773:
	s_movk_i32 s4, 0x80
	v_cmp_eq_u16_e32 vcc, s4, v13
	s_mov_b64 s[4:5], -1
                                        ; implicit-def: $sgpr10
	s_and_saveexec_b64 s[8:9], vcc
; %bb.26774:
	s_mov_b32 s10, 0x7f800001
	s_xor_b64 s[4:5], exec, -1
; %bb.26775:
	s_or_b64 exec, exec, s[8:9]
	s_and_b64 s[4:5], s[4:5], exec
                                        ; implicit-def: $vgpr13
	s_or_saveexec_b64 s[6:7], s[6:7]
	v_mov_b32_e32 v14, s10
	s_xor_b64 exec, exec, s[6:7]
	s_cbranch_execnz .LBB1_26776
; %bb.62613:
	s_getpc_b64 s[14:15]
.Lpost_getpc16970:
	s_add_u32 s14, s14, (.LBB1_12438-.Lpost_getpc16970)&4294967295
	s_addc_u32 s15, s15, (.LBB1_12438-.Lpost_getpc16970)>>32
	s_setpc_b64 s[14:15]
.LBB1_26776:
	v_cmp_ne_u16_e32 vcc, 0, v13
	s_andn2_b64 s[4:5], s[4:5], exec
	s_and_b64 s[8:9], vcc, exec
	v_mov_b32_e32 v14, 0
	s_or_b64 s[4:5], s[4:5], s[8:9]
	s_or_b64 exec, exec, s[6:7]
	s_and_saveexec_b64 s[6:7], s[4:5]
	s_cbranch_execz .LBB1_34891
; %bb.62615:
	s_getpc_b64 s[14:15]
.Lpost_getpc16971:
	s_add_u32 s14, s14, (.LBB1_12439-.Lpost_getpc16971)&4294967295
	s_addc_u32 s15, s15, (.LBB1_12439-.Lpost_getpc16971)>>32
	s_setpc_b64 s[14:15]
.LBB1_34891:
	s_getpc_b64 s[14:15]
.Lpost_getpc3109:
	s_add_u32 s14, s14, (.LBB1_12440-.Lpost_getpc3109)&4294967295
	s_addc_u32 s15, s15, (.LBB1_12440-.Lpost_getpc3109)>>32
	s_setpc_b64 s[14:15]
.LBB1_26777:
	s_movk_i32 s4, 0x80
	v_cmp_eq_u16_sdwa s[12:13], v6, s4 src0_sel:BYTE_3 src1_sel:DWORD
	s_mov_b64 s[4:5], -1
                                        ; implicit-def: $sgpr10
	s_and_saveexec_b64 s[8:9], s[12:13]
; %bb.26778:
	s_mov_b32 s10, 0x7f800001
	s_xor_b64 s[4:5], exec, -1
; %bb.26779:
	s_or_b64 exec, exec, s[8:9]
	s_and_b64 s[4:5], s[4:5], exec
	s_or_saveexec_b64 s[6:7], s[6:7]
	v_mov_b32_e32 v12, s10
	s_xor_b64 exec, exec, s[6:7]
	s_cbranch_execnz .LBB1_26780
; %bb.62617:
	s_getpc_b64 s[14:15]
.Lpost_getpc16972:
	s_add_u32 s14, s14, (.LBB1_12442-.Lpost_getpc16972)&4294967295
	s_addc_u32 s15, s15, (.LBB1_12442-.Lpost_getpc16972)>>32
	s_setpc_b64 s[14:15]
.LBB1_26780:
	v_mov_b32_e32 v12, 0
	v_cmp_ne_u16_sdwa s[8:9], v6, v12 src0_sel:BYTE_3 src1_sel:DWORD
	s_andn2_b64 s[4:5], s[4:5], exec
	s_and_b64 s[8:9], s[8:9], exec
	s_or_b64 s[4:5], s[4:5], s[8:9]
	s_or_b64 exec, exec, s[6:7]
	s_and_saveexec_b64 s[6:7], s[4:5]
	s_cbranch_execz .LBB1_34893
; %bb.62619:
	s_getpc_b64 s[14:15]
.Lpost_getpc16973:
	s_add_u32 s14, s14, (.LBB1_12443-.Lpost_getpc16973)&4294967295
	s_addc_u32 s15, s15, (.LBB1_12443-.Lpost_getpc16973)>>32
	s_setpc_b64 s[14:15]
.LBB1_34893:
	s_getpc_b64 s[14:15]
.Lpost_getpc3110:
	s_add_u32 s14, s14, (.LBB1_12444-.Lpost_getpc3110)&4294967295
	s_addc_u32 s15, s15, (.LBB1_12444-.Lpost_getpc3110)>>32
	s_setpc_b64 s[14:15]
.LBB1_26781:
	s_movk_i32 s4, 0x80
	v_cmp_eq_u16_sdwa s[12:13], v2, s4 src0_sel:BYTE_3 src1_sel:DWORD
	s_mov_b64 s[4:5], -1
                                        ; implicit-def: $sgpr10
	s_and_saveexec_b64 s[8:9], s[12:13]
; %bb.26782:
	s_mov_b32 s10, 0x7f800001
	s_xor_b64 s[4:5], exec, -1
; %bb.26783:
	s_or_b64 exec, exec, s[8:9]
	s_and_b64 s[4:5], s[4:5], exec
	s_or_saveexec_b64 s[6:7], s[6:7]
	v_mov_b32_e32 v6, s10
	s_xor_b64 exec, exec, s[6:7]
	s_cbranch_execnz .LBB1_26784
; %bb.62621:
	s_getpc_b64 s[14:15]
.Lpost_getpc16974:
	s_add_u32 s14, s14, (.LBB1_12446-.Lpost_getpc16974)&4294967295
	s_addc_u32 s15, s15, (.LBB1_12446-.Lpost_getpc16974)>>32
	s_setpc_b64 s[14:15]
.LBB1_26784:
	v_mov_b32_e32 v6, 0
	v_cmp_ne_u16_sdwa s[8:9], v2, v6 src0_sel:BYTE_3 src1_sel:DWORD
	s_andn2_b64 s[4:5], s[4:5], exec
	s_and_b64 s[8:9], s[8:9], exec
	s_or_b64 s[4:5], s[4:5], s[8:9]
	s_or_b64 exec, exec, s[6:7]
	s_and_saveexec_b64 s[6:7], s[4:5]
	s_cbranch_execz .LBB1_34895
; %bb.62623:
	s_getpc_b64 s[14:15]
.Lpost_getpc16975:
	s_add_u32 s14, s14, (.LBB1_12447-.Lpost_getpc16975)&4294967295
	s_addc_u32 s15, s15, (.LBB1_12447-.Lpost_getpc16975)>>32
	s_setpc_b64 s[14:15]
.LBB1_34895:
	s_getpc_b64 s[14:15]
.Lpost_getpc3111:
	s_add_u32 s14, s14, (.LBB1_12448-.Lpost_getpc3111)&4294967295
	s_addc_u32 s15, s15, (.LBB1_12448-.Lpost_getpc3111)>>32
	s_setpc_b64 s[14:15]
.LBB1_26785:
	s_movk_i32 s4, 0x80
	v_cmp_eq_u16_sdwa s[12:13], v7, s4 src0_sel:BYTE_0 src1_sel:DWORD
	s_mov_b64 s[4:5], -1
                                        ; implicit-def: $sgpr10
	s_and_saveexec_b64 s[8:9], s[12:13]
; %bb.26786:
	s_mov_b32 s10, 0x7f800001
	s_xor_b64 s[4:5], exec, -1
; %bb.26787:
	s_or_b64 exec, exec, s[8:9]
	s_and_b64 s[4:5], s[4:5], exec
	s_or_saveexec_b64 s[6:7], s[6:7]
	v_mov_b32_e32 v2, s10
	s_xor_b64 exec, exec, s[6:7]
	s_cbranch_execnz .LBB1_26788
; %bb.62625:
	s_getpc_b64 s[14:15]
.Lpost_getpc16976:
	s_add_u32 s14, s14, (.LBB1_12450-.Lpost_getpc16976)&4294967295
	s_addc_u32 s15, s15, (.LBB1_12450-.Lpost_getpc16976)>>32
	s_setpc_b64 s[14:15]
.LBB1_26788:
	v_mov_b32_e32 v2, 0
	v_cmp_ne_u16_sdwa s[8:9], v7, v2 src0_sel:BYTE_0 src1_sel:DWORD
	s_andn2_b64 s[4:5], s[4:5], exec
	s_and_b64 s[8:9], s[8:9], exec
	s_or_b64 s[4:5], s[4:5], s[8:9]
	s_or_b64 exec, exec, s[6:7]
	s_and_saveexec_b64 s[6:7], s[4:5]
	s_cbranch_execz .LBB1_34897
; %bb.62627:
	s_getpc_b64 s[14:15]
.Lpost_getpc16977:
	s_add_u32 s14, s14, (.LBB1_12451-.Lpost_getpc16977)&4294967295
	s_addc_u32 s15, s15, (.LBB1_12451-.Lpost_getpc16977)>>32
	s_setpc_b64 s[14:15]
.LBB1_34897:
	s_getpc_b64 s[14:15]
.Lpost_getpc3112:
	s_add_u32 s14, s14, (.LBB1_12452-.Lpost_getpc3112)&4294967295
	s_addc_u32 s15, s15, (.LBB1_12452-.Lpost_getpc3112)>>32
	s_setpc_b64 s[14:15]
.LBB1_26789:
	s_movk_i32 s4, 0x80
	v_cmp_eq_u16_sdwa s[12:13], v3, s4 src0_sel:BYTE_0 src1_sel:DWORD
	s_mov_b64 s[4:5], -1
                                        ; implicit-def: $sgpr10
	s_and_saveexec_b64 s[8:9], s[12:13]
; %bb.26790:
	s_mov_b32 s10, 0x7f800001
	s_xor_b64 s[4:5], exec, -1
; %bb.26791:
	s_or_b64 exec, exec, s[8:9]
	s_and_b64 s[4:5], s[4:5], exec
	s_or_saveexec_b64 s[6:7], s[6:7]
	v_mov_b32_e32 v6, s10
	s_xor_b64 exec, exec, s[6:7]
	s_cbranch_execnz .LBB1_26792
; %bb.62629:
	s_getpc_b64 s[14:15]
.Lpost_getpc16978:
	s_add_u32 s14, s14, (.LBB1_12454-.Lpost_getpc16978)&4294967295
	s_addc_u32 s15, s15, (.LBB1_12454-.Lpost_getpc16978)>>32
	s_setpc_b64 s[14:15]
.LBB1_26792:
	v_mov_b32_e32 v6, 0
	v_cmp_ne_u16_sdwa s[8:9], v3, v6 src0_sel:BYTE_0 src1_sel:DWORD
	s_andn2_b64 s[4:5], s[4:5], exec
	s_and_b64 s[8:9], s[8:9], exec
	s_or_b64 s[4:5], s[4:5], s[8:9]
	s_or_b64 exec, exec, s[6:7]
	s_and_saveexec_b64 s[6:7], s[4:5]
	s_cbranch_execz .LBB1_34899
; %bb.62631:
	s_getpc_b64 s[14:15]
.Lpost_getpc16979:
	s_add_u32 s14, s14, (.LBB1_12455-.Lpost_getpc16979)&4294967295
	s_addc_u32 s15, s15, (.LBB1_12455-.Lpost_getpc16979)>>32
	s_setpc_b64 s[14:15]
.LBB1_34899:
	s_getpc_b64 s[14:15]
.Lpost_getpc3113:
	s_add_u32 s14, s14, (.LBB1_12456-.Lpost_getpc3113)&4294967295
	s_addc_u32 s15, s15, (.LBB1_12456-.Lpost_getpc3113)>>32
	s_setpc_b64 s[14:15]
.LBB1_26793:
	s_movk_i32 s4, 0x80
	v_cmp_eq_u16_sdwa s[12:13], v6, s4 src0_sel:BYTE_0 src1_sel:DWORD
	s_mov_b64 s[4:5], -1
                                        ; implicit-def: $sgpr10
	s_and_saveexec_b64 s[8:9], s[12:13]
; %bb.26794:
	s_mov_b32 s10, 0x7f800001
	s_xor_b64 s[4:5], exec, -1
; %bb.26795:
	s_or_b64 exec, exec, s[8:9]
	s_and_b64 s[4:5], s[4:5], exec
	s_or_saveexec_b64 s[6:7], s[6:7]
	v_mov_b32_e32 v2, s10
	s_xor_b64 exec, exec, s[6:7]
	s_cbranch_execnz .LBB1_26796
; %bb.62633:
	s_getpc_b64 s[14:15]
.Lpost_getpc16980:
	s_add_u32 s14, s14, (.LBB1_12458-.Lpost_getpc16980)&4294967295
	s_addc_u32 s15, s15, (.LBB1_12458-.Lpost_getpc16980)>>32
	s_setpc_b64 s[14:15]
.LBB1_26796:
	v_mov_b32_e32 v2, 0
	v_cmp_ne_u16_sdwa s[8:9], v6, v2 src0_sel:BYTE_0 src1_sel:DWORD
	s_andn2_b64 s[4:5], s[4:5], exec
	s_and_b64 s[8:9], s[8:9], exec
	s_or_b64 s[4:5], s[4:5], s[8:9]
	s_or_b64 exec, exec, s[6:7]
	s_and_saveexec_b64 s[6:7], s[4:5]
	s_cbranch_execz .LBB1_34901
; %bb.62635:
	s_getpc_b64 s[14:15]
.Lpost_getpc16981:
	s_add_u32 s14, s14, (.LBB1_12459-.Lpost_getpc16981)&4294967295
	s_addc_u32 s15, s15, (.LBB1_12459-.Lpost_getpc16981)>>32
	s_setpc_b64 s[14:15]
.LBB1_34901:
	s_getpc_b64 s[14:15]
.Lpost_getpc3114:
	s_add_u32 s14, s14, (.LBB1_12460-.Lpost_getpc3114)&4294967295
	s_addc_u32 s15, s15, (.LBB1_12460-.Lpost_getpc3114)>>32
	s_setpc_b64 s[14:15]
.LBB1_26797:
	s_movk_i32 s4, 0x80
	v_cmp_eq_u16_sdwa s[12:13], v6, s4 src0_sel:BYTE_0 src1_sel:DWORD
	s_mov_b64 s[4:5], -1
                                        ; implicit-def: $sgpr10
	s_and_saveexec_b64 s[8:9], s[12:13]
; %bb.26798:
	s_mov_b32 s10, 0x7f800001
	s_xor_b64 s[4:5], exec, -1
; %bb.26799:
	s_or_b64 exec, exec, s[8:9]
	s_and_b64 s[4:5], s[4:5], exec
	s_or_saveexec_b64 s[6:7], s[6:7]
	v_mov_b32_e32 v12, s10
	s_xor_b64 exec, exec, s[6:7]
	s_cbranch_execnz .LBB1_26800
; %bb.62637:
	s_getpc_b64 s[14:15]
.Lpost_getpc16982:
	s_add_u32 s14, s14, (.LBB1_12462-.Lpost_getpc16982)&4294967295
	s_addc_u32 s15, s15, (.LBB1_12462-.Lpost_getpc16982)>>32
	s_setpc_b64 s[14:15]
.LBB1_26800:
	v_mov_b32_e32 v12, 0
	v_cmp_ne_u16_sdwa s[8:9], v6, v12 src0_sel:BYTE_0 src1_sel:DWORD
	s_andn2_b64 s[4:5], s[4:5], exec
	s_and_b64 s[8:9], s[8:9], exec
	s_or_b64 s[4:5], s[4:5], s[8:9]
	s_or_b64 exec, exec, s[6:7]
	s_and_saveexec_b64 s[6:7], s[4:5]
	s_cbranch_execz .LBB1_34903
; %bb.62639:
	s_getpc_b64 s[14:15]
.Lpost_getpc16983:
	s_add_u32 s14, s14, (.LBB1_12463-.Lpost_getpc16983)&4294967295
	s_addc_u32 s15, s15, (.LBB1_12463-.Lpost_getpc16983)>>32
	s_setpc_b64 s[14:15]
.LBB1_34903:
	s_getpc_b64 s[14:15]
.Lpost_getpc3115:
	s_add_u32 s14, s14, (.LBB1_12464-.Lpost_getpc3115)&4294967295
	s_addc_u32 s15, s15, (.LBB1_12464-.Lpost_getpc3115)>>32
	s_setpc_b64 s[14:15]
.LBB1_26801:
	s_movk_i32 s4, 0x80
	v_cmp_eq_u16_e32 vcc, s4, v6
	s_mov_b64 s[4:5], -1
                                        ; implicit-def: $sgpr10
	s_and_saveexec_b64 s[8:9], vcc
; %bb.26802:
	s_mov_b32 s10, 0x7f800001
	s_xor_b64 s[4:5], exec, -1
; %bb.26803:
	s_or_b64 exec, exec, s[8:9]
	s_and_b64 s[4:5], s[4:5], exec
                                        ; implicit-def: $vgpr6
	s_or_saveexec_b64 s[6:7], s[6:7]
	v_mov_b32_e32 v2, s10
	s_xor_b64 exec, exec, s[6:7]
	s_cbranch_execnz .LBB1_26804
; %bb.62641:
	s_getpc_b64 s[14:15]
.Lpost_getpc16984:
	s_add_u32 s14, s14, (.LBB1_12466-.Lpost_getpc16984)&4294967295
	s_addc_u32 s15, s15, (.LBB1_12466-.Lpost_getpc16984)>>32
	s_setpc_b64 s[14:15]
.LBB1_26804:
	v_cmp_ne_u16_e32 vcc, 0, v6
	s_andn2_b64 s[4:5], s[4:5], exec
	s_and_b64 s[8:9], vcc, exec
	v_mov_b32_e32 v2, 0
	s_or_b64 s[4:5], s[4:5], s[8:9]
	s_or_b64 exec, exec, s[6:7]
	s_and_saveexec_b64 s[6:7], s[4:5]
	s_cbranch_execz .LBB1_34905
; %bb.62643:
	s_getpc_b64 s[14:15]
.Lpost_getpc16985:
	s_add_u32 s14, s14, (.LBB1_12467-.Lpost_getpc16985)&4294967295
	s_addc_u32 s15, s15, (.LBB1_12467-.Lpost_getpc16985)>>32
	s_setpc_b64 s[14:15]
.LBB1_34905:
	s_getpc_b64 s[14:15]
.Lpost_getpc3116:
	s_add_u32 s14, s14, (.LBB1_12468-.Lpost_getpc3116)&4294967295
	s_addc_u32 s15, s15, (.LBB1_12468-.Lpost_getpc3116)>>32
	s_setpc_b64 s[14:15]
.LBB1_26805:
	s_movk_i32 s4, 0x80
	v_cmp_eq_u16_e32 vcc, s4, v6
	s_mov_b64 s[4:5], -1
                                        ; implicit-def: $sgpr10
	s_and_saveexec_b64 s[8:9], vcc
; %bb.26806:
	s_mov_b32 s10, 0x7f800001
	s_xor_b64 s[4:5], exec, -1
; %bb.26807:
	s_or_b64 exec, exec, s[8:9]
	s_and_b64 s[4:5], s[4:5], exec
                                        ; implicit-def: $vgpr6
	s_or_saveexec_b64 s[6:7], s[6:7]
	v_mov_b32_e32 v12, s10
	s_xor_b64 exec, exec, s[6:7]
	s_cbranch_execnz .LBB1_26808
; %bb.62645:
	s_getpc_b64 s[14:15]
.Lpost_getpc16986:
	s_add_u32 s14, s14, (.LBB1_12470-.Lpost_getpc16986)&4294967295
	s_addc_u32 s15, s15, (.LBB1_12470-.Lpost_getpc16986)>>32
	s_setpc_b64 s[14:15]
.LBB1_26808:
	v_cmp_ne_u16_e32 vcc, 0, v6
	s_andn2_b64 s[4:5], s[4:5], exec
	s_and_b64 s[8:9], vcc, exec
	v_mov_b32_e32 v12, 0
	s_or_b64 s[4:5], s[4:5], s[8:9]
	s_or_b64 exec, exec, s[6:7]
	s_and_saveexec_b64 s[6:7], s[4:5]
	s_cbranch_execz .LBB1_34907
; %bb.62647:
	s_getpc_b64 s[14:15]
.Lpost_getpc16987:
	s_add_u32 s14, s14, (.LBB1_12471-.Lpost_getpc16987)&4294967295
	s_addc_u32 s15, s15, (.LBB1_12471-.Lpost_getpc16987)>>32
	s_setpc_b64 s[14:15]
.LBB1_34907:
	s_getpc_b64 s[14:15]
.Lpost_getpc3117:
	s_add_u32 s14, s14, (.LBB1_12472-.Lpost_getpc3117)&4294967295
	s_addc_u32 s15, s15, (.LBB1_12472-.Lpost_getpc3117)>>32
	s_setpc_b64 s[14:15]
.LBB1_26809:
	s_movk_i32 s4, 0x80
	v_cmp_eq_u16_sdwa s[12:13], v7, s4 src0_sel:BYTE_3 src1_sel:DWORD
	s_mov_b64 s[4:5], -1
                                        ; implicit-def: $sgpr10
	s_and_saveexec_b64 s[8:9], s[12:13]
; %bb.26810:
	s_mov_b32 s10, 0x7f800001
	s_xor_b64 s[4:5], exec, -1
; %bb.26811:
	s_or_b64 exec, exec, s[8:9]
	s_and_b64 s[4:5], s[4:5], exec
	s_or_saveexec_b64 s[6:7], s[6:7]
	v_mov_b32_e32 v2, s10
	s_xor_b64 exec, exec, s[6:7]
	s_cbranch_execnz .LBB1_26812
; %bb.62649:
	s_getpc_b64 s[14:15]
.Lpost_getpc16988:
	s_add_u32 s14, s14, (.LBB1_12474-.Lpost_getpc16988)&4294967295
	s_addc_u32 s15, s15, (.LBB1_12474-.Lpost_getpc16988)>>32
	s_setpc_b64 s[14:15]
.LBB1_26812:
	v_mov_b32_e32 v2, 0
	v_cmp_ne_u16_sdwa s[8:9], v7, v2 src0_sel:BYTE_3 src1_sel:DWORD
	s_andn2_b64 s[4:5], s[4:5], exec
	s_and_b64 s[8:9], s[8:9], exec
	s_or_b64 s[4:5], s[4:5], s[8:9]
	s_or_b64 exec, exec, s[6:7]
	s_and_saveexec_b64 s[6:7], s[4:5]
	s_cbranch_execz .LBB1_34909
; %bb.62651:
	s_getpc_b64 s[14:15]
.Lpost_getpc16989:
	s_add_u32 s14, s14, (.LBB1_12475-.Lpost_getpc16989)&4294967295
	s_addc_u32 s15, s15, (.LBB1_12475-.Lpost_getpc16989)>>32
	s_setpc_b64 s[14:15]
.LBB1_34909:
	s_getpc_b64 s[14:15]
.Lpost_getpc3118:
	s_add_u32 s14, s14, (.LBB1_12476-.Lpost_getpc3118)&4294967295
	s_addc_u32 s15, s15, (.LBB1_12476-.Lpost_getpc3118)>>32
	s_setpc_b64 s[14:15]
.LBB1_26813:
	s_movk_i32 s4, 0x80
	v_cmp_eq_u16_sdwa s[12:13], v3, s4 src0_sel:BYTE_3 src1_sel:DWORD
	s_mov_b64 s[4:5], -1
                                        ; implicit-def: $sgpr10
	s_and_saveexec_b64 s[8:9], s[12:13]
; %bb.26814:
	s_mov_b32 s10, 0x7f800001
	s_xor_b64 s[4:5], exec, -1
; %bb.26815:
	s_or_b64 exec, exec, s[8:9]
	s_and_b64 s[4:5], s[4:5], exec
	s_or_saveexec_b64 s[6:7], s[6:7]
	v_mov_b32_e32 v6, s10
	s_xor_b64 exec, exec, s[6:7]
	s_cbranch_execnz .LBB1_26816
; %bb.62653:
	s_getpc_b64 s[14:15]
.Lpost_getpc16990:
	s_add_u32 s14, s14, (.LBB1_12478-.Lpost_getpc16990)&4294967295
	s_addc_u32 s15, s15, (.LBB1_12478-.Lpost_getpc16990)>>32
	s_setpc_b64 s[14:15]
.LBB1_26816:
	v_mov_b32_e32 v6, 0
	v_cmp_ne_u16_sdwa s[8:9], v3, v6 src0_sel:BYTE_3 src1_sel:DWORD
	s_andn2_b64 s[4:5], s[4:5], exec
	s_and_b64 s[8:9], s[8:9], exec
	s_or_b64 s[4:5], s[4:5], s[8:9]
	s_or_b64 exec, exec, s[6:7]
	s_and_saveexec_b64 s[6:7], s[4:5]
	s_cbranch_execz .LBB1_34911
; %bb.62655:
	s_getpc_b64 s[14:15]
.Lpost_getpc16991:
	s_add_u32 s14, s14, (.LBB1_12479-.Lpost_getpc16991)&4294967295
	s_addc_u32 s15, s15, (.LBB1_12479-.Lpost_getpc16991)>>32
	s_setpc_b64 s[14:15]
.LBB1_34911:
	s_getpc_b64 s[14:15]
.Lpost_getpc3119:
	s_add_u32 s14, s14, (.LBB1_12480-.Lpost_getpc3119)&4294967295
	s_addc_u32 s15, s15, (.LBB1_12480-.Lpost_getpc3119)>>32
	s_setpc_b64 s[14:15]
.LBB1_26817:
	s_movk_i32 s4, 0x80
	v_cmp_eq_u16_sdwa s[12:13], v8, s4 src0_sel:BYTE_0 src1_sel:DWORD
	s_mov_b64 s[4:5], -1
                                        ; implicit-def: $sgpr10
	s_and_saveexec_b64 s[8:9], s[12:13]
; %bb.26818:
	s_mov_b32 s10, 0x7f800001
	s_xor_b64 s[4:5], exec, -1
; %bb.26819:
	s_or_b64 exec, exec, s[8:9]
	s_and_b64 s[4:5], s[4:5], exec
	s_or_saveexec_b64 s[6:7], s[6:7]
	v_mov_b32_e32 v2, s10
	s_xor_b64 exec, exec, s[6:7]
	s_cbranch_execnz .LBB1_26820
; %bb.62657:
	s_getpc_b64 s[14:15]
.Lpost_getpc16992:
	s_add_u32 s14, s14, (.LBB1_12482-.Lpost_getpc16992)&4294967295
	s_addc_u32 s15, s15, (.LBB1_12482-.Lpost_getpc16992)>>32
	s_setpc_b64 s[14:15]
.LBB1_26820:
	v_mov_b32_e32 v2, 0
	v_cmp_ne_u16_sdwa s[8:9], v8, v2 src0_sel:BYTE_0 src1_sel:DWORD
	s_andn2_b64 s[4:5], s[4:5], exec
	s_and_b64 s[8:9], s[8:9], exec
	s_or_b64 s[4:5], s[4:5], s[8:9]
	s_or_b64 exec, exec, s[6:7]
	s_and_saveexec_b64 s[6:7], s[4:5]
	s_cbranch_execz .LBB1_34913
; %bb.62659:
	s_getpc_b64 s[14:15]
.Lpost_getpc16993:
	s_add_u32 s14, s14, (.LBB1_12483-.Lpost_getpc16993)&4294967295
	s_addc_u32 s15, s15, (.LBB1_12483-.Lpost_getpc16993)>>32
	s_setpc_b64 s[14:15]
.LBB1_34913:
	s_getpc_b64 s[14:15]
.Lpost_getpc3120:
	s_add_u32 s14, s14, (.LBB1_12484-.Lpost_getpc3120)&4294967295
	s_addc_u32 s15, s15, (.LBB1_12484-.Lpost_getpc3120)>>32
	s_setpc_b64 s[14:15]
.LBB1_26821:
	s_movk_i32 s4, 0x80
	v_cmp_eq_u16_sdwa s[12:13], v4, s4 src0_sel:BYTE_0 src1_sel:DWORD
	s_mov_b64 s[4:5], -1
                                        ; implicit-def: $sgpr10
	s_and_saveexec_b64 s[8:9], s[12:13]
; %bb.26822:
	s_mov_b32 s10, 0x7f800001
	s_xor_b64 s[4:5], exec, -1
; %bb.26823:
	s_or_b64 exec, exec, s[8:9]
	s_and_b64 s[4:5], s[4:5], exec
	s_or_saveexec_b64 s[6:7], s[6:7]
	v_mov_b32_e32 v3, s10
	s_xor_b64 exec, exec, s[6:7]
	s_cbranch_execnz .LBB1_26824
; %bb.62661:
	s_getpc_b64 s[14:15]
.Lpost_getpc16994:
	s_add_u32 s14, s14, (.LBB1_12486-.Lpost_getpc16994)&4294967295
	s_addc_u32 s15, s15, (.LBB1_12486-.Lpost_getpc16994)>>32
	s_setpc_b64 s[14:15]
.LBB1_26824:
	v_mov_b32_e32 v3, 0
	v_cmp_ne_u16_sdwa s[8:9], v4, v3 src0_sel:BYTE_0 src1_sel:DWORD
	s_andn2_b64 s[4:5], s[4:5], exec
	s_and_b64 s[8:9], s[8:9], exec
	s_or_b64 s[4:5], s[4:5], s[8:9]
	s_or_b64 exec, exec, s[6:7]
	s_and_saveexec_b64 s[6:7], s[4:5]
	s_cbranch_execz .LBB1_34915
; %bb.62663:
	s_getpc_b64 s[14:15]
.Lpost_getpc16995:
	s_add_u32 s14, s14, (.LBB1_12487-.Lpost_getpc16995)&4294967295
	s_addc_u32 s15, s15, (.LBB1_12487-.Lpost_getpc16995)>>32
	s_setpc_b64 s[14:15]
.LBB1_34915:
	s_getpc_b64 s[14:15]
.Lpost_getpc3121:
	s_add_u32 s14, s14, (.LBB1_12488-.Lpost_getpc3121)&4294967295
	s_addc_u32 s15, s15, (.LBB1_12488-.Lpost_getpc3121)>>32
	s_setpc_b64 s[14:15]
.LBB1_26825:
	s_movk_i32 s4, 0x80
	v_cmp_eq_u16_sdwa s[12:13], v3, s4 src0_sel:BYTE_0 src1_sel:DWORD
	s_mov_b64 s[4:5], -1
                                        ; implicit-def: $sgpr10
	s_and_saveexec_b64 s[8:9], s[12:13]
; %bb.26826:
	s_mov_b32 s10, 0x7f800001
	s_xor_b64 s[4:5], exec, -1
; %bb.26827:
	s_or_b64 exec, exec, s[8:9]
	s_and_b64 s[4:5], s[4:5], exec
	s_or_saveexec_b64 s[6:7], s[6:7]
	v_mov_b32_e32 v2, s10
	s_xor_b64 exec, exec, s[6:7]
	s_cbranch_execnz .LBB1_26828
; %bb.62665:
	s_getpc_b64 s[14:15]
.Lpost_getpc16996:
	s_add_u32 s14, s14, (.LBB1_12490-.Lpost_getpc16996)&4294967295
	s_addc_u32 s15, s15, (.LBB1_12490-.Lpost_getpc16996)>>32
	s_setpc_b64 s[14:15]
.LBB1_26828:
	v_mov_b32_e32 v2, 0
	v_cmp_ne_u16_sdwa s[8:9], v3, v2 src0_sel:BYTE_0 src1_sel:DWORD
	s_andn2_b64 s[4:5], s[4:5], exec
	s_and_b64 s[8:9], s[8:9], exec
	s_or_b64 s[4:5], s[4:5], s[8:9]
	s_or_b64 exec, exec, s[6:7]
	s_and_saveexec_b64 s[6:7], s[4:5]
	s_cbranch_execz .LBB1_34917
; %bb.62667:
	s_getpc_b64 s[14:15]
.Lpost_getpc16997:
	s_add_u32 s14, s14, (.LBB1_12491-.Lpost_getpc16997)&4294967295
	s_addc_u32 s15, s15, (.LBB1_12491-.Lpost_getpc16997)>>32
	s_setpc_b64 s[14:15]
.LBB1_34917:
	s_getpc_b64 s[14:15]
.Lpost_getpc3122:
	s_add_u32 s14, s14, (.LBB1_12492-.Lpost_getpc3122)&4294967295
	s_addc_u32 s15, s15, (.LBB1_12492-.Lpost_getpc3122)>>32
	s_setpc_b64 s[14:15]
.LBB1_26829:
	s_movk_i32 s4, 0x80
	v_cmp_eq_u16_sdwa s[12:13], v3, s4 src0_sel:BYTE_0 src1_sel:DWORD
	s_mov_b64 s[4:5], -1
                                        ; implicit-def: $sgpr10
	s_and_saveexec_b64 s[8:9], s[12:13]
; %bb.26830:
	s_mov_b32 s10, 0x7f800001
	s_xor_b64 s[4:5], exec, -1
; %bb.26831:
	s_or_b64 exec, exec, s[8:9]
	s_and_b64 s[4:5], s[4:5], exec
	s_or_saveexec_b64 s[6:7], s[6:7]
	v_mov_b32_e32 v6, s10
	s_xor_b64 exec, exec, s[6:7]
	s_cbranch_execnz .LBB1_26832
; %bb.62669:
	s_getpc_b64 s[14:15]
.Lpost_getpc16998:
	s_add_u32 s14, s14, (.LBB1_12494-.Lpost_getpc16998)&4294967295
	s_addc_u32 s15, s15, (.LBB1_12494-.Lpost_getpc16998)>>32
	s_setpc_b64 s[14:15]
.LBB1_26832:
	v_mov_b32_e32 v6, 0
	v_cmp_ne_u16_sdwa s[8:9], v3, v6 src0_sel:BYTE_0 src1_sel:DWORD
	s_andn2_b64 s[4:5], s[4:5], exec
	s_and_b64 s[8:9], s[8:9], exec
	s_or_b64 s[4:5], s[4:5], s[8:9]
	s_or_b64 exec, exec, s[6:7]
	s_and_saveexec_b64 s[6:7], s[4:5]
	s_cbranch_execz .LBB1_34919
; %bb.62671:
	s_getpc_b64 s[14:15]
.Lpost_getpc16999:
	s_add_u32 s14, s14, (.LBB1_12495-.Lpost_getpc16999)&4294967295
	s_addc_u32 s15, s15, (.LBB1_12495-.Lpost_getpc16999)>>32
	s_setpc_b64 s[14:15]
.LBB1_34919:
	s_getpc_b64 s[14:15]
.Lpost_getpc3123:
	s_add_u32 s14, s14, (.LBB1_12496-.Lpost_getpc3123)&4294967295
	s_addc_u32 s15, s15, (.LBB1_12496-.Lpost_getpc3123)>>32
	s_setpc_b64 s[14:15]
.LBB1_26833:
	s_movk_i32 s4, 0x80
	v_cmp_eq_u16_e32 vcc, s4, v3
	s_mov_b64 s[4:5], -1
                                        ; implicit-def: $sgpr10
	s_and_saveexec_b64 s[8:9], vcc
; %bb.26834:
	s_mov_b32 s10, 0x7f800001
	s_xor_b64 s[4:5], exec, -1
; %bb.26835:
	s_or_b64 exec, exec, s[8:9]
	s_and_b64 s[4:5], s[4:5], exec
                                        ; implicit-def: $vgpr3
	s_or_saveexec_b64 s[6:7], s[6:7]
	v_mov_b32_e32 v2, s10
	s_xor_b64 exec, exec, s[6:7]
	s_cbranch_execnz .LBB1_26836
; %bb.62673:
	s_getpc_b64 s[14:15]
.Lpost_getpc17000:
	s_add_u32 s14, s14, (.LBB1_12498-.Lpost_getpc17000)&4294967295
	s_addc_u32 s15, s15, (.LBB1_12498-.Lpost_getpc17000)>>32
	s_setpc_b64 s[14:15]
.LBB1_26836:
	v_cmp_ne_u16_e32 vcc, 0, v3
	s_andn2_b64 s[4:5], s[4:5], exec
	s_and_b64 s[8:9], vcc, exec
	v_mov_b32_e32 v2, 0
	s_or_b64 s[4:5], s[4:5], s[8:9]
	s_or_b64 exec, exec, s[6:7]
	s_and_saveexec_b64 s[6:7], s[4:5]
	s_cbranch_execz .LBB1_34921
; %bb.62675:
	s_getpc_b64 s[14:15]
.Lpost_getpc17001:
	s_add_u32 s14, s14, (.LBB1_12499-.Lpost_getpc17001)&4294967295
	s_addc_u32 s15, s15, (.LBB1_12499-.Lpost_getpc17001)>>32
	s_setpc_b64 s[14:15]
.LBB1_34921:
	s_getpc_b64 s[14:15]
.Lpost_getpc3124:
	s_add_u32 s14, s14, (.LBB1_12500-.Lpost_getpc3124)&4294967295
	s_addc_u32 s15, s15, (.LBB1_12500-.Lpost_getpc3124)>>32
	s_setpc_b64 s[14:15]
.LBB1_26837:
	s_movk_i32 s4, 0x80
	v_cmp_eq_u16_e32 vcc, s4, v3
	s_mov_b64 s[4:5], -1
                                        ; implicit-def: $sgpr10
	s_and_saveexec_b64 s[8:9], vcc
; %bb.26838:
	s_mov_b32 s10, 0x7f800001
	s_xor_b64 s[4:5], exec, -1
; %bb.26839:
	s_or_b64 exec, exec, s[8:9]
	s_and_b64 s[4:5], s[4:5], exec
                                        ; implicit-def: $vgpr3
	s_or_saveexec_b64 s[6:7], s[6:7]
	v_mov_b32_e32 v6, s10
	s_xor_b64 exec, exec, s[6:7]
	s_cbranch_execnz .LBB1_26840
; %bb.62677:
	s_getpc_b64 s[14:15]
.Lpost_getpc17002:
	s_add_u32 s14, s14, (.LBB1_12502-.Lpost_getpc17002)&4294967295
	s_addc_u32 s15, s15, (.LBB1_12502-.Lpost_getpc17002)>>32
	s_setpc_b64 s[14:15]
.LBB1_26840:
	v_cmp_ne_u16_e32 vcc, 0, v3
	s_andn2_b64 s[4:5], s[4:5], exec
	s_and_b64 s[8:9], vcc, exec
	v_mov_b32_e32 v6, 0
	s_or_b64 s[4:5], s[4:5], s[8:9]
	s_or_b64 exec, exec, s[6:7]
	s_and_saveexec_b64 s[6:7], s[4:5]
	s_cbranch_execz .LBB1_34923
; %bb.62679:
	s_getpc_b64 s[14:15]
.Lpost_getpc17003:
	s_add_u32 s14, s14, (.LBB1_12503-.Lpost_getpc17003)&4294967295
	s_addc_u32 s15, s15, (.LBB1_12503-.Lpost_getpc17003)>>32
	s_setpc_b64 s[14:15]
.LBB1_34923:
	s_getpc_b64 s[14:15]
.Lpost_getpc3125:
	s_add_u32 s14, s14, (.LBB1_12504-.Lpost_getpc3125)&4294967295
	s_addc_u32 s15, s15, (.LBB1_12504-.Lpost_getpc3125)>>32
	s_setpc_b64 s[14:15]
.LBB1_26841:
	s_movk_i32 s4, 0x80
	v_cmp_eq_u16_sdwa s[12:13], v8, s4 src0_sel:BYTE_3 src1_sel:DWORD
	s_mov_b64 s[4:5], -1
                                        ; implicit-def: $sgpr10
	s_and_saveexec_b64 s[8:9], s[12:13]
; %bb.26842:
	s_mov_b32 s10, 0x7f800001
	s_xor_b64 s[4:5], exec, -1
; %bb.26843:
	s_or_b64 exec, exec, s[8:9]
	s_and_b64 s[4:5], s[4:5], exec
	s_or_saveexec_b64 s[6:7], s[6:7]
	v_mov_b32_e32 v2, s10
	s_xor_b64 exec, exec, s[6:7]
	s_cbranch_execnz .LBB1_26844
; %bb.62681:
	s_getpc_b64 s[14:15]
.Lpost_getpc17004:
	s_add_u32 s14, s14, (.LBB1_12506-.Lpost_getpc17004)&4294967295
	s_addc_u32 s15, s15, (.LBB1_12506-.Lpost_getpc17004)>>32
	s_setpc_b64 s[14:15]
.LBB1_26844:
	v_mov_b32_e32 v2, 0
	v_cmp_ne_u16_sdwa s[8:9], v8, v2 src0_sel:BYTE_3 src1_sel:DWORD
	s_andn2_b64 s[4:5], s[4:5], exec
	s_and_b64 s[8:9], s[8:9], exec
	s_or_b64 s[4:5], s[4:5], s[8:9]
	s_or_b64 exec, exec, s[6:7]
	s_and_saveexec_b64 s[6:7], s[4:5]
	s_cbranch_execz .LBB1_34925
; %bb.62683:
	s_getpc_b64 s[14:15]
.Lpost_getpc17005:
	s_add_u32 s14, s14, (.LBB1_12507-.Lpost_getpc17005)&4294967295
	s_addc_u32 s15, s15, (.LBB1_12507-.Lpost_getpc17005)>>32
	s_setpc_b64 s[14:15]
.LBB1_34925:
	s_getpc_b64 s[14:15]
.Lpost_getpc3126:
	s_add_u32 s14, s14, (.LBB1_12508-.Lpost_getpc3126)&4294967295
	s_addc_u32 s15, s15, (.LBB1_12508-.Lpost_getpc3126)>>32
	s_setpc_b64 s[14:15]
.LBB1_26845:
	s_movk_i32 s4, 0x80
	v_cmp_eq_u16_sdwa s[12:13], v4, s4 src0_sel:BYTE_3 src1_sel:DWORD
	s_mov_b64 s[4:5], -1
                                        ; implicit-def: $sgpr10
	s_and_saveexec_b64 s[8:9], s[12:13]
; %bb.26846:
	s_mov_b32 s10, 0x7f800001
	s_xor_b64 s[4:5], exec, -1
; %bb.26847:
	s_or_b64 exec, exec, s[8:9]
	s_and_b64 s[4:5], s[4:5], exec
	s_or_saveexec_b64 s[6:7], s[6:7]
	v_mov_b32_e32 v3, s10
	s_xor_b64 exec, exec, s[6:7]
	s_cbranch_execnz .LBB1_26848
; %bb.62685:
	s_getpc_b64 s[14:15]
.Lpost_getpc17006:
	s_add_u32 s14, s14, (.LBB1_12510-.Lpost_getpc17006)&4294967295
	s_addc_u32 s15, s15, (.LBB1_12510-.Lpost_getpc17006)>>32
	s_setpc_b64 s[14:15]
.LBB1_26848:
	v_mov_b32_e32 v3, 0
	v_cmp_ne_u16_sdwa s[8:9], v4, v3 src0_sel:BYTE_3 src1_sel:DWORD
	s_andn2_b64 s[4:5], s[4:5], exec
	s_and_b64 s[8:9], s[8:9], exec
	s_or_b64 s[4:5], s[4:5], s[8:9]
	s_or_b64 exec, exec, s[6:7]
	s_and_saveexec_b64 s[6:7], s[4:5]
	s_cbranch_execz .LBB1_34927
; %bb.62687:
	s_getpc_b64 s[14:15]
.Lpost_getpc17007:
	s_add_u32 s14, s14, (.LBB1_12511-.Lpost_getpc17007)&4294967295
	s_addc_u32 s15, s15, (.LBB1_12511-.Lpost_getpc17007)>>32
	s_setpc_b64 s[14:15]
.LBB1_34927:
	s_getpc_b64 s[14:15]
.Lpost_getpc3127:
	s_add_u32 s14, s14, (.LBB1_12512-.Lpost_getpc3127)&4294967295
	s_addc_u32 s15, s15, (.LBB1_12512-.Lpost_getpc3127)>>32
	s_setpc_b64 s[14:15]
.LBB1_26849:
	s_movk_i32 s4, 0x80
	v_cmp_eq_u16_sdwa s[12:13], v9, s4 src0_sel:BYTE_0 src1_sel:DWORD
	s_mov_b64 s[4:5], -1
                                        ; implicit-def: $sgpr10
	s_and_saveexec_b64 s[8:9], s[12:13]
; %bb.26850:
	s_mov_b32 s10, 0x7f800001
	s_xor_b64 s[4:5], exec, -1
; %bb.26851:
	s_or_b64 exec, exec, s[8:9]
	s_and_b64 s[4:5], s[4:5], exec
	s_or_saveexec_b64 s[6:7], s[6:7]
	v_mov_b32_e32 v2, s10
	s_xor_b64 exec, exec, s[6:7]
	s_cbranch_execnz .LBB1_26852
; %bb.62689:
	s_getpc_b64 s[14:15]
.Lpost_getpc17008:
	s_add_u32 s14, s14, (.LBB1_12514-.Lpost_getpc17008)&4294967295
	s_addc_u32 s15, s15, (.LBB1_12514-.Lpost_getpc17008)>>32
	s_setpc_b64 s[14:15]
.LBB1_26852:
	v_mov_b32_e32 v2, 0
	v_cmp_ne_u16_sdwa s[8:9], v9, v2 src0_sel:BYTE_0 src1_sel:DWORD
	s_andn2_b64 s[4:5], s[4:5], exec
	s_and_b64 s[8:9], s[8:9], exec
	s_or_b64 s[4:5], s[4:5], s[8:9]
	s_or_b64 exec, exec, s[6:7]
	s_and_saveexec_b64 s[6:7], s[4:5]
	s_cbranch_execz .LBB1_34929
; %bb.62691:
	s_getpc_b64 s[14:15]
.Lpost_getpc17009:
	s_add_u32 s14, s14, (.LBB1_12515-.Lpost_getpc17009)&4294967295
	s_addc_u32 s15, s15, (.LBB1_12515-.Lpost_getpc17009)>>32
	s_setpc_b64 s[14:15]
.LBB1_34929:
	s_getpc_b64 s[14:15]
.Lpost_getpc3128:
	s_add_u32 s14, s14, (.LBB1_12516-.Lpost_getpc3128)&4294967295
	s_addc_u32 s15, s15, (.LBB1_12516-.Lpost_getpc3128)>>32
	s_setpc_b64 s[14:15]
.LBB1_26853:
	s_movk_i32 s4, 0x80
	v_cmp_eq_u16_sdwa s[12:13], v5, s4 src0_sel:BYTE_0 src1_sel:DWORD
	s_mov_b64 s[4:5], -1
                                        ; implicit-def: $sgpr10
	s_and_saveexec_b64 s[8:9], s[12:13]
; %bb.26854:
	s_mov_b32 s10, 0x7f800001
	s_xor_b64 s[4:5], exec, -1
; %bb.26855:
	s_or_b64 exec, exec, s[8:9]
	s_and_b64 s[4:5], s[4:5], exec
	s_or_saveexec_b64 s[6:7], s[6:7]
	v_mov_b32_e32 v3, s10
	s_xor_b64 exec, exec, s[6:7]
	s_cbranch_execnz .LBB1_26856
; %bb.62693:
	s_getpc_b64 s[14:15]
.Lpost_getpc17010:
	s_add_u32 s14, s14, (.LBB1_12518-.Lpost_getpc17010)&4294967295
	s_addc_u32 s15, s15, (.LBB1_12518-.Lpost_getpc17010)>>32
	s_setpc_b64 s[14:15]
.LBB1_26856:
	v_mov_b32_e32 v3, 0
	v_cmp_ne_u16_sdwa s[8:9], v5, v3 src0_sel:BYTE_0 src1_sel:DWORD
	s_andn2_b64 s[4:5], s[4:5], exec
	s_and_b64 s[8:9], s[8:9], exec
	s_or_b64 s[4:5], s[4:5], s[8:9]
	s_or_b64 exec, exec, s[6:7]
	s_and_saveexec_b64 s[6:7], s[4:5]
	s_cbranch_execz .LBB1_34931
; %bb.62695:
	s_getpc_b64 s[14:15]
.Lpost_getpc17011:
	s_add_u32 s14, s14, (.LBB1_12519-.Lpost_getpc17011)&4294967295
	s_addc_u32 s15, s15, (.LBB1_12519-.Lpost_getpc17011)>>32
	s_setpc_b64 s[14:15]
.LBB1_34931:
	s_getpc_b64 s[14:15]
.Lpost_getpc3129:
	s_add_u32 s14, s14, (.LBB1_12520-.Lpost_getpc3129)&4294967295
	s_addc_u32 s15, s15, (.LBB1_12520-.Lpost_getpc3129)>>32
	s_setpc_b64 s[14:15]
.LBB1_26857:
	s_movk_i32 s4, 0x80
	v_cmp_eq_u16_sdwa s[12:13], v3, s4 src0_sel:BYTE_0 src1_sel:DWORD
	s_mov_b64 s[4:5], -1
                                        ; implicit-def: $sgpr10
	s_and_saveexec_b64 s[8:9], s[12:13]
; %bb.26858:
	s_mov_b32 s10, 0x7f800001
	s_xor_b64 s[4:5], exec, -1
; %bb.26859:
	s_or_b64 exec, exec, s[8:9]
	s_and_b64 s[4:5], s[4:5], exec
	s_or_saveexec_b64 s[6:7], s[6:7]
	v_mov_b32_e32 v2, s10
	s_xor_b64 exec, exec, s[6:7]
	s_cbranch_execnz .LBB1_26860
; %bb.62697:
	s_getpc_b64 s[14:15]
.Lpost_getpc17012:
	s_add_u32 s14, s14, (.LBB1_12522-.Lpost_getpc17012)&4294967295
	s_addc_u32 s15, s15, (.LBB1_12522-.Lpost_getpc17012)>>32
	s_setpc_b64 s[14:15]
.LBB1_26860:
	v_mov_b32_e32 v2, 0
	v_cmp_ne_u16_sdwa s[8:9], v3, v2 src0_sel:BYTE_0 src1_sel:DWORD
	s_andn2_b64 s[4:5], s[4:5], exec
	s_and_b64 s[8:9], s[8:9], exec
	s_or_b64 s[4:5], s[4:5], s[8:9]
	s_or_b64 exec, exec, s[6:7]
	s_and_saveexec_b64 s[6:7], s[4:5]
	s_cbranch_execz .LBB1_34933
; %bb.62699:
	s_getpc_b64 s[14:15]
.Lpost_getpc17013:
	s_add_u32 s14, s14, (.LBB1_12523-.Lpost_getpc17013)&4294967295
	s_addc_u32 s15, s15, (.LBB1_12523-.Lpost_getpc17013)>>32
	s_setpc_b64 s[14:15]
.LBB1_34933:
	s_getpc_b64 s[14:15]
.Lpost_getpc3130:
	s_add_u32 s14, s14, (.LBB1_12524-.Lpost_getpc3130)&4294967295
	s_addc_u32 s15, s15, (.LBB1_12524-.Lpost_getpc3130)>>32
	s_setpc_b64 s[14:15]
.LBB1_26861:
	s_movk_i32 s4, 0x80
	v_cmp_eq_u16_sdwa s[12:13], v3, s4 src0_sel:BYTE_0 src1_sel:DWORD
	s_mov_b64 s[4:5], -1
                                        ; implicit-def: $sgpr10
	s_and_saveexec_b64 s[8:9], s[12:13]
; %bb.26862:
	s_mov_b32 s10, 0x7f800001
	s_xor_b64 s[4:5], exec, -1
; %bb.26863:
	s_or_b64 exec, exec, s[8:9]
	s_and_b64 s[4:5], s[4:5], exec
	s_or_saveexec_b64 s[6:7], s[6:7]
	v_mov_b32_e32 v4, s10
	s_xor_b64 exec, exec, s[6:7]
	s_cbranch_execnz .LBB1_26864
; %bb.62701:
	s_getpc_b64 s[14:15]
.Lpost_getpc17014:
	s_add_u32 s14, s14, (.LBB1_12526-.Lpost_getpc17014)&4294967295
	s_addc_u32 s15, s15, (.LBB1_12526-.Lpost_getpc17014)>>32
	s_setpc_b64 s[14:15]
.LBB1_26864:
	v_mov_b32_e32 v4, 0
	v_cmp_ne_u16_sdwa s[8:9], v3, v4 src0_sel:BYTE_0 src1_sel:DWORD
	s_andn2_b64 s[4:5], s[4:5], exec
	s_and_b64 s[8:9], s[8:9], exec
	s_or_b64 s[4:5], s[4:5], s[8:9]
	s_or_b64 exec, exec, s[6:7]
	s_and_saveexec_b64 s[6:7], s[4:5]
	s_cbranch_execz .LBB1_34935
; %bb.62703:
	s_getpc_b64 s[14:15]
.Lpost_getpc17015:
	s_add_u32 s14, s14, (.LBB1_12527-.Lpost_getpc17015)&4294967295
	s_addc_u32 s15, s15, (.LBB1_12527-.Lpost_getpc17015)>>32
	s_setpc_b64 s[14:15]
.LBB1_34935:
	s_getpc_b64 s[14:15]
.Lpost_getpc3131:
	s_add_u32 s14, s14, (.LBB1_12528-.Lpost_getpc3131)&4294967295
	s_addc_u32 s15, s15, (.LBB1_12528-.Lpost_getpc3131)>>32
	s_setpc_b64 s[14:15]
.LBB1_26865:
	s_movk_i32 s4, 0x80
	v_cmp_eq_u16_e32 vcc, s4, v3
	s_mov_b64 s[4:5], -1
                                        ; implicit-def: $sgpr10
	s_and_saveexec_b64 s[8:9], vcc
; %bb.26866:
	s_mov_b32 s10, 0x7f800001
	s_xor_b64 s[4:5], exec, -1
; %bb.26867:
	s_or_b64 exec, exec, s[8:9]
	s_and_b64 s[4:5], s[4:5], exec
                                        ; implicit-def: $vgpr3
	s_or_saveexec_b64 s[6:7], s[6:7]
	v_mov_b32_e32 v2, s10
	s_xor_b64 exec, exec, s[6:7]
	s_cbranch_execnz .LBB1_26868
; %bb.62705:
	s_getpc_b64 s[14:15]
.Lpost_getpc17016:
	s_add_u32 s14, s14, (.LBB1_12530-.Lpost_getpc17016)&4294967295
	s_addc_u32 s15, s15, (.LBB1_12530-.Lpost_getpc17016)>>32
	s_setpc_b64 s[14:15]
.LBB1_26868:
	v_cmp_ne_u16_e32 vcc, 0, v3
	s_andn2_b64 s[4:5], s[4:5], exec
	s_and_b64 s[8:9], vcc, exec
	v_mov_b32_e32 v2, 0
	s_or_b64 s[4:5], s[4:5], s[8:9]
	s_or_b64 exec, exec, s[6:7]
	s_and_saveexec_b64 s[6:7], s[4:5]
	s_cbranch_execz .LBB1_34937
; %bb.62707:
	s_getpc_b64 s[14:15]
.Lpost_getpc17017:
	s_add_u32 s14, s14, (.LBB1_12531-.Lpost_getpc17017)&4294967295
	s_addc_u32 s15, s15, (.LBB1_12531-.Lpost_getpc17017)>>32
	s_setpc_b64 s[14:15]
.LBB1_34937:
	s_getpc_b64 s[14:15]
.Lpost_getpc3132:
	s_add_u32 s14, s14, (.LBB1_12532-.Lpost_getpc3132)&4294967295
	s_addc_u32 s15, s15, (.LBB1_12532-.Lpost_getpc3132)>>32
	s_setpc_b64 s[14:15]
.LBB1_26869:
	s_movk_i32 s4, 0x80
	v_cmp_eq_u16_e32 vcc, s4, v3
	s_mov_b64 s[4:5], -1
                                        ; implicit-def: $sgpr10
	s_and_saveexec_b64 s[8:9], vcc
; %bb.26870:
	s_mov_b32 s10, 0x7f800001
	s_xor_b64 s[4:5], exec, -1
; %bb.26871:
	s_or_b64 exec, exec, s[8:9]
	s_and_b64 s[4:5], s[4:5], exec
                                        ; implicit-def: $vgpr3
	s_or_saveexec_b64 s[6:7], s[6:7]
	v_mov_b32_e32 v4, s10
	s_xor_b64 exec, exec, s[6:7]
	s_cbranch_execnz .LBB1_26872
; %bb.62709:
	s_getpc_b64 s[14:15]
.Lpost_getpc17018:
	s_add_u32 s14, s14, (.LBB1_12534-.Lpost_getpc17018)&4294967295
	s_addc_u32 s15, s15, (.LBB1_12534-.Lpost_getpc17018)>>32
	s_setpc_b64 s[14:15]
.LBB1_26872:
	v_cmp_ne_u16_e32 vcc, 0, v3
	s_andn2_b64 s[4:5], s[4:5], exec
	s_and_b64 s[8:9], vcc, exec
	v_mov_b32_e32 v4, 0
	s_or_b64 s[4:5], s[4:5], s[8:9]
	s_or_b64 exec, exec, s[6:7]
	s_and_saveexec_b64 s[6:7], s[4:5]
	s_cbranch_execz .LBB1_34939
; %bb.62711:
	s_getpc_b64 s[14:15]
.Lpost_getpc17019:
	s_add_u32 s14, s14, (.LBB1_12535-.Lpost_getpc17019)&4294967295
	s_addc_u32 s15, s15, (.LBB1_12535-.Lpost_getpc17019)>>32
	s_setpc_b64 s[14:15]
.LBB1_34939:
	s_getpc_b64 s[14:15]
.Lpost_getpc3133:
	s_add_u32 s14, s14, (.LBB1_12536-.Lpost_getpc3133)&4294967295
	s_addc_u32 s15, s15, (.LBB1_12536-.Lpost_getpc3133)>>32
	s_setpc_b64 s[14:15]
.LBB1_26873:
	s_movk_i32 s4, 0x80
	v_cmp_eq_u16_sdwa s[12:13], v9, s4 src0_sel:BYTE_3 src1_sel:DWORD
	s_mov_b64 s[4:5], -1
                                        ; implicit-def: $sgpr10
	s_and_saveexec_b64 s[8:9], s[12:13]
; %bb.26874:
	s_mov_b32 s10, 0x7f800001
	s_xor_b64 s[4:5], exec, -1
; %bb.26875:
	s_or_b64 exec, exec, s[8:9]
	s_and_b64 s[4:5], s[4:5], exec
	s_or_saveexec_b64 s[6:7], s[6:7]
	v_mov_b32_e32 v2, s10
	s_xor_b64 exec, exec, s[6:7]
	s_cbranch_execnz .LBB1_26876
; %bb.62713:
	s_getpc_b64 s[14:15]
.Lpost_getpc17020:
	s_add_u32 s14, s14, (.LBB1_12538-.Lpost_getpc17020)&4294967295
	s_addc_u32 s15, s15, (.LBB1_12538-.Lpost_getpc17020)>>32
	s_setpc_b64 s[14:15]
.LBB1_26876:
	v_mov_b32_e32 v2, 0
	v_cmp_ne_u16_sdwa s[8:9], v9, v2 src0_sel:BYTE_3 src1_sel:DWORD
	s_andn2_b64 s[4:5], s[4:5], exec
	s_and_b64 s[8:9], s[8:9], exec
	s_or_b64 s[4:5], s[4:5], s[8:9]
	s_or_b64 exec, exec, s[6:7]
	s_and_saveexec_b64 s[6:7], s[4:5]
	s_cbranch_execz .LBB1_34941
; %bb.62715:
	s_getpc_b64 s[14:15]
.Lpost_getpc17021:
	s_add_u32 s14, s14, (.LBB1_12539-.Lpost_getpc17021)&4294967295
	s_addc_u32 s15, s15, (.LBB1_12539-.Lpost_getpc17021)>>32
	s_setpc_b64 s[14:15]
.LBB1_34941:
	s_getpc_b64 s[14:15]
.Lpost_getpc3134:
	s_add_u32 s14, s14, (.LBB1_12540-.Lpost_getpc3134)&4294967295
	s_addc_u32 s15, s15, (.LBB1_12540-.Lpost_getpc3134)>>32
	s_setpc_b64 s[14:15]
.LBB1_26877:
	s_movk_i32 s4, 0x80
	v_cmp_eq_u16_sdwa s[12:13], v5, s4 src0_sel:BYTE_3 src1_sel:DWORD
	s_mov_b64 s[4:5], -1
                                        ; implicit-def: $sgpr10
	s_and_saveexec_b64 s[8:9], s[12:13]
; %bb.26878:
	s_mov_b32 s10, 0x7f800001
	s_xor_b64 s[4:5], exec, -1
; %bb.26879:
	s_or_b64 exec, exec, s[8:9]
	s_and_b64 s[4:5], s[4:5], exec
	s_or_saveexec_b64 s[6:7], s[6:7]
	v_mov_b32_e32 v3, s10
	s_xor_b64 exec, exec, s[6:7]
	s_cbranch_execnz .LBB1_26880
; %bb.62717:
	s_getpc_b64 s[14:15]
.Lpost_getpc17022:
	s_add_u32 s14, s14, (.LBB1_12542-.Lpost_getpc17022)&4294967295
	s_addc_u32 s15, s15, (.LBB1_12542-.Lpost_getpc17022)>>32
	s_setpc_b64 s[14:15]
.LBB1_26880:
	v_mov_b32_e32 v3, 0
	v_cmp_ne_u16_sdwa s[8:9], v5, v3 src0_sel:BYTE_3 src1_sel:DWORD
	s_andn2_b64 s[4:5], s[4:5], exec
	s_and_b64 s[8:9], s[8:9], exec
	s_or_b64 s[4:5], s[4:5], s[8:9]
	s_or_b64 exec, exec, s[6:7]
	s_and_saveexec_b64 s[6:7], s[4:5]
	s_cbranch_execz .LBB1_34943
; %bb.62719:
	s_getpc_b64 s[14:15]
.Lpost_getpc17023:
	s_add_u32 s14, s14, (.LBB1_12543-.Lpost_getpc17023)&4294967295
	s_addc_u32 s15, s15, (.LBB1_12543-.Lpost_getpc17023)>>32
	s_setpc_b64 s[14:15]
.LBB1_34943:
	s_getpc_b64 s[14:15]
.Lpost_getpc3135:
	s_add_u32 s14, s14, (.LBB1_12544-.Lpost_getpc3135)&4294967295
	s_addc_u32 s15, s15, (.LBB1_12544-.Lpost_getpc3135)>>32
	s_setpc_b64 s[14:15]
.LBB1_26881:
	s_movk_i32 s4, 0x80
	v_cmp_eq_u16_sdwa s[12:13], v6, s4 src0_sel:BYTE_0 src1_sel:DWORD
	s_mov_b64 s[4:5], -1
                                        ; implicit-def: $sgpr10
	s_and_saveexec_b64 s[8:9], s[12:13]
; %bb.26882:
	s_mov_b32 s10, 0x7f800001
	s_xor_b64 s[4:5], exec, -1
; %bb.26883:
	s_or_b64 exec, exec, s[8:9]
	s_and_b64 s[4:5], s[4:5], exec
	s_or_saveexec_b64 s[6:7], s[6:7]
	v_mov_b32_e32 v12, s10
	s_xor_b64 exec, exec, s[6:7]
	s_cbranch_execnz .LBB1_26884
; %bb.62721:
	s_getpc_b64 s[14:15]
.Lpost_getpc17024:
	s_add_u32 s14, s14, (.LBB1_12546-.Lpost_getpc17024)&4294967295
	s_addc_u32 s15, s15, (.LBB1_12546-.Lpost_getpc17024)>>32
	s_setpc_b64 s[14:15]
.LBB1_26884:
	v_mov_b32_e32 v12, 0
	v_cmp_ne_u16_sdwa s[8:9], v6, v12 src0_sel:BYTE_0 src1_sel:DWORD
	s_andn2_b64 s[4:5], s[4:5], exec
	s_and_b64 s[8:9], s[8:9], exec
	s_or_b64 s[4:5], s[4:5], s[8:9]
	s_or_b64 exec, exec, s[6:7]
	s_and_saveexec_b64 s[6:7], s[4:5]
	s_cbranch_execz .LBB1_34945
; %bb.62723:
	s_getpc_b64 s[14:15]
.Lpost_getpc17025:
	s_add_u32 s14, s14, (.LBB1_12547-.Lpost_getpc17025)&4294967295
	s_addc_u32 s15, s15, (.LBB1_12547-.Lpost_getpc17025)>>32
	s_setpc_b64 s[14:15]
.LBB1_34945:
	s_getpc_b64 s[14:15]
.Lpost_getpc3136:
	s_add_u32 s14, s14, (.LBB1_12548-.Lpost_getpc3136)&4294967295
	s_addc_u32 s15, s15, (.LBB1_12548-.Lpost_getpc3136)>>32
	s_setpc_b64 s[14:15]
.LBB1_26885:
	s_movk_i32 s4, 0x80
	v_cmp_eq_u16_sdwa s[12:13], v2, s4 src0_sel:BYTE_0 src1_sel:DWORD
	s_mov_b64 s[4:5], -1
                                        ; implicit-def: $sgpr10
	s_and_saveexec_b64 s[8:9], s[12:13]
; %bb.26886:
	s_mov_b32 s10, 0x7f800001
	s_xor_b64 s[4:5], exec, -1
; %bb.26887:
	s_or_b64 exec, exec, s[8:9]
	s_and_b64 s[4:5], s[4:5], exec
	s_or_saveexec_b64 s[6:7], s[6:7]
	v_mov_b32_e32 v13, s10
	s_xor_b64 exec, exec, s[6:7]
	s_cbranch_execnz .LBB1_26888
; %bb.62725:
	s_getpc_b64 s[14:15]
.Lpost_getpc17026:
	s_add_u32 s14, s14, (.LBB1_12550-.Lpost_getpc17026)&4294967295
	s_addc_u32 s15, s15, (.LBB1_12550-.Lpost_getpc17026)>>32
	s_setpc_b64 s[14:15]
.LBB1_26888:
	v_mov_b32_e32 v13, 0
	v_cmp_ne_u16_sdwa s[8:9], v2, v13 src0_sel:BYTE_0 src1_sel:DWORD
	s_andn2_b64 s[4:5], s[4:5], exec
	s_and_b64 s[8:9], s[8:9], exec
	s_or_b64 s[4:5], s[4:5], s[8:9]
	s_or_b64 exec, exec, s[6:7]
	s_and_saveexec_b64 s[6:7], s[4:5]
	s_cbranch_execz .LBB1_34947
; %bb.62727:
	s_getpc_b64 s[14:15]
.Lpost_getpc17027:
	s_add_u32 s14, s14, (.LBB1_12551-.Lpost_getpc17027)&4294967295
	s_addc_u32 s15, s15, (.LBB1_12551-.Lpost_getpc17027)>>32
	s_setpc_b64 s[14:15]
.LBB1_34947:
	s_getpc_b64 s[14:15]
.Lpost_getpc3137:
	s_add_u32 s14, s14, (.LBB1_12552-.Lpost_getpc3137)&4294967295
	s_addc_u32 s15, s15, (.LBB1_12552-.Lpost_getpc3137)>>32
	s_setpc_b64 s[14:15]
.LBB1_26889:
	s_movk_i32 s4, 0x80
	v_cmp_eq_u16_sdwa s[12:13], v13, s4 src0_sel:BYTE_0 src1_sel:DWORD
	s_mov_b64 s[4:5], -1
                                        ; implicit-def: $sgpr10
	s_and_saveexec_b64 s[8:9], s[12:13]
; %bb.26890:
	s_mov_b32 s10, 0x7f800001
	s_xor_b64 s[4:5], exec, -1
; %bb.26891:
	s_or_b64 exec, exec, s[8:9]
	s_and_b64 s[4:5], s[4:5], exec
	s_or_saveexec_b64 s[6:7], s[6:7]
	v_mov_b32_e32 v12, s10
	s_xor_b64 exec, exec, s[6:7]
	s_cbranch_execnz .LBB1_26892
; %bb.62729:
	s_getpc_b64 s[14:15]
.Lpost_getpc17028:
	s_add_u32 s14, s14, (.LBB1_12554-.Lpost_getpc17028)&4294967295
	s_addc_u32 s15, s15, (.LBB1_12554-.Lpost_getpc17028)>>32
	s_setpc_b64 s[14:15]
.LBB1_26892:
	v_mov_b32_e32 v12, 0
	v_cmp_ne_u16_sdwa s[8:9], v13, v12 src0_sel:BYTE_0 src1_sel:DWORD
	s_andn2_b64 s[4:5], s[4:5], exec
	s_and_b64 s[8:9], s[8:9], exec
	s_or_b64 s[4:5], s[4:5], s[8:9]
	s_or_b64 exec, exec, s[6:7]
	s_and_saveexec_b64 s[6:7], s[4:5]
	s_cbranch_execz .LBB1_34949
; %bb.62731:
	s_getpc_b64 s[14:15]
.Lpost_getpc17029:
	s_add_u32 s14, s14, (.LBB1_12555-.Lpost_getpc17029)&4294967295
	s_addc_u32 s15, s15, (.LBB1_12555-.Lpost_getpc17029)>>32
	s_setpc_b64 s[14:15]
.LBB1_34949:
	s_getpc_b64 s[14:15]
.Lpost_getpc3138:
	s_add_u32 s14, s14, (.LBB1_12556-.Lpost_getpc3138)&4294967295
	s_addc_u32 s15, s15, (.LBB1_12556-.Lpost_getpc3138)>>32
	s_setpc_b64 s[14:15]
.LBB1_26893:
	s_movk_i32 s4, 0x80
	v_cmp_eq_u16_sdwa s[12:13], v13, s4 src0_sel:BYTE_0 src1_sel:DWORD
	s_mov_b64 s[4:5], -1
                                        ; implicit-def: $sgpr10
	s_and_saveexec_b64 s[8:9], s[12:13]
; %bb.26894:
	s_mov_b32 s10, 0x7f800001
	s_xor_b64 s[4:5], exec, -1
; %bb.26895:
	s_or_b64 exec, exec, s[8:9]
	s_and_b64 s[4:5], s[4:5], exec
	s_or_saveexec_b64 s[6:7], s[6:7]
	v_mov_b32_e32 v14, s10
	s_xor_b64 exec, exec, s[6:7]
	s_cbranch_execnz .LBB1_26896
; %bb.62733:
	s_getpc_b64 s[14:15]
.Lpost_getpc17030:
	s_add_u32 s14, s14, (.LBB1_12558-.Lpost_getpc17030)&4294967295
	s_addc_u32 s15, s15, (.LBB1_12558-.Lpost_getpc17030)>>32
	s_setpc_b64 s[14:15]
.LBB1_26896:
	v_mov_b32_e32 v14, 0
	v_cmp_ne_u16_sdwa s[8:9], v13, v14 src0_sel:BYTE_0 src1_sel:DWORD
	s_andn2_b64 s[4:5], s[4:5], exec
	s_and_b64 s[8:9], s[8:9], exec
	s_or_b64 s[4:5], s[4:5], s[8:9]
	s_or_b64 exec, exec, s[6:7]
	s_and_saveexec_b64 s[6:7], s[4:5]
	s_cbranch_execz .LBB1_34951
; %bb.62735:
	s_getpc_b64 s[14:15]
.Lpost_getpc17031:
	s_add_u32 s14, s14, (.LBB1_12559-.Lpost_getpc17031)&4294967295
	s_addc_u32 s15, s15, (.LBB1_12559-.Lpost_getpc17031)>>32
	s_setpc_b64 s[14:15]
.LBB1_34951:
	s_getpc_b64 s[14:15]
.Lpost_getpc3139:
	s_add_u32 s14, s14, (.LBB1_12560-.Lpost_getpc3139)&4294967295
	s_addc_u32 s15, s15, (.LBB1_12560-.Lpost_getpc3139)>>32
	s_setpc_b64 s[14:15]
.LBB1_26897:
	s_movk_i32 s4, 0x80
	v_cmp_eq_u16_e32 vcc, s4, v13
	s_mov_b64 s[4:5], -1
                                        ; implicit-def: $sgpr10
	s_and_saveexec_b64 s[8:9], vcc
; %bb.26898:
	s_mov_b32 s10, 0x7f800001
	s_xor_b64 s[4:5], exec, -1
; %bb.26899:
	s_or_b64 exec, exec, s[8:9]
	s_and_b64 s[4:5], s[4:5], exec
                                        ; implicit-def: $vgpr13
	s_or_saveexec_b64 s[6:7], s[6:7]
	v_mov_b32_e32 v12, s10
	s_xor_b64 exec, exec, s[6:7]
	s_cbranch_execnz .LBB1_26900
; %bb.62737:
	s_getpc_b64 s[14:15]
.Lpost_getpc17032:
	s_add_u32 s14, s14, (.LBB1_12562-.Lpost_getpc17032)&4294967295
	s_addc_u32 s15, s15, (.LBB1_12562-.Lpost_getpc17032)>>32
	s_setpc_b64 s[14:15]
.LBB1_26900:
	v_cmp_ne_u16_e32 vcc, 0, v13
	s_andn2_b64 s[4:5], s[4:5], exec
	s_and_b64 s[8:9], vcc, exec
	v_mov_b32_e32 v12, 0
	s_or_b64 s[4:5], s[4:5], s[8:9]
	s_or_b64 exec, exec, s[6:7]
	s_and_saveexec_b64 s[6:7], s[4:5]
	s_cbranch_execz .LBB1_34953
; %bb.62739:
	s_getpc_b64 s[14:15]
.Lpost_getpc17033:
	s_add_u32 s14, s14, (.LBB1_12563-.Lpost_getpc17033)&4294967295
	s_addc_u32 s15, s15, (.LBB1_12563-.Lpost_getpc17033)>>32
	s_setpc_b64 s[14:15]
.LBB1_34953:
	s_getpc_b64 s[14:15]
.Lpost_getpc3140:
	s_add_u32 s14, s14, (.LBB1_12564-.Lpost_getpc3140)&4294967295
	s_addc_u32 s15, s15, (.LBB1_12564-.Lpost_getpc3140)>>32
	s_setpc_b64 s[14:15]
.LBB1_26901:
	s_movk_i32 s4, 0x80
	v_cmp_eq_u16_e32 vcc, s4, v13
	s_mov_b64 s[4:5], -1
                                        ; implicit-def: $sgpr10
	s_and_saveexec_b64 s[8:9], vcc
; %bb.26902:
	s_mov_b32 s10, 0x7f800001
	s_xor_b64 s[4:5], exec, -1
; %bb.26903:
	s_or_b64 exec, exec, s[8:9]
	s_and_b64 s[4:5], s[4:5], exec
                                        ; implicit-def: $vgpr13
	s_or_saveexec_b64 s[6:7], s[6:7]
	v_mov_b32_e32 v14, s10
	s_xor_b64 exec, exec, s[6:7]
	s_cbranch_execnz .LBB1_26904
; %bb.62741:
	s_getpc_b64 s[14:15]
.Lpost_getpc17034:
	s_add_u32 s14, s14, (.LBB1_12566-.Lpost_getpc17034)&4294967295
	s_addc_u32 s15, s15, (.LBB1_12566-.Lpost_getpc17034)>>32
	s_setpc_b64 s[14:15]
.LBB1_26904:
	v_cmp_ne_u16_e32 vcc, 0, v13
	s_andn2_b64 s[4:5], s[4:5], exec
	s_and_b64 s[8:9], vcc, exec
	v_mov_b32_e32 v14, 0
	s_or_b64 s[4:5], s[4:5], s[8:9]
	s_or_b64 exec, exec, s[6:7]
	s_and_saveexec_b64 s[6:7], s[4:5]
	s_cbranch_execz .LBB1_34955
; %bb.62743:
	s_getpc_b64 s[14:15]
.Lpost_getpc17035:
	s_add_u32 s14, s14, (.LBB1_12567-.Lpost_getpc17035)&4294967295
	s_addc_u32 s15, s15, (.LBB1_12567-.Lpost_getpc17035)>>32
	s_setpc_b64 s[14:15]
.LBB1_34955:
	s_getpc_b64 s[14:15]
.Lpost_getpc3141:
	s_add_u32 s14, s14, (.LBB1_12568-.Lpost_getpc3141)&4294967295
	s_addc_u32 s15, s15, (.LBB1_12568-.Lpost_getpc3141)>>32
	s_setpc_b64 s[14:15]
.LBB1_26905:
	s_movk_i32 s4, 0x80
	v_cmp_eq_u16_sdwa s[12:13], v6, s4 src0_sel:BYTE_3 src1_sel:DWORD
	s_mov_b64 s[4:5], -1
                                        ; implicit-def: $sgpr10
	s_and_saveexec_b64 s[8:9], s[12:13]
; %bb.26906:
	s_mov_b32 s10, 0x7f800001
	s_xor_b64 s[4:5], exec, -1
; %bb.26907:
	s_or_b64 exec, exec, s[8:9]
	s_and_b64 s[4:5], s[4:5], exec
	s_or_saveexec_b64 s[6:7], s[6:7]
	v_mov_b32_e32 v12, s10
	s_xor_b64 exec, exec, s[6:7]
	s_cbranch_execnz .LBB1_26908
; %bb.62745:
	s_getpc_b64 s[14:15]
.Lpost_getpc17036:
	s_add_u32 s14, s14, (.LBB1_12570-.Lpost_getpc17036)&4294967295
	s_addc_u32 s15, s15, (.LBB1_12570-.Lpost_getpc17036)>>32
	s_setpc_b64 s[14:15]
.LBB1_26908:
	v_mov_b32_e32 v12, 0
	v_cmp_ne_u16_sdwa s[8:9], v6, v12 src0_sel:BYTE_3 src1_sel:DWORD
	s_andn2_b64 s[4:5], s[4:5], exec
	s_and_b64 s[8:9], s[8:9], exec
	s_or_b64 s[4:5], s[4:5], s[8:9]
	s_or_b64 exec, exec, s[6:7]
	s_and_saveexec_b64 s[6:7], s[4:5]
	s_cbranch_execz .LBB1_34957
; %bb.62747:
	s_getpc_b64 s[14:15]
.Lpost_getpc17037:
	s_add_u32 s14, s14, (.LBB1_12571-.Lpost_getpc17037)&4294967295
	s_addc_u32 s15, s15, (.LBB1_12571-.Lpost_getpc17037)>>32
	s_setpc_b64 s[14:15]
.LBB1_34957:
	s_getpc_b64 s[14:15]
.Lpost_getpc3142:
	s_add_u32 s14, s14, (.LBB1_12572-.Lpost_getpc3142)&4294967295
	s_addc_u32 s15, s15, (.LBB1_12572-.Lpost_getpc3142)>>32
	s_setpc_b64 s[14:15]
.LBB1_26909:
	s_movk_i32 s4, 0x80
	v_cmp_eq_u16_sdwa s[12:13], v2, s4 src0_sel:BYTE_3 src1_sel:DWORD
	s_mov_b64 s[4:5], -1
                                        ; implicit-def: $sgpr10
	s_and_saveexec_b64 s[8:9], s[12:13]
; %bb.26910:
	s_mov_b32 s10, 0x7f800001
	s_xor_b64 s[4:5], exec, -1
; %bb.26911:
	s_or_b64 exec, exec, s[8:9]
	s_and_b64 s[4:5], s[4:5], exec
	s_or_saveexec_b64 s[6:7], s[6:7]
	v_mov_b32_e32 v6, s10
	s_xor_b64 exec, exec, s[6:7]
	s_cbranch_execnz .LBB1_26912
; %bb.62749:
	s_getpc_b64 s[14:15]
.Lpost_getpc17038:
	s_add_u32 s14, s14, (.LBB1_12574-.Lpost_getpc17038)&4294967295
	s_addc_u32 s15, s15, (.LBB1_12574-.Lpost_getpc17038)>>32
	s_setpc_b64 s[14:15]
.LBB1_26912:
	v_mov_b32_e32 v6, 0
	v_cmp_ne_u16_sdwa s[8:9], v2, v6 src0_sel:BYTE_3 src1_sel:DWORD
	s_andn2_b64 s[4:5], s[4:5], exec
	s_and_b64 s[8:9], s[8:9], exec
	s_or_b64 s[4:5], s[4:5], s[8:9]
	s_or_b64 exec, exec, s[6:7]
	s_and_saveexec_b64 s[6:7], s[4:5]
	s_cbranch_execz .LBB1_34959
; %bb.62751:
	s_getpc_b64 s[14:15]
.Lpost_getpc17039:
	s_add_u32 s14, s14, (.LBB1_12575-.Lpost_getpc17039)&4294967295
	s_addc_u32 s15, s15, (.LBB1_12575-.Lpost_getpc17039)>>32
	s_setpc_b64 s[14:15]
.LBB1_34959:
	s_getpc_b64 s[14:15]
.Lpost_getpc3143:
	s_add_u32 s14, s14, (.LBB1_12576-.Lpost_getpc3143)&4294967295
	s_addc_u32 s15, s15, (.LBB1_12576-.Lpost_getpc3143)>>32
	s_setpc_b64 s[14:15]
.LBB1_26913:
	s_movk_i32 s4, 0x80
	v_cmp_eq_u16_sdwa s[12:13], v7, s4 src0_sel:BYTE_0 src1_sel:DWORD
	s_mov_b64 s[4:5], -1
                                        ; implicit-def: $sgpr10
	s_and_saveexec_b64 s[8:9], s[12:13]
; %bb.26914:
	s_mov_b32 s10, 0x7f800001
	s_xor_b64 s[4:5], exec, -1
; %bb.26915:
	s_or_b64 exec, exec, s[8:9]
	s_and_b64 s[4:5], s[4:5], exec
	s_or_saveexec_b64 s[6:7], s[6:7]
	v_mov_b32_e32 v2, s10
	s_xor_b64 exec, exec, s[6:7]
	s_cbranch_execnz .LBB1_26916
; %bb.62753:
	s_getpc_b64 s[14:15]
.Lpost_getpc17040:
	s_add_u32 s14, s14, (.LBB1_12578-.Lpost_getpc17040)&4294967295
	s_addc_u32 s15, s15, (.LBB1_12578-.Lpost_getpc17040)>>32
	s_setpc_b64 s[14:15]
.LBB1_26916:
	v_mov_b32_e32 v2, 0
	v_cmp_ne_u16_sdwa s[8:9], v7, v2 src0_sel:BYTE_0 src1_sel:DWORD
	s_andn2_b64 s[4:5], s[4:5], exec
	s_and_b64 s[8:9], s[8:9], exec
	s_or_b64 s[4:5], s[4:5], s[8:9]
	s_or_b64 exec, exec, s[6:7]
	s_and_saveexec_b64 s[6:7], s[4:5]
	s_cbranch_execz .LBB1_34961
; %bb.62755:
	s_getpc_b64 s[14:15]
.Lpost_getpc17041:
	s_add_u32 s14, s14, (.LBB1_12579-.Lpost_getpc17041)&4294967295
	s_addc_u32 s15, s15, (.LBB1_12579-.Lpost_getpc17041)>>32
	s_setpc_b64 s[14:15]
.LBB1_34961:
	s_getpc_b64 s[14:15]
.Lpost_getpc3144:
	s_add_u32 s14, s14, (.LBB1_12580-.Lpost_getpc3144)&4294967295
	s_addc_u32 s15, s15, (.LBB1_12580-.Lpost_getpc3144)>>32
	s_setpc_b64 s[14:15]
.LBB1_26917:
	s_movk_i32 s4, 0x80
	v_cmp_eq_u16_sdwa s[12:13], v3, s4 src0_sel:BYTE_0 src1_sel:DWORD
	s_mov_b64 s[4:5], -1
                                        ; implicit-def: $sgpr10
	s_and_saveexec_b64 s[8:9], s[12:13]
; %bb.26918:
	s_mov_b32 s10, 0x7f800001
	s_xor_b64 s[4:5], exec, -1
; %bb.26919:
	s_or_b64 exec, exec, s[8:9]
	s_and_b64 s[4:5], s[4:5], exec
	s_or_saveexec_b64 s[6:7], s[6:7]
	v_mov_b32_e32 v6, s10
	s_xor_b64 exec, exec, s[6:7]
	s_cbranch_execnz .LBB1_26920
; %bb.62757:
	s_getpc_b64 s[14:15]
.Lpost_getpc17042:
	s_add_u32 s14, s14, (.LBB1_12582-.Lpost_getpc17042)&4294967295
	s_addc_u32 s15, s15, (.LBB1_12582-.Lpost_getpc17042)>>32
	s_setpc_b64 s[14:15]
.LBB1_26920:
	v_mov_b32_e32 v6, 0
	v_cmp_ne_u16_sdwa s[8:9], v3, v6 src0_sel:BYTE_0 src1_sel:DWORD
	s_andn2_b64 s[4:5], s[4:5], exec
	s_and_b64 s[8:9], s[8:9], exec
	s_or_b64 s[4:5], s[4:5], s[8:9]
	s_or_b64 exec, exec, s[6:7]
	s_and_saveexec_b64 s[6:7], s[4:5]
	s_cbranch_execz .LBB1_34963
; %bb.62759:
	s_getpc_b64 s[14:15]
.Lpost_getpc17043:
	s_add_u32 s14, s14, (.LBB1_12583-.Lpost_getpc17043)&4294967295
	s_addc_u32 s15, s15, (.LBB1_12583-.Lpost_getpc17043)>>32
	s_setpc_b64 s[14:15]
.LBB1_34963:
	s_getpc_b64 s[14:15]
.Lpost_getpc3145:
	s_add_u32 s14, s14, (.LBB1_12584-.Lpost_getpc3145)&4294967295
	s_addc_u32 s15, s15, (.LBB1_12584-.Lpost_getpc3145)>>32
	s_setpc_b64 s[14:15]
.LBB1_26921:
	s_movk_i32 s4, 0x80
	v_cmp_eq_u16_sdwa s[12:13], v6, s4 src0_sel:BYTE_0 src1_sel:DWORD
	s_mov_b64 s[4:5], -1
                                        ; implicit-def: $sgpr10
	s_and_saveexec_b64 s[8:9], s[12:13]
; %bb.26922:
	s_mov_b32 s10, 0x7f800001
	s_xor_b64 s[4:5], exec, -1
; %bb.26923:
	s_or_b64 exec, exec, s[8:9]
	s_and_b64 s[4:5], s[4:5], exec
	s_or_saveexec_b64 s[6:7], s[6:7]
	v_mov_b32_e32 v2, s10
	s_xor_b64 exec, exec, s[6:7]
	s_cbranch_execnz .LBB1_26924
; %bb.62761:
	s_getpc_b64 s[14:15]
.Lpost_getpc17044:
	s_add_u32 s14, s14, (.LBB1_12586-.Lpost_getpc17044)&4294967295
	s_addc_u32 s15, s15, (.LBB1_12586-.Lpost_getpc17044)>>32
	s_setpc_b64 s[14:15]
.LBB1_26924:
	v_mov_b32_e32 v2, 0
	v_cmp_ne_u16_sdwa s[8:9], v6, v2 src0_sel:BYTE_0 src1_sel:DWORD
	s_andn2_b64 s[4:5], s[4:5], exec
	s_and_b64 s[8:9], s[8:9], exec
	s_or_b64 s[4:5], s[4:5], s[8:9]
	s_or_b64 exec, exec, s[6:7]
	s_and_saveexec_b64 s[6:7], s[4:5]
	s_cbranch_execz .LBB1_34965
; %bb.62763:
	s_getpc_b64 s[14:15]
.Lpost_getpc17045:
	s_add_u32 s14, s14, (.LBB1_12587-.Lpost_getpc17045)&4294967295
	s_addc_u32 s15, s15, (.LBB1_12587-.Lpost_getpc17045)>>32
	s_setpc_b64 s[14:15]
.LBB1_34965:
	s_getpc_b64 s[14:15]
.Lpost_getpc3146:
	s_add_u32 s14, s14, (.LBB1_12588-.Lpost_getpc3146)&4294967295
	s_addc_u32 s15, s15, (.LBB1_12588-.Lpost_getpc3146)>>32
	s_setpc_b64 s[14:15]
.LBB1_26925:
	s_movk_i32 s4, 0x80
	v_cmp_eq_u16_sdwa s[12:13], v6, s4 src0_sel:BYTE_0 src1_sel:DWORD
	s_mov_b64 s[4:5], -1
                                        ; implicit-def: $sgpr10
	s_and_saveexec_b64 s[8:9], s[12:13]
; %bb.26926:
	s_mov_b32 s10, 0x7f800001
	s_xor_b64 s[4:5], exec, -1
; %bb.26927:
	s_or_b64 exec, exec, s[8:9]
	s_and_b64 s[4:5], s[4:5], exec
	s_or_saveexec_b64 s[6:7], s[6:7]
	v_mov_b32_e32 v12, s10
	s_xor_b64 exec, exec, s[6:7]
	s_cbranch_execnz .LBB1_26928
; %bb.62765:
	s_getpc_b64 s[14:15]
.Lpost_getpc17046:
	s_add_u32 s14, s14, (.LBB1_12590-.Lpost_getpc17046)&4294967295
	s_addc_u32 s15, s15, (.LBB1_12590-.Lpost_getpc17046)>>32
	s_setpc_b64 s[14:15]
.LBB1_26928:
	v_mov_b32_e32 v12, 0
	v_cmp_ne_u16_sdwa s[8:9], v6, v12 src0_sel:BYTE_0 src1_sel:DWORD
	s_andn2_b64 s[4:5], s[4:5], exec
	s_and_b64 s[8:9], s[8:9], exec
	s_or_b64 s[4:5], s[4:5], s[8:9]
	s_or_b64 exec, exec, s[6:7]
	s_and_saveexec_b64 s[6:7], s[4:5]
	s_cbranch_execz .LBB1_34967
; %bb.62767:
	s_getpc_b64 s[14:15]
.Lpost_getpc17047:
	s_add_u32 s14, s14, (.LBB1_12591-.Lpost_getpc17047)&4294967295
	s_addc_u32 s15, s15, (.LBB1_12591-.Lpost_getpc17047)>>32
	s_setpc_b64 s[14:15]
.LBB1_34967:
	s_getpc_b64 s[14:15]
.Lpost_getpc3147:
	s_add_u32 s14, s14, (.LBB1_12592-.Lpost_getpc3147)&4294967295
	s_addc_u32 s15, s15, (.LBB1_12592-.Lpost_getpc3147)>>32
	s_setpc_b64 s[14:15]
.LBB1_26929:
	s_movk_i32 s4, 0x80
	v_cmp_eq_u16_e32 vcc, s4, v6
	s_mov_b64 s[4:5], -1
                                        ; implicit-def: $sgpr10
	s_and_saveexec_b64 s[8:9], vcc
; %bb.26930:
	s_mov_b32 s10, 0x7f800001
	s_xor_b64 s[4:5], exec, -1
; %bb.26931:
	s_or_b64 exec, exec, s[8:9]
	s_and_b64 s[4:5], s[4:5], exec
                                        ; implicit-def: $vgpr6
	s_or_saveexec_b64 s[6:7], s[6:7]
	v_mov_b32_e32 v2, s10
	s_xor_b64 exec, exec, s[6:7]
	s_cbranch_execnz .LBB1_26932
; %bb.62769:
	s_getpc_b64 s[14:15]
.Lpost_getpc17048:
	s_add_u32 s14, s14, (.LBB1_12594-.Lpost_getpc17048)&4294967295
	s_addc_u32 s15, s15, (.LBB1_12594-.Lpost_getpc17048)>>32
	s_setpc_b64 s[14:15]
.LBB1_26932:
	v_cmp_ne_u16_e32 vcc, 0, v6
	s_andn2_b64 s[4:5], s[4:5], exec
	s_and_b64 s[8:9], vcc, exec
	v_mov_b32_e32 v2, 0
	s_or_b64 s[4:5], s[4:5], s[8:9]
	s_or_b64 exec, exec, s[6:7]
	s_and_saveexec_b64 s[6:7], s[4:5]
	s_cbranch_execz .LBB1_34969
; %bb.62771:
	s_getpc_b64 s[14:15]
.Lpost_getpc17049:
	s_add_u32 s14, s14, (.LBB1_12595-.Lpost_getpc17049)&4294967295
	s_addc_u32 s15, s15, (.LBB1_12595-.Lpost_getpc17049)>>32
	s_setpc_b64 s[14:15]
.LBB1_34969:
	s_getpc_b64 s[14:15]
.Lpost_getpc3148:
	s_add_u32 s14, s14, (.LBB1_12596-.Lpost_getpc3148)&4294967295
	s_addc_u32 s15, s15, (.LBB1_12596-.Lpost_getpc3148)>>32
	s_setpc_b64 s[14:15]
.LBB1_26933:
	s_movk_i32 s4, 0x80
	v_cmp_eq_u16_e32 vcc, s4, v6
	s_mov_b64 s[4:5], -1
                                        ; implicit-def: $sgpr10
	s_and_saveexec_b64 s[8:9], vcc
; %bb.26934:
	s_mov_b32 s10, 0x7f800001
	s_xor_b64 s[4:5], exec, -1
; %bb.26935:
	s_or_b64 exec, exec, s[8:9]
	s_and_b64 s[4:5], s[4:5], exec
                                        ; implicit-def: $vgpr6
	s_or_saveexec_b64 s[6:7], s[6:7]
	v_mov_b32_e32 v12, s10
	s_xor_b64 exec, exec, s[6:7]
	s_cbranch_execnz .LBB1_26936
; %bb.62773:
	s_getpc_b64 s[14:15]
.Lpost_getpc17050:
	s_add_u32 s14, s14, (.LBB1_12598-.Lpost_getpc17050)&4294967295
	s_addc_u32 s15, s15, (.LBB1_12598-.Lpost_getpc17050)>>32
	s_setpc_b64 s[14:15]
.LBB1_26936:
	v_cmp_ne_u16_e32 vcc, 0, v6
	s_andn2_b64 s[4:5], s[4:5], exec
	s_and_b64 s[8:9], vcc, exec
	v_mov_b32_e32 v12, 0
	s_or_b64 s[4:5], s[4:5], s[8:9]
	s_or_b64 exec, exec, s[6:7]
	s_and_saveexec_b64 s[6:7], s[4:5]
	s_cbranch_execz .LBB1_34971
; %bb.62775:
	s_getpc_b64 s[14:15]
.Lpost_getpc17051:
	s_add_u32 s14, s14, (.LBB1_12599-.Lpost_getpc17051)&4294967295
	s_addc_u32 s15, s15, (.LBB1_12599-.Lpost_getpc17051)>>32
	s_setpc_b64 s[14:15]
.LBB1_34971:
	s_getpc_b64 s[14:15]
.Lpost_getpc3149:
	s_add_u32 s14, s14, (.LBB1_12600-.Lpost_getpc3149)&4294967295
	s_addc_u32 s15, s15, (.LBB1_12600-.Lpost_getpc3149)>>32
	s_setpc_b64 s[14:15]
.LBB1_26937:
	s_movk_i32 s4, 0x80
	v_cmp_eq_u16_sdwa s[12:13], v7, s4 src0_sel:BYTE_3 src1_sel:DWORD
	s_mov_b64 s[4:5], -1
                                        ; implicit-def: $sgpr10
	s_and_saveexec_b64 s[8:9], s[12:13]
; %bb.26938:
	s_mov_b32 s10, 0x7f800001
	s_xor_b64 s[4:5], exec, -1
; %bb.26939:
	s_or_b64 exec, exec, s[8:9]
	s_and_b64 s[4:5], s[4:5], exec
	s_or_saveexec_b64 s[6:7], s[6:7]
	v_mov_b32_e32 v2, s10
	s_xor_b64 exec, exec, s[6:7]
	s_cbranch_execnz .LBB1_26940
; %bb.62777:
	s_getpc_b64 s[14:15]
.Lpost_getpc17052:
	s_add_u32 s14, s14, (.LBB1_12602-.Lpost_getpc17052)&4294967295
	s_addc_u32 s15, s15, (.LBB1_12602-.Lpost_getpc17052)>>32
	s_setpc_b64 s[14:15]
.LBB1_26940:
	v_mov_b32_e32 v2, 0
	v_cmp_ne_u16_sdwa s[8:9], v7, v2 src0_sel:BYTE_3 src1_sel:DWORD
	s_andn2_b64 s[4:5], s[4:5], exec
	s_and_b64 s[8:9], s[8:9], exec
	s_or_b64 s[4:5], s[4:5], s[8:9]
	s_or_b64 exec, exec, s[6:7]
	s_and_saveexec_b64 s[6:7], s[4:5]
	s_cbranch_execz .LBB1_34973
; %bb.62779:
	s_getpc_b64 s[14:15]
.Lpost_getpc17053:
	s_add_u32 s14, s14, (.LBB1_12603-.Lpost_getpc17053)&4294967295
	s_addc_u32 s15, s15, (.LBB1_12603-.Lpost_getpc17053)>>32
	s_setpc_b64 s[14:15]
.LBB1_34973:
	s_getpc_b64 s[14:15]
.Lpost_getpc3150:
	s_add_u32 s14, s14, (.LBB1_12604-.Lpost_getpc3150)&4294967295
	s_addc_u32 s15, s15, (.LBB1_12604-.Lpost_getpc3150)>>32
	s_setpc_b64 s[14:15]
.LBB1_26941:
	s_movk_i32 s4, 0x80
	v_cmp_eq_u16_sdwa s[12:13], v3, s4 src0_sel:BYTE_3 src1_sel:DWORD
	s_mov_b64 s[4:5], -1
                                        ; implicit-def: $sgpr10
	s_and_saveexec_b64 s[8:9], s[12:13]
; %bb.26942:
	s_mov_b32 s10, 0x7f800001
	s_xor_b64 s[4:5], exec, -1
; %bb.26943:
	s_or_b64 exec, exec, s[8:9]
	s_and_b64 s[4:5], s[4:5], exec
	s_or_saveexec_b64 s[6:7], s[6:7]
	v_mov_b32_e32 v6, s10
	s_xor_b64 exec, exec, s[6:7]
	s_cbranch_execnz .LBB1_26944
; %bb.62781:
	s_getpc_b64 s[14:15]
.Lpost_getpc17054:
	s_add_u32 s14, s14, (.LBB1_12606-.Lpost_getpc17054)&4294967295
	s_addc_u32 s15, s15, (.LBB1_12606-.Lpost_getpc17054)>>32
	s_setpc_b64 s[14:15]
.LBB1_26944:
	v_mov_b32_e32 v6, 0
	v_cmp_ne_u16_sdwa s[8:9], v3, v6 src0_sel:BYTE_3 src1_sel:DWORD
	s_andn2_b64 s[4:5], s[4:5], exec
	s_and_b64 s[8:9], s[8:9], exec
	s_or_b64 s[4:5], s[4:5], s[8:9]
	s_or_b64 exec, exec, s[6:7]
	s_and_saveexec_b64 s[6:7], s[4:5]
	s_cbranch_execz .LBB1_34975
; %bb.62783:
	s_getpc_b64 s[14:15]
.Lpost_getpc17055:
	s_add_u32 s14, s14, (.LBB1_12607-.Lpost_getpc17055)&4294967295
	s_addc_u32 s15, s15, (.LBB1_12607-.Lpost_getpc17055)>>32
	s_setpc_b64 s[14:15]
.LBB1_34975:
	s_getpc_b64 s[14:15]
.Lpost_getpc3151:
	s_add_u32 s14, s14, (.LBB1_12608-.Lpost_getpc3151)&4294967295
	s_addc_u32 s15, s15, (.LBB1_12608-.Lpost_getpc3151)>>32
	s_setpc_b64 s[14:15]
.LBB1_26945:
	s_movk_i32 s4, 0x80
	v_cmp_eq_u16_sdwa s[12:13], v8, s4 src0_sel:BYTE_0 src1_sel:DWORD
	s_mov_b64 s[4:5], -1
                                        ; implicit-def: $sgpr10
	s_and_saveexec_b64 s[8:9], s[12:13]
; %bb.26946:
	s_mov_b32 s10, 0x7f800001
	s_xor_b64 s[4:5], exec, -1
; %bb.26947:
	s_or_b64 exec, exec, s[8:9]
	s_and_b64 s[4:5], s[4:5], exec
	s_or_saveexec_b64 s[6:7], s[6:7]
	v_mov_b32_e32 v2, s10
	s_xor_b64 exec, exec, s[6:7]
	s_cbranch_execnz .LBB1_26948
; %bb.62785:
	s_getpc_b64 s[14:15]
.Lpost_getpc17056:
	s_add_u32 s14, s14, (.LBB1_12610-.Lpost_getpc17056)&4294967295
	s_addc_u32 s15, s15, (.LBB1_12610-.Lpost_getpc17056)>>32
	s_setpc_b64 s[14:15]
.LBB1_26948:
	v_mov_b32_e32 v2, 0
	v_cmp_ne_u16_sdwa s[8:9], v8, v2 src0_sel:BYTE_0 src1_sel:DWORD
	s_andn2_b64 s[4:5], s[4:5], exec
	s_and_b64 s[8:9], s[8:9], exec
	s_or_b64 s[4:5], s[4:5], s[8:9]
	s_or_b64 exec, exec, s[6:7]
	s_and_saveexec_b64 s[6:7], s[4:5]
	s_cbranch_execz .LBB1_34977
; %bb.62787:
	s_getpc_b64 s[14:15]
.Lpost_getpc17057:
	s_add_u32 s14, s14, (.LBB1_12611-.Lpost_getpc17057)&4294967295
	s_addc_u32 s15, s15, (.LBB1_12611-.Lpost_getpc17057)>>32
	s_setpc_b64 s[14:15]
.LBB1_34977:
	s_getpc_b64 s[14:15]
.Lpost_getpc3152:
	s_add_u32 s14, s14, (.LBB1_12612-.Lpost_getpc3152)&4294967295
	s_addc_u32 s15, s15, (.LBB1_12612-.Lpost_getpc3152)>>32
	s_setpc_b64 s[14:15]
.LBB1_26949:
	s_movk_i32 s4, 0x80
	v_cmp_eq_u16_sdwa s[12:13], v4, s4 src0_sel:BYTE_0 src1_sel:DWORD
	s_mov_b64 s[4:5], -1
                                        ; implicit-def: $sgpr10
	s_and_saveexec_b64 s[8:9], s[12:13]
; %bb.26950:
	s_mov_b32 s10, 0x7f800001
	s_xor_b64 s[4:5], exec, -1
; %bb.26951:
	s_or_b64 exec, exec, s[8:9]
	s_and_b64 s[4:5], s[4:5], exec
	s_or_saveexec_b64 s[6:7], s[6:7]
	v_mov_b32_e32 v3, s10
	s_xor_b64 exec, exec, s[6:7]
	s_cbranch_execnz .LBB1_26952
; %bb.62789:
	s_getpc_b64 s[14:15]
.Lpost_getpc17058:
	s_add_u32 s14, s14, (.LBB1_12614-.Lpost_getpc17058)&4294967295
	s_addc_u32 s15, s15, (.LBB1_12614-.Lpost_getpc17058)>>32
	s_setpc_b64 s[14:15]
.LBB1_26952:
	v_mov_b32_e32 v3, 0
	v_cmp_ne_u16_sdwa s[8:9], v4, v3 src0_sel:BYTE_0 src1_sel:DWORD
	s_andn2_b64 s[4:5], s[4:5], exec
	s_and_b64 s[8:9], s[8:9], exec
	s_or_b64 s[4:5], s[4:5], s[8:9]
	s_or_b64 exec, exec, s[6:7]
	s_and_saveexec_b64 s[6:7], s[4:5]
	s_cbranch_execz .LBB1_34979
; %bb.62791:
	s_getpc_b64 s[14:15]
.Lpost_getpc17059:
	s_add_u32 s14, s14, (.LBB1_12615-.Lpost_getpc17059)&4294967295
	s_addc_u32 s15, s15, (.LBB1_12615-.Lpost_getpc17059)>>32
	s_setpc_b64 s[14:15]
.LBB1_34979:
	s_getpc_b64 s[14:15]
.Lpost_getpc3153:
	s_add_u32 s14, s14, (.LBB1_12616-.Lpost_getpc3153)&4294967295
	s_addc_u32 s15, s15, (.LBB1_12616-.Lpost_getpc3153)>>32
	s_setpc_b64 s[14:15]
.LBB1_26953:
	s_movk_i32 s4, 0x80
	v_cmp_eq_u16_sdwa s[12:13], v3, s4 src0_sel:BYTE_0 src1_sel:DWORD
	s_mov_b64 s[4:5], -1
                                        ; implicit-def: $sgpr10
	s_and_saveexec_b64 s[8:9], s[12:13]
; %bb.26954:
	s_mov_b32 s10, 0x7f800001
	s_xor_b64 s[4:5], exec, -1
; %bb.26955:
	s_or_b64 exec, exec, s[8:9]
	s_and_b64 s[4:5], s[4:5], exec
	s_or_saveexec_b64 s[6:7], s[6:7]
	v_mov_b32_e32 v2, s10
	s_xor_b64 exec, exec, s[6:7]
	s_cbranch_execnz .LBB1_26956
; %bb.62793:
	s_getpc_b64 s[14:15]
.Lpost_getpc17060:
	s_add_u32 s14, s14, (.LBB1_12618-.Lpost_getpc17060)&4294967295
	s_addc_u32 s15, s15, (.LBB1_12618-.Lpost_getpc17060)>>32
	s_setpc_b64 s[14:15]
.LBB1_26956:
	v_mov_b32_e32 v2, 0
	v_cmp_ne_u16_sdwa s[8:9], v3, v2 src0_sel:BYTE_0 src1_sel:DWORD
	s_andn2_b64 s[4:5], s[4:5], exec
	s_and_b64 s[8:9], s[8:9], exec
	s_or_b64 s[4:5], s[4:5], s[8:9]
	s_or_b64 exec, exec, s[6:7]
	s_and_saveexec_b64 s[6:7], s[4:5]
	s_cbranch_execz .LBB1_34981
; %bb.62795:
	s_getpc_b64 s[14:15]
.Lpost_getpc17061:
	s_add_u32 s14, s14, (.LBB1_12619-.Lpost_getpc17061)&4294967295
	s_addc_u32 s15, s15, (.LBB1_12619-.Lpost_getpc17061)>>32
	s_setpc_b64 s[14:15]
.LBB1_34981:
	s_getpc_b64 s[14:15]
.Lpost_getpc3154:
	s_add_u32 s14, s14, (.LBB1_12620-.Lpost_getpc3154)&4294967295
	s_addc_u32 s15, s15, (.LBB1_12620-.Lpost_getpc3154)>>32
	s_setpc_b64 s[14:15]
.LBB1_26957:
	s_movk_i32 s4, 0x80
	v_cmp_eq_u16_sdwa s[12:13], v3, s4 src0_sel:BYTE_0 src1_sel:DWORD
	s_mov_b64 s[4:5], -1
                                        ; implicit-def: $sgpr10
	s_and_saveexec_b64 s[8:9], s[12:13]
; %bb.26958:
	s_mov_b32 s10, 0x7f800001
	s_xor_b64 s[4:5], exec, -1
; %bb.26959:
	s_or_b64 exec, exec, s[8:9]
	s_and_b64 s[4:5], s[4:5], exec
	s_or_saveexec_b64 s[6:7], s[6:7]
	v_mov_b32_e32 v6, s10
	s_xor_b64 exec, exec, s[6:7]
	s_cbranch_execnz .LBB1_26960
; %bb.62797:
	s_getpc_b64 s[14:15]
.Lpost_getpc17062:
	s_add_u32 s14, s14, (.LBB1_12622-.Lpost_getpc17062)&4294967295
	s_addc_u32 s15, s15, (.LBB1_12622-.Lpost_getpc17062)>>32
	s_setpc_b64 s[14:15]
.LBB1_26960:
	v_mov_b32_e32 v6, 0
	v_cmp_ne_u16_sdwa s[8:9], v3, v6 src0_sel:BYTE_0 src1_sel:DWORD
	s_andn2_b64 s[4:5], s[4:5], exec
	s_and_b64 s[8:9], s[8:9], exec
	s_or_b64 s[4:5], s[4:5], s[8:9]
	s_or_b64 exec, exec, s[6:7]
	s_and_saveexec_b64 s[6:7], s[4:5]
	s_cbranch_execz .LBB1_34983
; %bb.62799:
	s_getpc_b64 s[14:15]
.Lpost_getpc17063:
	s_add_u32 s14, s14, (.LBB1_12623-.Lpost_getpc17063)&4294967295
	s_addc_u32 s15, s15, (.LBB1_12623-.Lpost_getpc17063)>>32
	s_setpc_b64 s[14:15]
.LBB1_34983:
	s_getpc_b64 s[14:15]
.Lpost_getpc3155:
	s_add_u32 s14, s14, (.LBB1_12624-.Lpost_getpc3155)&4294967295
	s_addc_u32 s15, s15, (.LBB1_12624-.Lpost_getpc3155)>>32
	s_setpc_b64 s[14:15]
.LBB1_26961:
	s_movk_i32 s4, 0x80
	v_cmp_eq_u16_e32 vcc, s4, v3
	s_mov_b64 s[4:5], -1
                                        ; implicit-def: $sgpr10
	s_and_saveexec_b64 s[8:9], vcc
; %bb.26962:
	s_mov_b32 s10, 0x7f800001
	s_xor_b64 s[4:5], exec, -1
; %bb.26963:
	s_or_b64 exec, exec, s[8:9]
	s_and_b64 s[4:5], s[4:5], exec
                                        ; implicit-def: $vgpr3
	s_or_saveexec_b64 s[6:7], s[6:7]
	v_mov_b32_e32 v2, s10
	s_xor_b64 exec, exec, s[6:7]
	s_cbranch_execnz .LBB1_26964
; %bb.62801:
	s_getpc_b64 s[14:15]
.Lpost_getpc17064:
	s_add_u32 s14, s14, (.LBB1_12626-.Lpost_getpc17064)&4294967295
	s_addc_u32 s15, s15, (.LBB1_12626-.Lpost_getpc17064)>>32
	s_setpc_b64 s[14:15]
.LBB1_26964:
	v_cmp_ne_u16_e32 vcc, 0, v3
	s_andn2_b64 s[4:5], s[4:5], exec
	s_and_b64 s[8:9], vcc, exec
	v_mov_b32_e32 v2, 0
	s_or_b64 s[4:5], s[4:5], s[8:9]
	s_or_b64 exec, exec, s[6:7]
	s_and_saveexec_b64 s[6:7], s[4:5]
	s_cbranch_execz .LBB1_34985
; %bb.62803:
	s_getpc_b64 s[14:15]
.Lpost_getpc17065:
	s_add_u32 s14, s14, (.LBB1_12627-.Lpost_getpc17065)&4294967295
	s_addc_u32 s15, s15, (.LBB1_12627-.Lpost_getpc17065)>>32
	s_setpc_b64 s[14:15]
.LBB1_34985:
	s_getpc_b64 s[14:15]
.Lpost_getpc3156:
	s_add_u32 s14, s14, (.LBB1_12628-.Lpost_getpc3156)&4294967295
	s_addc_u32 s15, s15, (.LBB1_12628-.Lpost_getpc3156)>>32
	s_setpc_b64 s[14:15]
.LBB1_26965:
	s_movk_i32 s4, 0x80
	v_cmp_eq_u16_e32 vcc, s4, v3
	s_mov_b64 s[4:5], -1
                                        ; implicit-def: $sgpr10
	s_and_saveexec_b64 s[8:9], vcc
; %bb.26966:
	s_mov_b32 s10, 0x7f800001
	s_xor_b64 s[4:5], exec, -1
; %bb.26967:
	s_or_b64 exec, exec, s[8:9]
	s_and_b64 s[4:5], s[4:5], exec
                                        ; implicit-def: $vgpr3
	s_or_saveexec_b64 s[6:7], s[6:7]
	v_mov_b32_e32 v6, s10
	s_xor_b64 exec, exec, s[6:7]
	s_cbranch_execnz .LBB1_26968
; %bb.62805:
	s_getpc_b64 s[14:15]
.Lpost_getpc17066:
	s_add_u32 s14, s14, (.LBB1_12630-.Lpost_getpc17066)&4294967295
	s_addc_u32 s15, s15, (.LBB1_12630-.Lpost_getpc17066)>>32
	s_setpc_b64 s[14:15]
.LBB1_26968:
	v_cmp_ne_u16_e32 vcc, 0, v3
	s_andn2_b64 s[4:5], s[4:5], exec
	s_and_b64 s[8:9], vcc, exec
	v_mov_b32_e32 v6, 0
	s_or_b64 s[4:5], s[4:5], s[8:9]
	s_or_b64 exec, exec, s[6:7]
	s_and_saveexec_b64 s[6:7], s[4:5]
	s_cbranch_execz .LBB1_34987
; %bb.62807:
	s_getpc_b64 s[14:15]
.Lpost_getpc17067:
	s_add_u32 s14, s14, (.LBB1_12631-.Lpost_getpc17067)&4294967295
	s_addc_u32 s15, s15, (.LBB1_12631-.Lpost_getpc17067)>>32
	s_setpc_b64 s[14:15]
.LBB1_34987:
	s_getpc_b64 s[14:15]
.Lpost_getpc3157:
	s_add_u32 s14, s14, (.LBB1_12632-.Lpost_getpc3157)&4294967295
	s_addc_u32 s15, s15, (.LBB1_12632-.Lpost_getpc3157)>>32
	s_setpc_b64 s[14:15]
.LBB1_26969:
	s_movk_i32 s4, 0x80
	v_cmp_eq_u16_sdwa s[12:13], v8, s4 src0_sel:BYTE_3 src1_sel:DWORD
	s_mov_b64 s[4:5], -1
                                        ; implicit-def: $sgpr10
	s_and_saveexec_b64 s[8:9], s[12:13]
; %bb.26970:
	s_mov_b32 s10, 0x7f800001
	s_xor_b64 s[4:5], exec, -1
; %bb.26971:
	s_or_b64 exec, exec, s[8:9]
	s_and_b64 s[4:5], s[4:5], exec
	s_or_saveexec_b64 s[6:7], s[6:7]
	v_mov_b32_e32 v2, s10
	s_xor_b64 exec, exec, s[6:7]
	s_cbranch_execnz .LBB1_26972
; %bb.62809:
	s_getpc_b64 s[14:15]
.Lpost_getpc17068:
	s_add_u32 s14, s14, (.LBB1_12634-.Lpost_getpc17068)&4294967295
	s_addc_u32 s15, s15, (.LBB1_12634-.Lpost_getpc17068)>>32
	s_setpc_b64 s[14:15]
.LBB1_26972:
	v_mov_b32_e32 v2, 0
	v_cmp_ne_u16_sdwa s[8:9], v8, v2 src0_sel:BYTE_3 src1_sel:DWORD
	s_andn2_b64 s[4:5], s[4:5], exec
	s_and_b64 s[8:9], s[8:9], exec
	s_or_b64 s[4:5], s[4:5], s[8:9]
	s_or_b64 exec, exec, s[6:7]
	s_and_saveexec_b64 s[6:7], s[4:5]
	s_cbranch_execz .LBB1_34989
; %bb.62811:
	s_getpc_b64 s[14:15]
.Lpost_getpc17069:
	s_add_u32 s14, s14, (.LBB1_12635-.Lpost_getpc17069)&4294967295
	s_addc_u32 s15, s15, (.LBB1_12635-.Lpost_getpc17069)>>32
	s_setpc_b64 s[14:15]
.LBB1_34989:
	s_getpc_b64 s[14:15]
.Lpost_getpc3158:
	s_add_u32 s14, s14, (.LBB1_12636-.Lpost_getpc3158)&4294967295
	s_addc_u32 s15, s15, (.LBB1_12636-.Lpost_getpc3158)>>32
	s_setpc_b64 s[14:15]
.LBB1_26973:
	s_movk_i32 s4, 0x80
	v_cmp_eq_u16_sdwa s[12:13], v4, s4 src0_sel:BYTE_3 src1_sel:DWORD
	s_mov_b64 s[4:5], -1
                                        ; implicit-def: $sgpr10
	s_and_saveexec_b64 s[8:9], s[12:13]
; %bb.26974:
	s_mov_b32 s10, 0x7f800001
	s_xor_b64 s[4:5], exec, -1
; %bb.26975:
	s_or_b64 exec, exec, s[8:9]
	s_and_b64 s[4:5], s[4:5], exec
	s_or_saveexec_b64 s[6:7], s[6:7]
	v_mov_b32_e32 v3, s10
	s_xor_b64 exec, exec, s[6:7]
	s_cbranch_execnz .LBB1_26976
; %bb.62813:
	s_getpc_b64 s[14:15]
.Lpost_getpc17070:
	s_add_u32 s14, s14, (.LBB1_12638-.Lpost_getpc17070)&4294967295
	s_addc_u32 s15, s15, (.LBB1_12638-.Lpost_getpc17070)>>32
	s_setpc_b64 s[14:15]
.LBB1_26976:
	v_mov_b32_e32 v3, 0
	v_cmp_ne_u16_sdwa s[8:9], v4, v3 src0_sel:BYTE_3 src1_sel:DWORD
	s_andn2_b64 s[4:5], s[4:5], exec
	s_and_b64 s[8:9], s[8:9], exec
	s_or_b64 s[4:5], s[4:5], s[8:9]
	s_or_b64 exec, exec, s[6:7]
	s_and_saveexec_b64 s[6:7], s[4:5]
	s_cbranch_execz .LBB1_34991
; %bb.62815:
	s_getpc_b64 s[14:15]
.Lpost_getpc17071:
	s_add_u32 s14, s14, (.LBB1_12639-.Lpost_getpc17071)&4294967295
	s_addc_u32 s15, s15, (.LBB1_12639-.Lpost_getpc17071)>>32
	s_setpc_b64 s[14:15]
.LBB1_34991:
	s_getpc_b64 s[14:15]
.Lpost_getpc3159:
	s_add_u32 s14, s14, (.LBB1_12640-.Lpost_getpc3159)&4294967295
	s_addc_u32 s15, s15, (.LBB1_12640-.Lpost_getpc3159)>>32
	s_setpc_b64 s[14:15]
.LBB1_26977:
	s_movk_i32 s4, 0x80
	v_cmp_eq_u16_sdwa s[12:13], v9, s4 src0_sel:BYTE_0 src1_sel:DWORD
	s_mov_b64 s[4:5], -1
                                        ; implicit-def: $sgpr10
	s_and_saveexec_b64 s[8:9], s[12:13]
; %bb.26978:
	s_mov_b32 s10, 0x7f800001
	s_xor_b64 s[4:5], exec, -1
; %bb.26979:
	s_or_b64 exec, exec, s[8:9]
	s_and_b64 s[4:5], s[4:5], exec
	s_or_saveexec_b64 s[6:7], s[6:7]
	v_mov_b32_e32 v2, s10
	s_xor_b64 exec, exec, s[6:7]
	s_cbranch_execnz .LBB1_26980
; %bb.62817:
	s_getpc_b64 s[14:15]
.Lpost_getpc17072:
	s_add_u32 s14, s14, (.LBB1_12642-.Lpost_getpc17072)&4294967295
	s_addc_u32 s15, s15, (.LBB1_12642-.Lpost_getpc17072)>>32
	s_setpc_b64 s[14:15]
.LBB1_26980:
	v_mov_b32_e32 v2, 0
	v_cmp_ne_u16_sdwa s[8:9], v9, v2 src0_sel:BYTE_0 src1_sel:DWORD
	s_andn2_b64 s[4:5], s[4:5], exec
	s_and_b64 s[8:9], s[8:9], exec
	s_or_b64 s[4:5], s[4:5], s[8:9]
	s_or_b64 exec, exec, s[6:7]
	s_and_saveexec_b64 s[6:7], s[4:5]
	s_cbranch_execz .LBB1_34993
; %bb.62819:
	s_getpc_b64 s[14:15]
.Lpost_getpc17073:
	s_add_u32 s14, s14, (.LBB1_12643-.Lpost_getpc17073)&4294967295
	s_addc_u32 s15, s15, (.LBB1_12643-.Lpost_getpc17073)>>32
	s_setpc_b64 s[14:15]
.LBB1_34993:
	s_getpc_b64 s[14:15]
.Lpost_getpc3160:
	s_add_u32 s14, s14, (.LBB1_12644-.Lpost_getpc3160)&4294967295
	s_addc_u32 s15, s15, (.LBB1_12644-.Lpost_getpc3160)>>32
	s_setpc_b64 s[14:15]
.LBB1_26981:
	s_movk_i32 s4, 0x80
	v_cmp_eq_u16_sdwa s[12:13], v5, s4 src0_sel:BYTE_0 src1_sel:DWORD
	s_mov_b64 s[4:5], -1
                                        ; implicit-def: $sgpr10
	s_and_saveexec_b64 s[8:9], s[12:13]
; %bb.26982:
	s_mov_b32 s10, 0x7f800001
	s_xor_b64 s[4:5], exec, -1
; %bb.26983:
	s_or_b64 exec, exec, s[8:9]
	s_and_b64 s[4:5], s[4:5], exec
	s_or_saveexec_b64 s[6:7], s[6:7]
	v_mov_b32_e32 v3, s10
	s_xor_b64 exec, exec, s[6:7]
	s_cbranch_execnz .LBB1_26984
; %bb.62821:
	s_getpc_b64 s[14:15]
.Lpost_getpc17074:
	s_add_u32 s14, s14, (.LBB1_12646-.Lpost_getpc17074)&4294967295
	s_addc_u32 s15, s15, (.LBB1_12646-.Lpost_getpc17074)>>32
	s_setpc_b64 s[14:15]
.LBB1_26984:
	v_mov_b32_e32 v3, 0
	v_cmp_ne_u16_sdwa s[8:9], v5, v3 src0_sel:BYTE_0 src1_sel:DWORD
	s_andn2_b64 s[4:5], s[4:5], exec
	s_and_b64 s[8:9], s[8:9], exec
	s_or_b64 s[4:5], s[4:5], s[8:9]
	s_or_b64 exec, exec, s[6:7]
	s_and_saveexec_b64 s[6:7], s[4:5]
	s_cbranch_execz .LBB1_34995
; %bb.62823:
	s_getpc_b64 s[14:15]
.Lpost_getpc17075:
	s_add_u32 s14, s14, (.LBB1_12647-.Lpost_getpc17075)&4294967295
	s_addc_u32 s15, s15, (.LBB1_12647-.Lpost_getpc17075)>>32
	s_setpc_b64 s[14:15]
.LBB1_34995:
	s_getpc_b64 s[14:15]
.Lpost_getpc3161:
	s_add_u32 s14, s14, (.LBB1_12648-.Lpost_getpc3161)&4294967295
	s_addc_u32 s15, s15, (.LBB1_12648-.Lpost_getpc3161)>>32
	s_setpc_b64 s[14:15]
.LBB1_26985:
	s_movk_i32 s4, 0x80
	v_cmp_eq_u16_sdwa s[12:13], v3, s4 src0_sel:BYTE_0 src1_sel:DWORD
	s_mov_b64 s[4:5], -1
                                        ; implicit-def: $sgpr10
	s_and_saveexec_b64 s[8:9], s[12:13]
; %bb.26986:
	s_mov_b32 s10, 0x7f800001
	s_xor_b64 s[4:5], exec, -1
; %bb.26987:
	s_or_b64 exec, exec, s[8:9]
	s_and_b64 s[4:5], s[4:5], exec
	s_or_saveexec_b64 s[6:7], s[6:7]
	v_mov_b32_e32 v2, s10
	s_xor_b64 exec, exec, s[6:7]
	s_cbranch_execnz .LBB1_26988
; %bb.62825:
	s_getpc_b64 s[14:15]
.Lpost_getpc17076:
	s_add_u32 s14, s14, (.LBB1_12650-.Lpost_getpc17076)&4294967295
	s_addc_u32 s15, s15, (.LBB1_12650-.Lpost_getpc17076)>>32
	s_setpc_b64 s[14:15]
.LBB1_26988:
	v_mov_b32_e32 v2, 0
	v_cmp_ne_u16_sdwa s[8:9], v3, v2 src0_sel:BYTE_0 src1_sel:DWORD
	s_andn2_b64 s[4:5], s[4:5], exec
	s_and_b64 s[8:9], s[8:9], exec
	s_or_b64 s[4:5], s[4:5], s[8:9]
	s_or_b64 exec, exec, s[6:7]
	s_and_saveexec_b64 s[6:7], s[4:5]
	s_cbranch_execz .LBB1_34997
; %bb.62827:
	s_getpc_b64 s[14:15]
.Lpost_getpc17077:
	s_add_u32 s14, s14, (.LBB1_12651-.Lpost_getpc17077)&4294967295
	s_addc_u32 s15, s15, (.LBB1_12651-.Lpost_getpc17077)>>32
	s_setpc_b64 s[14:15]
.LBB1_34997:
	s_getpc_b64 s[14:15]
.Lpost_getpc3162:
	s_add_u32 s14, s14, (.LBB1_12652-.Lpost_getpc3162)&4294967295
	s_addc_u32 s15, s15, (.LBB1_12652-.Lpost_getpc3162)>>32
	s_setpc_b64 s[14:15]
.LBB1_26989:
	s_movk_i32 s4, 0x80
	v_cmp_eq_u16_sdwa s[12:13], v3, s4 src0_sel:BYTE_0 src1_sel:DWORD
	s_mov_b64 s[4:5], -1
                                        ; implicit-def: $sgpr10
	s_and_saveexec_b64 s[8:9], s[12:13]
; %bb.26990:
	s_mov_b32 s10, 0x7f800001
	s_xor_b64 s[4:5], exec, -1
; %bb.26991:
	s_or_b64 exec, exec, s[8:9]
	s_and_b64 s[4:5], s[4:5], exec
	s_or_saveexec_b64 s[6:7], s[6:7]
	v_mov_b32_e32 v4, s10
	s_xor_b64 exec, exec, s[6:7]
	s_cbranch_execnz .LBB1_26992
; %bb.62829:
	s_getpc_b64 s[14:15]
.Lpost_getpc17078:
	s_add_u32 s14, s14, (.LBB1_12654-.Lpost_getpc17078)&4294967295
	s_addc_u32 s15, s15, (.LBB1_12654-.Lpost_getpc17078)>>32
	s_setpc_b64 s[14:15]
.LBB1_26992:
	v_mov_b32_e32 v4, 0
	v_cmp_ne_u16_sdwa s[8:9], v3, v4 src0_sel:BYTE_0 src1_sel:DWORD
	s_andn2_b64 s[4:5], s[4:5], exec
	s_and_b64 s[8:9], s[8:9], exec
	s_or_b64 s[4:5], s[4:5], s[8:9]
	s_or_b64 exec, exec, s[6:7]
	s_and_saveexec_b64 s[6:7], s[4:5]
	s_cbranch_execz .LBB1_34999
; %bb.62831:
	s_getpc_b64 s[14:15]
.Lpost_getpc17079:
	s_add_u32 s14, s14, (.LBB1_12655-.Lpost_getpc17079)&4294967295
	s_addc_u32 s15, s15, (.LBB1_12655-.Lpost_getpc17079)>>32
	s_setpc_b64 s[14:15]
.LBB1_34999:
	s_getpc_b64 s[14:15]
.Lpost_getpc3163:
	s_add_u32 s14, s14, (.LBB1_12656-.Lpost_getpc3163)&4294967295
	s_addc_u32 s15, s15, (.LBB1_12656-.Lpost_getpc3163)>>32
	s_setpc_b64 s[14:15]
.LBB1_26993:
	s_movk_i32 s4, 0x80
	v_cmp_eq_u16_e32 vcc, s4, v3
	s_mov_b64 s[4:5], -1
                                        ; implicit-def: $sgpr10
	s_and_saveexec_b64 s[8:9], vcc
; %bb.26994:
	s_mov_b32 s10, 0x7f800001
	s_xor_b64 s[4:5], exec, -1
; %bb.26995:
	s_or_b64 exec, exec, s[8:9]
	s_and_b64 s[4:5], s[4:5], exec
                                        ; implicit-def: $vgpr3
	s_or_saveexec_b64 s[6:7], s[6:7]
	v_mov_b32_e32 v2, s10
	s_xor_b64 exec, exec, s[6:7]
	s_cbranch_execnz .LBB1_26996
; %bb.62833:
	s_getpc_b64 s[14:15]
.Lpost_getpc17080:
	s_add_u32 s14, s14, (.LBB1_12658-.Lpost_getpc17080)&4294967295
	s_addc_u32 s15, s15, (.LBB1_12658-.Lpost_getpc17080)>>32
	s_setpc_b64 s[14:15]
.LBB1_26996:
	v_cmp_ne_u16_e32 vcc, 0, v3
	s_andn2_b64 s[4:5], s[4:5], exec
	s_and_b64 s[8:9], vcc, exec
	v_mov_b32_e32 v2, 0
	s_or_b64 s[4:5], s[4:5], s[8:9]
	s_or_b64 exec, exec, s[6:7]
	s_and_saveexec_b64 s[6:7], s[4:5]
	s_cbranch_execz .LBB1_35001
; %bb.62835:
	s_getpc_b64 s[14:15]
.Lpost_getpc17081:
	s_add_u32 s14, s14, (.LBB1_12659-.Lpost_getpc17081)&4294967295
	s_addc_u32 s15, s15, (.LBB1_12659-.Lpost_getpc17081)>>32
	s_setpc_b64 s[14:15]
.LBB1_35001:
	s_getpc_b64 s[14:15]
.Lpost_getpc3164:
	s_add_u32 s14, s14, (.LBB1_12660-.Lpost_getpc3164)&4294967295
	s_addc_u32 s15, s15, (.LBB1_12660-.Lpost_getpc3164)>>32
	s_setpc_b64 s[14:15]
.LBB1_26997:
	s_movk_i32 s4, 0x80
	v_cmp_eq_u16_e32 vcc, s4, v3
	s_mov_b64 s[4:5], -1
                                        ; implicit-def: $sgpr10
	s_and_saveexec_b64 s[8:9], vcc
; %bb.26998:
	s_mov_b32 s10, 0x7f800001
	s_xor_b64 s[4:5], exec, -1
; %bb.26999:
	s_or_b64 exec, exec, s[8:9]
	s_and_b64 s[4:5], s[4:5], exec
                                        ; implicit-def: $vgpr3
	s_or_saveexec_b64 s[6:7], s[6:7]
	v_mov_b32_e32 v4, s10
	s_xor_b64 exec, exec, s[6:7]
	s_cbranch_execnz .LBB1_27000
; %bb.62837:
	s_getpc_b64 s[14:15]
.Lpost_getpc17082:
	s_add_u32 s14, s14, (.LBB1_12662-.Lpost_getpc17082)&4294967295
	s_addc_u32 s15, s15, (.LBB1_12662-.Lpost_getpc17082)>>32
	s_setpc_b64 s[14:15]
.LBB1_27000:
	v_cmp_ne_u16_e32 vcc, 0, v3
	s_andn2_b64 s[4:5], s[4:5], exec
	s_and_b64 s[8:9], vcc, exec
	v_mov_b32_e32 v4, 0
	s_or_b64 s[4:5], s[4:5], s[8:9]
	s_or_b64 exec, exec, s[6:7]
	s_and_saveexec_b64 s[6:7], s[4:5]
	s_cbranch_execz .LBB1_35003
; %bb.62839:
	s_getpc_b64 s[14:15]
.Lpost_getpc17083:
	s_add_u32 s14, s14, (.LBB1_12663-.Lpost_getpc17083)&4294967295
	s_addc_u32 s15, s15, (.LBB1_12663-.Lpost_getpc17083)>>32
	s_setpc_b64 s[14:15]
.LBB1_35003:
	s_getpc_b64 s[14:15]
.Lpost_getpc3165:
	s_add_u32 s14, s14, (.LBB1_12664-.Lpost_getpc3165)&4294967295
	s_addc_u32 s15, s15, (.LBB1_12664-.Lpost_getpc3165)>>32
	s_setpc_b64 s[14:15]
.LBB1_27001:
	s_movk_i32 s4, 0x80
	v_cmp_eq_u16_sdwa s[12:13], v9, s4 src0_sel:BYTE_3 src1_sel:DWORD
	s_mov_b64 s[4:5], -1
                                        ; implicit-def: $sgpr10
	s_and_saveexec_b64 s[8:9], s[12:13]
; %bb.27002:
	s_mov_b32 s10, 0x7f800001
	s_xor_b64 s[4:5], exec, -1
; %bb.27003:
	s_or_b64 exec, exec, s[8:9]
	s_and_b64 s[4:5], s[4:5], exec
	s_or_saveexec_b64 s[6:7], s[6:7]
	v_mov_b32_e32 v2, s10
	s_xor_b64 exec, exec, s[6:7]
	s_cbranch_execnz .LBB1_27004
; %bb.62841:
	s_getpc_b64 s[14:15]
.Lpost_getpc17084:
	s_add_u32 s14, s14, (.LBB1_12666-.Lpost_getpc17084)&4294967295
	s_addc_u32 s15, s15, (.LBB1_12666-.Lpost_getpc17084)>>32
	s_setpc_b64 s[14:15]
.LBB1_27004:
	v_mov_b32_e32 v2, 0
	v_cmp_ne_u16_sdwa s[8:9], v9, v2 src0_sel:BYTE_3 src1_sel:DWORD
	s_andn2_b64 s[4:5], s[4:5], exec
	s_and_b64 s[8:9], s[8:9], exec
	s_or_b64 s[4:5], s[4:5], s[8:9]
	s_or_b64 exec, exec, s[6:7]
	s_and_saveexec_b64 s[6:7], s[4:5]
	s_cbranch_execz .LBB1_35005
; %bb.62843:
	s_getpc_b64 s[14:15]
.Lpost_getpc17085:
	s_add_u32 s14, s14, (.LBB1_12667-.Lpost_getpc17085)&4294967295
	s_addc_u32 s15, s15, (.LBB1_12667-.Lpost_getpc17085)>>32
	s_setpc_b64 s[14:15]
.LBB1_35005:
	s_getpc_b64 s[14:15]
.Lpost_getpc3166:
	s_add_u32 s14, s14, (.LBB1_12668-.Lpost_getpc3166)&4294967295
	s_addc_u32 s15, s15, (.LBB1_12668-.Lpost_getpc3166)>>32
	s_setpc_b64 s[14:15]
.LBB1_27005:
	s_movk_i32 s4, 0x80
	v_cmp_eq_u16_sdwa s[12:13], v5, s4 src0_sel:BYTE_3 src1_sel:DWORD
	s_mov_b64 s[4:5], -1
                                        ; implicit-def: $sgpr10
	s_and_saveexec_b64 s[8:9], s[12:13]
; %bb.27006:
	s_mov_b32 s10, 0x7f800001
	s_xor_b64 s[4:5], exec, -1
; %bb.27007:
	s_or_b64 exec, exec, s[8:9]
	s_and_b64 s[4:5], s[4:5], exec
	s_or_saveexec_b64 s[6:7], s[6:7]
	v_mov_b32_e32 v3, s10
	s_xor_b64 exec, exec, s[6:7]
	s_cbranch_execnz .LBB1_27008
; %bb.62845:
	s_getpc_b64 s[14:15]
.Lpost_getpc17086:
	s_add_u32 s14, s14, (.LBB1_12670-.Lpost_getpc17086)&4294967295
	s_addc_u32 s15, s15, (.LBB1_12670-.Lpost_getpc17086)>>32
	s_setpc_b64 s[14:15]
.LBB1_27008:
	v_mov_b32_e32 v3, 0
	v_cmp_ne_u16_sdwa s[8:9], v5, v3 src0_sel:BYTE_3 src1_sel:DWORD
	s_andn2_b64 s[4:5], s[4:5], exec
	s_and_b64 s[8:9], s[8:9], exec
	s_or_b64 s[4:5], s[4:5], s[8:9]
	s_or_b64 exec, exec, s[6:7]
	s_and_saveexec_b64 s[6:7], s[4:5]
	s_cbranch_execz .LBB1_35007
; %bb.62847:
	s_getpc_b64 s[14:15]
.Lpost_getpc17087:
	s_add_u32 s14, s14, (.LBB1_12671-.Lpost_getpc17087)&4294967295
	s_addc_u32 s15, s15, (.LBB1_12671-.Lpost_getpc17087)>>32
	s_setpc_b64 s[14:15]
.LBB1_35007:
	s_getpc_b64 s[14:15]
.Lpost_getpc3167:
	s_add_u32 s14, s14, (.LBB1_12672-.Lpost_getpc3167)&4294967295
	s_addc_u32 s15, s15, (.LBB1_12672-.Lpost_getpc3167)>>32
	s_setpc_b64 s[14:15]
.LBB1_27009:
	s_movk_i32 s4, 0x80
	v_cmp_eq_u16_sdwa s[12:13], v6, s4 src0_sel:BYTE_0 src1_sel:DWORD
	s_mov_b64 s[4:5], -1
                                        ; implicit-def: $sgpr10
	s_and_saveexec_b64 s[8:9], s[12:13]
; %bb.27010:
	s_mov_b32 s10, 0x7f800001
	s_xor_b64 s[4:5], exec, -1
; %bb.27011:
	s_or_b64 exec, exec, s[8:9]
	s_and_b64 s[4:5], s[4:5], exec
	s_or_saveexec_b64 s[6:7], s[6:7]
	v_mov_b32_e32 v12, s10
	s_xor_b64 exec, exec, s[6:7]
	s_cbranch_execnz .LBB1_27012
; %bb.62849:
	s_getpc_b64 s[14:15]
.Lpost_getpc17088:
	s_add_u32 s14, s14, (.LBB1_12674-.Lpost_getpc17088)&4294967295
	s_addc_u32 s15, s15, (.LBB1_12674-.Lpost_getpc17088)>>32
	s_setpc_b64 s[14:15]
.LBB1_27012:
	v_mov_b32_e32 v12, 0
	v_cmp_ne_u16_sdwa s[8:9], v6, v12 src0_sel:BYTE_0 src1_sel:DWORD
	s_andn2_b64 s[4:5], s[4:5], exec
	s_and_b64 s[8:9], s[8:9], exec
	s_or_b64 s[4:5], s[4:5], s[8:9]
	s_or_b64 exec, exec, s[6:7]
	s_and_saveexec_b64 s[6:7], s[4:5]
	s_cbranch_execz .LBB1_35009
; %bb.62851:
	s_getpc_b64 s[14:15]
.Lpost_getpc17089:
	s_add_u32 s14, s14, (.LBB1_12675-.Lpost_getpc17089)&4294967295
	s_addc_u32 s15, s15, (.LBB1_12675-.Lpost_getpc17089)>>32
	s_setpc_b64 s[14:15]
.LBB1_35009:
	s_getpc_b64 s[14:15]
.Lpost_getpc3168:
	s_add_u32 s14, s14, (.LBB1_12676-.Lpost_getpc3168)&4294967295
	s_addc_u32 s15, s15, (.LBB1_12676-.Lpost_getpc3168)>>32
	s_setpc_b64 s[14:15]
.LBB1_27013:
	s_movk_i32 s4, 0x80
	v_cmp_eq_u16_sdwa s[12:13], v2, s4 src0_sel:BYTE_0 src1_sel:DWORD
	s_mov_b64 s[4:5], -1
                                        ; implicit-def: $sgpr10
	s_and_saveexec_b64 s[8:9], s[12:13]
; %bb.27014:
	s_mov_b32 s10, 0x7f800001
	s_xor_b64 s[4:5], exec, -1
; %bb.27015:
	s_or_b64 exec, exec, s[8:9]
	s_and_b64 s[4:5], s[4:5], exec
	s_or_saveexec_b64 s[6:7], s[6:7]
	v_mov_b32_e32 v13, s10
	s_xor_b64 exec, exec, s[6:7]
	s_cbranch_execnz .LBB1_27016
; %bb.62853:
	s_getpc_b64 s[14:15]
.Lpost_getpc17090:
	s_add_u32 s14, s14, (.LBB1_12678-.Lpost_getpc17090)&4294967295
	s_addc_u32 s15, s15, (.LBB1_12678-.Lpost_getpc17090)>>32
	s_setpc_b64 s[14:15]
.LBB1_27016:
	v_mov_b32_e32 v13, 0
	v_cmp_ne_u16_sdwa s[8:9], v2, v13 src0_sel:BYTE_0 src1_sel:DWORD
	s_andn2_b64 s[4:5], s[4:5], exec
	s_and_b64 s[8:9], s[8:9], exec
	s_or_b64 s[4:5], s[4:5], s[8:9]
	s_or_b64 exec, exec, s[6:7]
	s_and_saveexec_b64 s[6:7], s[4:5]
	s_cbranch_execz .LBB1_35011
; %bb.62855:
	s_getpc_b64 s[14:15]
.Lpost_getpc17091:
	s_add_u32 s14, s14, (.LBB1_12679-.Lpost_getpc17091)&4294967295
	s_addc_u32 s15, s15, (.LBB1_12679-.Lpost_getpc17091)>>32
	s_setpc_b64 s[14:15]
.LBB1_35011:
	s_getpc_b64 s[14:15]
.Lpost_getpc3169:
	s_add_u32 s14, s14, (.LBB1_12680-.Lpost_getpc3169)&4294967295
	s_addc_u32 s15, s15, (.LBB1_12680-.Lpost_getpc3169)>>32
	s_setpc_b64 s[14:15]
.LBB1_27017:
	s_movk_i32 s4, 0x80
	v_cmp_eq_u16_sdwa s[12:13], v13, s4 src0_sel:BYTE_0 src1_sel:DWORD
	s_mov_b64 s[4:5], -1
                                        ; implicit-def: $sgpr10
	s_and_saveexec_b64 s[8:9], s[12:13]
; %bb.27018:
	s_mov_b32 s10, 0x7f800001
	s_xor_b64 s[4:5], exec, -1
; %bb.27019:
	s_or_b64 exec, exec, s[8:9]
	s_and_b64 s[4:5], s[4:5], exec
	s_or_saveexec_b64 s[6:7], s[6:7]
	v_mov_b32_e32 v12, s10
	s_xor_b64 exec, exec, s[6:7]
	s_cbranch_execnz .LBB1_27020
; %bb.62857:
	s_getpc_b64 s[14:15]
.Lpost_getpc17092:
	s_add_u32 s14, s14, (.LBB1_12682-.Lpost_getpc17092)&4294967295
	s_addc_u32 s15, s15, (.LBB1_12682-.Lpost_getpc17092)>>32
	s_setpc_b64 s[14:15]
.LBB1_27020:
	v_mov_b32_e32 v12, 0
	v_cmp_ne_u16_sdwa s[8:9], v13, v12 src0_sel:BYTE_0 src1_sel:DWORD
	s_andn2_b64 s[4:5], s[4:5], exec
	s_and_b64 s[8:9], s[8:9], exec
	s_or_b64 s[4:5], s[4:5], s[8:9]
	s_or_b64 exec, exec, s[6:7]
	s_and_saveexec_b64 s[6:7], s[4:5]
	s_cbranch_execz .LBB1_35013
; %bb.62859:
	s_getpc_b64 s[14:15]
.Lpost_getpc17093:
	s_add_u32 s14, s14, (.LBB1_12683-.Lpost_getpc17093)&4294967295
	s_addc_u32 s15, s15, (.LBB1_12683-.Lpost_getpc17093)>>32
	s_setpc_b64 s[14:15]
.LBB1_35013:
	s_getpc_b64 s[14:15]
.Lpost_getpc3170:
	s_add_u32 s14, s14, (.LBB1_12684-.Lpost_getpc3170)&4294967295
	s_addc_u32 s15, s15, (.LBB1_12684-.Lpost_getpc3170)>>32
	s_setpc_b64 s[14:15]
.LBB1_27021:
	s_movk_i32 s4, 0x80
	v_cmp_eq_u16_sdwa s[12:13], v13, s4 src0_sel:BYTE_0 src1_sel:DWORD
	s_mov_b64 s[4:5], -1
                                        ; implicit-def: $sgpr10
	s_and_saveexec_b64 s[8:9], s[12:13]
; %bb.27022:
	s_mov_b32 s10, 0x7f800001
	s_xor_b64 s[4:5], exec, -1
; %bb.27023:
	s_or_b64 exec, exec, s[8:9]
	s_and_b64 s[4:5], s[4:5], exec
	s_or_saveexec_b64 s[6:7], s[6:7]
	v_mov_b32_e32 v14, s10
	s_xor_b64 exec, exec, s[6:7]
	s_cbranch_execnz .LBB1_27024
; %bb.62861:
	s_getpc_b64 s[14:15]
.Lpost_getpc17094:
	s_add_u32 s14, s14, (.LBB1_12686-.Lpost_getpc17094)&4294967295
	s_addc_u32 s15, s15, (.LBB1_12686-.Lpost_getpc17094)>>32
	s_setpc_b64 s[14:15]
.LBB1_27024:
	v_mov_b32_e32 v14, 0
	v_cmp_ne_u16_sdwa s[8:9], v13, v14 src0_sel:BYTE_0 src1_sel:DWORD
	s_andn2_b64 s[4:5], s[4:5], exec
	s_and_b64 s[8:9], s[8:9], exec
	s_or_b64 s[4:5], s[4:5], s[8:9]
	s_or_b64 exec, exec, s[6:7]
	s_and_saveexec_b64 s[6:7], s[4:5]
	s_cbranch_execz .LBB1_35015
; %bb.62863:
	s_getpc_b64 s[14:15]
.Lpost_getpc17095:
	s_add_u32 s14, s14, (.LBB1_12687-.Lpost_getpc17095)&4294967295
	s_addc_u32 s15, s15, (.LBB1_12687-.Lpost_getpc17095)>>32
	s_setpc_b64 s[14:15]
.LBB1_35015:
	s_getpc_b64 s[14:15]
.Lpost_getpc3171:
	s_add_u32 s14, s14, (.LBB1_12688-.Lpost_getpc3171)&4294967295
	s_addc_u32 s15, s15, (.LBB1_12688-.Lpost_getpc3171)>>32
	s_setpc_b64 s[14:15]
.LBB1_27025:
	s_movk_i32 s4, 0x80
	v_cmp_eq_u16_e32 vcc, s4, v13
	s_mov_b64 s[4:5], -1
                                        ; implicit-def: $sgpr10
	s_and_saveexec_b64 s[8:9], vcc
; %bb.27026:
	s_mov_b32 s10, 0x7f800001
	s_xor_b64 s[4:5], exec, -1
; %bb.27027:
	s_or_b64 exec, exec, s[8:9]
	s_and_b64 s[4:5], s[4:5], exec
                                        ; implicit-def: $vgpr13
	s_or_saveexec_b64 s[6:7], s[6:7]
	v_mov_b32_e32 v12, s10
	s_xor_b64 exec, exec, s[6:7]
	s_cbranch_execnz .LBB1_27028
; %bb.62865:
	s_getpc_b64 s[14:15]
.Lpost_getpc17096:
	s_add_u32 s14, s14, (.LBB1_12690-.Lpost_getpc17096)&4294967295
	s_addc_u32 s15, s15, (.LBB1_12690-.Lpost_getpc17096)>>32
	s_setpc_b64 s[14:15]
.LBB1_27028:
	v_cmp_ne_u16_e32 vcc, 0, v13
	s_andn2_b64 s[4:5], s[4:5], exec
	s_and_b64 s[8:9], vcc, exec
	v_mov_b32_e32 v12, 0
	s_or_b64 s[4:5], s[4:5], s[8:9]
	s_or_b64 exec, exec, s[6:7]
	s_and_saveexec_b64 s[6:7], s[4:5]
	s_cbranch_execz .LBB1_35017
; %bb.62867:
	s_getpc_b64 s[14:15]
.Lpost_getpc17097:
	s_add_u32 s14, s14, (.LBB1_12691-.Lpost_getpc17097)&4294967295
	s_addc_u32 s15, s15, (.LBB1_12691-.Lpost_getpc17097)>>32
	s_setpc_b64 s[14:15]
.LBB1_35017:
	s_getpc_b64 s[14:15]
.Lpost_getpc3172:
	s_add_u32 s14, s14, (.LBB1_12692-.Lpost_getpc3172)&4294967295
	s_addc_u32 s15, s15, (.LBB1_12692-.Lpost_getpc3172)>>32
	s_setpc_b64 s[14:15]
.LBB1_27029:
	s_movk_i32 s4, 0x80
	v_cmp_eq_u16_e32 vcc, s4, v13
	s_mov_b64 s[4:5], -1
                                        ; implicit-def: $sgpr10
	s_and_saveexec_b64 s[8:9], vcc
; %bb.27030:
	s_mov_b32 s10, 0x7f800001
	s_xor_b64 s[4:5], exec, -1
; %bb.27031:
	s_or_b64 exec, exec, s[8:9]
	s_and_b64 s[4:5], s[4:5], exec
                                        ; implicit-def: $vgpr13
	s_or_saveexec_b64 s[6:7], s[6:7]
	v_mov_b32_e32 v14, s10
	s_xor_b64 exec, exec, s[6:7]
	s_cbranch_execnz .LBB1_27032
; %bb.62869:
	s_getpc_b64 s[14:15]
.Lpost_getpc17098:
	s_add_u32 s14, s14, (.LBB1_12694-.Lpost_getpc17098)&4294967295
	s_addc_u32 s15, s15, (.LBB1_12694-.Lpost_getpc17098)>>32
	s_setpc_b64 s[14:15]
.LBB1_27032:
	v_cmp_ne_u16_e32 vcc, 0, v13
	s_andn2_b64 s[4:5], s[4:5], exec
	s_and_b64 s[8:9], vcc, exec
	v_mov_b32_e32 v14, 0
	s_or_b64 s[4:5], s[4:5], s[8:9]
	s_or_b64 exec, exec, s[6:7]
	s_and_saveexec_b64 s[6:7], s[4:5]
	s_cbranch_execz .LBB1_35019
; %bb.62871:
	s_getpc_b64 s[14:15]
.Lpost_getpc17099:
	s_add_u32 s14, s14, (.LBB1_12695-.Lpost_getpc17099)&4294967295
	s_addc_u32 s15, s15, (.LBB1_12695-.Lpost_getpc17099)>>32
	s_setpc_b64 s[14:15]
.LBB1_35019:
	s_getpc_b64 s[14:15]
.Lpost_getpc3173:
	s_add_u32 s14, s14, (.LBB1_12696-.Lpost_getpc3173)&4294967295
	s_addc_u32 s15, s15, (.LBB1_12696-.Lpost_getpc3173)>>32
	s_setpc_b64 s[14:15]
.LBB1_27033:
	s_movk_i32 s4, 0x80
	v_cmp_eq_u16_sdwa s[12:13], v6, s4 src0_sel:BYTE_3 src1_sel:DWORD
	s_mov_b64 s[4:5], -1
                                        ; implicit-def: $sgpr10
	s_and_saveexec_b64 s[8:9], s[12:13]
; %bb.27034:
	s_mov_b32 s10, 0x7f800001
	s_xor_b64 s[4:5], exec, -1
; %bb.27035:
	s_or_b64 exec, exec, s[8:9]
	s_and_b64 s[4:5], s[4:5], exec
	s_or_saveexec_b64 s[6:7], s[6:7]
	v_mov_b32_e32 v12, s10
	s_xor_b64 exec, exec, s[6:7]
	s_cbranch_execnz .LBB1_27036
; %bb.62873:
	s_getpc_b64 s[14:15]
.Lpost_getpc17100:
	s_add_u32 s14, s14, (.LBB1_12698-.Lpost_getpc17100)&4294967295
	s_addc_u32 s15, s15, (.LBB1_12698-.Lpost_getpc17100)>>32
	s_setpc_b64 s[14:15]
.LBB1_27036:
	v_mov_b32_e32 v12, 0
	v_cmp_ne_u16_sdwa s[8:9], v6, v12 src0_sel:BYTE_3 src1_sel:DWORD
	s_andn2_b64 s[4:5], s[4:5], exec
	s_and_b64 s[8:9], s[8:9], exec
	s_or_b64 s[4:5], s[4:5], s[8:9]
	s_or_b64 exec, exec, s[6:7]
	s_and_saveexec_b64 s[6:7], s[4:5]
	s_cbranch_execz .LBB1_35021
; %bb.62875:
	s_getpc_b64 s[14:15]
.Lpost_getpc17101:
	s_add_u32 s14, s14, (.LBB1_12699-.Lpost_getpc17101)&4294967295
	s_addc_u32 s15, s15, (.LBB1_12699-.Lpost_getpc17101)>>32
	s_setpc_b64 s[14:15]
.LBB1_35021:
	s_getpc_b64 s[14:15]
.Lpost_getpc3174:
	s_add_u32 s14, s14, (.LBB1_12700-.Lpost_getpc3174)&4294967295
	s_addc_u32 s15, s15, (.LBB1_12700-.Lpost_getpc3174)>>32
	s_setpc_b64 s[14:15]
.LBB1_27037:
	s_movk_i32 s4, 0x80
	v_cmp_eq_u16_sdwa s[12:13], v2, s4 src0_sel:BYTE_3 src1_sel:DWORD
	s_mov_b64 s[4:5], -1
                                        ; implicit-def: $sgpr10
	s_and_saveexec_b64 s[8:9], s[12:13]
; %bb.27038:
	s_mov_b32 s10, 0x7f800001
	s_xor_b64 s[4:5], exec, -1
; %bb.27039:
	s_or_b64 exec, exec, s[8:9]
	s_and_b64 s[4:5], s[4:5], exec
	s_or_saveexec_b64 s[6:7], s[6:7]
	v_mov_b32_e32 v6, s10
	s_xor_b64 exec, exec, s[6:7]
	s_cbranch_execnz .LBB1_27040
; %bb.62877:
	s_getpc_b64 s[14:15]
.Lpost_getpc17102:
	s_add_u32 s14, s14, (.LBB1_12702-.Lpost_getpc17102)&4294967295
	s_addc_u32 s15, s15, (.LBB1_12702-.Lpost_getpc17102)>>32
	s_setpc_b64 s[14:15]
.LBB1_27040:
	v_mov_b32_e32 v6, 0
	v_cmp_ne_u16_sdwa s[8:9], v2, v6 src0_sel:BYTE_3 src1_sel:DWORD
	s_andn2_b64 s[4:5], s[4:5], exec
	s_and_b64 s[8:9], s[8:9], exec
	s_or_b64 s[4:5], s[4:5], s[8:9]
	s_or_b64 exec, exec, s[6:7]
	s_and_saveexec_b64 s[6:7], s[4:5]
	s_cbranch_execz .LBB1_35023
; %bb.62879:
	s_getpc_b64 s[14:15]
.Lpost_getpc17103:
	s_add_u32 s14, s14, (.LBB1_12703-.Lpost_getpc17103)&4294967295
	s_addc_u32 s15, s15, (.LBB1_12703-.Lpost_getpc17103)>>32
	s_setpc_b64 s[14:15]
.LBB1_35023:
	s_getpc_b64 s[14:15]
.Lpost_getpc3175:
	s_add_u32 s14, s14, (.LBB1_12704-.Lpost_getpc3175)&4294967295
	s_addc_u32 s15, s15, (.LBB1_12704-.Lpost_getpc3175)>>32
	s_setpc_b64 s[14:15]
.LBB1_27041:
	s_movk_i32 s4, 0x80
	v_cmp_eq_u16_sdwa s[12:13], v7, s4 src0_sel:BYTE_0 src1_sel:DWORD
	s_mov_b64 s[4:5], -1
                                        ; implicit-def: $sgpr10
	s_and_saveexec_b64 s[8:9], s[12:13]
; %bb.27042:
	s_mov_b32 s10, 0x7f800001
	s_xor_b64 s[4:5], exec, -1
; %bb.27043:
	s_or_b64 exec, exec, s[8:9]
	s_and_b64 s[4:5], s[4:5], exec
	s_or_saveexec_b64 s[6:7], s[6:7]
	v_mov_b32_e32 v2, s10
	s_xor_b64 exec, exec, s[6:7]
	s_cbranch_execnz .LBB1_27044
; %bb.62881:
	s_getpc_b64 s[14:15]
.Lpost_getpc17104:
	s_add_u32 s14, s14, (.LBB1_12706-.Lpost_getpc17104)&4294967295
	s_addc_u32 s15, s15, (.LBB1_12706-.Lpost_getpc17104)>>32
	s_setpc_b64 s[14:15]
.LBB1_27044:
	v_mov_b32_e32 v2, 0
	v_cmp_ne_u16_sdwa s[8:9], v7, v2 src0_sel:BYTE_0 src1_sel:DWORD
	s_andn2_b64 s[4:5], s[4:5], exec
	s_and_b64 s[8:9], s[8:9], exec
	s_or_b64 s[4:5], s[4:5], s[8:9]
	s_or_b64 exec, exec, s[6:7]
	s_and_saveexec_b64 s[6:7], s[4:5]
	s_cbranch_execz .LBB1_35025
; %bb.62883:
	s_getpc_b64 s[14:15]
.Lpost_getpc17105:
	s_add_u32 s14, s14, (.LBB1_12707-.Lpost_getpc17105)&4294967295
	s_addc_u32 s15, s15, (.LBB1_12707-.Lpost_getpc17105)>>32
	s_setpc_b64 s[14:15]
.LBB1_35025:
	s_getpc_b64 s[14:15]
.Lpost_getpc3176:
	s_add_u32 s14, s14, (.LBB1_12708-.Lpost_getpc3176)&4294967295
	s_addc_u32 s15, s15, (.LBB1_12708-.Lpost_getpc3176)>>32
	s_setpc_b64 s[14:15]
.LBB1_27045:
	s_movk_i32 s4, 0x80
	v_cmp_eq_u16_sdwa s[12:13], v3, s4 src0_sel:BYTE_0 src1_sel:DWORD
	s_mov_b64 s[4:5], -1
                                        ; implicit-def: $sgpr10
	s_and_saveexec_b64 s[8:9], s[12:13]
; %bb.27046:
	s_mov_b32 s10, 0x7f800001
	s_xor_b64 s[4:5], exec, -1
; %bb.27047:
	s_or_b64 exec, exec, s[8:9]
	s_and_b64 s[4:5], s[4:5], exec
	s_or_saveexec_b64 s[6:7], s[6:7]
	v_mov_b32_e32 v6, s10
	s_xor_b64 exec, exec, s[6:7]
	s_cbranch_execnz .LBB1_27048
; %bb.62885:
	s_getpc_b64 s[14:15]
.Lpost_getpc17106:
	s_add_u32 s14, s14, (.LBB1_12710-.Lpost_getpc17106)&4294967295
	s_addc_u32 s15, s15, (.LBB1_12710-.Lpost_getpc17106)>>32
	s_setpc_b64 s[14:15]
.LBB1_27048:
	v_mov_b32_e32 v6, 0
	v_cmp_ne_u16_sdwa s[8:9], v3, v6 src0_sel:BYTE_0 src1_sel:DWORD
	s_andn2_b64 s[4:5], s[4:5], exec
	s_and_b64 s[8:9], s[8:9], exec
	s_or_b64 s[4:5], s[4:5], s[8:9]
	s_or_b64 exec, exec, s[6:7]
	s_and_saveexec_b64 s[6:7], s[4:5]
	s_cbranch_execz .LBB1_35027
; %bb.62887:
	s_getpc_b64 s[14:15]
.Lpost_getpc17107:
	s_add_u32 s14, s14, (.LBB1_12711-.Lpost_getpc17107)&4294967295
	s_addc_u32 s15, s15, (.LBB1_12711-.Lpost_getpc17107)>>32
	s_setpc_b64 s[14:15]
.LBB1_35027:
	s_getpc_b64 s[14:15]
.Lpost_getpc3177:
	s_add_u32 s14, s14, (.LBB1_12712-.Lpost_getpc3177)&4294967295
	s_addc_u32 s15, s15, (.LBB1_12712-.Lpost_getpc3177)>>32
	s_setpc_b64 s[14:15]
.LBB1_27049:
	s_movk_i32 s4, 0x80
	v_cmp_eq_u16_sdwa s[12:13], v6, s4 src0_sel:BYTE_0 src1_sel:DWORD
	s_mov_b64 s[4:5], -1
                                        ; implicit-def: $sgpr10
	s_and_saveexec_b64 s[8:9], s[12:13]
; %bb.27050:
	s_mov_b32 s10, 0x7f800001
	s_xor_b64 s[4:5], exec, -1
; %bb.27051:
	s_or_b64 exec, exec, s[8:9]
	s_and_b64 s[4:5], s[4:5], exec
	s_or_saveexec_b64 s[6:7], s[6:7]
	v_mov_b32_e32 v2, s10
	s_xor_b64 exec, exec, s[6:7]
	s_cbranch_execnz .LBB1_27052
; %bb.62889:
	s_getpc_b64 s[14:15]
.Lpost_getpc17108:
	s_add_u32 s14, s14, (.LBB1_12714-.Lpost_getpc17108)&4294967295
	s_addc_u32 s15, s15, (.LBB1_12714-.Lpost_getpc17108)>>32
	s_setpc_b64 s[14:15]
.LBB1_27052:
	v_mov_b32_e32 v2, 0
	v_cmp_ne_u16_sdwa s[8:9], v6, v2 src0_sel:BYTE_0 src1_sel:DWORD
	s_andn2_b64 s[4:5], s[4:5], exec
	s_and_b64 s[8:9], s[8:9], exec
	s_or_b64 s[4:5], s[4:5], s[8:9]
	s_or_b64 exec, exec, s[6:7]
	s_and_saveexec_b64 s[6:7], s[4:5]
	s_cbranch_execz .LBB1_35029
; %bb.62891:
	s_getpc_b64 s[14:15]
.Lpost_getpc17109:
	s_add_u32 s14, s14, (.LBB1_12715-.Lpost_getpc17109)&4294967295
	s_addc_u32 s15, s15, (.LBB1_12715-.Lpost_getpc17109)>>32
	s_setpc_b64 s[14:15]
.LBB1_35029:
	s_getpc_b64 s[14:15]
.Lpost_getpc3178:
	s_add_u32 s14, s14, (.LBB1_12716-.Lpost_getpc3178)&4294967295
	s_addc_u32 s15, s15, (.LBB1_12716-.Lpost_getpc3178)>>32
	s_setpc_b64 s[14:15]
.LBB1_27053:
	s_movk_i32 s4, 0x80
	v_cmp_eq_u16_sdwa s[12:13], v6, s4 src0_sel:BYTE_0 src1_sel:DWORD
	s_mov_b64 s[4:5], -1
                                        ; implicit-def: $sgpr10
	s_and_saveexec_b64 s[8:9], s[12:13]
; %bb.27054:
	s_mov_b32 s10, 0x7f800001
	s_xor_b64 s[4:5], exec, -1
; %bb.27055:
	s_or_b64 exec, exec, s[8:9]
	s_and_b64 s[4:5], s[4:5], exec
	s_or_saveexec_b64 s[6:7], s[6:7]
	v_mov_b32_e32 v12, s10
	s_xor_b64 exec, exec, s[6:7]
	s_cbranch_execnz .LBB1_27056
; %bb.62893:
	s_getpc_b64 s[14:15]
.Lpost_getpc17110:
	s_add_u32 s14, s14, (.LBB1_12718-.Lpost_getpc17110)&4294967295
	s_addc_u32 s15, s15, (.LBB1_12718-.Lpost_getpc17110)>>32
	s_setpc_b64 s[14:15]
.LBB1_27056:
	v_mov_b32_e32 v12, 0
	v_cmp_ne_u16_sdwa s[8:9], v6, v12 src0_sel:BYTE_0 src1_sel:DWORD
	s_andn2_b64 s[4:5], s[4:5], exec
	s_and_b64 s[8:9], s[8:9], exec
	s_or_b64 s[4:5], s[4:5], s[8:9]
	s_or_b64 exec, exec, s[6:7]
	s_and_saveexec_b64 s[6:7], s[4:5]
	s_cbranch_execz .LBB1_35031
; %bb.62895:
	s_getpc_b64 s[14:15]
.Lpost_getpc17111:
	s_add_u32 s14, s14, (.LBB1_12719-.Lpost_getpc17111)&4294967295
	s_addc_u32 s15, s15, (.LBB1_12719-.Lpost_getpc17111)>>32
	s_setpc_b64 s[14:15]
.LBB1_35031:
	s_getpc_b64 s[14:15]
.Lpost_getpc3179:
	s_add_u32 s14, s14, (.LBB1_12720-.Lpost_getpc3179)&4294967295
	s_addc_u32 s15, s15, (.LBB1_12720-.Lpost_getpc3179)>>32
	s_setpc_b64 s[14:15]
.LBB1_27057:
	s_movk_i32 s4, 0x80
	v_cmp_eq_u16_e32 vcc, s4, v6
	s_mov_b64 s[4:5], -1
                                        ; implicit-def: $sgpr10
	s_and_saveexec_b64 s[8:9], vcc
; %bb.27058:
	s_mov_b32 s10, 0x7f800001
	s_xor_b64 s[4:5], exec, -1
; %bb.27059:
	s_or_b64 exec, exec, s[8:9]
	s_and_b64 s[4:5], s[4:5], exec
                                        ; implicit-def: $vgpr6
	s_or_saveexec_b64 s[6:7], s[6:7]
	v_mov_b32_e32 v2, s10
	s_xor_b64 exec, exec, s[6:7]
	s_cbranch_execnz .LBB1_27060
; %bb.62897:
	s_getpc_b64 s[14:15]
.Lpost_getpc17112:
	s_add_u32 s14, s14, (.LBB1_12722-.Lpost_getpc17112)&4294967295
	s_addc_u32 s15, s15, (.LBB1_12722-.Lpost_getpc17112)>>32
	s_setpc_b64 s[14:15]
.LBB1_27060:
	v_cmp_ne_u16_e32 vcc, 0, v6
	s_andn2_b64 s[4:5], s[4:5], exec
	s_and_b64 s[8:9], vcc, exec
	v_mov_b32_e32 v2, 0
	s_or_b64 s[4:5], s[4:5], s[8:9]
	s_or_b64 exec, exec, s[6:7]
	s_and_saveexec_b64 s[6:7], s[4:5]
	s_cbranch_execz .LBB1_35033
; %bb.62899:
	s_getpc_b64 s[14:15]
.Lpost_getpc17113:
	s_add_u32 s14, s14, (.LBB1_12723-.Lpost_getpc17113)&4294967295
	s_addc_u32 s15, s15, (.LBB1_12723-.Lpost_getpc17113)>>32
	s_setpc_b64 s[14:15]
.LBB1_35033:
	s_getpc_b64 s[14:15]
.Lpost_getpc3180:
	s_add_u32 s14, s14, (.LBB1_12724-.Lpost_getpc3180)&4294967295
	s_addc_u32 s15, s15, (.LBB1_12724-.Lpost_getpc3180)>>32
	s_setpc_b64 s[14:15]
.LBB1_27061:
	s_movk_i32 s4, 0x80
	v_cmp_eq_u16_e32 vcc, s4, v6
	s_mov_b64 s[4:5], -1
                                        ; implicit-def: $sgpr10
	s_and_saveexec_b64 s[8:9], vcc
; %bb.27062:
	s_mov_b32 s10, 0x7f800001
	s_xor_b64 s[4:5], exec, -1
; %bb.27063:
	s_or_b64 exec, exec, s[8:9]
	s_and_b64 s[4:5], s[4:5], exec
                                        ; implicit-def: $vgpr6
	s_or_saveexec_b64 s[6:7], s[6:7]
	v_mov_b32_e32 v12, s10
	s_xor_b64 exec, exec, s[6:7]
	s_cbranch_execnz .LBB1_27064
; %bb.62901:
	s_getpc_b64 s[14:15]
.Lpost_getpc17114:
	s_add_u32 s14, s14, (.LBB1_12726-.Lpost_getpc17114)&4294967295
	s_addc_u32 s15, s15, (.LBB1_12726-.Lpost_getpc17114)>>32
	s_setpc_b64 s[14:15]
.LBB1_27064:
	v_cmp_ne_u16_e32 vcc, 0, v6
	s_andn2_b64 s[4:5], s[4:5], exec
	s_and_b64 s[8:9], vcc, exec
	v_mov_b32_e32 v12, 0
	s_or_b64 s[4:5], s[4:5], s[8:9]
	s_or_b64 exec, exec, s[6:7]
	s_and_saveexec_b64 s[6:7], s[4:5]
	s_cbranch_execz .LBB1_35035
; %bb.62903:
	s_getpc_b64 s[14:15]
.Lpost_getpc17115:
	s_add_u32 s14, s14, (.LBB1_12727-.Lpost_getpc17115)&4294967295
	s_addc_u32 s15, s15, (.LBB1_12727-.Lpost_getpc17115)>>32
	s_setpc_b64 s[14:15]
.LBB1_35035:
	s_getpc_b64 s[14:15]
.Lpost_getpc3181:
	s_add_u32 s14, s14, (.LBB1_12728-.Lpost_getpc3181)&4294967295
	s_addc_u32 s15, s15, (.LBB1_12728-.Lpost_getpc3181)>>32
	s_setpc_b64 s[14:15]
.LBB1_27065:
	s_movk_i32 s4, 0x80
	v_cmp_eq_u16_sdwa s[12:13], v7, s4 src0_sel:BYTE_3 src1_sel:DWORD
	s_mov_b64 s[4:5], -1
                                        ; implicit-def: $sgpr10
	s_and_saveexec_b64 s[8:9], s[12:13]
; %bb.27066:
	s_mov_b32 s10, 0x7f800001
	s_xor_b64 s[4:5], exec, -1
; %bb.27067:
	s_or_b64 exec, exec, s[8:9]
	s_and_b64 s[4:5], s[4:5], exec
	s_or_saveexec_b64 s[6:7], s[6:7]
	v_mov_b32_e32 v2, s10
	s_xor_b64 exec, exec, s[6:7]
	s_cbranch_execnz .LBB1_27068
; %bb.62905:
	s_getpc_b64 s[14:15]
.Lpost_getpc17116:
	s_add_u32 s14, s14, (.LBB1_12730-.Lpost_getpc17116)&4294967295
	s_addc_u32 s15, s15, (.LBB1_12730-.Lpost_getpc17116)>>32
	s_setpc_b64 s[14:15]
.LBB1_27068:
	v_mov_b32_e32 v2, 0
	v_cmp_ne_u16_sdwa s[8:9], v7, v2 src0_sel:BYTE_3 src1_sel:DWORD
	s_andn2_b64 s[4:5], s[4:5], exec
	s_and_b64 s[8:9], s[8:9], exec
	s_or_b64 s[4:5], s[4:5], s[8:9]
	s_or_b64 exec, exec, s[6:7]
	s_and_saveexec_b64 s[6:7], s[4:5]
	s_cbranch_execz .LBB1_35037
; %bb.62907:
	s_getpc_b64 s[14:15]
.Lpost_getpc17117:
	s_add_u32 s14, s14, (.LBB1_12731-.Lpost_getpc17117)&4294967295
	s_addc_u32 s15, s15, (.LBB1_12731-.Lpost_getpc17117)>>32
	s_setpc_b64 s[14:15]
.LBB1_35037:
	s_getpc_b64 s[14:15]
.Lpost_getpc3182:
	s_add_u32 s14, s14, (.LBB1_12732-.Lpost_getpc3182)&4294967295
	s_addc_u32 s15, s15, (.LBB1_12732-.Lpost_getpc3182)>>32
	s_setpc_b64 s[14:15]
.LBB1_27069:
	s_movk_i32 s4, 0x80
	v_cmp_eq_u16_sdwa s[12:13], v3, s4 src0_sel:BYTE_3 src1_sel:DWORD
	s_mov_b64 s[4:5], -1
                                        ; implicit-def: $sgpr10
	s_and_saveexec_b64 s[8:9], s[12:13]
; %bb.27070:
	s_mov_b32 s10, 0x7f800001
	s_xor_b64 s[4:5], exec, -1
; %bb.27071:
	s_or_b64 exec, exec, s[8:9]
	s_and_b64 s[4:5], s[4:5], exec
	s_or_saveexec_b64 s[6:7], s[6:7]
	v_mov_b32_e32 v6, s10
	s_xor_b64 exec, exec, s[6:7]
	s_cbranch_execnz .LBB1_27072
; %bb.62909:
	s_getpc_b64 s[14:15]
.Lpost_getpc17118:
	s_add_u32 s14, s14, (.LBB1_12734-.Lpost_getpc17118)&4294967295
	s_addc_u32 s15, s15, (.LBB1_12734-.Lpost_getpc17118)>>32
	s_setpc_b64 s[14:15]
.LBB1_27072:
	v_mov_b32_e32 v6, 0
	v_cmp_ne_u16_sdwa s[8:9], v3, v6 src0_sel:BYTE_3 src1_sel:DWORD
	s_andn2_b64 s[4:5], s[4:5], exec
	s_and_b64 s[8:9], s[8:9], exec
	s_or_b64 s[4:5], s[4:5], s[8:9]
	s_or_b64 exec, exec, s[6:7]
	s_and_saveexec_b64 s[6:7], s[4:5]
	s_cbranch_execz .LBB1_35039
; %bb.62911:
	s_getpc_b64 s[14:15]
.Lpost_getpc17119:
	s_add_u32 s14, s14, (.LBB1_12735-.Lpost_getpc17119)&4294967295
	s_addc_u32 s15, s15, (.LBB1_12735-.Lpost_getpc17119)>>32
	s_setpc_b64 s[14:15]
.LBB1_35039:
	s_getpc_b64 s[14:15]
.Lpost_getpc3183:
	s_add_u32 s14, s14, (.LBB1_12736-.Lpost_getpc3183)&4294967295
	s_addc_u32 s15, s15, (.LBB1_12736-.Lpost_getpc3183)>>32
	s_setpc_b64 s[14:15]
.LBB1_27073:
	s_movk_i32 s4, 0x80
	v_cmp_eq_u16_sdwa s[12:13], v8, s4 src0_sel:BYTE_0 src1_sel:DWORD
	s_mov_b64 s[4:5], -1
                                        ; implicit-def: $sgpr10
	s_and_saveexec_b64 s[8:9], s[12:13]
; %bb.27074:
	s_mov_b32 s10, 0x7f800001
	s_xor_b64 s[4:5], exec, -1
; %bb.27075:
	s_or_b64 exec, exec, s[8:9]
	s_and_b64 s[4:5], s[4:5], exec
	s_or_saveexec_b64 s[6:7], s[6:7]
	v_mov_b32_e32 v2, s10
	s_xor_b64 exec, exec, s[6:7]
	s_cbranch_execnz .LBB1_27076
; %bb.62913:
	s_getpc_b64 s[14:15]
.Lpost_getpc17120:
	s_add_u32 s14, s14, (.LBB1_12738-.Lpost_getpc17120)&4294967295
	s_addc_u32 s15, s15, (.LBB1_12738-.Lpost_getpc17120)>>32
	s_setpc_b64 s[14:15]
.LBB1_27076:
	v_mov_b32_e32 v2, 0
	v_cmp_ne_u16_sdwa s[8:9], v8, v2 src0_sel:BYTE_0 src1_sel:DWORD
	s_andn2_b64 s[4:5], s[4:5], exec
	s_and_b64 s[8:9], s[8:9], exec
	s_or_b64 s[4:5], s[4:5], s[8:9]
	s_or_b64 exec, exec, s[6:7]
	s_and_saveexec_b64 s[6:7], s[4:5]
	s_cbranch_execz .LBB1_35041
; %bb.62915:
	s_getpc_b64 s[14:15]
.Lpost_getpc17121:
	s_add_u32 s14, s14, (.LBB1_12739-.Lpost_getpc17121)&4294967295
	s_addc_u32 s15, s15, (.LBB1_12739-.Lpost_getpc17121)>>32
	s_setpc_b64 s[14:15]
.LBB1_35041:
	s_getpc_b64 s[14:15]
.Lpost_getpc3184:
	s_add_u32 s14, s14, (.LBB1_12740-.Lpost_getpc3184)&4294967295
	s_addc_u32 s15, s15, (.LBB1_12740-.Lpost_getpc3184)>>32
	s_setpc_b64 s[14:15]
.LBB1_27077:
	s_movk_i32 s4, 0x80
	v_cmp_eq_u16_sdwa s[12:13], v4, s4 src0_sel:BYTE_0 src1_sel:DWORD
	s_mov_b64 s[4:5], -1
                                        ; implicit-def: $sgpr10
	s_and_saveexec_b64 s[8:9], s[12:13]
; %bb.27078:
	s_mov_b32 s10, 0x7f800001
	s_xor_b64 s[4:5], exec, -1
; %bb.27079:
	s_or_b64 exec, exec, s[8:9]
	s_and_b64 s[4:5], s[4:5], exec
	s_or_saveexec_b64 s[6:7], s[6:7]
	v_mov_b32_e32 v3, s10
	s_xor_b64 exec, exec, s[6:7]
	s_cbranch_execnz .LBB1_27080
; %bb.62917:
	s_getpc_b64 s[14:15]
.Lpost_getpc17122:
	s_add_u32 s14, s14, (.LBB1_12742-.Lpost_getpc17122)&4294967295
	s_addc_u32 s15, s15, (.LBB1_12742-.Lpost_getpc17122)>>32
	s_setpc_b64 s[14:15]
.LBB1_27080:
	v_mov_b32_e32 v3, 0
	v_cmp_ne_u16_sdwa s[8:9], v4, v3 src0_sel:BYTE_0 src1_sel:DWORD
	s_andn2_b64 s[4:5], s[4:5], exec
	s_and_b64 s[8:9], s[8:9], exec
	s_or_b64 s[4:5], s[4:5], s[8:9]
	s_or_b64 exec, exec, s[6:7]
	s_and_saveexec_b64 s[6:7], s[4:5]
	s_cbranch_execz .LBB1_35043
; %bb.62919:
	s_getpc_b64 s[14:15]
.Lpost_getpc17123:
	s_add_u32 s14, s14, (.LBB1_12743-.Lpost_getpc17123)&4294967295
	s_addc_u32 s15, s15, (.LBB1_12743-.Lpost_getpc17123)>>32
	s_setpc_b64 s[14:15]
.LBB1_35043:
	s_getpc_b64 s[14:15]
.Lpost_getpc3185:
	s_add_u32 s14, s14, (.LBB1_12744-.Lpost_getpc3185)&4294967295
	s_addc_u32 s15, s15, (.LBB1_12744-.Lpost_getpc3185)>>32
	s_setpc_b64 s[14:15]
.LBB1_27081:
	s_movk_i32 s4, 0x80
	v_cmp_eq_u16_sdwa s[12:13], v3, s4 src0_sel:BYTE_0 src1_sel:DWORD
	s_mov_b64 s[4:5], -1
                                        ; implicit-def: $sgpr10
	s_and_saveexec_b64 s[8:9], s[12:13]
; %bb.27082:
	s_mov_b32 s10, 0x7f800001
	s_xor_b64 s[4:5], exec, -1
; %bb.27083:
	s_or_b64 exec, exec, s[8:9]
	s_and_b64 s[4:5], s[4:5], exec
	s_or_saveexec_b64 s[6:7], s[6:7]
	v_mov_b32_e32 v2, s10
	s_xor_b64 exec, exec, s[6:7]
	s_cbranch_execnz .LBB1_27084
; %bb.62921:
	s_getpc_b64 s[14:15]
.Lpost_getpc17124:
	s_add_u32 s14, s14, (.LBB1_12746-.Lpost_getpc17124)&4294967295
	s_addc_u32 s15, s15, (.LBB1_12746-.Lpost_getpc17124)>>32
	s_setpc_b64 s[14:15]
.LBB1_27084:
	v_mov_b32_e32 v2, 0
	v_cmp_ne_u16_sdwa s[8:9], v3, v2 src0_sel:BYTE_0 src1_sel:DWORD
	s_andn2_b64 s[4:5], s[4:5], exec
	s_and_b64 s[8:9], s[8:9], exec
	s_or_b64 s[4:5], s[4:5], s[8:9]
	s_or_b64 exec, exec, s[6:7]
	s_and_saveexec_b64 s[6:7], s[4:5]
	s_cbranch_execz .LBB1_35045
; %bb.62923:
	s_getpc_b64 s[14:15]
.Lpost_getpc17125:
	s_add_u32 s14, s14, (.LBB1_12747-.Lpost_getpc17125)&4294967295
	s_addc_u32 s15, s15, (.LBB1_12747-.Lpost_getpc17125)>>32
	s_setpc_b64 s[14:15]
.LBB1_35045:
	s_getpc_b64 s[14:15]
.Lpost_getpc3186:
	s_add_u32 s14, s14, (.LBB1_12748-.Lpost_getpc3186)&4294967295
	s_addc_u32 s15, s15, (.LBB1_12748-.Lpost_getpc3186)>>32
	s_setpc_b64 s[14:15]
.LBB1_27085:
	s_movk_i32 s4, 0x80
	v_cmp_eq_u16_sdwa s[12:13], v3, s4 src0_sel:BYTE_0 src1_sel:DWORD
	s_mov_b64 s[4:5], -1
                                        ; implicit-def: $sgpr10
	s_and_saveexec_b64 s[8:9], s[12:13]
; %bb.27086:
	s_mov_b32 s10, 0x7f800001
	s_xor_b64 s[4:5], exec, -1
; %bb.27087:
	s_or_b64 exec, exec, s[8:9]
	s_and_b64 s[4:5], s[4:5], exec
	s_or_saveexec_b64 s[6:7], s[6:7]
	v_mov_b32_e32 v6, s10
	s_xor_b64 exec, exec, s[6:7]
	s_cbranch_execnz .LBB1_27088
; %bb.62925:
	s_getpc_b64 s[14:15]
.Lpost_getpc17126:
	s_add_u32 s14, s14, (.LBB1_12750-.Lpost_getpc17126)&4294967295
	s_addc_u32 s15, s15, (.LBB1_12750-.Lpost_getpc17126)>>32
	s_setpc_b64 s[14:15]
.LBB1_27088:
	v_mov_b32_e32 v6, 0
	v_cmp_ne_u16_sdwa s[8:9], v3, v6 src0_sel:BYTE_0 src1_sel:DWORD
	s_andn2_b64 s[4:5], s[4:5], exec
	s_and_b64 s[8:9], s[8:9], exec
	s_or_b64 s[4:5], s[4:5], s[8:9]
	s_or_b64 exec, exec, s[6:7]
	s_and_saveexec_b64 s[6:7], s[4:5]
	s_cbranch_execz .LBB1_35047
; %bb.62927:
	s_getpc_b64 s[14:15]
.Lpost_getpc17127:
	s_add_u32 s14, s14, (.LBB1_12751-.Lpost_getpc17127)&4294967295
	s_addc_u32 s15, s15, (.LBB1_12751-.Lpost_getpc17127)>>32
	s_setpc_b64 s[14:15]
.LBB1_35047:
	s_getpc_b64 s[14:15]
.Lpost_getpc3187:
	s_add_u32 s14, s14, (.LBB1_12752-.Lpost_getpc3187)&4294967295
	s_addc_u32 s15, s15, (.LBB1_12752-.Lpost_getpc3187)>>32
	s_setpc_b64 s[14:15]
.LBB1_27089:
	s_movk_i32 s4, 0x80
	v_cmp_eq_u16_e32 vcc, s4, v3
	s_mov_b64 s[4:5], -1
                                        ; implicit-def: $sgpr10
	s_and_saveexec_b64 s[8:9], vcc
; %bb.27090:
	s_mov_b32 s10, 0x7f800001
	s_xor_b64 s[4:5], exec, -1
; %bb.27091:
	s_or_b64 exec, exec, s[8:9]
	s_and_b64 s[4:5], s[4:5], exec
                                        ; implicit-def: $vgpr3
	s_or_saveexec_b64 s[6:7], s[6:7]
	v_mov_b32_e32 v2, s10
	s_xor_b64 exec, exec, s[6:7]
	s_cbranch_execnz .LBB1_27092
; %bb.62929:
	s_getpc_b64 s[14:15]
.Lpost_getpc17128:
	s_add_u32 s14, s14, (.LBB1_12754-.Lpost_getpc17128)&4294967295
	s_addc_u32 s15, s15, (.LBB1_12754-.Lpost_getpc17128)>>32
	s_setpc_b64 s[14:15]
.LBB1_27092:
	v_cmp_ne_u16_e32 vcc, 0, v3
	s_andn2_b64 s[4:5], s[4:5], exec
	s_and_b64 s[8:9], vcc, exec
	v_mov_b32_e32 v2, 0
	s_or_b64 s[4:5], s[4:5], s[8:9]
	s_or_b64 exec, exec, s[6:7]
	s_and_saveexec_b64 s[6:7], s[4:5]
	s_cbranch_execz .LBB1_35049
; %bb.62931:
	s_getpc_b64 s[14:15]
.Lpost_getpc17129:
	s_add_u32 s14, s14, (.LBB1_12755-.Lpost_getpc17129)&4294967295
	s_addc_u32 s15, s15, (.LBB1_12755-.Lpost_getpc17129)>>32
	s_setpc_b64 s[14:15]
.LBB1_35049:
	s_getpc_b64 s[14:15]
.Lpost_getpc3188:
	s_add_u32 s14, s14, (.LBB1_12756-.Lpost_getpc3188)&4294967295
	s_addc_u32 s15, s15, (.LBB1_12756-.Lpost_getpc3188)>>32
	s_setpc_b64 s[14:15]
.LBB1_27093:
	s_movk_i32 s4, 0x80
	v_cmp_eq_u16_e32 vcc, s4, v3
	s_mov_b64 s[4:5], -1
                                        ; implicit-def: $sgpr10
	s_and_saveexec_b64 s[8:9], vcc
; %bb.27094:
	s_mov_b32 s10, 0x7f800001
	s_xor_b64 s[4:5], exec, -1
; %bb.27095:
	s_or_b64 exec, exec, s[8:9]
	s_and_b64 s[4:5], s[4:5], exec
                                        ; implicit-def: $vgpr3
	s_or_saveexec_b64 s[6:7], s[6:7]
	v_mov_b32_e32 v6, s10
	s_xor_b64 exec, exec, s[6:7]
	s_cbranch_execnz .LBB1_27096
; %bb.62933:
	s_getpc_b64 s[14:15]
.Lpost_getpc17130:
	s_add_u32 s14, s14, (.LBB1_12758-.Lpost_getpc17130)&4294967295
	s_addc_u32 s15, s15, (.LBB1_12758-.Lpost_getpc17130)>>32
	s_setpc_b64 s[14:15]
.LBB1_27096:
	v_cmp_ne_u16_e32 vcc, 0, v3
	s_andn2_b64 s[4:5], s[4:5], exec
	s_and_b64 s[8:9], vcc, exec
	v_mov_b32_e32 v6, 0
	s_or_b64 s[4:5], s[4:5], s[8:9]
	s_or_b64 exec, exec, s[6:7]
	s_and_saveexec_b64 s[6:7], s[4:5]
	s_cbranch_execz .LBB1_35051
; %bb.62935:
	s_getpc_b64 s[14:15]
.Lpost_getpc17131:
	s_add_u32 s14, s14, (.LBB1_12759-.Lpost_getpc17131)&4294967295
	s_addc_u32 s15, s15, (.LBB1_12759-.Lpost_getpc17131)>>32
	s_setpc_b64 s[14:15]
.LBB1_35051:
	s_getpc_b64 s[14:15]
.Lpost_getpc3189:
	s_add_u32 s14, s14, (.LBB1_12760-.Lpost_getpc3189)&4294967295
	s_addc_u32 s15, s15, (.LBB1_12760-.Lpost_getpc3189)>>32
	s_setpc_b64 s[14:15]
.LBB1_27097:
	s_movk_i32 s4, 0x80
	v_cmp_eq_u16_sdwa s[12:13], v8, s4 src0_sel:BYTE_3 src1_sel:DWORD
	s_mov_b64 s[4:5], -1
                                        ; implicit-def: $sgpr10
	s_and_saveexec_b64 s[8:9], s[12:13]
; %bb.27098:
	s_mov_b32 s10, 0x7f800001
	s_xor_b64 s[4:5], exec, -1
; %bb.27099:
	s_or_b64 exec, exec, s[8:9]
	s_and_b64 s[4:5], s[4:5], exec
	s_or_saveexec_b64 s[6:7], s[6:7]
	v_mov_b32_e32 v2, s10
	s_xor_b64 exec, exec, s[6:7]
	s_cbranch_execnz .LBB1_27100
; %bb.62937:
	s_getpc_b64 s[14:15]
.Lpost_getpc17132:
	s_add_u32 s14, s14, (.LBB1_12762-.Lpost_getpc17132)&4294967295
	s_addc_u32 s15, s15, (.LBB1_12762-.Lpost_getpc17132)>>32
	s_setpc_b64 s[14:15]
.LBB1_27100:
	v_mov_b32_e32 v2, 0
	v_cmp_ne_u16_sdwa s[8:9], v8, v2 src0_sel:BYTE_3 src1_sel:DWORD
	s_andn2_b64 s[4:5], s[4:5], exec
	s_and_b64 s[8:9], s[8:9], exec
	s_or_b64 s[4:5], s[4:5], s[8:9]
	s_or_b64 exec, exec, s[6:7]
	s_and_saveexec_b64 s[6:7], s[4:5]
	s_cbranch_execz .LBB1_35053
; %bb.62939:
	s_getpc_b64 s[14:15]
.Lpost_getpc17133:
	s_add_u32 s14, s14, (.LBB1_12763-.Lpost_getpc17133)&4294967295
	s_addc_u32 s15, s15, (.LBB1_12763-.Lpost_getpc17133)>>32
	s_setpc_b64 s[14:15]
.LBB1_35053:
	s_getpc_b64 s[14:15]
.Lpost_getpc3190:
	s_add_u32 s14, s14, (.LBB1_12764-.Lpost_getpc3190)&4294967295
	s_addc_u32 s15, s15, (.LBB1_12764-.Lpost_getpc3190)>>32
	s_setpc_b64 s[14:15]
.LBB1_27101:
	s_movk_i32 s4, 0x80
	v_cmp_eq_u16_sdwa s[12:13], v4, s4 src0_sel:BYTE_3 src1_sel:DWORD
	s_mov_b64 s[4:5], -1
                                        ; implicit-def: $sgpr10
	s_and_saveexec_b64 s[8:9], s[12:13]
; %bb.27102:
	s_mov_b32 s10, 0x7f800001
	s_xor_b64 s[4:5], exec, -1
; %bb.27103:
	s_or_b64 exec, exec, s[8:9]
	s_and_b64 s[4:5], s[4:5], exec
	s_or_saveexec_b64 s[6:7], s[6:7]
	v_mov_b32_e32 v3, s10
	s_xor_b64 exec, exec, s[6:7]
	s_cbranch_execnz .LBB1_27104
; %bb.62941:
	s_getpc_b64 s[14:15]
.Lpost_getpc17134:
	s_add_u32 s14, s14, (.LBB1_12766-.Lpost_getpc17134)&4294967295
	s_addc_u32 s15, s15, (.LBB1_12766-.Lpost_getpc17134)>>32
	s_setpc_b64 s[14:15]
.LBB1_27104:
	v_mov_b32_e32 v3, 0
	v_cmp_ne_u16_sdwa s[8:9], v4, v3 src0_sel:BYTE_3 src1_sel:DWORD
	s_andn2_b64 s[4:5], s[4:5], exec
	s_and_b64 s[8:9], s[8:9], exec
	s_or_b64 s[4:5], s[4:5], s[8:9]
	s_or_b64 exec, exec, s[6:7]
	s_and_saveexec_b64 s[6:7], s[4:5]
	s_cbranch_execz .LBB1_35055
; %bb.62943:
	s_getpc_b64 s[14:15]
.Lpost_getpc17135:
	s_add_u32 s14, s14, (.LBB1_12767-.Lpost_getpc17135)&4294967295
	s_addc_u32 s15, s15, (.LBB1_12767-.Lpost_getpc17135)>>32
	s_setpc_b64 s[14:15]
.LBB1_35055:
	s_getpc_b64 s[14:15]
.Lpost_getpc3191:
	s_add_u32 s14, s14, (.LBB1_12768-.Lpost_getpc3191)&4294967295
	s_addc_u32 s15, s15, (.LBB1_12768-.Lpost_getpc3191)>>32
	s_setpc_b64 s[14:15]
.LBB1_27105:
	s_movk_i32 s4, 0x80
	v_cmp_eq_u16_sdwa s[12:13], v9, s4 src0_sel:BYTE_0 src1_sel:DWORD
	s_mov_b64 s[4:5], -1
                                        ; implicit-def: $sgpr10
	s_and_saveexec_b64 s[8:9], s[12:13]
; %bb.27106:
	s_mov_b32 s10, 0x7f800001
	s_xor_b64 s[4:5], exec, -1
; %bb.27107:
	s_or_b64 exec, exec, s[8:9]
	s_and_b64 s[4:5], s[4:5], exec
	s_or_saveexec_b64 s[6:7], s[6:7]
	v_mov_b32_e32 v2, s10
	s_xor_b64 exec, exec, s[6:7]
	s_cbranch_execnz .LBB1_27108
; %bb.62945:
	s_getpc_b64 s[14:15]
.Lpost_getpc17136:
	s_add_u32 s14, s14, (.LBB1_12770-.Lpost_getpc17136)&4294967295
	s_addc_u32 s15, s15, (.LBB1_12770-.Lpost_getpc17136)>>32
	s_setpc_b64 s[14:15]
.LBB1_27108:
	v_mov_b32_e32 v2, 0
	v_cmp_ne_u16_sdwa s[8:9], v9, v2 src0_sel:BYTE_0 src1_sel:DWORD
	s_andn2_b64 s[4:5], s[4:5], exec
	s_and_b64 s[8:9], s[8:9], exec
	s_or_b64 s[4:5], s[4:5], s[8:9]
	s_or_b64 exec, exec, s[6:7]
	s_and_saveexec_b64 s[6:7], s[4:5]
	s_cbranch_execz .LBB1_35057
; %bb.62947:
	s_getpc_b64 s[14:15]
.Lpost_getpc17137:
	s_add_u32 s14, s14, (.LBB1_12771-.Lpost_getpc17137)&4294967295
	s_addc_u32 s15, s15, (.LBB1_12771-.Lpost_getpc17137)>>32
	s_setpc_b64 s[14:15]
.LBB1_35057:
	s_getpc_b64 s[14:15]
.Lpost_getpc3192:
	s_add_u32 s14, s14, (.LBB1_12772-.Lpost_getpc3192)&4294967295
	s_addc_u32 s15, s15, (.LBB1_12772-.Lpost_getpc3192)>>32
	s_setpc_b64 s[14:15]
.LBB1_27109:
	s_movk_i32 s4, 0x80
	v_cmp_eq_u16_sdwa s[12:13], v5, s4 src0_sel:BYTE_0 src1_sel:DWORD
	s_mov_b64 s[4:5], -1
                                        ; implicit-def: $sgpr10
	s_and_saveexec_b64 s[8:9], s[12:13]
; %bb.27110:
	s_mov_b32 s10, 0x7f800001
	s_xor_b64 s[4:5], exec, -1
; %bb.27111:
	s_or_b64 exec, exec, s[8:9]
	s_and_b64 s[4:5], s[4:5], exec
	s_or_saveexec_b64 s[6:7], s[6:7]
	v_mov_b32_e32 v3, s10
	s_xor_b64 exec, exec, s[6:7]
	s_cbranch_execnz .LBB1_27112
; %bb.62949:
	s_getpc_b64 s[14:15]
.Lpost_getpc17138:
	s_add_u32 s14, s14, (.LBB1_12774-.Lpost_getpc17138)&4294967295
	s_addc_u32 s15, s15, (.LBB1_12774-.Lpost_getpc17138)>>32
	s_setpc_b64 s[14:15]
.LBB1_27112:
	v_mov_b32_e32 v3, 0
	v_cmp_ne_u16_sdwa s[8:9], v5, v3 src0_sel:BYTE_0 src1_sel:DWORD
	s_andn2_b64 s[4:5], s[4:5], exec
	s_and_b64 s[8:9], s[8:9], exec
	s_or_b64 s[4:5], s[4:5], s[8:9]
	s_or_b64 exec, exec, s[6:7]
	s_and_saveexec_b64 s[6:7], s[4:5]
	s_cbranch_execz .LBB1_35059
; %bb.62951:
	s_getpc_b64 s[14:15]
.Lpost_getpc17139:
	s_add_u32 s14, s14, (.LBB1_12775-.Lpost_getpc17139)&4294967295
	s_addc_u32 s15, s15, (.LBB1_12775-.Lpost_getpc17139)>>32
	s_setpc_b64 s[14:15]
.LBB1_35059:
	s_getpc_b64 s[14:15]
.Lpost_getpc3193:
	s_add_u32 s14, s14, (.LBB1_12776-.Lpost_getpc3193)&4294967295
	s_addc_u32 s15, s15, (.LBB1_12776-.Lpost_getpc3193)>>32
	s_setpc_b64 s[14:15]
.LBB1_27113:
	s_movk_i32 s4, 0x80
	v_cmp_eq_u16_sdwa s[12:13], v3, s4 src0_sel:BYTE_0 src1_sel:DWORD
	s_mov_b64 s[4:5], -1
                                        ; implicit-def: $sgpr10
	s_and_saveexec_b64 s[8:9], s[12:13]
; %bb.27114:
	s_mov_b32 s10, 0x7f800001
	s_xor_b64 s[4:5], exec, -1
; %bb.27115:
	s_or_b64 exec, exec, s[8:9]
	s_and_b64 s[4:5], s[4:5], exec
	s_or_saveexec_b64 s[6:7], s[6:7]
	v_mov_b32_e32 v2, s10
	s_xor_b64 exec, exec, s[6:7]
	s_cbranch_execnz .LBB1_27116
; %bb.62953:
	s_getpc_b64 s[14:15]
.Lpost_getpc17140:
	s_add_u32 s14, s14, (.LBB1_12778-.Lpost_getpc17140)&4294967295
	s_addc_u32 s15, s15, (.LBB1_12778-.Lpost_getpc17140)>>32
	s_setpc_b64 s[14:15]
.LBB1_27116:
	v_mov_b32_e32 v2, 0
	v_cmp_ne_u16_sdwa s[8:9], v3, v2 src0_sel:BYTE_0 src1_sel:DWORD
	s_andn2_b64 s[4:5], s[4:5], exec
	s_and_b64 s[8:9], s[8:9], exec
	s_or_b64 s[4:5], s[4:5], s[8:9]
	s_or_b64 exec, exec, s[6:7]
	s_and_saveexec_b64 s[6:7], s[4:5]
	s_cbranch_execz .LBB1_35061
; %bb.62955:
	s_getpc_b64 s[14:15]
.Lpost_getpc17141:
	s_add_u32 s14, s14, (.LBB1_12779-.Lpost_getpc17141)&4294967295
	s_addc_u32 s15, s15, (.LBB1_12779-.Lpost_getpc17141)>>32
	s_setpc_b64 s[14:15]
.LBB1_35061:
	s_getpc_b64 s[14:15]
.Lpost_getpc3194:
	s_add_u32 s14, s14, (.LBB1_12780-.Lpost_getpc3194)&4294967295
	s_addc_u32 s15, s15, (.LBB1_12780-.Lpost_getpc3194)>>32
	s_setpc_b64 s[14:15]
.LBB1_27117:
	s_movk_i32 s4, 0x80
	v_cmp_eq_u16_sdwa s[12:13], v3, s4 src0_sel:BYTE_0 src1_sel:DWORD
	s_mov_b64 s[4:5], -1
                                        ; implicit-def: $sgpr10
	s_and_saveexec_b64 s[8:9], s[12:13]
; %bb.27118:
	s_mov_b32 s10, 0x7f800001
	s_xor_b64 s[4:5], exec, -1
; %bb.27119:
	s_or_b64 exec, exec, s[8:9]
	s_and_b64 s[4:5], s[4:5], exec
	s_or_saveexec_b64 s[6:7], s[6:7]
	v_mov_b32_e32 v4, s10
	s_xor_b64 exec, exec, s[6:7]
	s_cbranch_execnz .LBB1_27120
; %bb.62957:
	s_getpc_b64 s[14:15]
.Lpost_getpc17142:
	s_add_u32 s14, s14, (.LBB1_12782-.Lpost_getpc17142)&4294967295
	s_addc_u32 s15, s15, (.LBB1_12782-.Lpost_getpc17142)>>32
	s_setpc_b64 s[14:15]
.LBB1_27120:
	v_mov_b32_e32 v4, 0
	v_cmp_ne_u16_sdwa s[8:9], v3, v4 src0_sel:BYTE_0 src1_sel:DWORD
	s_andn2_b64 s[4:5], s[4:5], exec
	s_and_b64 s[8:9], s[8:9], exec
	s_or_b64 s[4:5], s[4:5], s[8:9]
	s_or_b64 exec, exec, s[6:7]
	s_and_saveexec_b64 s[6:7], s[4:5]
	s_cbranch_execz .LBB1_35063
; %bb.62959:
	s_getpc_b64 s[14:15]
.Lpost_getpc17143:
	s_add_u32 s14, s14, (.LBB1_12783-.Lpost_getpc17143)&4294967295
	s_addc_u32 s15, s15, (.LBB1_12783-.Lpost_getpc17143)>>32
	s_setpc_b64 s[14:15]
.LBB1_35063:
	s_getpc_b64 s[14:15]
.Lpost_getpc3195:
	s_add_u32 s14, s14, (.LBB1_12784-.Lpost_getpc3195)&4294967295
	s_addc_u32 s15, s15, (.LBB1_12784-.Lpost_getpc3195)>>32
	s_setpc_b64 s[14:15]
.LBB1_27121:
	s_movk_i32 s4, 0x80
	v_cmp_eq_u16_e32 vcc, s4, v3
	s_mov_b64 s[4:5], -1
                                        ; implicit-def: $sgpr10
	s_and_saveexec_b64 s[8:9], vcc
; %bb.27122:
	s_mov_b32 s10, 0x7f800001
	s_xor_b64 s[4:5], exec, -1
; %bb.27123:
	s_or_b64 exec, exec, s[8:9]
	s_and_b64 s[4:5], s[4:5], exec
                                        ; implicit-def: $vgpr3
	s_or_saveexec_b64 s[6:7], s[6:7]
	v_mov_b32_e32 v2, s10
	s_xor_b64 exec, exec, s[6:7]
	s_cbranch_execnz .LBB1_27124
; %bb.62961:
	s_getpc_b64 s[14:15]
.Lpost_getpc17144:
	s_add_u32 s14, s14, (.LBB1_12786-.Lpost_getpc17144)&4294967295
	s_addc_u32 s15, s15, (.LBB1_12786-.Lpost_getpc17144)>>32
	s_setpc_b64 s[14:15]
.LBB1_27124:
	v_cmp_ne_u16_e32 vcc, 0, v3
	s_andn2_b64 s[4:5], s[4:5], exec
	s_and_b64 s[8:9], vcc, exec
	v_mov_b32_e32 v2, 0
	s_or_b64 s[4:5], s[4:5], s[8:9]
	s_or_b64 exec, exec, s[6:7]
	s_and_saveexec_b64 s[6:7], s[4:5]
	s_cbranch_execz .LBB1_35065
; %bb.62963:
	s_getpc_b64 s[14:15]
.Lpost_getpc17145:
	s_add_u32 s14, s14, (.LBB1_12787-.Lpost_getpc17145)&4294967295
	s_addc_u32 s15, s15, (.LBB1_12787-.Lpost_getpc17145)>>32
	s_setpc_b64 s[14:15]
.LBB1_35065:
	s_getpc_b64 s[14:15]
.Lpost_getpc3196:
	s_add_u32 s14, s14, (.LBB1_12788-.Lpost_getpc3196)&4294967295
	s_addc_u32 s15, s15, (.LBB1_12788-.Lpost_getpc3196)>>32
	s_setpc_b64 s[14:15]
.LBB1_27125:
	s_movk_i32 s4, 0x80
	v_cmp_eq_u16_e32 vcc, s4, v3
	s_mov_b64 s[4:5], -1
                                        ; implicit-def: $sgpr10
	s_and_saveexec_b64 s[8:9], vcc
; %bb.27126:
	s_mov_b32 s10, 0x7f800001
	s_xor_b64 s[4:5], exec, -1
; %bb.27127:
	s_or_b64 exec, exec, s[8:9]
	s_and_b64 s[4:5], s[4:5], exec
                                        ; implicit-def: $vgpr3
	s_or_saveexec_b64 s[6:7], s[6:7]
	v_mov_b32_e32 v4, s10
	s_xor_b64 exec, exec, s[6:7]
	s_cbranch_execnz .LBB1_27128
; %bb.62965:
	s_getpc_b64 s[14:15]
.Lpost_getpc17146:
	s_add_u32 s14, s14, (.LBB1_12790-.Lpost_getpc17146)&4294967295
	s_addc_u32 s15, s15, (.LBB1_12790-.Lpost_getpc17146)>>32
	s_setpc_b64 s[14:15]
.LBB1_27128:
	v_cmp_ne_u16_e32 vcc, 0, v3
	s_andn2_b64 s[4:5], s[4:5], exec
	s_and_b64 s[8:9], vcc, exec
	v_mov_b32_e32 v4, 0
	s_or_b64 s[4:5], s[4:5], s[8:9]
	s_or_b64 exec, exec, s[6:7]
	s_and_saveexec_b64 s[6:7], s[4:5]
	s_cbranch_execz .LBB1_35067
; %bb.62967:
	s_getpc_b64 s[14:15]
.Lpost_getpc17147:
	s_add_u32 s14, s14, (.LBB1_12791-.Lpost_getpc17147)&4294967295
	s_addc_u32 s15, s15, (.LBB1_12791-.Lpost_getpc17147)>>32
	s_setpc_b64 s[14:15]
.LBB1_35067:
	s_getpc_b64 s[14:15]
.Lpost_getpc3197:
	s_add_u32 s14, s14, (.LBB1_12792-.Lpost_getpc3197)&4294967295
	s_addc_u32 s15, s15, (.LBB1_12792-.Lpost_getpc3197)>>32
	s_setpc_b64 s[14:15]
.LBB1_27129:
	s_movk_i32 s4, 0x80
	v_cmp_eq_u16_sdwa s[12:13], v9, s4 src0_sel:BYTE_3 src1_sel:DWORD
	s_mov_b64 s[4:5], -1
                                        ; implicit-def: $sgpr10
	s_and_saveexec_b64 s[8:9], s[12:13]
; %bb.27130:
	s_mov_b32 s10, 0x7f800001
	s_xor_b64 s[4:5], exec, -1
; %bb.27131:
	s_or_b64 exec, exec, s[8:9]
	s_and_b64 s[4:5], s[4:5], exec
	s_or_saveexec_b64 s[6:7], s[6:7]
	v_mov_b32_e32 v2, s10
	s_xor_b64 exec, exec, s[6:7]
	s_cbranch_execnz .LBB1_27132
; %bb.62969:
	s_getpc_b64 s[14:15]
.Lpost_getpc17148:
	s_add_u32 s14, s14, (.LBB1_12794-.Lpost_getpc17148)&4294967295
	s_addc_u32 s15, s15, (.LBB1_12794-.Lpost_getpc17148)>>32
	s_setpc_b64 s[14:15]
.LBB1_27132:
	v_mov_b32_e32 v2, 0
	v_cmp_ne_u16_sdwa s[8:9], v9, v2 src0_sel:BYTE_3 src1_sel:DWORD
	s_andn2_b64 s[4:5], s[4:5], exec
	s_and_b64 s[8:9], s[8:9], exec
	s_or_b64 s[4:5], s[4:5], s[8:9]
	s_or_b64 exec, exec, s[6:7]
	s_and_saveexec_b64 s[6:7], s[4:5]
	s_cbranch_execz .LBB1_35069
; %bb.62971:
	s_getpc_b64 s[14:15]
.Lpost_getpc17149:
	s_add_u32 s14, s14, (.LBB1_12795-.Lpost_getpc17149)&4294967295
	s_addc_u32 s15, s15, (.LBB1_12795-.Lpost_getpc17149)>>32
	s_setpc_b64 s[14:15]
.LBB1_35069:
	s_getpc_b64 s[14:15]
.Lpost_getpc3198:
	s_add_u32 s14, s14, (.LBB1_12796-.Lpost_getpc3198)&4294967295
	s_addc_u32 s15, s15, (.LBB1_12796-.Lpost_getpc3198)>>32
	s_setpc_b64 s[14:15]
.LBB1_27133:
	s_movk_i32 s4, 0x80
	v_cmp_eq_u16_sdwa s[12:13], v5, s4 src0_sel:BYTE_3 src1_sel:DWORD
	s_mov_b64 s[4:5], -1
                                        ; implicit-def: $sgpr10
	s_and_saveexec_b64 s[8:9], s[12:13]
; %bb.27134:
	s_mov_b32 s10, 0x7f800001
	s_xor_b64 s[4:5], exec, -1
; %bb.27135:
	s_or_b64 exec, exec, s[8:9]
	s_and_b64 s[4:5], s[4:5], exec
	s_or_saveexec_b64 s[6:7], s[6:7]
	v_mov_b32_e32 v3, s10
	s_xor_b64 exec, exec, s[6:7]
	s_cbranch_execnz .LBB1_27136
; %bb.62973:
	s_getpc_b64 s[14:15]
.Lpost_getpc17150:
	s_add_u32 s14, s14, (.LBB1_12798-.Lpost_getpc17150)&4294967295
	s_addc_u32 s15, s15, (.LBB1_12798-.Lpost_getpc17150)>>32
	s_setpc_b64 s[14:15]
.LBB1_27136:
	v_mov_b32_e32 v3, 0
	v_cmp_ne_u16_sdwa s[8:9], v5, v3 src0_sel:BYTE_3 src1_sel:DWORD
	s_andn2_b64 s[4:5], s[4:5], exec
	s_and_b64 s[8:9], s[8:9], exec
	s_or_b64 s[4:5], s[4:5], s[8:9]
	s_or_b64 exec, exec, s[6:7]
	s_and_saveexec_b64 s[6:7], s[4:5]
	s_cbranch_execz .LBB1_35071
; %bb.62975:
	s_getpc_b64 s[14:15]
.Lpost_getpc17151:
	s_add_u32 s14, s14, (.LBB1_12799-.Lpost_getpc17151)&4294967295
	s_addc_u32 s15, s15, (.LBB1_12799-.Lpost_getpc17151)>>32
	s_setpc_b64 s[14:15]
.LBB1_35071:
	s_getpc_b64 s[14:15]
.Lpost_getpc3199:
	s_add_u32 s14, s14, (.LBB1_12800-.Lpost_getpc3199)&4294967295
	s_addc_u32 s15, s15, (.LBB1_12800-.Lpost_getpc3199)>>32
	s_setpc_b64 s[14:15]
.LBB1_27137:
	s_movk_i32 s4, 0x80
	v_cmp_eq_u16_sdwa s[12:13], v6, s4 src0_sel:BYTE_0 src1_sel:DWORD
	s_mov_b64 s[4:5], -1
                                        ; implicit-def: $sgpr10
	s_and_saveexec_b64 s[8:9], s[12:13]
; %bb.27138:
	s_mov_b32 s10, 0x7f800001
	s_xor_b64 s[4:5], exec, -1
; %bb.27139:
	s_or_b64 exec, exec, s[8:9]
	s_and_b64 s[4:5], s[4:5], exec
	s_or_saveexec_b64 s[6:7], s[6:7]
	v_mov_b32_e32 v12, s10
	s_xor_b64 exec, exec, s[6:7]
	s_cbranch_execnz .LBB1_27140
; %bb.62977:
	s_getpc_b64 s[14:15]
.Lpost_getpc17152:
	s_add_u32 s14, s14, (.LBB1_12802-.Lpost_getpc17152)&4294967295
	s_addc_u32 s15, s15, (.LBB1_12802-.Lpost_getpc17152)>>32
	s_setpc_b64 s[14:15]
.LBB1_27140:
	v_mov_b32_e32 v12, 0
	v_cmp_ne_u16_sdwa s[8:9], v6, v12 src0_sel:BYTE_0 src1_sel:DWORD
	s_andn2_b64 s[4:5], s[4:5], exec
	s_and_b64 s[8:9], s[8:9], exec
	s_or_b64 s[4:5], s[4:5], s[8:9]
	s_or_b64 exec, exec, s[6:7]
	s_and_saveexec_b64 s[6:7], s[4:5]
	s_cbranch_execz .LBB1_35073
; %bb.62979:
	s_getpc_b64 s[14:15]
.Lpost_getpc17153:
	s_add_u32 s14, s14, (.LBB1_12803-.Lpost_getpc17153)&4294967295
	s_addc_u32 s15, s15, (.LBB1_12803-.Lpost_getpc17153)>>32
	s_setpc_b64 s[14:15]
.LBB1_35073:
	s_getpc_b64 s[14:15]
.Lpost_getpc3200:
	s_add_u32 s14, s14, (.LBB1_12804-.Lpost_getpc3200)&4294967295
	s_addc_u32 s15, s15, (.LBB1_12804-.Lpost_getpc3200)>>32
	s_setpc_b64 s[14:15]
.LBB1_27141:
	s_movk_i32 s4, 0x80
	v_cmp_eq_u16_sdwa s[12:13], v2, s4 src0_sel:BYTE_0 src1_sel:DWORD
	s_mov_b64 s[4:5], -1
                                        ; implicit-def: $sgpr10
	s_and_saveexec_b64 s[8:9], s[12:13]
; %bb.27142:
	s_mov_b32 s10, 0x7f800001
	s_xor_b64 s[4:5], exec, -1
; %bb.27143:
	s_or_b64 exec, exec, s[8:9]
	s_and_b64 s[4:5], s[4:5], exec
	s_or_saveexec_b64 s[6:7], s[6:7]
	v_mov_b32_e32 v13, s10
	s_xor_b64 exec, exec, s[6:7]
	s_cbranch_execnz .LBB1_27144
; %bb.62981:
	s_getpc_b64 s[14:15]
.Lpost_getpc17154:
	s_add_u32 s14, s14, (.LBB1_12806-.Lpost_getpc17154)&4294967295
	s_addc_u32 s15, s15, (.LBB1_12806-.Lpost_getpc17154)>>32
	s_setpc_b64 s[14:15]
.LBB1_27144:
	v_mov_b32_e32 v13, 0
	v_cmp_ne_u16_sdwa s[8:9], v2, v13 src0_sel:BYTE_0 src1_sel:DWORD
	s_andn2_b64 s[4:5], s[4:5], exec
	s_and_b64 s[8:9], s[8:9], exec
	s_or_b64 s[4:5], s[4:5], s[8:9]
	s_or_b64 exec, exec, s[6:7]
	s_and_saveexec_b64 s[6:7], s[4:5]
	s_cbranch_execz .LBB1_35075
; %bb.62983:
	s_getpc_b64 s[14:15]
.Lpost_getpc17155:
	s_add_u32 s14, s14, (.LBB1_12807-.Lpost_getpc17155)&4294967295
	s_addc_u32 s15, s15, (.LBB1_12807-.Lpost_getpc17155)>>32
	s_setpc_b64 s[14:15]
.LBB1_35075:
	s_getpc_b64 s[14:15]
.Lpost_getpc3201:
	s_add_u32 s14, s14, (.LBB1_12808-.Lpost_getpc3201)&4294967295
	s_addc_u32 s15, s15, (.LBB1_12808-.Lpost_getpc3201)>>32
	s_setpc_b64 s[14:15]
.LBB1_27145:
	s_movk_i32 s4, 0x80
	v_cmp_eq_u16_sdwa s[12:13], v13, s4 src0_sel:BYTE_0 src1_sel:DWORD
	s_mov_b64 s[4:5], -1
                                        ; implicit-def: $sgpr10
	s_and_saveexec_b64 s[8:9], s[12:13]
; %bb.27146:
	s_mov_b32 s10, 0x7f800001
	s_xor_b64 s[4:5], exec, -1
; %bb.27147:
	s_or_b64 exec, exec, s[8:9]
	s_and_b64 s[4:5], s[4:5], exec
	s_or_saveexec_b64 s[6:7], s[6:7]
	v_mov_b32_e32 v12, s10
	s_xor_b64 exec, exec, s[6:7]
	s_cbranch_execnz .LBB1_27148
; %bb.62985:
	s_getpc_b64 s[14:15]
.Lpost_getpc17156:
	s_add_u32 s14, s14, (.LBB1_12810-.Lpost_getpc17156)&4294967295
	s_addc_u32 s15, s15, (.LBB1_12810-.Lpost_getpc17156)>>32
	s_setpc_b64 s[14:15]
.LBB1_27148:
	v_mov_b32_e32 v12, 0
	v_cmp_ne_u16_sdwa s[8:9], v13, v12 src0_sel:BYTE_0 src1_sel:DWORD
	s_andn2_b64 s[4:5], s[4:5], exec
	s_and_b64 s[8:9], s[8:9], exec
	s_or_b64 s[4:5], s[4:5], s[8:9]
	s_or_b64 exec, exec, s[6:7]
	s_and_saveexec_b64 s[6:7], s[4:5]
	s_cbranch_execz .LBB1_35077
; %bb.62987:
	s_getpc_b64 s[14:15]
.Lpost_getpc17157:
	s_add_u32 s14, s14, (.LBB1_12811-.Lpost_getpc17157)&4294967295
	s_addc_u32 s15, s15, (.LBB1_12811-.Lpost_getpc17157)>>32
	s_setpc_b64 s[14:15]
.LBB1_35077:
	s_getpc_b64 s[14:15]
.Lpost_getpc3202:
	s_add_u32 s14, s14, (.LBB1_12812-.Lpost_getpc3202)&4294967295
	s_addc_u32 s15, s15, (.LBB1_12812-.Lpost_getpc3202)>>32
	s_setpc_b64 s[14:15]
.LBB1_27149:
	s_movk_i32 s4, 0x80
	v_cmp_eq_u16_sdwa s[12:13], v13, s4 src0_sel:BYTE_0 src1_sel:DWORD
	s_mov_b64 s[4:5], -1
                                        ; implicit-def: $sgpr10
	s_and_saveexec_b64 s[8:9], s[12:13]
; %bb.27150:
	s_mov_b32 s10, 0x7f800001
	s_xor_b64 s[4:5], exec, -1
; %bb.27151:
	s_or_b64 exec, exec, s[8:9]
	s_and_b64 s[4:5], s[4:5], exec
	s_or_saveexec_b64 s[6:7], s[6:7]
	v_mov_b32_e32 v14, s10
	s_xor_b64 exec, exec, s[6:7]
	s_cbranch_execnz .LBB1_27152
; %bb.62989:
	s_getpc_b64 s[14:15]
.Lpost_getpc17158:
	s_add_u32 s14, s14, (.LBB1_12814-.Lpost_getpc17158)&4294967295
	s_addc_u32 s15, s15, (.LBB1_12814-.Lpost_getpc17158)>>32
	s_setpc_b64 s[14:15]
.LBB1_27152:
	v_mov_b32_e32 v14, 0
	v_cmp_ne_u16_sdwa s[8:9], v13, v14 src0_sel:BYTE_0 src1_sel:DWORD
	s_andn2_b64 s[4:5], s[4:5], exec
	s_and_b64 s[8:9], s[8:9], exec
	s_or_b64 s[4:5], s[4:5], s[8:9]
	s_or_b64 exec, exec, s[6:7]
	s_and_saveexec_b64 s[6:7], s[4:5]
	s_cbranch_execz .LBB1_35079
; %bb.62991:
	s_getpc_b64 s[14:15]
.Lpost_getpc17159:
	s_add_u32 s14, s14, (.LBB1_12815-.Lpost_getpc17159)&4294967295
	s_addc_u32 s15, s15, (.LBB1_12815-.Lpost_getpc17159)>>32
	s_setpc_b64 s[14:15]
.LBB1_35079:
	s_getpc_b64 s[14:15]
.Lpost_getpc3203:
	s_add_u32 s14, s14, (.LBB1_12816-.Lpost_getpc3203)&4294967295
	s_addc_u32 s15, s15, (.LBB1_12816-.Lpost_getpc3203)>>32
	s_setpc_b64 s[14:15]
.LBB1_27153:
	s_movk_i32 s4, 0x80
	v_cmp_eq_u16_e32 vcc, s4, v13
	s_mov_b64 s[4:5], -1
                                        ; implicit-def: $sgpr10
	s_and_saveexec_b64 s[8:9], vcc
; %bb.27154:
	s_mov_b32 s10, 0x7f800001
	s_xor_b64 s[4:5], exec, -1
; %bb.27155:
	s_or_b64 exec, exec, s[8:9]
	s_and_b64 s[4:5], s[4:5], exec
                                        ; implicit-def: $vgpr13
	s_or_saveexec_b64 s[6:7], s[6:7]
	v_mov_b32_e32 v12, s10
	s_xor_b64 exec, exec, s[6:7]
	s_cbranch_execnz .LBB1_27156
; %bb.62993:
	s_getpc_b64 s[14:15]
.Lpost_getpc17160:
	s_add_u32 s14, s14, (.LBB1_12818-.Lpost_getpc17160)&4294967295
	s_addc_u32 s15, s15, (.LBB1_12818-.Lpost_getpc17160)>>32
	s_setpc_b64 s[14:15]
.LBB1_27156:
	v_cmp_ne_u16_e32 vcc, 0, v13
	s_andn2_b64 s[4:5], s[4:5], exec
	s_and_b64 s[8:9], vcc, exec
	v_mov_b32_e32 v12, 0
	s_or_b64 s[4:5], s[4:5], s[8:9]
	s_or_b64 exec, exec, s[6:7]
	s_and_saveexec_b64 s[6:7], s[4:5]
	s_cbranch_execz .LBB1_35081
; %bb.62995:
	s_getpc_b64 s[14:15]
.Lpost_getpc17161:
	s_add_u32 s14, s14, (.LBB1_12819-.Lpost_getpc17161)&4294967295
	s_addc_u32 s15, s15, (.LBB1_12819-.Lpost_getpc17161)>>32
	s_setpc_b64 s[14:15]
.LBB1_35081:
	s_getpc_b64 s[14:15]
.Lpost_getpc3204:
	s_add_u32 s14, s14, (.LBB1_12820-.Lpost_getpc3204)&4294967295
	s_addc_u32 s15, s15, (.LBB1_12820-.Lpost_getpc3204)>>32
	s_setpc_b64 s[14:15]
.LBB1_27157:
	s_movk_i32 s4, 0x80
	v_cmp_eq_u16_e32 vcc, s4, v13
	s_mov_b64 s[4:5], -1
                                        ; implicit-def: $sgpr10
	s_and_saveexec_b64 s[8:9], vcc
; %bb.27158:
	s_mov_b32 s10, 0x7f800001
	s_xor_b64 s[4:5], exec, -1
; %bb.27159:
	s_or_b64 exec, exec, s[8:9]
	s_and_b64 s[4:5], s[4:5], exec
                                        ; implicit-def: $vgpr13
	s_or_saveexec_b64 s[6:7], s[6:7]
	v_mov_b32_e32 v14, s10
	s_xor_b64 exec, exec, s[6:7]
	s_cbranch_execnz .LBB1_27160
; %bb.62997:
	s_getpc_b64 s[14:15]
.Lpost_getpc17162:
	s_add_u32 s14, s14, (.LBB1_12822-.Lpost_getpc17162)&4294967295
	s_addc_u32 s15, s15, (.LBB1_12822-.Lpost_getpc17162)>>32
	s_setpc_b64 s[14:15]
.LBB1_27160:
	v_cmp_ne_u16_e32 vcc, 0, v13
	s_andn2_b64 s[4:5], s[4:5], exec
	s_and_b64 s[8:9], vcc, exec
	v_mov_b32_e32 v14, 0
	s_or_b64 s[4:5], s[4:5], s[8:9]
	s_or_b64 exec, exec, s[6:7]
	s_and_saveexec_b64 s[6:7], s[4:5]
	s_cbranch_execz .LBB1_35083
; %bb.62999:
	s_getpc_b64 s[14:15]
.Lpost_getpc17163:
	s_add_u32 s14, s14, (.LBB1_12823-.Lpost_getpc17163)&4294967295
	s_addc_u32 s15, s15, (.LBB1_12823-.Lpost_getpc17163)>>32
	s_setpc_b64 s[14:15]
.LBB1_35083:
	s_getpc_b64 s[14:15]
.Lpost_getpc3205:
	s_add_u32 s14, s14, (.LBB1_12824-.Lpost_getpc3205)&4294967295
	s_addc_u32 s15, s15, (.LBB1_12824-.Lpost_getpc3205)>>32
	s_setpc_b64 s[14:15]
.LBB1_27161:
	s_movk_i32 s4, 0x80
	v_cmp_eq_u16_sdwa s[12:13], v6, s4 src0_sel:BYTE_3 src1_sel:DWORD
	s_mov_b64 s[4:5], -1
                                        ; implicit-def: $sgpr10
	s_and_saveexec_b64 s[8:9], s[12:13]
; %bb.27162:
	s_mov_b32 s10, 0x7f800001
	s_xor_b64 s[4:5], exec, -1
; %bb.27163:
	s_or_b64 exec, exec, s[8:9]
	s_and_b64 s[4:5], s[4:5], exec
	s_or_saveexec_b64 s[6:7], s[6:7]
	v_mov_b32_e32 v12, s10
	s_xor_b64 exec, exec, s[6:7]
	s_cbranch_execnz .LBB1_27164
; %bb.63001:
	s_getpc_b64 s[14:15]
.Lpost_getpc17164:
	s_add_u32 s14, s14, (.LBB1_12826-.Lpost_getpc17164)&4294967295
	s_addc_u32 s15, s15, (.LBB1_12826-.Lpost_getpc17164)>>32
	s_setpc_b64 s[14:15]
.LBB1_27164:
	v_mov_b32_e32 v12, 0
	v_cmp_ne_u16_sdwa s[8:9], v6, v12 src0_sel:BYTE_3 src1_sel:DWORD
	s_andn2_b64 s[4:5], s[4:5], exec
	s_and_b64 s[8:9], s[8:9], exec
	s_or_b64 s[4:5], s[4:5], s[8:9]
	s_or_b64 exec, exec, s[6:7]
	s_and_saveexec_b64 s[6:7], s[4:5]
	s_cbranch_execz .LBB1_35085
; %bb.63003:
	s_getpc_b64 s[14:15]
.Lpost_getpc17165:
	s_add_u32 s14, s14, (.LBB1_12827-.Lpost_getpc17165)&4294967295
	s_addc_u32 s15, s15, (.LBB1_12827-.Lpost_getpc17165)>>32
	s_setpc_b64 s[14:15]
.LBB1_35085:
	s_getpc_b64 s[14:15]
.Lpost_getpc3206:
	s_add_u32 s14, s14, (.LBB1_12828-.Lpost_getpc3206)&4294967295
	s_addc_u32 s15, s15, (.LBB1_12828-.Lpost_getpc3206)>>32
	s_setpc_b64 s[14:15]
.LBB1_27165:
	s_movk_i32 s4, 0x80
	v_cmp_eq_u16_sdwa s[12:13], v2, s4 src0_sel:BYTE_3 src1_sel:DWORD
	s_mov_b64 s[4:5], -1
                                        ; implicit-def: $sgpr10
	s_and_saveexec_b64 s[8:9], s[12:13]
; %bb.27166:
	s_mov_b32 s10, 0x7f800001
	s_xor_b64 s[4:5], exec, -1
; %bb.27167:
	s_or_b64 exec, exec, s[8:9]
	s_and_b64 s[4:5], s[4:5], exec
	s_or_saveexec_b64 s[6:7], s[6:7]
	v_mov_b32_e32 v6, s10
	s_xor_b64 exec, exec, s[6:7]
	s_cbranch_execnz .LBB1_27168
; %bb.63005:
	s_getpc_b64 s[14:15]
.Lpost_getpc17166:
	s_add_u32 s14, s14, (.LBB1_12830-.Lpost_getpc17166)&4294967295
	s_addc_u32 s15, s15, (.LBB1_12830-.Lpost_getpc17166)>>32
	s_setpc_b64 s[14:15]
.LBB1_27168:
	v_mov_b32_e32 v6, 0
	v_cmp_ne_u16_sdwa s[8:9], v2, v6 src0_sel:BYTE_3 src1_sel:DWORD
	s_andn2_b64 s[4:5], s[4:5], exec
	s_and_b64 s[8:9], s[8:9], exec
	s_or_b64 s[4:5], s[4:5], s[8:9]
	s_or_b64 exec, exec, s[6:7]
	s_and_saveexec_b64 s[6:7], s[4:5]
	s_cbranch_execz .LBB1_35087
; %bb.63007:
	s_getpc_b64 s[14:15]
.Lpost_getpc17167:
	s_add_u32 s14, s14, (.LBB1_12831-.Lpost_getpc17167)&4294967295
	s_addc_u32 s15, s15, (.LBB1_12831-.Lpost_getpc17167)>>32
	s_setpc_b64 s[14:15]
.LBB1_35087:
	s_getpc_b64 s[14:15]
.Lpost_getpc3207:
	s_add_u32 s14, s14, (.LBB1_12832-.Lpost_getpc3207)&4294967295
	s_addc_u32 s15, s15, (.LBB1_12832-.Lpost_getpc3207)>>32
	s_setpc_b64 s[14:15]
.LBB1_27169:
	s_movk_i32 s4, 0x80
	v_cmp_eq_u16_sdwa s[12:13], v7, s4 src0_sel:BYTE_0 src1_sel:DWORD
	s_mov_b64 s[4:5], -1
                                        ; implicit-def: $sgpr10
	s_and_saveexec_b64 s[8:9], s[12:13]
; %bb.27170:
	s_mov_b32 s10, 0x7f800001
	s_xor_b64 s[4:5], exec, -1
; %bb.27171:
	s_or_b64 exec, exec, s[8:9]
	s_and_b64 s[4:5], s[4:5], exec
	s_or_saveexec_b64 s[6:7], s[6:7]
	v_mov_b32_e32 v2, s10
	s_xor_b64 exec, exec, s[6:7]
	s_cbranch_execnz .LBB1_27172
; %bb.63009:
	s_getpc_b64 s[14:15]
.Lpost_getpc17168:
	s_add_u32 s14, s14, (.LBB1_12834-.Lpost_getpc17168)&4294967295
	s_addc_u32 s15, s15, (.LBB1_12834-.Lpost_getpc17168)>>32
	s_setpc_b64 s[14:15]
.LBB1_27172:
	v_mov_b32_e32 v2, 0
	v_cmp_ne_u16_sdwa s[8:9], v7, v2 src0_sel:BYTE_0 src1_sel:DWORD
	s_andn2_b64 s[4:5], s[4:5], exec
	s_and_b64 s[8:9], s[8:9], exec
	s_or_b64 s[4:5], s[4:5], s[8:9]
	s_or_b64 exec, exec, s[6:7]
	s_and_saveexec_b64 s[6:7], s[4:5]
	s_cbranch_execz .LBB1_35089
; %bb.63011:
	s_getpc_b64 s[14:15]
.Lpost_getpc17169:
	s_add_u32 s14, s14, (.LBB1_12835-.Lpost_getpc17169)&4294967295
	s_addc_u32 s15, s15, (.LBB1_12835-.Lpost_getpc17169)>>32
	s_setpc_b64 s[14:15]
.LBB1_35089:
	s_getpc_b64 s[14:15]
.Lpost_getpc3208:
	s_add_u32 s14, s14, (.LBB1_12836-.Lpost_getpc3208)&4294967295
	s_addc_u32 s15, s15, (.LBB1_12836-.Lpost_getpc3208)>>32
	s_setpc_b64 s[14:15]
.LBB1_27173:
	s_movk_i32 s4, 0x80
	v_cmp_eq_u16_sdwa s[12:13], v3, s4 src0_sel:BYTE_0 src1_sel:DWORD
	s_mov_b64 s[4:5], -1
                                        ; implicit-def: $sgpr10
	s_and_saveexec_b64 s[8:9], s[12:13]
; %bb.27174:
	s_mov_b32 s10, 0x7f800001
	s_xor_b64 s[4:5], exec, -1
; %bb.27175:
	s_or_b64 exec, exec, s[8:9]
	s_and_b64 s[4:5], s[4:5], exec
	s_or_saveexec_b64 s[6:7], s[6:7]
	v_mov_b32_e32 v6, s10
	s_xor_b64 exec, exec, s[6:7]
	s_cbranch_execnz .LBB1_27176
; %bb.63013:
	s_getpc_b64 s[14:15]
.Lpost_getpc17170:
	s_add_u32 s14, s14, (.LBB1_12838-.Lpost_getpc17170)&4294967295
	s_addc_u32 s15, s15, (.LBB1_12838-.Lpost_getpc17170)>>32
	s_setpc_b64 s[14:15]
.LBB1_27176:
	v_mov_b32_e32 v6, 0
	v_cmp_ne_u16_sdwa s[8:9], v3, v6 src0_sel:BYTE_0 src1_sel:DWORD
	s_andn2_b64 s[4:5], s[4:5], exec
	s_and_b64 s[8:9], s[8:9], exec
	s_or_b64 s[4:5], s[4:5], s[8:9]
	s_or_b64 exec, exec, s[6:7]
	s_and_saveexec_b64 s[6:7], s[4:5]
	s_cbranch_execz .LBB1_35091
; %bb.63015:
	s_getpc_b64 s[14:15]
.Lpost_getpc17171:
	s_add_u32 s14, s14, (.LBB1_12839-.Lpost_getpc17171)&4294967295
	s_addc_u32 s15, s15, (.LBB1_12839-.Lpost_getpc17171)>>32
	s_setpc_b64 s[14:15]
.LBB1_35091:
	s_getpc_b64 s[14:15]
.Lpost_getpc3209:
	s_add_u32 s14, s14, (.LBB1_12840-.Lpost_getpc3209)&4294967295
	s_addc_u32 s15, s15, (.LBB1_12840-.Lpost_getpc3209)>>32
	s_setpc_b64 s[14:15]
.LBB1_27177:
	s_movk_i32 s4, 0x80
	v_cmp_eq_u16_sdwa s[12:13], v6, s4 src0_sel:BYTE_0 src1_sel:DWORD
	s_mov_b64 s[4:5], -1
                                        ; implicit-def: $sgpr10
	s_and_saveexec_b64 s[8:9], s[12:13]
; %bb.27178:
	s_mov_b32 s10, 0x7f800001
	s_xor_b64 s[4:5], exec, -1
; %bb.27179:
	s_or_b64 exec, exec, s[8:9]
	s_and_b64 s[4:5], s[4:5], exec
	s_or_saveexec_b64 s[6:7], s[6:7]
	v_mov_b32_e32 v2, s10
	s_xor_b64 exec, exec, s[6:7]
	s_cbranch_execnz .LBB1_27180
; %bb.63017:
	s_getpc_b64 s[14:15]
.Lpost_getpc17172:
	s_add_u32 s14, s14, (.LBB1_12842-.Lpost_getpc17172)&4294967295
	s_addc_u32 s15, s15, (.LBB1_12842-.Lpost_getpc17172)>>32
	s_setpc_b64 s[14:15]
.LBB1_27180:
	v_mov_b32_e32 v2, 0
	v_cmp_ne_u16_sdwa s[8:9], v6, v2 src0_sel:BYTE_0 src1_sel:DWORD
	s_andn2_b64 s[4:5], s[4:5], exec
	s_and_b64 s[8:9], s[8:9], exec
	s_or_b64 s[4:5], s[4:5], s[8:9]
	s_or_b64 exec, exec, s[6:7]
	s_and_saveexec_b64 s[6:7], s[4:5]
	s_cbranch_execz .LBB1_35093
; %bb.63019:
	s_getpc_b64 s[14:15]
.Lpost_getpc17173:
	s_add_u32 s14, s14, (.LBB1_12843-.Lpost_getpc17173)&4294967295
	s_addc_u32 s15, s15, (.LBB1_12843-.Lpost_getpc17173)>>32
	s_setpc_b64 s[14:15]
.LBB1_35093:
	s_getpc_b64 s[14:15]
.Lpost_getpc3210:
	s_add_u32 s14, s14, (.LBB1_12844-.Lpost_getpc3210)&4294967295
	s_addc_u32 s15, s15, (.LBB1_12844-.Lpost_getpc3210)>>32
	s_setpc_b64 s[14:15]
.LBB1_27181:
	s_movk_i32 s4, 0x80
	v_cmp_eq_u16_sdwa s[12:13], v6, s4 src0_sel:BYTE_0 src1_sel:DWORD
	s_mov_b64 s[4:5], -1
                                        ; implicit-def: $sgpr10
	s_and_saveexec_b64 s[8:9], s[12:13]
; %bb.27182:
	s_mov_b32 s10, 0x7f800001
	s_xor_b64 s[4:5], exec, -1
; %bb.27183:
	s_or_b64 exec, exec, s[8:9]
	s_and_b64 s[4:5], s[4:5], exec
	s_or_saveexec_b64 s[6:7], s[6:7]
	v_mov_b32_e32 v12, s10
	s_xor_b64 exec, exec, s[6:7]
	s_cbranch_execnz .LBB1_27184
; %bb.63021:
	s_getpc_b64 s[14:15]
.Lpost_getpc17174:
	s_add_u32 s14, s14, (.LBB1_12846-.Lpost_getpc17174)&4294967295
	s_addc_u32 s15, s15, (.LBB1_12846-.Lpost_getpc17174)>>32
	s_setpc_b64 s[14:15]
.LBB1_27184:
	v_mov_b32_e32 v12, 0
	v_cmp_ne_u16_sdwa s[8:9], v6, v12 src0_sel:BYTE_0 src1_sel:DWORD
	s_andn2_b64 s[4:5], s[4:5], exec
	s_and_b64 s[8:9], s[8:9], exec
	s_or_b64 s[4:5], s[4:5], s[8:9]
	s_or_b64 exec, exec, s[6:7]
	s_and_saveexec_b64 s[6:7], s[4:5]
	s_cbranch_execz .LBB1_35095
; %bb.63023:
	s_getpc_b64 s[14:15]
.Lpost_getpc17175:
	s_add_u32 s14, s14, (.LBB1_12847-.Lpost_getpc17175)&4294967295
	s_addc_u32 s15, s15, (.LBB1_12847-.Lpost_getpc17175)>>32
	s_setpc_b64 s[14:15]
.LBB1_35095:
	s_getpc_b64 s[14:15]
.Lpost_getpc3211:
	s_add_u32 s14, s14, (.LBB1_12848-.Lpost_getpc3211)&4294967295
	s_addc_u32 s15, s15, (.LBB1_12848-.Lpost_getpc3211)>>32
	s_setpc_b64 s[14:15]
.LBB1_27185:
	s_movk_i32 s4, 0x80
	v_cmp_eq_u16_e32 vcc, s4, v6
	s_mov_b64 s[4:5], -1
                                        ; implicit-def: $sgpr10
	s_and_saveexec_b64 s[8:9], vcc
; %bb.27186:
	s_mov_b32 s10, 0x7f800001
	s_xor_b64 s[4:5], exec, -1
; %bb.27187:
	s_or_b64 exec, exec, s[8:9]
	s_and_b64 s[4:5], s[4:5], exec
                                        ; implicit-def: $vgpr6
	s_or_saveexec_b64 s[6:7], s[6:7]
	v_mov_b32_e32 v2, s10
	s_xor_b64 exec, exec, s[6:7]
	s_cbranch_execnz .LBB1_27188
; %bb.63025:
	s_getpc_b64 s[14:15]
.Lpost_getpc17176:
	s_add_u32 s14, s14, (.LBB1_12850-.Lpost_getpc17176)&4294967295
	s_addc_u32 s15, s15, (.LBB1_12850-.Lpost_getpc17176)>>32
	s_setpc_b64 s[14:15]
.LBB1_27188:
	v_cmp_ne_u16_e32 vcc, 0, v6
	s_andn2_b64 s[4:5], s[4:5], exec
	s_and_b64 s[8:9], vcc, exec
	v_mov_b32_e32 v2, 0
	s_or_b64 s[4:5], s[4:5], s[8:9]
	s_or_b64 exec, exec, s[6:7]
	s_and_saveexec_b64 s[6:7], s[4:5]
	s_cbranch_execz .LBB1_35097
; %bb.63027:
	s_getpc_b64 s[14:15]
.Lpost_getpc17177:
	s_add_u32 s14, s14, (.LBB1_12851-.Lpost_getpc17177)&4294967295
	s_addc_u32 s15, s15, (.LBB1_12851-.Lpost_getpc17177)>>32
	s_setpc_b64 s[14:15]
.LBB1_35097:
	s_getpc_b64 s[14:15]
.Lpost_getpc3212:
	s_add_u32 s14, s14, (.LBB1_12852-.Lpost_getpc3212)&4294967295
	s_addc_u32 s15, s15, (.LBB1_12852-.Lpost_getpc3212)>>32
	s_setpc_b64 s[14:15]
.LBB1_27189:
	s_movk_i32 s4, 0x80
	v_cmp_eq_u16_e32 vcc, s4, v6
	s_mov_b64 s[4:5], -1
                                        ; implicit-def: $sgpr10
	s_and_saveexec_b64 s[8:9], vcc
; %bb.27190:
	s_mov_b32 s10, 0x7f800001
	s_xor_b64 s[4:5], exec, -1
; %bb.27191:
	s_or_b64 exec, exec, s[8:9]
	s_and_b64 s[4:5], s[4:5], exec
                                        ; implicit-def: $vgpr6
	s_or_saveexec_b64 s[6:7], s[6:7]
	v_mov_b32_e32 v12, s10
	s_xor_b64 exec, exec, s[6:7]
	s_cbranch_execnz .LBB1_27192
; %bb.63029:
	s_getpc_b64 s[14:15]
.Lpost_getpc17178:
	s_add_u32 s14, s14, (.LBB1_12854-.Lpost_getpc17178)&4294967295
	s_addc_u32 s15, s15, (.LBB1_12854-.Lpost_getpc17178)>>32
	s_setpc_b64 s[14:15]
.LBB1_27192:
	v_cmp_ne_u16_e32 vcc, 0, v6
	s_andn2_b64 s[4:5], s[4:5], exec
	s_and_b64 s[8:9], vcc, exec
	v_mov_b32_e32 v12, 0
	s_or_b64 s[4:5], s[4:5], s[8:9]
	s_or_b64 exec, exec, s[6:7]
	s_and_saveexec_b64 s[6:7], s[4:5]
	s_cbranch_execz .LBB1_35099
; %bb.63031:
	s_getpc_b64 s[14:15]
.Lpost_getpc17179:
	s_add_u32 s14, s14, (.LBB1_12855-.Lpost_getpc17179)&4294967295
	s_addc_u32 s15, s15, (.LBB1_12855-.Lpost_getpc17179)>>32
	s_setpc_b64 s[14:15]
.LBB1_35099:
	s_getpc_b64 s[14:15]
.Lpost_getpc3213:
	s_add_u32 s14, s14, (.LBB1_12856-.Lpost_getpc3213)&4294967295
	s_addc_u32 s15, s15, (.LBB1_12856-.Lpost_getpc3213)>>32
	s_setpc_b64 s[14:15]
.LBB1_27193:
	s_movk_i32 s4, 0x80
	v_cmp_eq_u16_sdwa s[12:13], v7, s4 src0_sel:BYTE_3 src1_sel:DWORD
	s_mov_b64 s[4:5], -1
                                        ; implicit-def: $sgpr10
	s_and_saveexec_b64 s[8:9], s[12:13]
; %bb.27194:
	s_mov_b32 s10, 0x7f800001
	s_xor_b64 s[4:5], exec, -1
; %bb.27195:
	s_or_b64 exec, exec, s[8:9]
	s_and_b64 s[4:5], s[4:5], exec
	s_or_saveexec_b64 s[6:7], s[6:7]
	v_mov_b32_e32 v2, s10
	s_xor_b64 exec, exec, s[6:7]
	s_cbranch_execnz .LBB1_27196
; %bb.63033:
	s_getpc_b64 s[14:15]
.Lpost_getpc17180:
	s_add_u32 s14, s14, (.LBB1_12858-.Lpost_getpc17180)&4294967295
	s_addc_u32 s15, s15, (.LBB1_12858-.Lpost_getpc17180)>>32
	s_setpc_b64 s[14:15]
.LBB1_27196:
	v_mov_b32_e32 v2, 0
	v_cmp_ne_u16_sdwa s[8:9], v7, v2 src0_sel:BYTE_3 src1_sel:DWORD
	s_andn2_b64 s[4:5], s[4:5], exec
	s_and_b64 s[8:9], s[8:9], exec
	s_or_b64 s[4:5], s[4:5], s[8:9]
	s_or_b64 exec, exec, s[6:7]
	s_and_saveexec_b64 s[6:7], s[4:5]
	s_cbranch_execz .LBB1_35101
; %bb.63035:
	s_getpc_b64 s[14:15]
.Lpost_getpc17181:
	s_add_u32 s14, s14, (.LBB1_12859-.Lpost_getpc17181)&4294967295
	s_addc_u32 s15, s15, (.LBB1_12859-.Lpost_getpc17181)>>32
	s_setpc_b64 s[14:15]
.LBB1_35101:
	s_getpc_b64 s[14:15]
.Lpost_getpc3214:
	s_add_u32 s14, s14, (.LBB1_12860-.Lpost_getpc3214)&4294967295
	s_addc_u32 s15, s15, (.LBB1_12860-.Lpost_getpc3214)>>32
	s_setpc_b64 s[14:15]
.LBB1_27197:
	s_movk_i32 s4, 0x80
	v_cmp_eq_u16_sdwa s[12:13], v3, s4 src0_sel:BYTE_3 src1_sel:DWORD
	s_mov_b64 s[4:5], -1
                                        ; implicit-def: $sgpr10
	s_and_saveexec_b64 s[8:9], s[12:13]
; %bb.27198:
	s_mov_b32 s10, 0x7f800001
	s_xor_b64 s[4:5], exec, -1
; %bb.27199:
	s_or_b64 exec, exec, s[8:9]
	s_and_b64 s[4:5], s[4:5], exec
	s_or_saveexec_b64 s[6:7], s[6:7]
	v_mov_b32_e32 v6, s10
	s_xor_b64 exec, exec, s[6:7]
	s_cbranch_execnz .LBB1_27200
; %bb.63037:
	s_getpc_b64 s[14:15]
.Lpost_getpc17182:
	s_add_u32 s14, s14, (.LBB1_12862-.Lpost_getpc17182)&4294967295
	s_addc_u32 s15, s15, (.LBB1_12862-.Lpost_getpc17182)>>32
	s_setpc_b64 s[14:15]
.LBB1_27200:
	v_mov_b32_e32 v6, 0
	v_cmp_ne_u16_sdwa s[8:9], v3, v6 src0_sel:BYTE_3 src1_sel:DWORD
	s_andn2_b64 s[4:5], s[4:5], exec
	s_and_b64 s[8:9], s[8:9], exec
	s_or_b64 s[4:5], s[4:5], s[8:9]
	s_or_b64 exec, exec, s[6:7]
	s_and_saveexec_b64 s[6:7], s[4:5]
	s_cbranch_execz .LBB1_35103
; %bb.63039:
	s_getpc_b64 s[14:15]
.Lpost_getpc17183:
	s_add_u32 s14, s14, (.LBB1_12863-.Lpost_getpc17183)&4294967295
	s_addc_u32 s15, s15, (.LBB1_12863-.Lpost_getpc17183)>>32
	s_setpc_b64 s[14:15]
.LBB1_35103:
	s_getpc_b64 s[14:15]
.Lpost_getpc3215:
	s_add_u32 s14, s14, (.LBB1_12864-.Lpost_getpc3215)&4294967295
	s_addc_u32 s15, s15, (.LBB1_12864-.Lpost_getpc3215)>>32
	s_setpc_b64 s[14:15]
.LBB1_27201:
	s_movk_i32 s4, 0x80
	v_cmp_eq_u16_sdwa s[12:13], v8, s4 src0_sel:BYTE_0 src1_sel:DWORD
	s_mov_b64 s[4:5], -1
                                        ; implicit-def: $sgpr10
	s_and_saveexec_b64 s[8:9], s[12:13]
; %bb.27202:
	s_mov_b32 s10, 0x7f800001
	s_xor_b64 s[4:5], exec, -1
; %bb.27203:
	s_or_b64 exec, exec, s[8:9]
	s_and_b64 s[4:5], s[4:5], exec
	s_or_saveexec_b64 s[6:7], s[6:7]
	v_mov_b32_e32 v2, s10
	s_xor_b64 exec, exec, s[6:7]
	s_cbranch_execnz .LBB1_27204
; %bb.63041:
	s_getpc_b64 s[14:15]
.Lpost_getpc17184:
	s_add_u32 s14, s14, (.LBB1_12866-.Lpost_getpc17184)&4294967295
	s_addc_u32 s15, s15, (.LBB1_12866-.Lpost_getpc17184)>>32
	s_setpc_b64 s[14:15]
.LBB1_27204:
	v_mov_b32_e32 v2, 0
	v_cmp_ne_u16_sdwa s[8:9], v8, v2 src0_sel:BYTE_0 src1_sel:DWORD
	s_andn2_b64 s[4:5], s[4:5], exec
	s_and_b64 s[8:9], s[8:9], exec
	s_or_b64 s[4:5], s[4:5], s[8:9]
	s_or_b64 exec, exec, s[6:7]
	s_and_saveexec_b64 s[6:7], s[4:5]
	s_cbranch_execz .LBB1_35105
; %bb.63043:
	s_getpc_b64 s[14:15]
.Lpost_getpc17185:
	s_add_u32 s14, s14, (.LBB1_12867-.Lpost_getpc17185)&4294967295
	s_addc_u32 s15, s15, (.LBB1_12867-.Lpost_getpc17185)>>32
	s_setpc_b64 s[14:15]
.LBB1_35105:
	s_getpc_b64 s[14:15]
.Lpost_getpc3216:
	s_add_u32 s14, s14, (.LBB1_12868-.Lpost_getpc3216)&4294967295
	s_addc_u32 s15, s15, (.LBB1_12868-.Lpost_getpc3216)>>32
	s_setpc_b64 s[14:15]
.LBB1_27205:
	s_movk_i32 s4, 0x80
	v_cmp_eq_u16_sdwa s[12:13], v4, s4 src0_sel:BYTE_0 src1_sel:DWORD
	s_mov_b64 s[4:5], -1
                                        ; implicit-def: $sgpr10
	s_and_saveexec_b64 s[8:9], s[12:13]
; %bb.27206:
	s_mov_b32 s10, 0x7f800001
	s_xor_b64 s[4:5], exec, -1
; %bb.27207:
	s_or_b64 exec, exec, s[8:9]
	s_and_b64 s[4:5], s[4:5], exec
	s_or_saveexec_b64 s[6:7], s[6:7]
	v_mov_b32_e32 v3, s10
	s_xor_b64 exec, exec, s[6:7]
	s_cbranch_execnz .LBB1_27208
; %bb.63045:
	s_getpc_b64 s[14:15]
.Lpost_getpc17186:
	s_add_u32 s14, s14, (.LBB1_12870-.Lpost_getpc17186)&4294967295
	s_addc_u32 s15, s15, (.LBB1_12870-.Lpost_getpc17186)>>32
	s_setpc_b64 s[14:15]
.LBB1_27208:
	v_mov_b32_e32 v3, 0
	v_cmp_ne_u16_sdwa s[8:9], v4, v3 src0_sel:BYTE_0 src1_sel:DWORD
	s_andn2_b64 s[4:5], s[4:5], exec
	s_and_b64 s[8:9], s[8:9], exec
	s_or_b64 s[4:5], s[4:5], s[8:9]
	s_or_b64 exec, exec, s[6:7]
	s_and_saveexec_b64 s[6:7], s[4:5]
	s_cbranch_execz .LBB1_35107
; %bb.63047:
	s_getpc_b64 s[14:15]
.Lpost_getpc17187:
	s_add_u32 s14, s14, (.LBB1_12871-.Lpost_getpc17187)&4294967295
	s_addc_u32 s15, s15, (.LBB1_12871-.Lpost_getpc17187)>>32
	s_setpc_b64 s[14:15]
.LBB1_35107:
	s_getpc_b64 s[14:15]
.Lpost_getpc3217:
	s_add_u32 s14, s14, (.LBB1_12872-.Lpost_getpc3217)&4294967295
	s_addc_u32 s15, s15, (.LBB1_12872-.Lpost_getpc3217)>>32
	s_setpc_b64 s[14:15]
.LBB1_27209:
	s_movk_i32 s4, 0x80
	v_cmp_eq_u16_sdwa s[12:13], v3, s4 src0_sel:BYTE_0 src1_sel:DWORD
	s_mov_b64 s[4:5], -1
                                        ; implicit-def: $sgpr10
	s_and_saveexec_b64 s[8:9], s[12:13]
; %bb.27210:
	s_mov_b32 s10, 0x7f800001
	s_xor_b64 s[4:5], exec, -1
; %bb.27211:
	s_or_b64 exec, exec, s[8:9]
	s_and_b64 s[4:5], s[4:5], exec
	s_or_saveexec_b64 s[6:7], s[6:7]
	v_mov_b32_e32 v2, s10
	s_xor_b64 exec, exec, s[6:7]
	s_cbranch_execnz .LBB1_27212
; %bb.63049:
	s_getpc_b64 s[14:15]
.Lpost_getpc17188:
	s_add_u32 s14, s14, (.LBB1_12874-.Lpost_getpc17188)&4294967295
	s_addc_u32 s15, s15, (.LBB1_12874-.Lpost_getpc17188)>>32
	s_setpc_b64 s[14:15]
.LBB1_27212:
	v_mov_b32_e32 v2, 0
	v_cmp_ne_u16_sdwa s[8:9], v3, v2 src0_sel:BYTE_0 src1_sel:DWORD
	s_andn2_b64 s[4:5], s[4:5], exec
	s_and_b64 s[8:9], s[8:9], exec
	s_or_b64 s[4:5], s[4:5], s[8:9]
	s_or_b64 exec, exec, s[6:7]
	s_and_saveexec_b64 s[6:7], s[4:5]
	s_cbranch_execz .LBB1_35109
; %bb.63051:
	s_getpc_b64 s[14:15]
.Lpost_getpc17189:
	s_add_u32 s14, s14, (.LBB1_12875-.Lpost_getpc17189)&4294967295
	s_addc_u32 s15, s15, (.LBB1_12875-.Lpost_getpc17189)>>32
	s_setpc_b64 s[14:15]
.LBB1_35109:
	s_getpc_b64 s[14:15]
.Lpost_getpc3218:
	s_add_u32 s14, s14, (.LBB1_12876-.Lpost_getpc3218)&4294967295
	s_addc_u32 s15, s15, (.LBB1_12876-.Lpost_getpc3218)>>32
	s_setpc_b64 s[14:15]
.LBB1_27213:
	s_movk_i32 s4, 0x80
	v_cmp_eq_u16_sdwa s[12:13], v3, s4 src0_sel:BYTE_0 src1_sel:DWORD
	s_mov_b64 s[4:5], -1
                                        ; implicit-def: $sgpr10
	s_and_saveexec_b64 s[8:9], s[12:13]
; %bb.27214:
	s_mov_b32 s10, 0x7f800001
	s_xor_b64 s[4:5], exec, -1
; %bb.27215:
	s_or_b64 exec, exec, s[8:9]
	s_and_b64 s[4:5], s[4:5], exec
	s_or_saveexec_b64 s[6:7], s[6:7]
	v_mov_b32_e32 v6, s10
	s_xor_b64 exec, exec, s[6:7]
	s_cbranch_execnz .LBB1_27216
; %bb.63053:
	s_getpc_b64 s[14:15]
.Lpost_getpc17190:
	s_add_u32 s14, s14, (.LBB1_12878-.Lpost_getpc17190)&4294967295
	s_addc_u32 s15, s15, (.LBB1_12878-.Lpost_getpc17190)>>32
	s_setpc_b64 s[14:15]
.LBB1_27216:
	v_mov_b32_e32 v6, 0
	v_cmp_ne_u16_sdwa s[8:9], v3, v6 src0_sel:BYTE_0 src1_sel:DWORD
	s_andn2_b64 s[4:5], s[4:5], exec
	s_and_b64 s[8:9], s[8:9], exec
	s_or_b64 s[4:5], s[4:5], s[8:9]
	s_or_b64 exec, exec, s[6:7]
	s_and_saveexec_b64 s[6:7], s[4:5]
	s_cbranch_execz .LBB1_35111
; %bb.63055:
	s_getpc_b64 s[14:15]
.Lpost_getpc17191:
	s_add_u32 s14, s14, (.LBB1_12879-.Lpost_getpc17191)&4294967295
	s_addc_u32 s15, s15, (.LBB1_12879-.Lpost_getpc17191)>>32
	s_setpc_b64 s[14:15]
.LBB1_35111:
	s_getpc_b64 s[14:15]
.Lpost_getpc3219:
	s_add_u32 s14, s14, (.LBB1_12880-.Lpost_getpc3219)&4294967295
	s_addc_u32 s15, s15, (.LBB1_12880-.Lpost_getpc3219)>>32
	s_setpc_b64 s[14:15]
.LBB1_27217:
	s_movk_i32 s4, 0x80
	v_cmp_eq_u16_e32 vcc, s4, v3
	s_mov_b64 s[4:5], -1
                                        ; implicit-def: $sgpr10
	s_and_saveexec_b64 s[8:9], vcc
; %bb.27218:
	s_mov_b32 s10, 0x7f800001
	s_xor_b64 s[4:5], exec, -1
; %bb.27219:
	s_or_b64 exec, exec, s[8:9]
	s_and_b64 s[4:5], s[4:5], exec
                                        ; implicit-def: $vgpr3
	s_or_saveexec_b64 s[6:7], s[6:7]
	v_mov_b32_e32 v2, s10
	s_xor_b64 exec, exec, s[6:7]
	s_cbranch_execnz .LBB1_27220
; %bb.63057:
	s_getpc_b64 s[14:15]
.Lpost_getpc17192:
	s_add_u32 s14, s14, (.LBB1_12882-.Lpost_getpc17192)&4294967295
	s_addc_u32 s15, s15, (.LBB1_12882-.Lpost_getpc17192)>>32
	s_setpc_b64 s[14:15]
.LBB1_27220:
	v_cmp_ne_u16_e32 vcc, 0, v3
	s_andn2_b64 s[4:5], s[4:5], exec
	s_and_b64 s[8:9], vcc, exec
	v_mov_b32_e32 v2, 0
	s_or_b64 s[4:5], s[4:5], s[8:9]
	s_or_b64 exec, exec, s[6:7]
	s_and_saveexec_b64 s[6:7], s[4:5]
	s_cbranch_execz .LBB1_35113
; %bb.63059:
	s_getpc_b64 s[14:15]
.Lpost_getpc17193:
	s_add_u32 s14, s14, (.LBB1_12883-.Lpost_getpc17193)&4294967295
	s_addc_u32 s15, s15, (.LBB1_12883-.Lpost_getpc17193)>>32
	s_setpc_b64 s[14:15]
.LBB1_35113:
	s_getpc_b64 s[14:15]
.Lpost_getpc3220:
	s_add_u32 s14, s14, (.LBB1_12884-.Lpost_getpc3220)&4294967295
	s_addc_u32 s15, s15, (.LBB1_12884-.Lpost_getpc3220)>>32
	s_setpc_b64 s[14:15]
.LBB1_27221:
	s_movk_i32 s4, 0x80
	v_cmp_eq_u16_e32 vcc, s4, v3
	s_mov_b64 s[4:5], -1
                                        ; implicit-def: $sgpr10
	s_and_saveexec_b64 s[8:9], vcc
; %bb.27222:
	s_mov_b32 s10, 0x7f800001
	s_xor_b64 s[4:5], exec, -1
; %bb.27223:
	s_or_b64 exec, exec, s[8:9]
	s_and_b64 s[4:5], s[4:5], exec
                                        ; implicit-def: $vgpr3
	s_or_saveexec_b64 s[6:7], s[6:7]
	v_mov_b32_e32 v6, s10
	s_xor_b64 exec, exec, s[6:7]
	s_cbranch_execnz .LBB1_27224
; %bb.63061:
	s_getpc_b64 s[14:15]
.Lpost_getpc17194:
	s_add_u32 s14, s14, (.LBB1_12886-.Lpost_getpc17194)&4294967295
	s_addc_u32 s15, s15, (.LBB1_12886-.Lpost_getpc17194)>>32
	s_setpc_b64 s[14:15]
.LBB1_27224:
	v_cmp_ne_u16_e32 vcc, 0, v3
	s_andn2_b64 s[4:5], s[4:5], exec
	s_and_b64 s[8:9], vcc, exec
	v_mov_b32_e32 v6, 0
	s_or_b64 s[4:5], s[4:5], s[8:9]
	s_or_b64 exec, exec, s[6:7]
	s_and_saveexec_b64 s[6:7], s[4:5]
	s_cbranch_execz .LBB1_35115
; %bb.63063:
	s_getpc_b64 s[14:15]
.Lpost_getpc17195:
	s_add_u32 s14, s14, (.LBB1_12887-.Lpost_getpc17195)&4294967295
	s_addc_u32 s15, s15, (.LBB1_12887-.Lpost_getpc17195)>>32
	s_setpc_b64 s[14:15]
.LBB1_35115:
	s_getpc_b64 s[14:15]
.Lpost_getpc3221:
	s_add_u32 s14, s14, (.LBB1_12888-.Lpost_getpc3221)&4294967295
	s_addc_u32 s15, s15, (.LBB1_12888-.Lpost_getpc3221)>>32
	s_setpc_b64 s[14:15]
.LBB1_27225:
	s_movk_i32 s4, 0x80
	v_cmp_eq_u16_sdwa s[12:13], v8, s4 src0_sel:BYTE_3 src1_sel:DWORD
	s_mov_b64 s[4:5], -1
                                        ; implicit-def: $sgpr10
	s_and_saveexec_b64 s[8:9], s[12:13]
; %bb.27226:
	s_mov_b32 s10, 0x7f800001
	s_xor_b64 s[4:5], exec, -1
; %bb.27227:
	s_or_b64 exec, exec, s[8:9]
	s_and_b64 s[4:5], s[4:5], exec
	s_or_saveexec_b64 s[6:7], s[6:7]
	v_mov_b32_e32 v2, s10
	s_xor_b64 exec, exec, s[6:7]
	s_cbranch_execnz .LBB1_27228
; %bb.63065:
	s_getpc_b64 s[14:15]
.Lpost_getpc17196:
	s_add_u32 s14, s14, (.LBB1_12890-.Lpost_getpc17196)&4294967295
	s_addc_u32 s15, s15, (.LBB1_12890-.Lpost_getpc17196)>>32
	s_setpc_b64 s[14:15]
.LBB1_27228:
	v_mov_b32_e32 v2, 0
	v_cmp_ne_u16_sdwa s[8:9], v8, v2 src0_sel:BYTE_3 src1_sel:DWORD
	s_andn2_b64 s[4:5], s[4:5], exec
	s_and_b64 s[8:9], s[8:9], exec
	s_or_b64 s[4:5], s[4:5], s[8:9]
	s_or_b64 exec, exec, s[6:7]
	s_and_saveexec_b64 s[6:7], s[4:5]
	s_cbranch_execz .LBB1_35117
; %bb.63067:
	s_getpc_b64 s[14:15]
.Lpost_getpc17197:
	s_add_u32 s14, s14, (.LBB1_12891-.Lpost_getpc17197)&4294967295
	s_addc_u32 s15, s15, (.LBB1_12891-.Lpost_getpc17197)>>32
	s_setpc_b64 s[14:15]
.LBB1_35117:
	s_getpc_b64 s[14:15]
.Lpost_getpc3222:
	s_add_u32 s14, s14, (.LBB1_12892-.Lpost_getpc3222)&4294967295
	s_addc_u32 s15, s15, (.LBB1_12892-.Lpost_getpc3222)>>32
	s_setpc_b64 s[14:15]
.LBB1_27229:
	s_movk_i32 s4, 0x80
	v_cmp_eq_u16_sdwa s[12:13], v4, s4 src0_sel:BYTE_3 src1_sel:DWORD
	s_mov_b64 s[4:5], -1
                                        ; implicit-def: $sgpr10
	s_and_saveexec_b64 s[8:9], s[12:13]
; %bb.27230:
	s_mov_b32 s10, 0x7f800001
	s_xor_b64 s[4:5], exec, -1
; %bb.27231:
	s_or_b64 exec, exec, s[8:9]
	s_and_b64 s[4:5], s[4:5], exec
	s_or_saveexec_b64 s[6:7], s[6:7]
	v_mov_b32_e32 v3, s10
	s_xor_b64 exec, exec, s[6:7]
	s_cbranch_execnz .LBB1_27232
; %bb.63069:
	s_getpc_b64 s[14:15]
.Lpost_getpc17198:
	s_add_u32 s14, s14, (.LBB1_12894-.Lpost_getpc17198)&4294967295
	s_addc_u32 s15, s15, (.LBB1_12894-.Lpost_getpc17198)>>32
	s_setpc_b64 s[14:15]
.LBB1_27232:
	v_mov_b32_e32 v3, 0
	v_cmp_ne_u16_sdwa s[8:9], v4, v3 src0_sel:BYTE_3 src1_sel:DWORD
	s_andn2_b64 s[4:5], s[4:5], exec
	s_and_b64 s[8:9], s[8:9], exec
	s_or_b64 s[4:5], s[4:5], s[8:9]
	s_or_b64 exec, exec, s[6:7]
	s_and_saveexec_b64 s[6:7], s[4:5]
	s_cbranch_execz .LBB1_35119
; %bb.63071:
	s_getpc_b64 s[14:15]
.Lpost_getpc17199:
	s_add_u32 s14, s14, (.LBB1_12895-.Lpost_getpc17199)&4294967295
	s_addc_u32 s15, s15, (.LBB1_12895-.Lpost_getpc17199)>>32
	s_setpc_b64 s[14:15]
.LBB1_35119:
	s_getpc_b64 s[14:15]
.Lpost_getpc3223:
	s_add_u32 s14, s14, (.LBB1_12896-.Lpost_getpc3223)&4294967295
	s_addc_u32 s15, s15, (.LBB1_12896-.Lpost_getpc3223)>>32
	s_setpc_b64 s[14:15]
.LBB1_27233:
	s_movk_i32 s4, 0x80
	v_cmp_eq_u16_sdwa s[12:13], v9, s4 src0_sel:BYTE_0 src1_sel:DWORD
	s_mov_b64 s[4:5], -1
                                        ; implicit-def: $sgpr10
	s_and_saveexec_b64 s[8:9], s[12:13]
; %bb.27234:
	s_mov_b32 s10, 0x7f800001
	s_xor_b64 s[4:5], exec, -1
; %bb.27235:
	s_or_b64 exec, exec, s[8:9]
	s_and_b64 s[4:5], s[4:5], exec
	s_or_saveexec_b64 s[6:7], s[6:7]
	v_mov_b32_e32 v2, s10
	s_xor_b64 exec, exec, s[6:7]
	s_cbranch_execnz .LBB1_27236
; %bb.63073:
	s_getpc_b64 s[14:15]
.Lpost_getpc17200:
	s_add_u32 s14, s14, (.LBB1_12898-.Lpost_getpc17200)&4294967295
	s_addc_u32 s15, s15, (.LBB1_12898-.Lpost_getpc17200)>>32
	s_setpc_b64 s[14:15]
.LBB1_27236:
	v_mov_b32_e32 v2, 0
	v_cmp_ne_u16_sdwa s[8:9], v9, v2 src0_sel:BYTE_0 src1_sel:DWORD
	s_andn2_b64 s[4:5], s[4:5], exec
	s_and_b64 s[8:9], s[8:9], exec
	s_or_b64 s[4:5], s[4:5], s[8:9]
	s_or_b64 exec, exec, s[6:7]
	s_and_saveexec_b64 s[6:7], s[4:5]
	s_cbranch_execz .LBB1_35121
; %bb.63075:
	s_getpc_b64 s[14:15]
.Lpost_getpc17201:
	s_add_u32 s14, s14, (.LBB1_12899-.Lpost_getpc17201)&4294967295
	s_addc_u32 s15, s15, (.LBB1_12899-.Lpost_getpc17201)>>32
	s_setpc_b64 s[14:15]
.LBB1_35121:
	s_getpc_b64 s[14:15]
.Lpost_getpc3224:
	s_add_u32 s14, s14, (.LBB1_12900-.Lpost_getpc3224)&4294967295
	s_addc_u32 s15, s15, (.LBB1_12900-.Lpost_getpc3224)>>32
	s_setpc_b64 s[14:15]
.LBB1_27237:
	s_movk_i32 s4, 0x80
	v_cmp_eq_u16_sdwa s[12:13], v5, s4 src0_sel:BYTE_0 src1_sel:DWORD
	s_mov_b64 s[4:5], -1
                                        ; implicit-def: $sgpr10
	s_and_saveexec_b64 s[8:9], s[12:13]
; %bb.27238:
	s_mov_b32 s10, 0x7f800001
	s_xor_b64 s[4:5], exec, -1
; %bb.27239:
	s_or_b64 exec, exec, s[8:9]
	s_and_b64 s[4:5], s[4:5], exec
	s_or_saveexec_b64 s[6:7], s[6:7]
	v_mov_b32_e32 v3, s10
	s_xor_b64 exec, exec, s[6:7]
	s_cbranch_execnz .LBB1_27240
; %bb.63077:
	s_getpc_b64 s[14:15]
.Lpost_getpc17202:
	s_add_u32 s14, s14, (.LBB1_12902-.Lpost_getpc17202)&4294967295
	s_addc_u32 s15, s15, (.LBB1_12902-.Lpost_getpc17202)>>32
	s_setpc_b64 s[14:15]
.LBB1_27240:
	v_mov_b32_e32 v3, 0
	v_cmp_ne_u16_sdwa s[8:9], v5, v3 src0_sel:BYTE_0 src1_sel:DWORD
	s_andn2_b64 s[4:5], s[4:5], exec
	s_and_b64 s[8:9], s[8:9], exec
	s_or_b64 s[4:5], s[4:5], s[8:9]
	s_or_b64 exec, exec, s[6:7]
	s_and_saveexec_b64 s[6:7], s[4:5]
	s_cbranch_execz .LBB1_35123
; %bb.63079:
	s_getpc_b64 s[14:15]
.Lpost_getpc17203:
	s_add_u32 s14, s14, (.LBB1_12903-.Lpost_getpc17203)&4294967295
	s_addc_u32 s15, s15, (.LBB1_12903-.Lpost_getpc17203)>>32
	s_setpc_b64 s[14:15]
.LBB1_35123:
	s_getpc_b64 s[14:15]
.Lpost_getpc3225:
	s_add_u32 s14, s14, (.LBB1_12904-.Lpost_getpc3225)&4294967295
	s_addc_u32 s15, s15, (.LBB1_12904-.Lpost_getpc3225)>>32
	s_setpc_b64 s[14:15]
.LBB1_27241:
	s_movk_i32 s4, 0x80
	v_cmp_eq_u16_sdwa s[12:13], v3, s4 src0_sel:BYTE_0 src1_sel:DWORD
	s_mov_b64 s[4:5], -1
                                        ; implicit-def: $sgpr10
	s_and_saveexec_b64 s[8:9], s[12:13]
; %bb.27242:
	s_mov_b32 s10, 0x7f800001
	s_xor_b64 s[4:5], exec, -1
; %bb.27243:
	s_or_b64 exec, exec, s[8:9]
	s_and_b64 s[4:5], s[4:5], exec
	s_or_saveexec_b64 s[6:7], s[6:7]
	v_mov_b32_e32 v2, s10
	s_xor_b64 exec, exec, s[6:7]
	s_cbranch_execnz .LBB1_27244
; %bb.63081:
	s_getpc_b64 s[14:15]
.Lpost_getpc17204:
	s_add_u32 s14, s14, (.LBB1_12906-.Lpost_getpc17204)&4294967295
	s_addc_u32 s15, s15, (.LBB1_12906-.Lpost_getpc17204)>>32
	s_setpc_b64 s[14:15]
.LBB1_27244:
	v_mov_b32_e32 v2, 0
	v_cmp_ne_u16_sdwa s[8:9], v3, v2 src0_sel:BYTE_0 src1_sel:DWORD
	s_andn2_b64 s[4:5], s[4:5], exec
	s_and_b64 s[8:9], s[8:9], exec
	s_or_b64 s[4:5], s[4:5], s[8:9]
	s_or_b64 exec, exec, s[6:7]
	s_and_saveexec_b64 s[6:7], s[4:5]
	s_cbranch_execz .LBB1_35125
; %bb.63083:
	s_getpc_b64 s[14:15]
.Lpost_getpc17205:
	s_add_u32 s14, s14, (.LBB1_12907-.Lpost_getpc17205)&4294967295
	s_addc_u32 s15, s15, (.LBB1_12907-.Lpost_getpc17205)>>32
	s_setpc_b64 s[14:15]
.LBB1_35125:
	s_getpc_b64 s[14:15]
.Lpost_getpc3226:
	s_add_u32 s14, s14, (.LBB1_12908-.Lpost_getpc3226)&4294967295
	s_addc_u32 s15, s15, (.LBB1_12908-.Lpost_getpc3226)>>32
	s_setpc_b64 s[14:15]
.LBB1_27245:
	s_movk_i32 s4, 0x80
	v_cmp_eq_u16_sdwa s[12:13], v3, s4 src0_sel:BYTE_0 src1_sel:DWORD
	s_mov_b64 s[4:5], -1
                                        ; implicit-def: $sgpr10
	s_and_saveexec_b64 s[8:9], s[12:13]
; %bb.27246:
	s_mov_b32 s10, 0x7f800001
	s_xor_b64 s[4:5], exec, -1
; %bb.27247:
	s_or_b64 exec, exec, s[8:9]
	s_and_b64 s[4:5], s[4:5], exec
	s_or_saveexec_b64 s[6:7], s[6:7]
	v_mov_b32_e32 v4, s10
	s_xor_b64 exec, exec, s[6:7]
	s_cbranch_execnz .LBB1_27248
; %bb.63085:
	s_getpc_b64 s[14:15]
.Lpost_getpc17206:
	s_add_u32 s14, s14, (.LBB1_12910-.Lpost_getpc17206)&4294967295
	s_addc_u32 s15, s15, (.LBB1_12910-.Lpost_getpc17206)>>32
	s_setpc_b64 s[14:15]
.LBB1_27248:
	v_mov_b32_e32 v4, 0
	v_cmp_ne_u16_sdwa s[8:9], v3, v4 src0_sel:BYTE_0 src1_sel:DWORD
	s_andn2_b64 s[4:5], s[4:5], exec
	s_and_b64 s[8:9], s[8:9], exec
	s_or_b64 s[4:5], s[4:5], s[8:9]
	s_or_b64 exec, exec, s[6:7]
	s_and_saveexec_b64 s[6:7], s[4:5]
	s_cbranch_execz .LBB1_35127
; %bb.63087:
	s_getpc_b64 s[14:15]
.Lpost_getpc17207:
	s_add_u32 s14, s14, (.LBB1_12911-.Lpost_getpc17207)&4294967295
	s_addc_u32 s15, s15, (.LBB1_12911-.Lpost_getpc17207)>>32
	s_setpc_b64 s[14:15]
.LBB1_35127:
	s_getpc_b64 s[14:15]
.Lpost_getpc3227:
	s_add_u32 s14, s14, (.LBB1_12912-.Lpost_getpc3227)&4294967295
	s_addc_u32 s15, s15, (.LBB1_12912-.Lpost_getpc3227)>>32
	s_setpc_b64 s[14:15]
.LBB1_27249:
	s_movk_i32 s4, 0x80
	v_cmp_eq_u16_e32 vcc, s4, v3
	s_mov_b64 s[4:5], -1
                                        ; implicit-def: $sgpr10
	s_and_saveexec_b64 s[8:9], vcc
; %bb.27250:
	s_mov_b32 s10, 0x7f800001
	s_xor_b64 s[4:5], exec, -1
; %bb.27251:
	s_or_b64 exec, exec, s[8:9]
	s_and_b64 s[4:5], s[4:5], exec
                                        ; implicit-def: $vgpr3
	s_or_saveexec_b64 s[6:7], s[6:7]
	v_mov_b32_e32 v2, s10
	s_xor_b64 exec, exec, s[6:7]
	s_cbranch_execnz .LBB1_27252
; %bb.63089:
	s_getpc_b64 s[14:15]
.Lpost_getpc17208:
	s_add_u32 s14, s14, (.LBB1_12914-.Lpost_getpc17208)&4294967295
	s_addc_u32 s15, s15, (.LBB1_12914-.Lpost_getpc17208)>>32
	s_setpc_b64 s[14:15]
.LBB1_27252:
	v_cmp_ne_u16_e32 vcc, 0, v3
	s_andn2_b64 s[4:5], s[4:5], exec
	s_and_b64 s[8:9], vcc, exec
	v_mov_b32_e32 v2, 0
	s_or_b64 s[4:5], s[4:5], s[8:9]
	s_or_b64 exec, exec, s[6:7]
	s_and_saveexec_b64 s[6:7], s[4:5]
	s_cbranch_execz .LBB1_35129
; %bb.63091:
	s_getpc_b64 s[14:15]
.Lpost_getpc17209:
	s_add_u32 s14, s14, (.LBB1_12915-.Lpost_getpc17209)&4294967295
	s_addc_u32 s15, s15, (.LBB1_12915-.Lpost_getpc17209)>>32
	s_setpc_b64 s[14:15]
.LBB1_35129:
	s_getpc_b64 s[14:15]
.Lpost_getpc3228:
	s_add_u32 s14, s14, (.LBB1_12916-.Lpost_getpc3228)&4294967295
	s_addc_u32 s15, s15, (.LBB1_12916-.Lpost_getpc3228)>>32
	s_setpc_b64 s[14:15]
.LBB1_27253:
	s_movk_i32 s4, 0x80
	v_cmp_eq_u16_e32 vcc, s4, v3
	s_mov_b64 s[4:5], -1
                                        ; implicit-def: $sgpr10
	s_and_saveexec_b64 s[8:9], vcc
; %bb.27254:
	s_mov_b32 s10, 0x7f800001
	s_xor_b64 s[4:5], exec, -1
; %bb.27255:
	s_or_b64 exec, exec, s[8:9]
	s_and_b64 s[4:5], s[4:5], exec
                                        ; implicit-def: $vgpr3
	s_or_saveexec_b64 s[6:7], s[6:7]
	v_mov_b32_e32 v4, s10
	s_xor_b64 exec, exec, s[6:7]
	s_cbranch_execnz .LBB1_27256
; %bb.63093:
	s_getpc_b64 s[14:15]
.Lpost_getpc17210:
	s_add_u32 s14, s14, (.LBB1_12918-.Lpost_getpc17210)&4294967295
	s_addc_u32 s15, s15, (.LBB1_12918-.Lpost_getpc17210)>>32
	s_setpc_b64 s[14:15]
.LBB1_27256:
	v_cmp_ne_u16_e32 vcc, 0, v3
	s_andn2_b64 s[4:5], s[4:5], exec
	s_and_b64 s[8:9], vcc, exec
	v_mov_b32_e32 v4, 0
	s_or_b64 s[4:5], s[4:5], s[8:9]
	s_or_b64 exec, exec, s[6:7]
	s_and_saveexec_b64 s[6:7], s[4:5]
	s_cbranch_execz .LBB1_35131
; %bb.63095:
	s_getpc_b64 s[14:15]
.Lpost_getpc17211:
	s_add_u32 s14, s14, (.LBB1_12919-.Lpost_getpc17211)&4294967295
	s_addc_u32 s15, s15, (.LBB1_12919-.Lpost_getpc17211)>>32
	s_setpc_b64 s[14:15]
.LBB1_35131:
	s_getpc_b64 s[14:15]
.Lpost_getpc3229:
	s_add_u32 s14, s14, (.LBB1_12920-.Lpost_getpc3229)&4294967295
	s_addc_u32 s15, s15, (.LBB1_12920-.Lpost_getpc3229)>>32
	s_setpc_b64 s[14:15]
.LBB1_27257:
	s_movk_i32 s4, 0x80
	v_cmp_eq_u16_sdwa s[12:13], v9, s4 src0_sel:BYTE_3 src1_sel:DWORD
	s_mov_b64 s[4:5], -1
                                        ; implicit-def: $sgpr10
	s_and_saveexec_b64 s[8:9], s[12:13]
; %bb.27258:
	s_mov_b32 s10, 0x7f800001
	s_xor_b64 s[4:5], exec, -1
; %bb.27259:
	s_or_b64 exec, exec, s[8:9]
	s_and_b64 s[4:5], s[4:5], exec
	s_or_saveexec_b64 s[6:7], s[6:7]
	v_mov_b32_e32 v2, s10
	s_xor_b64 exec, exec, s[6:7]
	s_cbranch_execnz .LBB1_27260
; %bb.63097:
	s_getpc_b64 s[14:15]
.Lpost_getpc17212:
	s_add_u32 s14, s14, (.LBB1_12922-.Lpost_getpc17212)&4294967295
	s_addc_u32 s15, s15, (.LBB1_12922-.Lpost_getpc17212)>>32
	s_setpc_b64 s[14:15]
.LBB1_27260:
	v_mov_b32_e32 v2, 0
	v_cmp_ne_u16_sdwa s[8:9], v9, v2 src0_sel:BYTE_3 src1_sel:DWORD
	s_andn2_b64 s[4:5], s[4:5], exec
	s_and_b64 s[8:9], s[8:9], exec
	s_or_b64 s[4:5], s[4:5], s[8:9]
	s_or_b64 exec, exec, s[6:7]
	s_and_saveexec_b64 s[6:7], s[4:5]
	s_cbranch_execz .LBB1_35133
; %bb.63099:
	s_getpc_b64 s[14:15]
.Lpost_getpc17213:
	s_add_u32 s14, s14, (.LBB1_12923-.Lpost_getpc17213)&4294967295
	s_addc_u32 s15, s15, (.LBB1_12923-.Lpost_getpc17213)>>32
	s_setpc_b64 s[14:15]
.LBB1_35133:
	s_getpc_b64 s[14:15]
.Lpost_getpc3230:
	s_add_u32 s14, s14, (.LBB1_12924-.Lpost_getpc3230)&4294967295
	s_addc_u32 s15, s15, (.LBB1_12924-.Lpost_getpc3230)>>32
	s_setpc_b64 s[14:15]
.LBB1_27261:
	s_movk_i32 s4, 0x80
	v_cmp_eq_u16_sdwa s[12:13], v5, s4 src0_sel:BYTE_3 src1_sel:DWORD
	s_mov_b64 s[4:5], -1
                                        ; implicit-def: $sgpr10
	s_and_saveexec_b64 s[8:9], s[12:13]
; %bb.27262:
	s_mov_b32 s10, 0x7f800001
	s_xor_b64 s[4:5], exec, -1
; %bb.27263:
	s_or_b64 exec, exec, s[8:9]
	s_and_b64 s[4:5], s[4:5], exec
	s_or_saveexec_b64 s[6:7], s[6:7]
	v_mov_b32_e32 v3, s10
	s_xor_b64 exec, exec, s[6:7]
	s_cbranch_execnz .LBB1_27264
; %bb.63101:
	s_getpc_b64 s[14:15]
.Lpost_getpc17214:
	s_add_u32 s14, s14, (.LBB1_12926-.Lpost_getpc17214)&4294967295
	s_addc_u32 s15, s15, (.LBB1_12926-.Lpost_getpc17214)>>32
	s_setpc_b64 s[14:15]
.LBB1_27264:
	v_mov_b32_e32 v3, 0
	v_cmp_ne_u16_sdwa s[8:9], v5, v3 src0_sel:BYTE_3 src1_sel:DWORD
	s_andn2_b64 s[4:5], s[4:5], exec
	s_and_b64 s[8:9], s[8:9], exec
	s_or_b64 s[4:5], s[4:5], s[8:9]
	s_or_b64 exec, exec, s[6:7]
	s_and_saveexec_b64 s[6:7], s[4:5]
	s_cbranch_execz .LBB1_35135
; %bb.63103:
	s_getpc_b64 s[14:15]
.Lpost_getpc17215:
	s_add_u32 s14, s14, (.LBB1_12927-.Lpost_getpc17215)&4294967295
	s_addc_u32 s15, s15, (.LBB1_12927-.Lpost_getpc17215)>>32
	s_setpc_b64 s[14:15]
.LBB1_35135:
	s_getpc_b64 s[14:15]
.Lpost_getpc3231:
	s_add_u32 s14, s14, (.LBB1_12928-.Lpost_getpc3231)&4294967295
	s_addc_u32 s15, s15, (.LBB1_12928-.Lpost_getpc3231)>>32
	s_setpc_b64 s[14:15]
.LBB1_27265:
	s_movk_i32 s4, 0x80
	v_cmp_eq_u16_sdwa s[12:13], v6, s4 src0_sel:BYTE_0 src1_sel:DWORD
	s_mov_b64 s[4:5], -1
                                        ; implicit-def: $sgpr10
	s_and_saveexec_b64 s[8:9], s[12:13]
; %bb.27266:
	s_mov_b32 s10, 0x7f800001
	s_xor_b64 s[4:5], exec, -1
; %bb.27267:
	s_or_b64 exec, exec, s[8:9]
	s_and_b64 s[4:5], s[4:5], exec
	s_or_saveexec_b64 s[6:7], s[6:7]
	v_mov_b32_e32 v12, s10
	s_xor_b64 exec, exec, s[6:7]
	s_cbranch_execnz .LBB1_27268
; %bb.63105:
	s_getpc_b64 s[14:15]
.Lpost_getpc17216:
	s_add_u32 s14, s14, (.LBB1_12930-.Lpost_getpc17216)&4294967295
	s_addc_u32 s15, s15, (.LBB1_12930-.Lpost_getpc17216)>>32
	s_setpc_b64 s[14:15]
.LBB1_27268:
	v_mov_b32_e32 v12, 0
	v_cmp_ne_u16_sdwa s[8:9], v6, v12 src0_sel:BYTE_0 src1_sel:DWORD
	s_andn2_b64 s[4:5], s[4:5], exec
	s_and_b64 s[8:9], s[8:9], exec
	s_or_b64 s[4:5], s[4:5], s[8:9]
	s_or_b64 exec, exec, s[6:7]
	s_and_saveexec_b64 s[6:7], s[4:5]
	s_cbranch_execz .LBB1_35137
; %bb.63107:
	s_getpc_b64 s[14:15]
.Lpost_getpc17217:
	s_add_u32 s14, s14, (.LBB1_12931-.Lpost_getpc17217)&4294967295
	s_addc_u32 s15, s15, (.LBB1_12931-.Lpost_getpc17217)>>32
	s_setpc_b64 s[14:15]
.LBB1_35137:
	s_getpc_b64 s[14:15]
.Lpost_getpc3232:
	s_add_u32 s14, s14, (.LBB1_12932-.Lpost_getpc3232)&4294967295
	s_addc_u32 s15, s15, (.LBB1_12932-.Lpost_getpc3232)>>32
	s_setpc_b64 s[14:15]
.LBB1_27269:
	s_movk_i32 s4, 0x80
	v_cmp_eq_u16_sdwa s[12:13], v2, s4 src0_sel:BYTE_0 src1_sel:DWORD
	s_mov_b64 s[4:5], -1
                                        ; implicit-def: $sgpr10
	s_and_saveexec_b64 s[8:9], s[12:13]
; %bb.27270:
	s_mov_b32 s10, 0x7f800001
	s_xor_b64 s[4:5], exec, -1
; %bb.27271:
	s_or_b64 exec, exec, s[8:9]
	s_and_b64 s[4:5], s[4:5], exec
	s_or_saveexec_b64 s[6:7], s[6:7]
	v_mov_b32_e32 v13, s10
	s_xor_b64 exec, exec, s[6:7]
	s_cbranch_execnz .LBB1_27272
; %bb.63109:
	s_getpc_b64 s[14:15]
.Lpost_getpc17218:
	s_add_u32 s14, s14, (.LBB1_12934-.Lpost_getpc17218)&4294967295
	s_addc_u32 s15, s15, (.LBB1_12934-.Lpost_getpc17218)>>32
	s_setpc_b64 s[14:15]
.LBB1_27272:
	v_mov_b32_e32 v13, 0
	v_cmp_ne_u16_sdwa s[8:9], v2, v13 src0_sel:BYTE_0 src1_sel:DWORD
	s_andn2_b64 s[4:5], s[4:5], exec
	s_and_b64 s[8:9], s[8:9], exec
	s_or_b64 s[4:5], s[4:5], s[8:9]
	s_or_b64 exec, exec, s[6:7]
	s_and_saveexec_b64 s[6:7], s[4:5]
	s_cbranch_execz .LBB1_35139
; %bb.63111:
	s_getpc_b64 s[14:15]
.Lpost_getpc17219:
	s_add_u32 s14, s14, (.LBB1_12935-.Lpost_getpc17219)&4294967295
	s_addc_u32 s15, s15, (.LBB1_12935-.Lpost_getpc17219)>>32
	s_setpc_b64 s[14:15]
.LBB1_35139:
	s_getpc_b64 s[14:15]
.Lpost_getpc3233:
	s_add_u32 s14, s14, (.LBB1_12936-.Lpost_getpc3233)&4294967295
	s_addc_u32 s15, s15, (.LBB1_12936-.Lpost_getpc3233)>>32
	s_setpc_b64 s[14:15]
.LBB1_27273:
	s_movk_i32 s4, 0x80
	v_cmp_eq_u16_sdwa s[12:13], v13, s4 src0_sel:BYTE_0 src1_sel:DWORD
	s_mov_b64 s[4:5], -1
                                        ; implicit-def: $sgpr10
	s_and_saveexec_b64 s[8:9], s[12:13]
; %bb.27274:
	s_mov_b32 s10, 0x7f800001
	s_xor_b64 s[4:5], exec, -1
; %bb.27275:
	s_or_b64 exec, exec, s[8:9]
	s_and_b64 s[4:5], s[4:5], exec
	s_or_saveexec_b64 s[6:7], s[6:7]
	v_mov_b32_e32 v12, s10
	s_xor_b64 exec, exec, s[6:7]
	s_cbranch_execnz .LBB1_27276
; %bb.63113:
	s_getpc_b64 s[14:15]
.Lpost_getpc17220:
	s_add_u32 s14, s14, (.LBB1_12938-.Lpost_getpc17220)&4294967295
	s_addc_u32 s15, s15, (.LBB1_12938-.Lpost_getpc17220)>>32
	s_setpc_b64 s[14:15]
.LBB1_27276:
	v_mov_b32_e32 v12, 0
	v_cmp_ne_u16_sdwa s[8:9], v13, v12 src0_sel:BYTE_0 src1_sel:DWORD
	s_andn2_b64 s[4:5], s[4:5], exec
	s_and_b64 s[8:9], s[8:9], exec
	s_or_b64 s[4:5], s[4:5], s[8:9]
	s_or_b64 exec, exec, s[6:7]
	s_and_saveexec_b64 s[6:7], s[4:5]
	s_cbranch_execz .LBB1_35141
; %bb.63115:
	s_getpc_b64 s[14:15]
.Lpost_getpc17221:
	s_add_u32 s14, s14, (.LBB1_12939-.Lpost_getpc17221)&4294967295
	s_addc_u32 s15, s15, (.LBB1_12939-.Lpost_getpc17221)>>32
	s_setpc_b64 s[14:15]
.LBB1_35141:
	s_getpc_b64 s[14:15]
.Lpost_getpc3234:
	s_add_u32 s14, s14, (.LBB1_12940-.Lpost_getpc3234)&4294967295
	s_addc_u32 s15, s15, (.LBB1_12940-.Lpost_getpc3234)>>32
	s_setpc_b64 s[14:15]
.LBB1_27277:
	s_movk_i32 s4, 0x80
	v_cmp_eq_u16_sdwa s[12:13], v13, s4 src0_sel:BYTE_0 src1_sel:DWORD
	s_mov_b64 s[4:5], -1
                                        ; implicit-def: $sgpr10
	s_and_saveexec_b64 s[8:9], s[12:13]
; %bb.27278:
	s_mov_b32 s10, 0x7f800001
	s_xor_b64 s[4:5], exec, -1
; %bb.27279:
	s_or_b64 exec, exec, s[8:9]
	s_and_b64 s[4:5], s[4:5], exec
	s_or_saveexec_b64 s[6:7], s[6:7]
	v_mov_b32_e32 v14, s10
	s_xor_b64 exec, exec, s[6:7]
	s_cbranch_execnz .LBB1_27280
; %bb.63117:
	s_getpc_b64 s[14:15]
.Lpost_getpc17222:
	s_add_u32 s14, s14, (.LBB1_12942-.Lpost_getpc17222)&4294967295
	s_addc_u32 s15, s15, (.LBB1_12942-.Lpost_getpc17222)>>32
	s_setpc_b64 s[14:15]
.LBB1_27280:
	v_mov_b32_e32 v14, 0
	v_cmp_ne_u16_sdwa s[8:9], v13, v14 src0_sel:BYTE_0 src1_sel:DWORD
	s_andn2_b64 s[4:5], s[4:5], exec
	s_and_b64 s[8:9], s[8:9], exec
	s_or_b64 s[4:5], s[4:5], s[8:9]
	s_or_b64 exec, exec, s[6:7]
	s_and_saveexec_b64 s[6:7], s[4:5]
	s_cbranch_execz .LBB1_35143
; %bb.63119:
	s_getpc_b64 s[14:15]
.Lpost_getpc17223:
	s_add_u32 s14, s14, (.LBB1_12943-.Lpost_getpc17223)&4294967295
	s_addc_u32 s15, s15, (.LBB1_12943-.Lpost_getpc17223)>>32
	s_setpc_b64 s[14:15]
.LBB1_35143:
	s_getpc_b64 s[14:15]
.Lpost_getpc3235:
	s_add_u32 s14, s14, (.LBB1_12944-.Lpost_getpc3235)&4294967295
	s_addc_u32 s15, s15, (.LBB1_12944-.Lpost_getpc3235)>>32
	s_setpc_b64 s[14:15]
.LBB1_27281:
	s_movk_i32 s4, 0x80
	v_cmp_eq_u16_e32 vcc, s4, v13
	s_mov_b64 s[4:5], -1
                                        ; implicit-def: $sgpr10
	s_and_saveexec_b64 s[8:9], vcc
; %bb.27282:
	s_mov_b32 s10, 0x7f800001
	s_xor_b64 s[4:5], exec, -1
; %bb.27283:
	s_or_b64 exec, exec, s[8:9]
	s_and_b64 s[4:5], s[4:5], exec
                                        ; implicit-def: $vgpr13
	s_or_saveexec_b64 s[6:7], s[6:7]
	v_mov_b32_e32 v12, s10
	s_xor_b64 exec, exec, s[6:7]
	s_cbranch_execnz .LBB1_27284
; %bb.63121:
	s_getpc_b64 s[14:15]
.Lpost_getpc17224:
	s_add_u32 s14, s14, (.LBB1_12946-.Lpost_getpc17224)&4294967295
	s_addc_u32 s15, s15, (.LBB1_12946-.Lpost_getpc17224)>>32
	s_setpc_b64 s[14:15]
.LBB1_27284:
	v_cmp_ne_u16_e32 vcc, 0, v13
	s_andn2_b64 s[4:5], s[4:5], exec
	s_and_b64 s[8:9], vcc, exec
	v_mov_b32_e32 v12, 0
	s_or_b64 s[4:5], s[4:5], s[8:9]
	s_or_b64 exec, exec, s[6:7]
	s_and_saveexec_b64 s[6:7], s[4:5]
	s_cbranch_execz .LBB1_35145
; %bb.63123:
	s_getpc_b64 s[14:15]
.Lpost_getpc17225:
	s_add_u32 s14, s14, (.LBB1_12947-.Lpost_getpc17225)&4294967295
	s_addc_u32 s15, s15, (.LBB1_12947-.Lpost_getpc17225)>>32
	s_setpc_b64 s[14:15]
.LBB1_35145:
	s_getpc_b64 s[14:15]
.Lpost_getpc3236:
	s_add_u32 s14, s14, (.LBB1_12948-.Lpost_getpc3236)&4294967295
	s_addc_u32 s15, s15, (.LBB1_12948-.Lpost_getpc3236)>>32
	s_setpc_b64 s[14:15]
.LBB1_27285:
	s_movk_i32 s4, 0x80
	v_cmp_eq_u16_e32 vcc, s4, v13
	s_mov_b64 s[4:5], -1
                                        ; implicit-def: $sgpr10
	s_and_saveexec_b64 s[8:9], vcc
; %bb.27286:
	s_mov_b32 s10, 0x7f800001
	s_xor_b64 s[4:5], exec, -1
; %bb.27287:
	s_or_b64 exec, exec, s[8:9]
	s_and_b64 s[4:5], s[4:5], exec
                                        ; implicit-def: $vgpr13
	s_or_saveexec_b64 s[6:7], s[6:7]
	v_mov_b32_e32 v14, s10
	s_xor_b64 exec, exec, s[6:7]
	s_cbranch_execnz .LBB1_27288
; %bb.63125:
	s_getpc_b64 s[14:15]
.Lpost_getpc17226:
	s_add_u32 s14, s14, (.LBB1_12950-.Lpost_getpc17226)&4294967295
	s_addc_u32 s15, s15, (.LBB1_12950-.Lpost_getpc17226)>>32
	s_setpc_b64 s[14:15]
.LBB1_27288:
	v_cmp_ne_u16_e32 vcc, 0, v13
	s_andn2_b64 s[4:5], s[4:5], exec
	s_and_b64 s[8:9], vcc, exec
	v_mov_b32_e32 v14, 0
	s_or_b64 s[4:5], s[4:5], s[8:9]
	s_or_b64 exec, exec, s[6:7]
	s_and_saveexec_b64 s[6:7], s[4:5]
	s_cbranch_execz .LBB1_35147
; %bb.63127:
	s_getpc_b64 s[14:15]
.Lpost_getpc17227:
	s_add_u32 s14, s14, (.LBB1_12951-.Lpost_getpc17227)&4294967295
	s_addc_u32 s15, s15, (.LBB1_12951-.Lpost_getpc17227)>>32
	s_setpc_b64 s[14:15]
.LBB1_35147:
	s_getpc_b64 s[14:15]
.Lpost_getpc3237:
	s_add_u32 s14, s14, (.LBB1_12952-.Lpost_getpc3237)&4294967295
	s_addc_u32 s15, s15, (.LBB1_12952-.Lpost_getpc3237)>>32
	s_setpc_b64 s[14:15]
.LBB1_27289:
	s_movk_i32 s4, 0x80
	v_cmp_eq_u16_sdwa s[12:13], v6, s4 src0_sel:BYTE_3 src1_sel:DWORD
	s_mov_b64 s[4:5], -1
                                        ; implicit-def: $sgpr10
	s_and_saveexec_b64 s[8:9], s[12:13]
; %bb.27290:
	s_mov_b32 s10, 0x7f800001
	s_xor_b64 s[4:5], exec, -1
; %bb.27291:
	s_or_b64 exec, exec, s[8:9]
	s_and_b64 s[4:5], s[4:5], exec
	s_or_saveexec_b64 s[6:7], s[6:7]
	v_mov_b32_e32 v12, s10
	s_xor_b64 exec, exec, s[6:7]
	s_cbranch_execnz .LBB1_27292
; %bb.63129:
	s_getpc_b64 s[14:15]
.Lpost_getpc17228:
	s_add_u32 s14, s14, (.LBB1_12954-.Lpost_getpc17228)&4294967295
	s_addc_u32 s15, s15, (.LBB1_12954-.Lpost_getpc17228)>>32
	s_setpc_b64 s[14:15]
.LBB1_27292:
	v_mov_b32_e32 v12, 0
	v_cmp_ne_u16_sdwa s[8:9], v6, v12 src0_sel:BYTE_3 src1_sel:DWORD
	s_andn2_b64 s[4:5], s[4:5], exec
	s_and_b64 s[8:9], s[8:9], exec
	s_or_b64 s[4:5], s[4:5], s[8:9]
	s_or_b64 exec, exec, s[6:7]
	s_and_saveexec_b64 s[6:7], s[4:5]
	s_cbranch_execz .LBB1_35149
; %bb.63131:
	s_getpc_b64 s[14:15]
.Lpost_getpc17229:
	s_add_u32 s14, s14, (.LBB1_12955-.Lpost_getpc17229)&4294967295
	s_addc_u32 s15, s15, (.LBB1_12955-.Lpost_getpc17229)>>32
	s_setpc_b64 s[14:15]
.LBB1_35149:
	s_getpc_b64 s[14:15]
.Lpost_getpc3238:
	s_add_u32 s14, s14, (.LBB1_12956-.Lpost_getpc3238)&4294967295
	s_addc_u32 s15, s15, (.LBB1_12956-.Lpost_getpc3238)>>32
	s_setpc_b64 s[14:15]
.LBB1_27293:
	s_movk_i32 s4, 0x80
	v_cmp_eq_u16_sdwa s[12:13], v2, s4 src0_sel:BYTE_3 src1_sel:DWORD
	s_mov_b64 s[4:5], -1
                                        ; implicit-def: $sgpr10
	s_and_saveexec_b64 s[8:9], s[12:13]
; %bb.27294:
	s_mov_b32 s10, 0x7f800001
	s_xor_b64 s[4:5], exec, -1
; %bb.27295:
	s_or_b64 exec, exec, s[8:9]
	s_and_b64 s[4:5], s[4:5], exec
	s_or_saveexec_b64 s[6:7], s[6:7]
	v_mov_b32_e32 v6, s10
	s_xor_b64 exec, exec, s[6:7]
	s_cbranch_execnz .LBB1_27296
; %bb.63133:
	s_getpc_b64 s[14:15]
.Lpost_getpc17230:
	s_add_u32 s14, s14, (.LBB1_12958-.Lpost_getpc17230)&4294967295
	s_addc_u32 s15, s15, (.LBB1_12958-.Lpost_getpc17230)>>32
	s_setpc_b64 s[14:15]
.LBB1_27296:
	v_mov_b32_e32 v6, 0
	v_cmp_ne_u16_sdwa s[8:9], v2, v6 src0_sel:BYTE_3 src1_sel:DWORD
	s_andn2_b64 s[4:5], s[4:5], exec
	s_and_b64 s[8:9], s[8:9], exec
	s_or_b64 s[4:5], s[4:5], s[8:9]
	s_or_b64 exec, exec, s[6:7]
	s_and_saveexec_b64 s[6:7], s[4:5]
	s_cbranch_execz .LBB1_35151
; %bb.63135:
	s_getpc_b64 s[14:15]
.Lpost_getpc17231:
	s_add_u32 s14, s14, (.LBB1_12959-.Lpost_getpc17231)&4294967295
	s_addc_u32 s15, s15, (.LBB1_12959-.Lpost_getpc17231)>>32
	s_setpc_b64 s[14:15]
.LBB1_35151:
	s_getpc_b64 s[14:15]
.Lpost_getpc3239:
	s_add_u32 s14, s14, (.LBB1_12960-.Lpost_getpc3239)&4294967295
	s_addc_u32 s15, s15, (.LBB1_12960-.Lpost_getpc3239)>>32
	s_setpc_b64 s[14:15]
.LBB1_27297:
	s_movk_i32 s4, 0x80
	v_cmp_eq_u16_sdwa s[12:13], v7, s4 src0_sel:BYTE_0 src1_sel:DWORD
	s_mov_b64 s[4:5], -1
                                        ; implicit-def: $sgpr10
	s_and_saveexec_b64 s[8:9], s[12:13]
; %bb.27298:
	s_mov_b32 s10, 0x7f800001
	s_xor_b64 s[4:5], exec, -1
; %bb.27299:
	s_or_b64 exec, exec, s[8:9]
	s_and_b64 s[4:5], s[4:5], exec
	s_or_saveexec_b64 s[6:7], s[6:7]
	v_mov_b32_e32 v2, s10
	s_xor_b64 exec, exec, s[6:7]
	s_cbranch_execnz .LBB1_27300
; %bb.63137:
	s_getpc_b64 s[14:15]
.Lpost_getpc17232:
	s_add_u32 s14, s14, (.LBB1_12962-.Lpost_getpc17232)&4294967295
	s_addc_u32 s15, s15, (.LBB1_12962-.Lpost_getpc17232)>>32
	s_setpc_b64 s[14:15]
.LBB1_27300:
	v_mov_b32_e32 v2, 0
	v_cmp_ne_u16_sdwa s[8:9], v7, v2 src0_sel:BYTE_0 src1_sel:DWORD
	s_andn2_b64 s[4:5], s[4:5], exec
	s_and_b64 s[8:9], s[8:9], exec
	s_or_b64 s[4:5], s[4:5], s[8:9]
	s_or_b64 exec, exec, s[6:7]
	s_and_saveexec_b64 s[6:7], s[4:5]
	s_cbranch_execz .LBB1_35153
; %bb.63139:
	s_getpc_b64 s[14:15]
.Lpost_getpc17233:
	s_add_u32 s14, s14, (.LBB1_12963-.Lpost_getpc17233)&4294967295
	s_addc_u32 s15, s15, (.LBB1_12963-.Lpost_getpc17233)>>32
	s_setpc_b64 s[14:15]
.LBB1_35153:
	s_getpc_b64 s[14:15]
.Lpost_getpc3240:
	s_add_u32 s14, s14, (.LBB1_12964-.Lpost_getpc3240)&4294967295
	s_addc_u32 s15, s15, (.LBB1_12964-.Lpost_getpc3240)>>32
	s_setpc_b64 s[14:15]
.LBB1_27301:
	s_movk_i32 s4, 0x80
	v_cmp_eq_u16_sdwa s[12:13], v3, s4 src0_sel:BYTE_0 src1_sel:DWORD
	s_mov_b64 s[4:5], -1
                                        ; implicit-def: $sgpr10
	s_and_saveexec_b64 s[8:9], s[12:13]
; %bb.27302:
	s_mov_b32 s10, 0x7f800001
	s_xor_b64 s[4:5], exec, -1
; %bb.27303:
	s_or_b64 exec, exec, s[8:9]
	s_and_b64 s[4:5], s[4:5], exec
	s_or_saveexec_b64 s[6:7], s[6:7]
	v_mov_b32_e32 v6, s10
	s_xor_b64 exec, exec, s[6:7]
	s_cbranch_execnz .LBB1_27304
; %bb.63141:
	s_getpc_b64 s[14:15]
.Lpost_getpc17234:
	s_add_u32 s14, s14, (.LBB1_12966-.Lpost_getpc17234)&4294967295
	s_addc_u32 s15, s15, (.LBB1_12966-.Lpost_getpc17234)>>32
	s_setpc_b64 s[14:15]
.LBB1_27304:
	v_mov_b32_e32 v6, 0
	v_cmp_ne_u16_sdwa s[8:9], v3, v6 src0_sel:BYTE_0 src1_sel:DWORD
	s_andn2_b64 s[4:5], s[4:5], exec
	s_and_b64 s[8:9], s[8:9], exec
	s_or_b64 s[4:5], s[4:5], s[8:9]
	s_or_b64 exec, exec, s[6:7]
	s_and_saveexec_b64 s[6:7], s[4:5]
	s_cbranch_execz .LBB1_35155
; %bb.63143:
	s_getpc_b64 s[14:15]
.Lpost_getpc17235:
	s_add_u32 s14, s14, (.LBB1_12967-.Lpost_getpc17235)&4294967295
	s_addc_u32 s15, s15, (.LBB1_12967-.Lpost_getpc17235)>>32
	s_setpc_b64 s[14:15]
.LBB1_35155:
	s_getpc_b64 s[14:15]
.Lpost_getpc3241:
	s_add_u32 s14, s14, (.LBB1_12968-.Lpost_getpc3241)&4294967295
	s_addc_u32 s15, s15, (.LBB1_12968-.Lpost_getpc3241)>>32
	s_setpc_b64 s[14:15]
.LBB1_27305:
	s_movk_i32 s4, 0x80
	v_cmp_eq_u16_sdwa s[12:13], v6, s4 src0_sel:BYTE_0 src1_sel:DWORD
	s_mov_b64 s[4:5], -1
                                        ; implicit-def: $sgpr10
	s_and_saveexec_b64 s[8:9], s[12:13]
; %bb.27306:
	s_mov_b32 s10, 0x7f800001
	s_xor_b64 s[4:5], exec, -1
; %bb.27307:
	s_or_b64 exec, exec, s[8:9]
	s_and_b64 s[4:5], s[4:5], exec
	s_or_saveexec_b64 s[6:7], s[6:7]
	v_mov_b32_e32 v2, s10
	s_xor_b64 exec, exec, s[6:7]
	s_cbranch_execnz .LBB1_27308
; %bb.63145:
	s_getpc_b64 s[14:15]
.Lpost_getpc17236:
	s_add_u32 s14, s14, (.LBB1_12970-.Lpost_getpc17236)&4294967295
	s_addc_u32 s15, s15, (.LBB1_12970-.Lpost_getpc17236)>>32
	s_setpc_b64 s[14:15]
.LBB1_27308:
	v_mov_b32_e32 v2, 0
	v_cmp_ne_u16_sdwa s[8:9], v6, v2 src0_sel:BYTE_0 src1_sel:DWORD
	s_andn2_b64 s[4:5], s[4:5], exec
	s_and_b64 s[8:9], s[8:9], exec
	s_or_b64 s[4:5], s[4:5], s[8:9]
	s_or_b64 exec, exec, s[6:7]
	s_and_saveexec_b64 s[6:7], s[4:5]
	s_cbranch_execz .LBB1_35157
; %bb.63147:
	s_getpc_b64 s[14:15]
.Lpost_getpc17237:
	s_add_u32 s14, s14, (.LBB1_12971-.Lpost_getpc17237)&4294967295
	s_addc_u32 s15, s15, (.LBB1_12971-.Lpost_getpc17237)>>32
	s_setpc_b64 s[14:15]
.LBB1_35157:
	s_getpc_b64 s[14:15]
.Lpost_getpc3242:
	s_add_u32 s14, s14, (.LBB1_12972-.Lpost_getpc3242)&4294967295
	s_addc_u32 s15, s15, (.LBB1_12972-.Lpost_getpc3242)>>32
	s_setpc_b64 s[14:15]
.LBB1_27309:
	s_movk_i32 s4, 0x80
	v_cmp_eq_u16_sdwa s[12:13], v6, s4 src0_sel:BYTE_0 src1_sel:DWORD
	s_mov_b64 s[4:5], -1
                                        ; implicit-def: $sgpr10
	s_and_saveexec_b64 s[8:9], s[12:13]
; %bb.27310:
	s_mov_b32 s10, 0x7f800001
	s_xor_b64 s[4:5], exec, -1
; %bb.27311:
	s_or_b64 exec, exec, s[8:9]
	s_and_b64 s[4:5], s[4:5], exec
	s_or_saveexec_b64 s[6:7], s[6:7]
	v_mov_b32_e32 v12, s10
	s_xor_b64 exec, exec, s[6:7]
	s_cbranch_execnz .LBB1_27312
; %bb.63149:
	s_getpc_b64 s[14:15]
.Lpost_getpc17238:
	s_add_u32 s14, s14, (.LBB1_12974-.Lpost_getpc17238)&4294967295
	s_addc_u32 s15, s15, (.LBB1_12974-.Lpost_getpc17238)>>32
	s_setpc_b64 s[14:15]
.LBB1_27312:
	v_mov_b32_e32 v12, 0
	v_cmp_ne_u16_sdwa s[8:9], v6, v12 src0_sel:BYTE_0 src1_sel:DWORD
	s_andn2_b64 s[4:5], s[4:5], exec
	s_and_b64 s[8:9], s[8:9], exec
	s_or_b64 s[4:5], s[4:5], s[8:9]
	s_or_b64 exec, exec, s[6:7]
	s_and_saveexec_b64 s[6:7], s[4:5]
	s_cbranch_execz .LBB1_35159
; %bb.63151:
	s_getpc_b64 s[14:15]
.Lpost_getpc17239:
	s_add_u32 s14, s14, (.LBB1_12975-.Lpost_getpc17239)&4294967295
	s_addc_u32 s15, s15, (.LBB1_12975-.Lpost_getpc17239)>>32
	s_setpc_b64 s[14:15]
.LBB1_35159:
	s_getpc_b64 s[14:15]
.Lpost_getpc3243:
	s_add_u32 s14, s14, (.LBB1_12976-.Lpost_getpc3243)&4294967295
	s_addc_u32 s15, s15, (.LBB1_12976-.Lpost_getpc3243)>>32
	s_setpc_b64 s[14:15]
.LBB1_27313:
	s_movk_i32 s4, 0x80
	v_cmp_eq_u16_e32 vcc, s4, v6
	s_mov_b64 s[4:5], -1
                                        ; implicit-def: $sgpr10
	s_and_saveexec_b64 s[8:9], vcc
; %bb.27314:
	s_mov_b32 s10, 0x7f800001
	s_xor_b64 s[4:5], exec, -1
; %bb.27315:
	s_or_b64 exec, exec, s[8:9]
	s_and_b64 s[4:5], s[4:5], exec
                                        ; implicit-def: $vgpr6
	s_or_saveexec_b64 s[6:7], s[6:7]
	v_mov_b32_e32 v2, s10
	s_xor_b64 exec, exec, s[6:7]
	s_cbranch_execnz .LBB1_27316
; %bb.63153:
	s_getpc_b64 s[14:15]
.Lpost_getpc17240:
	s_add_u32 s14, s14, (.LBB1_12978-.Lpost_getpc17240)&4294967295
	s_addc_u32 s15, s15, (.LBB1_12978-.Lpost_getpc17240)>>32
	s_setpc_b64 s[14:15]
.LBB1_27316:
	v_cmp_ne_u16_e32 vcc, 0, v6
	s_andn2_b64 s[4:5], s[4:5], exec
	s_and_b64 s[8:9], vcc, exec
	v_mov_b32_e32 v2, 0
	s_or_b64 s[4:5], s[4:5], s[8:9]
	s_or_b64 exec, exec, s[6:7]
	s_and_saveexec_b64 s[6:7], s[4:5]
	s_cbranch_execz .LBB1_35161
; %bb.63155:
	s_getpc_b64 s[14:15]
.Lpost_getpc17241:
	s_add_u32 s14, s14, (.LBB1_12979-.Lpost_getpc17241)&4294967295
	s_addc_u32 s15, s15, (.LBB1_12979-.Lpost_getpc17241)>>32
	s_setpc_b64 s[14:15]
.LBB1_35161:
	s_getpc_b64 s[14:15]
.Lpost_getpc3244:
	s_add_u32 s14, s14, (.LBB1_12980-.Lpost_getpc3244)&4294967295
	s_addc_u32 s15, s15, (.LBB1_12980-.Lpost_getpc3244)>>32
	s_setpc_b64 s[14:15]
.LBB1_27317:
	s_movk_i32 s4, 0x80
	v_cmp_eq_u16_e32 vcc, s4, v6
	s_mov_b64 s[4:5], -1
                                        ; implicit-def: $sgpr10
	s_and_saveexec_b64 s[8:9], vcc
; %bb.27318:
	s_mov_b32 s10, 0x7f800001
	s_xor_b64 s[4:5], exec, -1
; %bb.27319:
	s_or_b64 exec, exec, s[8:9]
	s_and_b64 s[4:5], s[4:5], exec
                                        ; implicit-def: $vgpr6
	s_or_saveexec_b64 s[6:7], s[6:7]
	v_mov_b32_e32 v12, s10
	s_xor_b64 exec, exec, s[6:7]
	s_cbranch_execnz .LBB1_27320
; %bb.63157:
	s_getpc_b64 s[14:15]
.Lpost_getpc17242:
	s_add_u32 s14, s14, (.LBB1_12982-.Lpost_getpc17242)&4294967295
	s_addc_u32 s15, s15, (.LBB1_12982-.Lpost_getpc17242)>>32
	s_setpc_b64 s[14:15]
.LBB1_27320:
	v_cmp_ne_u16_e32 vcc, 0, v6
	s_andn2_b64 s[4:5], s[4:5], exec
	s_and_b64 s[8:9], vcc, exec
	v_mov_b32_e32 v12, 0
	s_or_b64 s[4:5], s[4:5], s[8:9]
	s_or_b64 exec, exec, s[6:7]
	s_and_saveexec_b64 s[6:7], s[4:5]
	s_cbranch_execz .LBB1_35163
; %bb.63159:
	s_getpc_b64 s[14:15]
.Lpost_getpc17243:
	s_add_u32 s14, s14, (.LBB1_12983-.Lpost_getpc17243)&4294967295
	s_addc_u32 s15, s15, (.LBB1_12983-.Lpost_getpc17243)>>32
	s_setpc_b64 s[14:15]
.LBB1_35163:
	s_getpc_b64 s[14:15]
.Lpost_getpc3245:
	s_add_u32 s14, s14, (.LBB1_12984-.Lpost_getpc3245)&4294967295
	s_addc_u32 s15, s15, (.LBB1_12984-.Lpost_getpc3245)>>32
	s_setpc_b64 s[14:15]
.LBB1_27321:
	s_movk_i32 s4, 0x80
	v_cmp_eq_u16_sdwa s[12:13], v7, s4 src0_sel:BYTE_3 src1_sel:DWORD
	s_mov_b64 s[4:5], -1
                                        ; implicit-def: $sgpr10
	s_and_saveexec_b64 s[8:9], s[12:13]
; %bb.27322:
	s_mov_b32 s10, 0x7f800001
	s_xor_b64 s[4:5], exec, -1
; %bb.27323:
	s_or_b64 exec, exec, s[8:9]
	s_and_b64 s[4:5], s[4:5], exec
	s_or_saveexec_b64 s[6:7], s[6:7]
	v_mov_b32_e32 v2, s10
	s_xor_b64 exec, exec, s[6:7]
	s_cbranch_execnz .LBB1_27324
; %bb.63161:
	s_getpc_b64 s[14:15]
.Lpost_getpc17244:
	s_add_u32 s14, s14, (.LBB1_12986-.Lpost_getpc17244)&4294967295
	s_addc_u32 s15, s15, (.LBB1_12986-.Lpost_getpc17244)>>32
	s_setpc_b64 s[14:15]
.LBB1_27324:
	v_mov_b32_e32 v2, 0
	v_cmp_ne_u16_sdwa s[8:9], v7, v2 src0_sel:BYTE_3 src1_sel:DWORD
	s_andn2_b64 s[4:5], s[4:5], exec
	s_and_b64 s[8:9], s[8:9], exec
	s_or_b64 s[4:5], s[4:5], s[8:9]
	s_or_b64 exec, exec, s[6:7]
	s_and_saveexec_b64 s[6:7], s[4:5]
	s_cbranch_execz .LBB1_35165
; %bb.63163:
	s_getpc_b64 s[14:15]
.Lpost_getpc17245:
	s_add_u32 s14, s14, (.LBB1_12987-.Lpost_getpc17245)&4294967295
	s_addc_u32 s15, s15, (.LBB1_12987-.Lpost_getpc17245)>>32
	s_setpc_b64 s[14:15]
.LBB1_35165:
	s_getpc_b64 s[14:15]
.Lpost_getpc3246:
	s_add_u32 s14, s14, (.LBB1_12988-.Lpost_getpc3246)&4294967295
	s_addc_u32 s15, s15, (.LBB1_12988-.Lpost_getpc3246)>>32
	s_setpc_b64 s[14:15]
.LBB1_27325:
	s_movk_i32 s4, 0x80
	v_cmp_eq_u16_sdwa s[12:13], v3, s4 src0_sel:BYTE_3 src1_sel:DWORD
	s_mov_b64 s[4:5], -1
                                        ; implicit-def: $sgpr10
	s_and_saveexec_b64 s[8:9], s[12:13]
; %bb.27326:
	s_mov_b32 s10, 0x7f800001
	s_xor_b64 s[4:5], exec, -1
; %bb.27327:
	s_or_b64 exec, exec, s[8:9]
	s_and_b64 s[4:5], s[4:5], exec
	s_or_saveexec_b64 s[6:7], s[6:7]
	v_mov_b32_e32 v6, s10
	s_xor_b64 exec, exec, s[6:7]
	s_cbranch_execnz .LBB1_27328
; %bb.63165:
	s_getpc_b64 s[14:15]
.Lpost_getpc17246:
	s_add_u32 s14, s14, (.LBB1_12990-.Lpost_getpc17246)&4294967295
	s_addc_u32 s15, s15, (.LBB1_12990-.Lpost_getpc17246)>>32
	s_setpc_b64 s[14:15]
.LBB1_27328:
	v_mov_b32_e32 v6, 0
	v_cmp_ne_u16_sdwa s[8:9], v3, v6 src0_sel:BYTE_3 src1_sel:DWORD
	s_andn2_b64 s[4:5], s[4:5], exec
	s_and_b64 s[8:9], s[8:9], exec
	s_or_b64 s[4:5], s[4:5], s[8:9]
	s_or_b64 exec, exec, s[6:7]
	s_and_saveexec_b64 s[6:7], s[4:5]
	s_cbranch_execz .LBB1_35167
; %bb.63167:
	s_getpc_b64 s[14:15]
.Lpost_getpc17247:
	s_add_u32 s14, s14, (.LBB1_12991-.Lpost_getpc17247)&4294967295
	s_addc_u32 s15, s15, (.LBB1_12991-.Lpost_getpc17247)>>32
	s_setpc_b64 s[14:15]
.LBB1_35167:
	s_getpc_b64 s[14:15]
.Lpost_getpc3247:
	s_add_u32 s14, s14, (.LBB1_12992-.Lpost_getpc3247)&4294967295
	s_addc_u32 s15, s15, (.LBB1_12992-.Lpost_getpc3247)>>32
	s_setpc_b64 s[14:15]
.LBB1_27329:
	s_movk_i32 s4, 0x80
	v_cmp_eq_u16_sdwa s[12:13], v8, s4 src0_sel:BYTE_0 src1_sel:DWORD
	s_mov_b64 s[4:5], -1
                                        ; implicit-def: $sgpr10
	s_and_saveexec_b64 s[8:9], s[12:13]
; %bb.27330:
	s_mov_b32 s10, 0x7f800001
	s_xor_b64 s[4:5], exec, -1
; %bb.27331:
	s_or_b64 exec, exec, s[8:9]
	s_and_b64 s[4:5], s[4:5], exec
	s_or_saveexec_b64 s[6:7], s[6:7]
	v_mov_b32_e32 v2, s10
	s_xor_b64 exec, exec, s[6:7]
	s_cbranch_execnz .LBB1_27332
; %bb.63169:
	s_getpc_b64 s[14:15]
.Lpost_getpc17248:
	s_add_u32 s14, s14, (.LBB1_12994-.Lpost_getpc17248)&4294967295
	s_addc_u32 s15, s15, (.LBB1_12994-.Lpost_getpc17248)>>32
	s_setpc_b64 s[14:15]
.LBB1_27332:
	v_mov_b32_e32 v2, 0
	v_cmp_ne_u16_sdwa s[8:9], v8, v2 src0_sel:BYTE_0 src1_sel:DWORD
	s_andn2_b64 s[4:5], s[4:5], exec
	s_and_b64 s[8:9], s[8:9], exec
	s_or_b64 s[4:5], s[4:5], s[8:9]
	s_or_b64 exec, exec, s[6:7]
	s_and_saveexec_b64 s[6:7], s[4:5]
	s_cbranch_execz .LBB1_35169
; %bb.63171:
	s_getpc_b64 s[14:15]
.Lpost_getpc17249:
	s_add_u32 s14, s14, (.LBB1_12995-.Lpost_getpc17249)&4294967295
	s_addc_u32 s15, s15, (.LBB1_12995-.Lpost_getpc17249)>>32
	s_setpc_b64 s[14:15]
.LBB1_35169:
	s_getpc_b64 s[14:15]
.Lpost_getpc3248:
	s_add_u32 s14, s14, (.LBB1_12996-.Lpost_getpc3248)&4294967295
	s_addc_u32 s15, s15, (.LBB1_12996-.Lpost_getpc3248)>>32
	s_setpc_b64 s[14:15]
.LBB1_27333:
	s_movk_i32 s4, 0x80
	v_cmp_eq_u16_sdwa s[12:13], v4, s4 src0_sel:BYTE_0 src1_sel:DWORD
	s_mov_b64 s[4:5], -1
                                        ; implicit-def: $sgpr10
	s_and_saveexec_b64 s[8:9], s[12:13]
; %bb.27334:
	s_mov_b32 s10, 0x7f800001
	s_xor_b64 s[4:5], exec, -1
; %bb.27335:
	s_or_b64 exec, exec, s[8:9]
	s_and_b64 s[4:5], s[4:5], exec
	s_or_saveexec_b64 s[6:7], s[6:7]
	v_mov_b32_e32 v3, s10
	s_xor_b64 exec, exec, s[6:7]
	s_cbranch_execnz .LBB1_27336
; %bb.63173:
	s_getpc_b64 s[14:15]
.Lpost_getpc17250:
	s_add_u32 s14, s14, (.LBB1_12998-.Lpost_getpc17250)&4294967295
	s_addc_u32 s15, s15, (.LBB1_12998-.Lpost_getpc17250)>>32
	s_setpc_b64 s[14:15]
.LBB1_27336:
	v_mov_b32_e32 v3, 0
	v_cmp_ne_u16_sdwa s[8:9], v4, v3 src0_sel:BYTE_0 src1_sel:DWORD
	s_andn2_b64 s[4:5], s[4:5], exec
	s_and_b64 s[8:9], s[8:9], exec
	s_or_b64 s[4:5], s[4:5], s[8:9]
	s_or_b64 exec, exec, s[6:7]
	s_and_saveexec_b64 s[6:7], s[4:5]
	s_cbranch_execz .LBB1_35171
; %bb.63175:
	s_getpc_b64 s[14:15]
.Lpost_getpc17251:
	s_add_u32 s14, s14, (.LBB1_12999-.Lpost_getpc17251)&4294967295
	s_addc_u32 s15, s15, (.LBB1_12999-.Lpost_getpc17251)>>32
	s_setpc_b64 s[14:15]
.LBB1_35171:
	s_getpc_b64 s[14:15]
.Lpost_getpc3249:
	s_add_u32 s14, s14, (.LBB1_13000-.Lpost_getpc3249)&4294967295
	s_addc_u32 s15, s15, (.LBB1_13000-.Lpost_getpc3249)>>32
	s_setpc_b64 s[14:15]
.LBB1_27337:
	s_movk_i32 s4, 0x80
	v_cmp_eq_u16_sdwa s[12:13], v3, s4 src0_sel:BYTE_0 src1_sel:DWORD
	s_mov_b64 s[4:5], -1
                                        ; implicit-def: $sgpr10
	s_and_saveexec_b64 s[8:9], s[12:13]
; %bb.27338:
	s_mov_b32 s10, 0x7f800001
	s_xor_b64 s[4:5], exec, -1
; %bb.27339:
	s_or_b64 exec, exec, s[8:9]
	s_and_b64 s[4:5], s[4:5], exec
	s_or_saveexec_b64 s[6:7], s[6:7]
	v_mov_b32_e32 v2, s10
	s_xor_b64 exec, exec, s[6:7]
	s_cbranch_execnz .LBB1_27340
; %bb.63177:
	s_getpc_b64 s[14:15]
.Lpost_getpc17252:
	s_add_u32 s14, s14, (.LBB1_13002-.Lpost_getpc17252)&4294967295
	s_addc_u32 s15, s15, (.LBB1_13002-.Lpost_getpc17252)>>32
	s_setpc_b64 s[14:15]
.LBB1_27340:
	v_mov_b32_e32 v2, 0
	v_cmp_ne_u16_sdwa s[8:9], v3, v2 src0_sel:BYTE_0 src1_sel:DWORD
	s_andn2_b64 s[4:5], s[4:5], exec
	s_and_b64 s[8:9], s[8:9], exec
	s_or_b64 s[4:5], s[4:5], s[8:9]
	s_or_b64 exec, exec, s[6:7]
	s_and_saveexec_b64 s[6:7], s[4:5]
	s_cbranch_execz .LBB1_35173
; %bb.63179:
	s_getpc_b64 s[14:15]
.Lpost_getpc17253:
	s_add_u32 s14, s14, (.LBB1_13003-.Lpost_getpc17253)&4294967295
	s_addc_u32 s15, s15, (.LBB1_13003-.Lpost_getpc17253)>>32
	s_setpc_b64 s[14:15]
.LBB1_35173:
	s_getpc_b64 s[14:15]
.Lpost_getpc3250:
	s_add_u32 s14, s14, (.LBB1_13004-.Lpost_getpc3250)&4294967295
	s_addc_u32 s15, s15, (.LBB1_13004-.Lpost_getpc3250)>>32
	s_setpc_b64 s[14:15]
.LBB1_27341:
	s_movk_i32 s4, 0x80
	v_cmp_eq_u16_sdwa s[12:13], v3, s4 src0_sel:BYTE_0 src1_sel:DWORD
	s_mov_b64 s[4:5], -1
                                        ; implicit-def: $sgpr10
	s_and_saveexec_b64 s[8:9], s[12:13]
; %bb.27342:
	s_mov_b32 s10, 0x7f800001
	s_xor_b64 s[4:5], exec, -1
; %bb.27343:
	s_or_b64 exec, exec, s[8:9]
	s_and_b64 s[4:5], s[4:5], exec
	s_or_saveexec_b64 s[6:7], s[6:7]
	v_mov_b32_e32 v6, s10
	s_xor_b64 exec, exec, s[6:7]
	s_cbranch_execnz .LBB1_27344
; %bb.63181:
	s_getpc_b64 s[14:15]
.Lpost_getpc17254:
	s_add_u32 s14, s14, (.LBB1_13006-.Lpost_getpc17254)&4294967295
	s_addc_u32 s15, s15, (.LBB1_13006-.Lpost_getpc17254)>>32
	s_setpc_b64 s[14:15]
.LBB1_27344:
	v_mov_b32_e32 v6, 0
	v_cmp_ne_u16_sdwa s[8:9], v3, v6 src0_sel:BYTE_0 src1_sel:DWORD
	s_andn2_b64 s[4:5], s[4:5], exec
	s_and_b64 s[8:9], s[8:9], exec
	s_or_b64 s[4:5], s[4:5], s[8:9]
	s_or_b64 exec, exec, s[6:7]
	s_and_saveexec_b64 s[6:7], s[4:5]
	s_cbranch_execz .LBB1_35175
; %bb.63183:
	s_getpc_b64 s[14:15]
.Lpost_getpc17255:
	s_add_u32 s14, s14, (.LBB1_13007-.Lpost_getpc17255)&4294967295
	s_addc_u32 s15, s15, (.LBB1_13007-.Lpost_getpc17255)>>32
	s_setpc_b64 s[14:15]
.LBB1_35175:
	s_getpc_b64 s[14:15]
.Lpost_getpc3251:
	s_add_u32 s14, s14, (.LBB1_13008-.Lpost_getpc3251)&4294967295
	s_addc_u32 s15, s15, (.LBB1_13008-.Lpost_getpc3251)>>32
	s_setpc_b64 s[14:15]
.LBB1_27345:
	s_movk_i32 s4, 0x80
	v_cmp_eq_u16_e32 vcc, s4, v3
	s_mov_b64 s[4:5], -1
                                        ; implicit-def: $sgpr10
	s_and_saveexec_b64 s[8:9], vcc
; %bb.27346:
	s_mov_b32 s10, 0x7f800001
	s_xor_b64 s[4:5], exec, -1
; %bb.27347:
	s_or_b64 exec, exec, s[8:9]
	s_and_b64 s[4:5], s[4:5], exec
                                        ; implicit-def: $vgpr3
	s_or_saveexec_b64 s[6:7], s[6:7]
	v_mov_b32_e32 v2, s10
	s_xor_b64 exec, exec, s[6:7]
	s_cbranch_execnz .LBB1_27348
; %bb.63185:
	s_getpc_b64 s[14:15]
.Lpost_getpc17256:
	s_add_u32 s14, s14, (.LBB1_13010-.Lpost_getpc17256)&4294967295
	s_addc_u32 s15, s15, (.LBB1_13010-.Lpost_getpc17256)>>32
	s_setpc_b64 s[14:15]
.LBB1_27348:
	v_cmp_ne_u16_e32 vcc, 0, v3
	s_andn2_b64 s[4:5], s[4:5], exec
	s_and_b64 s[8:9], vcc, exec
	v_mov_b32_e32 v2, 0
	s_or_b64 s[4:5], s[4:5], s[8:9]
	s_or_b64 exec, exec, s[6:7]
	s_and_saveexec_b64 s[6:7], s[4:5]
	s_cbranch_execz .LBB1_35177
; %bb.63187:
	s_getpc_b64 s[14:15]
.Lpost_getpc17257:
	s_add_u32 s14, s14, (.LBB1_13011-.Lpost_getpc17257)&4294967295
	s_addc_u32 s15, s15, (.LBB1_13011-.Lpost_getpc17257)>>32
	s_setpc_b64 s[14:15]
.LBB1_35177:
	s_getpc_b64 s[14:15]
.Lpost_getpc3252:
	s_add_u32 s14, s14, (.LBB1_13012-.Lpost_getpc3252)&4294967295
	s_addc_u32 s15, s15, (.LBB1_13012-.Lpost_getpc3252)>>32
	s_setpc_b64 s[14:15]
.LBB1_27349:
	s_movk_i32 s4, 0x80
	v_cmp_eq_u16_e32 vcc, s4, v3
	s_mov_b64 s[4:5], -1
                                        ; implicit-def: $sgpr10
	s_and_saveexec_b64 s[8:9], vcc
; %bb.27350:
	s_mov_b32 s10, 0x7f800001
	s_xor_b64 s[4:5], exec, -1
; %bb.27351:
	s_or_b64 exec, exec, s[8:9]
	s_and_b64 s[4:5], s[4:5], exec
                                        ; implicit-def: $vgpr3
	s_or_saveexec_b64 s[6:7], s[6:7]
	v_mov_b32_e32 v6, s10
	s_xor_b64 exec, exec, s[6:7]
	s_cbranch_execnz .LBB1_27352
; %bb.63189:
	s_getpc_b64 s[14:15]
.Lpost_getpc17258:
	s_add_u32 s14, s14, (.LBB1_13014-.Lpost_getpc17258)&4294967295
	s_addc_u32 s15, s15, (.LBB1_13014-.Lpost_getpc17258)>>32
	s_setpc_b64 s[14:15]
.LBB1_27352:
	v_cmp_ne_u16_e32 vcc, 0, v3
	s_andn2_b64 s[4:5], s[4:5], exec
	s_and_b64 s[8:9], vcc, exec
	v_mov_b32_e32 v6, 0
	s_or_b64 s[4:5], s[4:5], s[8:9]
	s_or_b64 exec, exec, s[6:7]
	s_and_saveexec_b64 s[6:7], s[4:5]
	s_cbranch_execz .LBB1_35179
; %bb.63191:
	s_getpc_b64 s[14:15]
.Lpost_getpc17259:
	s_add_u32 s14, s14, (.LBB1_13015-.Lpost_getpc17259)&4294967295
	s_addc_u32 s15, s15, (.LBB1_13015-.Lpost_getpc17259)>>32
	s_setpc_b64 s[14:15]
.LBB1_35179:
	s_getpc_b64 s[14:15]
.Lpost_getpc3253:
	s_add_u32 s14, s14, (.LBB1_13016-.Lpost_getpc3253)&4294967295
	s_addc_u32 s15, s15, (.LBB1_13016-.Lpost_getpc3253)>>32
	s_setpc_b64 s[14:15]
.LBB1_27353:
	s_movk_i32 s4, 0x80
	v_cmp_eq_u16_sdwa s[12:13], v8, s4 src0_sel:BYTE_3 src1_sel:DWORD
	s_mov_b64 s[4:5], -1
                                        ; implicit-def: $sgpr10
	s_and_saveexec_b64 s[8:9], s[12:13]
; %bb.27354:
	s_mov_b32 s10, 0x7f800001
	s_xor_b64 s[4:5], exec, -1
; %bb.27355:
	s_or_b64 exec, exec, s[8:9]
	s_and_b64 s[4:5], s[4:5], exec
	s_or_saveexec_b64 s[6:7], s[6:7]
	v_mov_b32_e32 v2, s10
	s_xor_b64 exec, exec, s[6:7]
	s_cbranch_execnz .LBB1_27356
; %bb.63193:
	s_getpc_b64 s[14:15]
.Lpost_getpc17260:
	s_add_u32 s14, s14, (.LBB1_13018-.Lpost_getpc17260)&4294967295
	s_addc_u32 s15, s15, (.LBB1_13018-.Lpost_getpc17260)>>32
	s_setpc_b64 s[14:15]
.LBB1_27356:
	v_mov_b32_e32 v2, 0
	v_cmp_ne_u16_sdwa s[8:9], v8, v2 src0_sel:BYTE_3 src1_sel:DWORD
	s_andn2_b64 s[4:5], s[4:5], exec
	s_and_b64 s[8:9], s[8:9], exec
	s_or_b64 s[4:5], s[4:5], s[8:9]
	s_or_b64 exec, exec, s[6:7]
	s_and_saveexec_b64 s[6:7], s[4:5]
	s_cbranch_execz .LBB1_35181
; %bb.63195:
	s_getpc_b64 s[14:15]
.Lpost_getpc17261:
	s_add_u32 s14, s14, (.LBB1_13019-.Lpost_getpc17261)&4294967295
	s_addc_u32 s15, s15, (.LBB1_13019-.Lpost_getpc17261)>>32
	s_setpc_b64 s[14:15]
.LBB1_35181:
	s_getpc_b64 s[14:15]
.Lpost_getpc3254:
	s_add_u32 s14, s14, (.LBB1_13020-.Lpost_getpc3254)&4294967295
	s_addc_u32 s15, s15, (.LBB1_13020-.Lpost_getpc3254)>>32
	s_setpc_b64 s[14:15]
.LBB1_27357:
	s_movk_i32 s4, 0x80
	v_cmp_eq_u16_sdwa s[12:13], v4, s4 src0_sel:BYTE_3 src1_sel:DWORD
	s_mov_b64 s[4:5], -1
                                        ; implicit-def: $sgpr10
	s_and_saveexec_b64 s[8:9], s[12:13]
; %bb.27358:
	s_mov_b32 s10, 0x7f800001
	s_xor_b64 s[4:5], exec, -1
; %bb.27359:
	s_or_b64 exec, exec, s[8:9]
	s_and_b64 s[4:5], s[4:5], exec
	s_or_saveexec_b64 s[6:7], s[6:7]
	v_mov_b32_e32 v3, s10
	s_xor_b64 exec, exec, s[6:7]
	s_cbranch_execnz .LBB1_27360
; %bb.63197:
	s_getpc_b64 s[14:15]
.Lpost_getpc17262:
	s_add_u32 s14, s14, (.LBB1_13022-.Lpost_getpc17262)&4294967295
	s_addc_u32 s15, s15, (.LBB1_13022-.Lpost_getpc17262)>>32
	s_setpc_b64 s[14:15]
.LBB1_27360:
	v_mov_b32_e32 v3, 0
	v_cmp_ne_u16_sdwa s[8:9], v4, v3 src0_sel:BYTE_3 src1_sel:DWORD
	s_andn2_b64 s[4:5], s[4:5], exec
	s_and_b64 s[8:9], s[8:9], exec
	s_or_b64 s[4:5], s[4:5], s[8:9]
	s_or_b64 exec, exec, s[6:7]
	s_and_saveexec_b64 s[6:7], s[4:5]
	s_cbranch_execz .LBB1_35183
; %bb.63199:
	s_getpc_b64 s[14:15]
.Lpost_getpc17263:
	s_add_u32 s14, s14, (.LBB1_13023-.Lpost_getpc17263)&4294967295
	s_addc_u32 s15, s15, (.LBB1_13023-.Lpost_getpc17263)>>32
	s_setpc_b64 s[14:15]
.LBB1_35183:
	s_getpc_b64 s[14:15]
.Lpost_getpc3255:
	s_add_u32 s14, s14, (.LBB1_13024-.Lpost_getpc3255)&4294967295
	s_addc_u32 s15, s15, (.LBB1_13024-.Lpost_getpc3255)>>32
	s_setpc_b64 s[14:15]
.LBB1_27361:
	s_movk_i32 s4, 0x80
	v_cmp_eq_u16_sdwa s[12:13], v9, s4 src0_sel:BYTE_0 src1_sel:DWORD
	s_mov_b64 s[4:5], -1
                                        ; implicit-def: $sgpr10
	s_and_saveexec_b64 s[8:9], s[12:13]
; %bb.27362:
	s_mov_b32 s10, 0x7f800001
	s_xor_b64 s[4:5], exec, -1
; %bb.27363:
	s_or_b64 exec, exec, s[8:9]
	s_and_b64 s[4:5], s[4:5], exec
	s_or_saveexec_b64 s[6:7], s[6:7]
	v_mov_b32_e32 v2, s10
	s_xor_b64 exec, exec, s[6:7]
	s_cbranch_execnz .LBB1_27364
; %bb.63201:
	s_getpc_b64 s[14:15]
.Lpost_getpc17264:
	s_add_u32 s14, s14, (.LBB1_13026-.Lpost_getpc17264)&4294967295
	s_addc_u32 s15, s15, (.LBB1_13026-.Lpost_getpc17264)>>32
	s_setpc_b64 s[14:15]
.LBB1_27364:
	v_mov_b32_e32 v2, 0
	v_cmp_ne_u16_sdwa s[8:9], v9, v2 src0_sel:BYTE_0 src1_sel:DWORD
	s_andn2_b64 s[4:5], s[4:5], exec
	s_and_b64 s[8:9], s[8:9], exec
	s_or_b64 s[4:5], s[4:5], s[8:9]
	s_or_b64 exec, exec, s[6:7]
	s_and_saveexec_b64 s[6:7], s[4:5]
	s_cbranch_execz .LBB1_35185
; %bb.63203:
	s_getpc_b64 s[14:15]
.Lpost_getpc17265:
	s_add_u32 s14, s14, (.LBB1_13027-.Lpost_getpc17265)&4294967295
	s_addc_u32 s15, s15, (.LBB1_13027-.Lpost_getpc17265)>>32
	s_setpc_b64 s[14:15]
.LBB1_35185:
	s_getpc_b64 s[14:15]
.Lpost_getpc3256:
	s_add_u32 s14, s14, (.LBB1_13028-.Lpost_getpc3256)&4294967295
	s_addc_u32 s15, s15, (.LBB1_13028-.Lpost_getpc3256)>>32
	s_setpc_b64 s[14:15]
.LBB1_27365:
	s_movk_i32 s4, 0x80
	v_cmp_eq_u16_sdwa s[12:13], v5, s4 src0_sel:BYTE_0 src1_sel:DWORD
	s_mov_b64 s[4:5], -1
                                        ; implicit-def: $sgpr10
	s_and_saveexec_b64 s[8:9], s[12:13]
; %bb.27366:
	s_mov_b32 s10, 0x7f800001
	s_xor_b64 s[4:5], exec, -1
; %bb.27367:
	s_or_b64 exec, exec, s[8:9]
	s_and_b64 s[4:5], s[4:5], exec
	s_or_saveexec_b64 s[6:7], s[6:7]
	v_mov_b32_e32 v3, s10
	s_xor_b64 exec, exec, s[6:7]
	s_cbranch_execnz .LBB1_27368
; %bb.63205:
	s_getpc_b64 s[14:15]
.Lpost_getpc17266:
	s_add_u32 s14, s14, (.LBB1_13030-.Lpost_getpc17266)&4294967295
	s_addc_u32 s15, s15, (.LBB1_13030-.Lpost_getpc17266)>>32
	s_setpc_b64 s[14:15]
.LBB1_27368:
	v_mov_b32_e32 v3, 0
	v_cmp_ne_u16_sdwa s[8:9], v5, v3 src0_sel:BYTE_0 src1_sel:DWORD
	s_andn2_b64 s[4:5], s[4:5], exec
	s_and_b64 s[8:9], s[8:9], exec
	s_or_b64 s[4:5], s[4:5], s[8:9]
	s_or_b64 exec, exec, s[6:7]
	s_and_saveexec_b64 s[6:7], s[4:5]
	s_cbranch_execz .LBB1_35187
; %bb.63207:
	s_getpc_b64 s[14:15]
.Lpost_getpc17267:
	s_add_u32 s14, s14, (.LBB1_13031-.Lpost_getpc17267)&4294967295
	s_addc_u32 s15, s15, (.LBB1_13031-.Lpost_getpc17267)>>32
	s_setpc_b64 s[14:15]
.LBB1_35187:
	s_getpc_b64 s[14:15]
.Lpost_getpc3257:
	s_add_u32 s14, s14, (.LBB1_13032-.Lpost_getpc3257)&4294967295
	s_addc_u32 s15, s15, (.LBB1_13032-.Lpost_getpc3257)>>32
	s_setpc_b64 s[14:15]
.LBB1_27369:
	s_movk_i32 s4, 0x80
	v_cmp_eq_u16_sdwa s[12:13], v3, s4 src0_sel:BYTE_0 src1_sel:DWORD
	s_mov_b64 s[4:5], -1
                                        ; implicit-def: $sgpr10
	s_and_saveexec_b64 s[8:9], s[12:13]
; %bb.27370:
	s_mov_b32 s10, 0x7f800001
	s_xor_b64 s[4:5], exec, -1
; %bb.27371:
	s_or_b64 exec, exec, s[8:9]
	s_and_b64 s[4:5], s[4:5], exec
	s_or_saveexec_b64 s[6:7], s[6:7]
	v_mov_b32_e32 v2, s10
	s_xor_b64 exec, exec, s[6:7]
	s_cbranch_execnz .LBB1_27372
; %bb.63209:
	s_getpc_b64 s[14:15]
.Lpost_getpc17268:
	s_add_u32 s14, s14, (.LBB1_13034-.Lpost_getpc17268)&4294967295
	s_addc_u32 s15, s15, (.LBB1_13034-.Lpost_getpc17268)>>32
	s_setpc_b64 s[14:15]
.LBB1_27372:
	v_mov_b32_e32 v2, 0
	v_cmp_ne_u16_sdwa s[8:9], v3, v2 src0_sel:BYTE_0 src1_sel:DWORD
	s_andn2_b64 s[4:5], s[4:5], exec
	s_and_b64 s[8:9], s[8:9], exec
	s_or_b64 s[4:5], s[4:5], s[8:9]
	s_or_b64 exec, exec, s[6:7]
	s_and_saveexec_b64 s[6:7], s[4:5]
	s_cbranch_execz .LBB1_35189
; %bb.63211:
	s_getpc_b64 s[14:15]
.Lpost_getpc17269:
	s_add_u32 s14, s14, (.LBB1_13035-.Lpost_getpc17269)&4294967295
	s_addc_u32 s15, s15, (.LBB1_13035-.Lpost_getpc17269)>>32
	s_setpc_b64 s[14:15]
.LBB1_35189:
	s_getpc_b64 s[14:15]
.Lpost_getpc3258:
	s_add_u32 s14, s14, (.LBB1_13036-.Lpost_getpc3258)&4294967295
	s_addc_u32 s15, s15, (.LBB1_13036-.Lpost_getpc3258)>>32
	s_setpc_b64 s[14:15]
.LBB1_27373:
	s_movk_i32 s4, 0x80
	v_cmp_eq_u16_sdwa s[12:13], v3, s4 src0_sel:BYTE_0 src1_sel:DWORD
	s_mov_b64 s[4:5], -1
                                        ; implicit-def: $sgpr10
	s_and_saveexec_b64 s[8:9], s[12:13]
; %bb.27374:
	s_mov_b32 s10, 0x7f800001
	s_xor_b64 s[4:5], exec, -1
; %bb.27375:
	s_or_b64 exec, exec, s[8:9]
	s_and_b64 s[4:5], s[4:5], exec
	s_or_saveexec_b64 s[6:7], s[6:7]
	v_mov_b32_e32 v4, s10
	s_xor_b64 exec, exec, s[6:7]
	s_cbranch_execnz .LBB1_27376
; %bb.63213:
	s_getpc_b64 s[14:15]
.Lpost_getpc17270:
	s_add_u32 s14, s14, (.LBB1_13038-.Lpost_getpc17270)&4294967295
	s_addc_u32 s15, s15, (.LBB1_13038-.Lpost_getpc17270)>>32
	s_setpc_b64 s[14:15]
.LBB1_27376:
	v_mov_b32_e32 v4, 0
	v_cmp_ne_u16_sdwa s[8:9], v3, v4 src0_sel:BYTE_0 src1_sel:DWORD
	s_andn2_b64 s[4:5], s[4:5], exec
	s_and_b64 s[8:9], s[8:9], exec
	s_or_b64 s[4:5], s[4:5], s[8:9]
	s_or_b64 exec, exec, s[6:7]
	s_and_saveexec_b64 s[6:7], s[4:5]
	s_cbranch_execz .LBB1_35191
; %bb.63215:
	s_getpc_b64 s[14:15]
.Lpost_getpc17271:
	s_add_u32 s14, s14, (.LBB1_13039-.Lpost_getpc17271)&4294967295
	s_addc_u32 s15, s15, (.LBB1_13039-.Lpost_getpc17271)>>32
	s_setpc_b64 s[14:15]
.LBB1_35191:
	s_getpc_b64 s[14:15]
.Lpost_getpc3259:
	s_add_u32 s14, s14, (.LBB1_13040-.Lpost_getpc3259)&4294967295
	s_addc_u32 s15, s15, (.LBB1_13040-.Lpost_getpc3259)>>32
	s_setpc_b64 s[14:15]
.LBB1_27377:
	s_movk_i32 s4, 0x80
	v_cmp_eq_u16_e32 vcc, s4, v3
	s_mov_b64 s[4:5], -1
                                        ; implicit-def: $sgpr10
	s_and_saveexec_b64 s[8:9], vcc
; %bb.27378:
	s_mov_b32 s10, 0x7f800001
	s_xor_b64 s[4:5], exec, -1
; %bb.27379:
	s_or_b64 exec, exec, s[8:9]
	s_and_b64 s[4:5], s[4:5], exec
                                        ; implicit-def: $vgpr3
	s_or_saveexec_b64 s[6:7], s[6:7]
	v_mov_b32_e32 v2, s10
	s_xor_b64 exec, exec, s[6:7]
	s_cbranch_execnz .LBB1_27380
; %bb.63217:
	s_getpc_b64 s[14:15]
.Lpost_getpc17272:
	s_add_u32 s14, s14, (.LBB1_13042-.Lpost_getpc17272)&4294967295
	s_addc_u32 s15, s15, (.LBB1_13042-.Lpost_getpc17272)>>32
	s_setpc_b64 s[14:15]
.LBB1_27380:
	v_cmp_ne_u16_e32 vcc, 0, v3
	s_andn2_b64 s[4:5], s[4:5], exec
	s_and_b64 s[8:9], vcc, exec
	v_mov_b32_e32 v2, 0
	s_or_b64 s[4:5], s[4:5], s[8:9]
	s_or_b64 exec, exec, s[6:7]
	s_and_saveexec_b64 s[6:7], s[4:5]
	s_cbranch_execz .LBB1_35193
; %bb.63219:
	s_getpc_b64 s[14:15]
.Lpost_getpc17273:
	s_add_u32 s14, s14, (.LBB1_13043-.Lpost_getpc17273)&4294967295
	s_addc_u32 s15, s15, (.LBB1_13043-.Lpost_getpc17273)>>32
	s_setpc_b64 s[14:15]
.LBB1_35193:
	s_getpc_b64 s[14:15]
.Lpost_getpc3260:
	s_add_u32 s14, s14, (.LBB1_13044-.Lpost_getpc3260)&4294967295
	s_addc_u32 s15, s15, (.LBB1_13044-.Lpost_getpc3260)>>32
	s_setpc_b64 s[14:15]
.LBB1_27381:
	s_movk_i32 s4, 0x80
	v_cmp_eq_u16_e32 vcc, s4, v3
	s_mov_b64 s[4:5], -1
                                        ; implicit-def: $sgpr10
	s_and_saveexec_b64 s[8:9], vcc
; %bb.27382:
	s_mov_b32 s10, 0x7f800001
	s_xor_b64 s[4:5], exec, -1
; %bb.27383:
	s_or_b64 exec, exec, s[8:9]
	s_and_b64 s[4:5], s[4:5], exec
                                        ; implicit-def: $vgpr3
	s_or_saveexec_b64 s[6:7], s[6:7]
	v_mov_b32_e32 v4, s10
	s_xor_b64 exec, exec, s[6:7]
	s_cbranch_execnz .LBB1_27384
; %bb.63221:
	s_getpc_b64 s[14:15]
.Lpost_getpc17274:
	s_add_u32 s14, s14, (.LBB1_13046-.Lpost_getpc17274)&4294967295
	s_addc_u32 s15, s15, (.LBB1_13046-.Lpost_getpc17274)>>32
	s_setpc_b64 s[14:15]
.LBB1_27384:
	v_cmp_ne_u16_e32 vcc, 0, v3
	s_andn2_b64 s[4:5], s[4:5], exec
	s_and_b64 s[8:9], vcc, exec
	v_mov_b32_e32 v4, 0
	s_or_b64 s[4:5], s[4:5], s[8:9]
	s_or_b64 exec, exec, s[6:7]
	s_and_saveexec_b64 s[6:7], s[4:5]
	s_cbranch_execz .LBB1_35195
; %bb.63223:
	s_getpc_b64 s[14:15]
.Lpost_getpc17275:
	s_add_u32 s14, s14, (.LBB1_13047-.Lpost_getpc17275)&4294967295
	s_addc_u32 s15, s15, (.LBB1_13047-.Lpost_getpc17275)>>32
	s_setpc_b64 s[14:15]
.LBB1_35195:
	s_getpc_b64 s[14:15]
.Lpost_getpc3261:
	s_add_u32 s14, s14, (.LBB1_13048-.Lpost_getpc3261)&4294967295
	s_addc_u32 s15, s15, (.LBB1_13048-.Lpost_getpc3261)>>32
	s_setpc_b64 s[14:15]
.LBB1_27385:
	s_movk_i32 s4, 0x80
	v_cmp_eq_u16_sdwa s[12:13], v9, s4 src0_sel:BYTE_3 src1_sel:DWORD
	s_mov_b64 s[4:5], -1
                                        ; implicit-def: $sgpr10
	s_and_saveexec_b64 s[8:9], s[12:13]
; %bb.27386:
	s_mov_b32 s10, 0x7f800001
	s_xor_b64 s[4:5], exec, -1
; %bb.27387:
	s_or_b64 exec, exec, s[8:9]
	s_and_b64 s[4:5], s[4:5], exec
	s_or_saveexec_b64 s[6:7], s[6:7]
	v_mov_b32_e32 v2, s10
	s_xor_b64 exec, exec, s[6:7]
	s_cbranch_execnz .LBB1_27388
; %bb.63225:
	s_getpc_b64 s[14:15]
.Lpost_getpc17276:
	s_add_u32 s14, s14, (.LBB1_13050-.Lpost_getpc17276)&4294967295
	s_addc_u32 s15, s15, (.LBB1_13050-.Lpost_getpc17276)>>32
	s_setpc_b64 s[14:15]
.LBB1_27388:
	v_mov_b32_e32 v2, 0
	v_cmp_ne_u16_sdwa s[8:9], v9, v2 src0_sel:BYTE_3 src1_sel:DWORD
	s_andn2_b64 s[4:5], s[4:5], exec
	s_and_b64 s[8:9], s[8:9], exec
	s_or_b64 s[4:5], s[4:5], s[8:9]
	s_or_b64 exec, exec, s[6:7]
	s_and_saveexec_b64 s[6:7], s[4:5]
	s_cbranch_execz .LBB1_35197
; %bb.63227:
	s_getpc_b64 s[14:15]
.Lpost_getpc17277:
	s_add_u32 s14, s14, (.LBB1_13051-.Lpost_getpc17277)&4294967295
	s_addc_u32 s15, s15, (.LBB1_13051-.Lpost_getpc17277)>>32
	s_setpc_b64 s[14:15]
.LBB1_35197:
	s_getpc_b64 s[14:15]
.Lpost_getpc3262:
	s_add_u32 s14, s14, (.LBB1_13052-.Lpost_getpc3262)&4294967295
	s_addc_u32 s15, s15, (.LBB1_13052-.Lpost_getpc3262)>>32
	s_setpc_b64 s[14:15]
.LBB1_27389:
	s_movk_i32 s4, 0x80
	v_cmp_eq_u16_sdwa s[12:13], v5, s4 src0_sel:BYTE_3 src1_sel:DWORD
	s_mov_b64 s[4:5], -1
                                        ; implicit-def: $sgpr10
	s_and_saveexec_b64 s[8:9], s[12:13]
; %bb.27390:
	s_mov_b32 s10, 0x7f800001
	s_xor_b64 s[4:5], exec, -1
; %bb.27391:
	s_or_b64 exec, exec, s[8:9]
	s_and_b64 s[4:5], s[4:5], exec
	s_or_saveexec_b64 s[6:7], s[6:7]
	v_mov_b32_e32 v3, s10
	s_xor_b64 exec, exec, s[6:7]
	s_cbranch_execnz .LBB1_27392
; %bb.63229:
	s_getpc_b64 s[14:15]
.Lpost_getpc17278:
	s_add_u32 s14, s14, (.LBB1_13054-.Lpost_getpc17278)&4294967295
	s_addc_u32 s15, s15, (.LBB1_13054-.Lpost_getpc17278)>>32
	s_setpc_b64 s[14:15]
.LBB1_27392:
	v_mov_b32_e32 v3, 0
	v_cmp_ne_u16_sdwa s[8:9], v5, v3 src0_sel:BYTE_3 src1_sel:DWORD
	s_andn2_b64 s[4:5], s[4:5], exec
	s_and_b64 s[8:9], s[8:9], exec
	s_or_b64 s[4:5], s[4:5], s[8:9]
	s_or_b64 exec, exec, s[6:7]
	s_and_saveexec_b64 s[6:7], s[4:5]
	s_cbranch_execz .LBB1_35199
; %bb.63231:
	s_getpc_b64 s[14:15]
.Lpost_getpc17279:
	s_add_u32 s14, s14, (.LBB1_13055-.Lpost_getpc17279)&4294967295
	s_addc_u32 s15, s15, (.LBB1_13055-.Lpost_getpc17279)>>32
	s_setpc_b64 s[14:15]
.LBB1_35199:
	s_getpc_b64 s[14:15]
.Lpost_getpc3263:
	s_add_u32 s14, s14, (.LBB1_13056-.Lpost_getpc3263)&4294967295
	s_addc_u32 s15, s15, (.LBB1_13056-.Lpost_getpc3263)>>32
	s_setpc_b64 s[14:15]
.LBB1_27393:
	s_movk_i32 s4, 0x80
	v_cmp_eq_u16_sdwa s[12:13], v6, s4 src0_sel:BYTE_0 src1_sel:DWORD
	s_mov_b64 s[4:5], -1
                                        ; implicit-def: $sgpr10
	s_and_saveexec_b64 s[8:9], s[12:13]
; %bb.27394:
	s_mov_b32 s10, 0x7f800001
	s_xor_b64 s[4:5], exec, -1
; %bb.27395:
	s_or_b64 exec, exec, s[8:9]
	s_and_b64 s[4:5], s[4:5], exec
	s_or_saveexec_b64 s[6:7], s[6:7]
	v_mov_b32_e32 v12, s10
	s_xor_b64 exec, exec, s[6:7]
	s_cbranch_execnz .LBB1_27396
; %bb.63233:
	s_getpc_b64 s[14:15]
.Lpost_getpc17280:
	s_add_u32 s14, s14, (.LBB1_13058-.Lpost_getpc17280)&4294967295
	s_addc_u32 s15, s15, (.LBB1_13058-.Lpost_getpc17280)>>32
	s_setpc_b64 s[14:15]
.LBB1_27396:
	v_mov_b32_e32 v12, 0
	v_cmp_ne_u16_sdwa s[8:9], v6, v12 src0_sel:BYTE_0 src1_sel:DWORD
	s_andn2_b64 s[4:5], s[4:5], exec
	s_and_b64 s[8:9], s[8:9], exec
	s_or_b64 s[4:5], s[4:5], s[8:9]
	s_or_b64 exec, exec, s[6:7]
	s_and_saveexec_b64 s[6:7], s[4:5]
	s_cbranch_execz .LBB1_35201
; %bb.63235:
	s_getpc_b64 s[14:15]
.Lpost_getpc17281:
	s_add_u32 s14, s14, (.LBB1_13059-.Lpost_getpc17281)&4294967295
	s_addc_u32 s15, s15, (.LBB1_13059-.Lpost_getpc17281)>>32
	s_setpc_b64 s[14:15]
.LBB1_35201:
	s_getpc_b64 s[14:15]
.Lpost_getpc3264:
	s_add_u32 s14, s14, (.LBB1_13060-.Lpost_getpc3264)&4294967295
	s_addc_u32 s15, s15, (.LBB1_13060-.Lpost_getpc3264)>>32
	s_setpc_b64 s[14:15]
.LBB1_27397:
	s_movk_i32 s4, 0x80
	v_cmp_eq_u16_sdwa s[12:13], v2, s4 src0_sel:BYTE_0 src1_sel:DWORD
	s_mov_b64 s[4:5], -1
                                        ; implicit-def: $sgpr10
	s_and_saveexec_b64 s[8:9], s[12:13]
; %bb.27398:
	s_mov_b32 s10, 0x7f800001
	s_xor_b64 s[4:5], exec, -1
; %bb.27399:
	s_or_b64 exec, exec, s[8:9]
	s_and_b64 s[4:5], s[4:5], exec
	s_or_saveexec_b64 s[6:7], s[6:7]
	v_mov_b32_e32 v13, s10
	s_xor_b64 exec, exec, s[6:7]
	s_cbranch_execnz .LBB1_27400
; %bb.63237:
	s_getpc_b64 s[14:15]
.Lpost_getpc17282:
	s_add_u32 s14, s14, (.LBB1_13062-.Lpost_getpc17282)&4294967295
	s_addc_u32 s15, s15, (.LBB1_13062-.Lpost_getpc17282)>>32
	s_setpc_b64 s[14:15]
.LBB1_27400:
	v_mov_b32_e32 v13, 0
	v_cmp_ne_u16_sdwa s[8:9], v2, v13 src0_sel:BYTE_0 src1_sel:DWORD
	s_andn2_b64 s[4:5], s[4:5], exec
	s_and_b64 s[8:9], s[8:9], exec
	s_or_b64 s[4:5], s[4:5], s[8:9]
	s_or_b64 exec, exec, s[6:7]
	s_and_saveexec_b64 s[6:7], s[4:5]
	s_cbranch_execz .LBB1_35203
; %bb.63239:
	s_getpc_b64 s[14:15]
.Lpost_getpc17283:
	s_add_u32 s14, s14, (.LBB1_13063-.Lpost_getpc17283)&4294967295
	s_addc_u32 s15, s15, (.LBB1_13063-.Lpost_getpc17283)>>32
	s_setpc_b64 s[14:15]
.LBB1_35203:
	s_getpc_b64 s[14:15]
.Lpost_getpc3265:
	s_add_u32 s14, s14, (.LBB1_13064-.Lpost_getpc3265)&4294967295
	s_addc_u32 s15, s15, (.LBB1_13064-.Lpost_getpc3265)>>32
	s_setpc_b64 s[14:15]
.LBB1_27401:
	s_movk_i32 s4, 0x80
	v_cmp_eq_u16_sdwa s[12:13], v13, s4 src0_sel:BYTE_0 src1_sel:DWORD
	s_mov_b64 s[4:5], -1
                                        ; implicit-def: $sgpr10
	s_and_saveexec_b64 s[8:9], s[12:13]
; %bb.27402:
	s_mov_b32 s10, 0x7f800001
	s_xor_b64 s[4:5], exec, -1
; %bb.27403:
	s_or_b64 exec, exec, s[8:9]
	s_and_b64 s[4:5], s[4:5], exec
	s_or_saveexec_b64 s[6:7], s[6:7]
	v_mov_b32_e32 v12, s10
	s_xor_b64 exec, exec, s[6:7]
	s_cbranch_execnz .LBB1_27404
; %bb.63241:
	s_getpc_b64 s[14:15]
.Lpost_getpc17284:
	s_add_u32 s14, s14, (.LBB1_13066-.Lpost_getpc17284)&4294967295
	s_addc_u32 s15, s15, (.LBB1_13066-.Lpost_getpc17284)>>32
	s_setpc_b64 s[14:15]
.LBB1_27404:
	v_mov_b32_e32 v12, 0
	v_cmp_ne_u16_sdwa s[8:9], v13, v12 src0_sel:BYTE_0 src1_sel:DWORD
	s_andn2_b64 s[4:5], s[4:5], exec
	s_and_b64 s[8:9], s[8:9], exec
	s_or_b64 s[4:5], s[4:5], s[8:9]
	s_or_b64 exec, exec, s[6:7]
	s_and_saveexec_b64 s[6:7], s[4:5]
	s_cbranch_execz .LBB1_35205
; %bb.63243:
	s_getpc_b64 s[14:15]
.Lpost_getpc17285:
	s_add_u32 s14, s14, (.LBB1_13067-.Lpost_getpc17285)&4294967295
	s_addc_u32 s15, s15, (.LBB1_13067-.Lpost_getpc17285)>>32
	s_setpc_b64 s[14:15]
.LBB1_35205:
	s_getpc_b64 s[14:15]
.Lpost_getpc3266:
	s_add_u32 s14, s14, (.LBB1_13068-.Lpost_getpc3266)&4294967295
	s_addc_u32 s15, s15, (.LBB1_13068-.Lpost_getpc3266)>>32
	s_setpc_b64 s[14:15]
.LBB1_27405:
	s_movk_i32 s4, 0x80
	v_cmp_eq_u16_sdwa s[12:13], v13, s4 src0_sel:BYTE_0 src1_sel:DWORD
	s_mov_b64 s[4:5], -1
                                        ; implicit-def: $sgpr10
	s_and_saveexec_b64 s[8:9], s[12:13]
; %bb.27406:
	s_mov_b32 s10, 0x7f800001
	s_xor_b64 s[4:5], exec, -1
; %bb.27407:
	s_or_b64 exec, exec, s[8:9]
	s_and_b64 s[4:5], s[4:5], exec
	s_or_saveexec_b64 s[6:7], s[6:7]
	v_mov_b32_e32 v14, s10
	s_xor_b64 exec, exec, s[6:7]
	s_cbranch_execnz .LBB1_27408
; %bb.63245:
	s_getpc_b64 s[14:15]
.Lpost_getpc17286:
	s_add_u32 s14, s14, (.LBB1_13070-.Lpost_getpc17286)&4294967295
	s_addc_u32 s15, s15, (.LBB1_13070-.Lpost_getpc17286)>>32
	s_setpc_b64 s[14:15]
.LBB1_27408:
	v_mov_b32_e32 v14, 0
	v_cmp_ne_u16_sdwa s[8:9], v13, v14 src0_sel:BYTE_0 src1_sel:DWORD
	s_andn2_b64 s[4:5], s[4:5], exec
	s_and_b64 s[8:9], s[8:9], exec
	s_or_b64 s[4:5], s[4:5], s[8:9]
	s_or_b64 exec, exec, s[6:7]
	s_and_saveexec_b64 s[6:7], s[4:5]
	s_cbranch_execz .LBB1_35207
; %bb.63247:
	s_getpc_b64 s[14:15]
.Lpost_getpc17287:
	s_add_u32 s14, s14, (.LBB1_13071-.Lpost_getpc17287)&4294967295
	s_addc_u32 s15, s15, (.LBB1_13071-.Lpost_getpc17287)>>32
	s_setpc_b64 s[14:15]
.LBB1_35207:
	s_getpc_b64 s[14:15]
.Lpost_getpc3267:
	s_add_u32 s14, s14, (.LBB1_13072-.Lpost_getpc3267)&4294967295
	s_addc_u32 s15, s15, (.LBB1_13072-.Lpost_getpc3267)>>32
	s_setpc_b64 s[14:15]
.LBB1_27409:
	s_movk_i32 s4, 0x80
	v_cmp_eq_u16_e32 vcc, s4, v13
	s_mov_b64 s[4:5], -1
                                        ; implicit-def: $sgpr10
	s_and_saveexec_b64 s[8:9], vcc
; %bb.27410:
	s_mov_b32 s10, 0x7f800001
	s_xor_b64 s[4:5], exec, -1
; %bb.27411:
	s_or_b64 exec, exec, s[8:9]
	s_and_b64 s[4:5], s[4:5], exec
                                        ; implicit-def: $vgpr13
	s_or_saveexec_b64 s[6:7], s[6:7]
	v_mov_b32_e32 v12, s10
	s_xor_b64 exec, exec, s[6:7]
	s_cbranch_execnz .LBB1_27412
; %bb.63249:
	s_getpc_b64 s[14:15]
.Lpost_getpc17288:
	s_add_u32 s14, s14, (.LBB1_13074-.Lpost_getpc17288)&4294967295
	s_addc_u32 s15, s15, (.LBB1_13074-.Lpost_getpc17288)>>32
	s_setpc_b64 s[14:15]
.LBB1_27412:
	v_cmp_ne_u16_e32 vcc, 0, v13
	s_andn2_b64 s[4:5], s[4:5], exec
	s_and_b64 s[8:9], vcc, exec
	v_mov_b32_e32 v12, 0
	s_or_b64 s[4:5], s[4:5], s[8:9]
	s_or_b64 exec, exec, s[6:7]
	s_and_saveexec_b64 s[6:7], s[4:5]
	s_cbranch_execz .LBB1_35209
; %bb.63251:
	s_getpc_b64 s[14:15]
.Lpost_getpc17289:
	s_add_u32 s14, s14, (.LBB1_13075-.Lpost_getpc17289)&4294967295
	s_addc_u32 s15, s15, (.LBB1_13075-.Lpost_getpc17289)>>32
	s_setpc_b64 s[14:15]
.LBB1_35209:
	s_getpc_b64 s[14:15]
.Lpost_getpc3268:
	s_add_u32 s14, s14, (.LBB1_13076-.Lpost_getpc3268)&4294967295
	s_addc_u32 s15, s15, (.LBB1_13076-.Lpost_getpc3268)>>32
	s_setpc_b64 s[14:15]
.LBB1_27413:
	s_movk_i32 s4, 0x80
	v_cmp_eq_u16_e32 vcc, s4, v13
	s_mov_b64 s[4:5], -1
                                        ; implicit-def: $sgpr10
	s_and_saveexec_b64 s[8:9], vcc
; %bb.27414:
	s_mov_b32 s10, 0x7f800001
	s_xor_b64 s[4:5], exec, -1
; %bb.27415:
	s_or_b64 exec, exec, s[8:9]
	s_and_b64 s[4:5], s[4:5], exec
                                        ; implicit-def: $vgpr13
	s_or_saveexec_b64 s[6:7], s[6:7]
	v_mov_b32_e32 v14, s10
	s_xor_b64 exec, exec, s[6:7]
	s_cbranch_execnz .LBB1_27416
; %bb.63253:
	s_getpc_b64 s[14:15]
.Lpost_getpc17290:
	s_add_u32 s14, s14, (.LBB1_13078-.Lpost_getpc17290)&4294967295
	s_addc_u32 s15, s15, (.LBB1_13078-.Lpost_getpc17290)>>32
	s_setpc_b64 s[14:15]
.LBB1_27416:
	v_cmp_ne_u16_e32 vcc, 0, v13
	s_andn2_b64 s[4:5], s[4:5], exec
	s_and_b64 s[8:9], vcc, exec
	v_mov_b32_e32 v14, 0
	s_or_b64 s[4:5], s[4:5], s[8:9]
	s_or_b64 exec, exec, s[6:7]
	s_and_saveexec_b64 s[6:7], s[4:5]
	s_cbranch_execz .LBB1_35211
; %bb.63255:
	s_getpc_b64 s[14:15]
.Lpost_getpc17291:
	s_add_u32 s14, s14, (.LBB1_13079-.Lpost_getpc17291)&4294967295
	s_addc_u32 s15, s15, (.LBB1_13079-.Lpost_getpc17291)>>32
	s_setpc_b64 s[14:15]
.LBB1_35211:
	s_getpc_b64 s[14:15]
.Lpost_getpc3269:
	s_add_u32 s14, s14, (.LBB1_13080-.Lpost_getpc3269)&4294967295
	s_addc_u32 s15, s15, (.LBB1_13080-.Lpost_getpc3269)>>32
	s_setpc_b64 s[14:15]
.LBB1_27417:
	s_movk_i32 s4, 0x80
	v_cmp_eq_u16_sdwa s[12:13], v6, s4 src0_sel:BYTE_3 src1_sel:DWORD
	s_mov_b64 s[4:5], -1
                                        ; implicit-def: $sgpr10
	s_and_saveexec_b64 s[8:9], s[12:13]
; %bb.27418:
	s_mov_b32 s10, 0x7f800001
	s_xor_b64 s[4:5], exec, -1
; %bb.27419:
	s_or_b64 exec, exec, s[8:9]
	s_and_b64 s[4:5], s[4:5], exec
	s_or_saveexec_b64 s[6:7], s[6:7]
	v_mov_b32_e32 v12, s10
	s_xor_b64 exec, exec, s[6:7]
	s_cbranch_execnz .LBB1_27420
; %bb.63257:
	s_getpc_b64 s[14:15]
.Lpost_getpc17292:
	s_add_u32 s14, s14, (.LBB1_13082-.Lpost_getpc17292)&4294967295
	s_addc_u32 s15, s15, (.LBB1_13082-.Lpost_getpc17292)>>32
	s_setpc_b64 s[14:15]
.LBB1_27420:
	v_mov_b32_e32 v12, 0
	v_cmp_ne_u16_sdwa s[8:9], v6, v12 src0_sel:BYTE_3 src1_sel:DWORD
	s_andn2_b64 s[4:5], s[4:5], exec
	s_and_b64 s[8:9], s[8:9], exec
	s_or_b64 s[4:5], s[4:5], s[8:9]
	s_or_b64 exec, exec, s[6:7]
	s_and_saveexec_b64 s[6:7], s[4:5]
	s_cbranch_execz .LBB1_35213
; %bb.63259:
	s_getpc_b64 s[14:15]
.Lpost_getpc17293:
	s_add_u32 s14, s14, (.LBB1_13083-.Lpost_getpc17293)&4294967295
	s_addc_u32 s15, s15, (.LBB1_13083-.Lpost_getpc17293)>>32
	s_setpc_b64 s[14:15]
.LBB1_35213:
	s_getpc_b64 s[14:15]
.Lpost_getpc3270:
	s_add_u32 s14, s14, (.LBB1_13084-.Lpost_getpc3270)&4294967295
	s_addc_u32 s15, s15, (.LBB1_13084-.Lpost_getpc3270)>>32
	s_setpc_b64 s[14:15]
.LBB1_27421:
	s_movk_i32 s4, 0x80
	v_cmp_eq_u16_sdwa s[12:13], v2, s4 src0_sel:BYTE_3 src1_sel:DWORD
	s_mov_b64 s[4:5], -1
                                        ; implicit-def: $sgpr10
	s_and_saveexec_b64 s[8:9], s[12:13]
; %bb.27422:
	s_mov_b32 s10, 0x7f800001
	s_xor_b64 s[4:5], exec, -1
; %bb.27423:
	s_or_b64 exec, exec, s[8:9]
	s_and_b64 s[4:5], s[4:5], exec
	s_or_saveexec_b64 s[6:7], s[6:7]
	v_mov_b32_e32 v6, s10
	s_xor_b64 exec, exec, s[6:7]
	s_cbranch_execnz .LBB1_27424
; %bb.63261:
	s_getpc_b64 s[14:15]
.Lpost_getpc17294:
	s_add_u32 s14, s14, (.LBB1_13086-.Lpost_getpc17294)&4294967295
	s_addc_u32 s15, s15, (.LBB1_13086-.Lpost_getpc17294)>>32
	s_setpc_b64 s[14:15]
.LBB1_27424:
	v_mov_b32_e32 v6, 0
	v_cmp_ne_u16_sdwa s[8:9], v2, v6 src0_sel:BYTE_3 src1_sel:DWORD
	s_andn2_b64 s[4:5], s[4:5], exec
	s_and_b64 s[8:9], s[8:9], exec
	s_or_b64 s[4:5], s[4:5], s[8:9]
	s_or_b64 exec, exec, s[6:7]
	s_and_saveexec_b64 s[6:7], s[4:5]
	s_cbranch_execz .LBB1_35215
; %bb.63263:
	s_getpc_b64 s[14:15]
.Lpost_getpc17295:
	s_add_u32 s14, s14, (.LBB1_13087-.Lpost_getpc17295)&4294967295
	s_addc_u32 s15, s15, (.LBB1_13087-.Lpost_getpc17295)>>32
	s_setpc_b64 s[14:15]
.LBB1_35215:
	s_getpc_b64 s[14:15]
.Lpost_getpc3271:
	s_add_u32 s14, s14, (.LBB1_13088-.Lpost_getpc3271)&4294967295
	s_addc_u32 s15, s15, (.LBB1_13088-.Lpost_getpc3271)>>32
	s_setpc_b64 s[14:15]
.LBB1_27425:
	s_movk_i32 s4, 0x80
	v_cmp_eq_u16_sdwa s[12:13], v7, s4 src0_sel:BYTE_0 src1_sel:DWORD
	s_mov_b64 s[4:5], -1
                                        ; implicit-def: $sgpr10
	s_and_saveexec_b64 s[8:9], s[12:13]
; %bb.27426:
	s_mov_b32 s10, 0x7f800001
	s_xor_b64 s[4:5], exec, -1
; %bb.27427:
	s_or_b64 exec, exec, s[8:9]
	s_and_b64 s[4:5], s[4:5], exec
	s_or_saveexec_b64 s[6:7], s[6:7]
	v_mov_b32_e32 v2, s10
	s_xor_b64 exec, exec, s[6:7]
	s_cbranch_execnz .LBB1_27428
; %bb.63265:
	s_getpc_b64 s[14:15]
.Lpost_getpc17296:
	s_add_u32 s14, s14, (.LBB1_13090-.Lpost_getpc17296)&4294967295
	s_addc_u32 s15, s15, (.LBB1_13090-.Lpost_getpc17296)>>32
	s_setpc_b64 s[14:15]
.LBB1_27428:
	v_mov_b32_e32 v2, 0
	v_cmp_ne_u16_sdwa s[8:9], v7, v2 src0_sel:BYTE_0 src1_sel:DWORD
	s_andn2_b64 s[4:5], s[4:5], exec
	s_and_b64 s[8:9], s[8:9], exec
	s_or_b64 s[4:5], s[4:5], s[8:9]
	s_or_b64 exec, exec, s[6:7]
	s_and_saveexec_b64 s[6:7], s[4:5]
	s_cbranch_execz .LBB1_35217
; %bb.63267:
	s_getpc_b64 s[14:15]
.Lpost_getpc17297:
	s_add_u32 s14, s14, (.LBB1_13091-.Lpost_getpc17297)&4294967295
	s_addc_u32 s15, s15, (.LBB1_13091-.Lpost_getpc17297)>>32
	s_setpc_b64 s[14:15]
.LBB1_35217:
	s_getpc_b64 s[14:15]
.Lpost_getpc3272:
	s_add_u32 s14, s14, (.LBB1_13092-.Lpost_getpc3272)&4294967295
	s_addc_u32 s15, s15, (.LBB1_13092-.Lpost_getpc3272)>>32
	s_setpc_b64 s[14:15]
.LBB1_27429:
	s_movk_i32 s4, 0x80
	v_cmp_eq_u16_sdwa s[12:13], v3, s4 src0_sel:BYTE_0 src1_sel:DWORD
	s_mov_b64 s[4:5], -1
                                        ; implicit-def: $sgpr10
	s_and_saveexec_b64 s[8:9], s[12:13]
; %bb.27430:
	s_mov_b32 s10, 0x7f800001
	s_xor_b64 s[4:5], exec, -1
; %bb.27431:
	s_or_b64 exec, exec, s[8:9]
	s_and_b64 s[4:5], s[4:5], exec
	s_or_saveexec_b64 s[6:7], s[6:7]
	v_mov_b32_e32 v6, s10
	s_xor_b64 exec, exec, s[6:7]
	s_cbranch_execnz .LBB1_27432
; %bb.63269:
	s_getpc_b64 s[14:15]
.Lpost_getpc17298:
	s_add_u32 s14, s14, (.LBB1_13094-.Lpost_getpc17298)&4294967295
	s_addc_u32 s15, s15, (.LBB1_13094-.Lpost_getpc17298)>>32
	s_setpc_b64 s[14:15]
.LBB1_27432:
	v_mov_b32_e32 v6, 0
	v_cmp_ne_u16_sdwa s[8:9], v3, v6 src0_sel:BYTE_0 src1_sel:DWORD
	s_andn2_b64 s[4:5], s[4:5], exec
	s_and_b64 s[8:9], s[8:9], exec
	s_or_b64 s[4:5], s[4:5], s[8:9]
	s_or_b64 exec, exec, s[6:7]
	s_and_saveexec_b64 s[6:7], s[4:5]
	s_cbranch_execz .LBB1_35219
; %bb.63271:
	s_getpc_b64 s[14:15]
.Lpost_getpc17299:
	s_add_u32 s14, s14, (.LBB1_13095-.Lpost_getpc17299)&4294967295
	s_addc_u32 s15, s15, (.LBB1_13095-.Lpost_getpc17299)>>32
	s_setpc_b64 s[14:15]
.LBB1_35219:
	s_getpc_b64 s[14:15]
.Lpost_getpc3273:
	s_add_u32 s14, s14, (.LBB1_13096-.Lpost_getpc3273)&4294967295
	s_addc_u32 s15, s15, (.LBB1_13096-.Lpost_getpc3273)>>32
	s_setpc_b64 s[14:15]
.LBB1_27433:
	s_movk_i32 s4, 0x80
	v_cmp_eq_u16_sdwa s[12:13], v6, s4 src0_sel:BYTE_0 src1_sel:DWORD
	s_mov_b64 s[4:5], -1
                                        ; implicit-def: $sgpr10
	s_and_saveexec_b64 s[8:9], s[12:13]
; %bb.27434:
	s_mov_b32 s10, 0x7f800001
	s_xor_b64 s[4:5], exec, -1
; %bb.27435:
	s_or_b64 exec, exec, s[8:9]
	s_and_b64 s[4:5], s[4:5], exec
	s_or_saveexec_b64 s[6:7], s[6:7]
	v_mov_b32_e32 v2, s10
	s_xor_b64 exec, exec, s[6:7]
	s_cbranch_execnz .LBB1_27436
; %bb.63273:
	s_getpc_b64 s[14:15]
.Lpost_getpc17300:
	s_add_u32 s14, s14, (.LBB1_13098-.Lpost_getpc17300)&4294967295
	s_addc_u32 s15, s15, (.LBB1_13098-.Lpost_getpc17300)>>32
	s_setpc_b64 s[14:15]
.LBB1_27436:
	v_mov_b32_e32 v2, 0
	v_cmp_ne_u16_sdwa s[8:9], v6, v2 src0_sel:BYTE_0 src1_sel:DWORD
	s_andn2_b64 s[4:5], s[4:5], exec
	s_and_b64 s[8:9], s[8:9], exec
	s_or_b64 s[4:5], s[4:5], s[8:9]
	s_or_b64 exec, exec, s[6:7]
	s_and_saveexec_b64 s[6:7], s[4:5]
	s_cbranch_execz .LBB1_35221
; %bb.63275:
	s_getpc_b64 s[14:15]
.Lpost_getpc17301:
	s_add_u32 s14, s14, (.LBB1_13099-.Lpost_getpc17301)&4294967295
	s_addc_u32 s15, s15, (.LBB1_13099-.Lpost_getpc17301)>>32
	s_setpc_b64 s[14:15]
.LBB1_35221:
	s_getpc_b64 s[14:15]
.Lpost_getpc3274:
	s_add_u32 s14, s14, (.LBB1_13100-.Lpost_getpc3274)&4294967295
	s_addc_u32 s15, s15, (.LBB1_13100-.Lpost_getpc3274)>>32
	s_setpc_b64 s[14:15]
.LBB1_27437:
	s_movk_i32 s4, 0x80
	v_cmp_eq_u16_sdwa s[12:13], v6, s4 src0_sel:BYTE_0 src1_sel:DWORD
	s_mov_b64 s[4:5], -1
                                        ; implicit-def: $sgpr10
	s_and_saveexec_b64 s[8:9], s[12:13]
; %bb.27438:
	s_mov_b32 s10, 0x7f800001
	s_xor_b64 s[4:5], exec, -1
; %bb.27439:
	s_or_b64 exec, exec, s[8:9]
	s_and_b64 s[4:5], s[4:5], exec
	s_or_saveexec_b64 s[6:7], s[6:7]
	v_mov_b32_e32 v12, s10
	s_xor_b64 exec, exec, s[6:7]
	s_cbranch_execnz .LBB1_27440
; %bb.63277:
	s_getpc_b64 s[14:15]
.Lpost_getpc17302:
	s_add_u32 s14, s14, (.LBB1_13102-.Lpost_getpc17302)&4294967295
	s_addc_u32 s15, s15, (.LBB1_13102-.Lpost_getpc17302)>>32
	s_setpc_b64 s[14:15]
.LBB1_27440:
	v_mov_b32_e32 v12, 0
	v_cmp_ne_u16_sdwa s[8:9], v6, v12 src0_sel:BYTE_0 src1_sel:DWORD
	s_andn2_b64 s[4:5], s[4:5], exec
	s_and_b64 s[8:9], s[8:9], exec
	s_or_b64 s[4:5], s[4:5], s[8:9]
	s_or_b64 exec, exec, s[6:7]
	s_and_saveexec_b64 s[6:7], s[4:5]
	s_cbranch_execz .LBB1_35223
; %bb.63279:
	s_getpc_b64 s[14:15]
.Lpost_getpc17303:
	s_add_u32 s14, s14, (.LBB1_13103-.Lpost_getpc17303)&4294967295
	s_addc_u32 s15, s15, (.LBB1_13103-.Lpost_getpc17303)>>32
	s_setpc_b64 s[14:15]
.LBB1_35223:
	s_getpc_b64 s[14:15]
.Lpost_getpc3275:
	s_add_u32 s14, s14, (.LBB1_13104-.Lpost_getpc3275)&4294967295
	s_addc_u32 s15, s15, (.LBB1_13104-.Lpost_getpc3275)>>32
	s_setpc_b64 s[14:15]
.LBB1_27441:
	s_movk_i32 s4, 0x80
	v_cmp_eq_u16_e32 vcc, s4, v6
	s_mov_b64 s[4:5], -1
                                        ; implicit-def: $sgpr10
	s_and_saveexec_b64 s[8:9], vcc
; %bb.27442:
	s_mov_b32 s10, 0x7f800001
	s_xor_b64 s[4:5], exec, -1
; %bb.27443:
	s_or_b64 exec, exec, s[8:9]
	s_and_b64 s[4:5], s[4:5], exec
                                        ; implicit-def: $vgpr6
	s_or_saveexec_b64 s[6:7], s[6:7]
	v_mov_b32_e32 v2, s10
	s_xor_b64 exec, exec, s[6:7]
	s_cbranch_execnz .LBB1_27444
; %bb.63281:
	s_getpc_b64 s[14:15]
.Lpost_getpc17304:
	s_add_u32 s14, s14, (.LBB1_13106-.Lpost_getpc17304)&4294967295
	s_addc_u32 s15, s15, (.LBB1_13106-.Lpost_getpc17304)>>32
	s_setpc_b64 s[14:15]
.LBB1_27444:
	v_cmp_ne_u16_e32 vcc, 0, v6
	s_andn2_b64 s[4:5], s[4:5], exec
	s_and_b64 s[8:9], vcc, exec
	v_mov_b32_e32 v2, 0
	s_or_b64 s[4:5], s[4:5], s[8:9]
	s_or_b64 exec, exec, s[6:7]
	s_and_saveexec_b64 s[6:7], s[4:5]
	s_cbranch_execz .LBB1_35225
; %bb.63283:
	s_getpc_b64 s[14:15]
.Lpost_getpc17305:
	s_add_u32 s14, s14, (.LBB1_13107-.Lpost_getpc17305)&4294967295
	s_addc_u32 s15, s15, (.LBB1_13107-.Lpost_getpc17305)>>32
	s_setpc_b64 s[14:15]
.LBB1_35225:
	s_getpc_b64 s[14:15]
.Lpost_getpc3276:
	s_add_u32 s14, s14, (.LBB1_13108-.Lpost_getpc3276)&4294967295
	s_addc_u32 s15, s15, (.LBB1_13108-.Lpost_getpc3276)>>32
	s_setpc_b64 s[14:15]
.LBB1_27445:
	s_movk_i32 s4, 0x80
	v_cmp_eq_u16_e32 vcc, s4, v6
	s_mov_b64 s[4:5], -1
                                        ; implicit-def: $sgpr10
	s_and_saveexec_b64 s[8:9], vcc
; %bb.27446:
	s_mov_b32 s10, 0x7f800001
	s_xor_b64 s[4:5], exec, -1
; %bb.27447:
	s_or_b64 exec, exec, s[8:9]
	s_and_b64 s[4:5], s[4:5], exec
                                        ; implicit-def: $vgpr6
	s_or_saveexec_b64 s[6:7], s[6:7]
	v_mov_b32_e32 v12, s10
	s_xor_b64 exec, exec, s[6:7]
	s_cbranch_execnz .LBB1_27448
; %bb.63285:
	s_getpc_b64 s[14:15]
.Lpost_getpc17306:
	s_add_u32 s14, s14, (.LBB1_13110-.Lpost_getpc17306)&4294967295
	s_addc_u32 s15, s15, (.LBB1_13110-.Lpost_getpc17306)>>32
	s_setpc_b64 s[14:15]
.LBB1_27448:
	v_cmp_ne_u16_e32 vcc, 0, v6
	s_andn2_b64 s[4:5], s[4:5], exec
	s_and_b64 s[8:9], vcc, exec
	v_mov_b32_e32 v12, 0
	s_or_b64 s[4:5], s[4:5], s[8:9]
	s_or_b64 exec, exec, s[6:7]
	s_and_saveexec_b64 s[6:7], s[4:5]
	s_cbranch_execz .LBB1_35227
; %bb.63287:
	s_getpc_b64 s[14:15]
.Lpost_getpc17307:
	s_add_u32 s14, s14, (.LBB1_13111-.Lpost_getpc17307)&4294967295
	s_addc_u32 s15, s15, (.LBB1_13111-.Lpost_getpc17307)>>32
	s_setpc_b64 s[14:15]
.LBB1_35227:
	s_getpc_b64 s[14:15]
.Lpost_getpc3277:
	s_add_u32 s14, s14, (.LBB1_13112-.Lpost_getpc3277)&4294967295
	s_addc_u32 s15, s15, (.LBB1_13112-.Lpost_getpc3277)>>32
	s_setpc_b64 s[14:15]
.LBB1_27449:
	s_movk_i32 s4, 0x80
	v_cmp_eq_u16_sdwa s[12:13], v7, s4 src0_sel:BYTE_3 src1_sel:DWORD
	s_mov_b64 s[4:5], -1
                                        ; implicit-def: $sgpr10
	s_and_saveexec_b64 s[8:9], s[12:13]
; %bb.27450:
	s_mov_b32 s10, 0x7f800001
	s_xor_b64 s[4:5], exec, -1
; %bb.27451:
	s_or_b64 exec, exec, s[8:9]
	s_and_b64 s[4:5], s[4:5], exec
	s_or_saveexec_b64 s[6:7], s[6:7]
	v_mov_b32_e32 v2, s10
	s_xor_b64 exec, exec, s[6:7]
	s_cbranch_execnz .LBB1_27452
; %bb.63289:
	s_getpc_b64 s[14:15]
.Lpost_getpc17308:
	s_add_u32 s14, s14, (.LBB1_13114-.Lpost_getpc17308)&4294967295
	s_addc_u32 s15, s15, (.LBB1_13114-.Lpost_getpc17308)>>32
	s_setpc_b64 s[14:15]
.LBB1_27452:
	v_mov_b32_e32 v2, 0
	v_cmp_ne_u16_sdwa s[8:9], v7, v2 src0_sel:BYTE_3 src1_sel:DWORD
	s_andn2_b64 s[4:5], s[4:5], exec
	s_and_b64 s[8:9], s[8:9], exec
	s_or_b64 s[4:5], s[4:5], s[8:9]
	s_or_b64 exec, exec, s[6:7]
	s_and_saveexec_b64 s[6:7], s[4:5]
	s_cbranch_execz .LBB1_35229
; %bb.63291:
	s_getpc_b64 s[14:15]
.Lpost_getpc17309:
	s_add_u32 s14, s14, (.LBB1_13115-.Lpost_getpc17309)&4294967295
	s_addc_u32 s15, s15, (.LBB1_13115-.Lpost_getpc17309)>>32
	s_setpc_b64 s[14:15]
.LBB1_35229:
	s_getpc_b64 s[14:15]
.Lpost_getpc3278:
	s_add_u32 s14, s14, (.LBB1_13116-.Lpost_getpc3278)&4294967295
	s_addc_u32 s15, s15, (.LBB1_13116-.Lpost_getpc3278)>>32
	s_setpc_b64 s[14:15]
.LBB1_27453:
	s_movk_i32 s4, 0x80
	v_cmp_eq_u16_sdwa s[12:13], v3, s4 src0_sel:BYTE_3 src1_sel:DWORD
	s_mov_b64 s[4:5], -1
                                        ; implicit-def: $sgpr10
	s_and_saveexec_b64 s[8:9], s[12:13]
; %bb.27454:
	s_mov_b32 s10, 0x7f800001
	s_xor_b64 s[4:5], exec, -1
; %bb.27455:
	s_or_b64 exec, exec, s[8:9]
	s_and_b64 s[4:5], s[4:5], exec
	s_or_saveexec_b64 s[6:7], s[6:7]
	v_mov_b32_e32 v6, s10
	s_xor_b64 exec, exec, s[6:7]
	s_cbranch_execnz .LBB1_27456
; %bb.63293:
	s_getpc_b64 s[14:15]
.Lpost_getpc17310:
	s_add_u32 s14, s14, (.LBB1_13118-.Lpost_getpc17310)&4294967295
	s_addc_u32 s15, s15, (.LBB1_13118-.Lpost_getpc17310)>>32
	s_setpc_b64 s[14:15]
.LBB1_27456:
	v_mov_b32_e32 v6, 0
	v_cmp_ne_u16_sdwa s[8:9], v3, v6 src0_sel:BYTE_3 src1_sel:DWORD
	s_andn2_b64 s[4:5], s[4:5], exec
	s_and_b64 s[8:9], s[8:9], exec
	s_or_b64 s[4:5], s[4:5], s[8:9]
	s_or_b64 exec, exec, s[6:7]
	s_and_saveexec_b64 s[6:7], s[4:5]
	s_cbranch_execz .LBB1_35231
; %bb.63295:
	s_getpc_b64 s[14:15]
.Lpost_getpc17311:
	s_add_u32 s14, s14, (.LBB1_13119-.Lpost_getpc17311)&4294967295
	s_addc_u32 s15, s15, (.LBB1_13119-.Lpost_getpc17311)>>32
	s_setpc_b64 s[14:15]
.LBB1_35231:
	s_getpc_b64 s[14:15]
.Lpost_getpc3279:
	s_add_u32 s14, s14, (.LBB1_13120-.Lpost_getpc3279)&4294967295
	s_addc_u32 s15, s15, (.LBB1_13120-.Lpost_getpc3279)>>32
	s_setpc_b64 s[14:15]
.LBB1_27457:
	s_movk_i32 s4, 0x80
	v_cmp_eq_u16_sdwa s[12:13], v8, s4 src0_sel:BYTE_0 src1_sel:DWORD
	s_mov_b64 s[4:5], -1
                                        ; implicit-def: $sgpr10
	s_and_saveexec_b64 s[8:9], s[12:13]
; %bb.27458:
	s_mov_b32 s10, 0x7f800001
	s_xor_b64 s[4:5], exec, -1
; %bb.27459:
	s_or_b64 exec, exec, s[8:9]
	s_and_b64 s[4:5], s[4:5], exec
	s_or_saveexec_b64 s[6:7], s[6:7]
	v_mov_b32_e32 v2, s10
	s_xor_b64 exec, exec, s[6:7]
	s_cbranch_execnz .LBB1_27460
; %bb.63297:
	s_getpc_b64 s[14:15]
.Lpost_getpc17312:
	s_add_u32 s14, s14, (.LBB1_13122-.Lpost_getpc17312)&4294967295
	s_addc_u32 s15, s15, (.LBB1_13122-.Lpost_getpc17312)>>32
	s_setpc_b64 s[14:15]
.LBB1_27460:
	v_mov_b32_e32 v2, 0
	v_cmp_ne_u16_sdwa s[8:9], v8, v2 src0_sel:BYTE_0 src1_sel:DWORD
	s_andn2_b64 s[4:5], s[4:5], exec
	s_and_b64 s[8:9], s[8:9], exec
	s_or_b64 s[4:5], s[4:5], s[8:9]
	s_or_b64 exec, exec, s[6:7]
	s_and_saveexec_b64 s[6:7], s[4:5]
	s_cbranch_execz .LBB1_35233
; %bb.63299:
	s_getpc_b64 s[14:15]
.Lpost_getpc17313:
	s_add_u32 s14, s14, (.LBB1_13123-.Lpost_getpc17313)&4294967295
	s_addc_u32 s15, s15, (.LBB1_13123-.Lpost_getpc17313)>>32
	s_setpc_b64 s[14:15]
.LBB1_35233:
	s_getpc_b64 s[14:15]
.Lpost_getpc3280:
	s_add_u32 s14, s14, (.LBB1_13124-.Lpost_getpc3280)&4294967295
	s_addc_u32 s15, s15, (.LBB1_13124-.Lpost_getpc3280)>>32
	s_setpc_b64 s[14:15]
.LBB1_27461:
	s_movk_i32 s4, 0x80
	v_cmp_eq_u16_sdwa s[12:13], v4, s4 src0_sel:BYTE_0 src1_sel:DWORD
	s_mov_b64 s[4:5], -1
                                        ; implicit-def: $sgpr10
	s_and_saveexec_b64 s[8:9], s[12:13]
; %bb.27462:
	s_mov_b32 s10, 0x7f800001
	s_xor_b64 s[4:5], exec, -1
; %bb.27463:
	s_or_b64 exec, exec, s[8:9]
	s_and_b64 s[4:5], s[4:5], exec
	s_or_saveexec_b64 s[6:7], s[6:7]
	v_mov_b32_e32 v3, s10
	s_xor_b64 exec, exec, s[6:7]
	s_cbranch_execnz .LBB1_27464
; %bb.63301:
	s_getpc_b64 s[14:15]
.Lpost_getpc17314:
	s_add_u32 s14, s14, (.LBB1_13126-.Lpost_getpc17314)&4294967295
	s_addc_u32 s15, s15, (.LBB1_13126-.Lpost_getpc17314)>>32
	s_setpc_b64 s[14:15]
.LBB1_27464:
	v_mov_b32_e32 v3, 0
	v_cmp_ne_u16_sdwa s[8:9], v4, v3 src0_sel:BYTE_0 src1_sel:DWORD
	s_andn2_b64 s[4:5], s[4:5], exec
	s_and_b64 s[8:9], s[8:9], exec
	s_or_b64 s[4:5], s[4:5], s[8:9]
	s_or_b64 exec, exec, s[6:7]
	s_and_saveexec_b64 s[6:7], s[4:5]
	s_cbranch_execz .LBB1_35235
; %bb.63303:
	s_getpc_b64 s[14:15]
.Lpost_getpc17315:
	s_add_u32 s14, s14, (.LBB1_13127-.Lpost_getpc17315)&4294967295
	s_addc_u32 s15, s15, (.LBB1_13127-.Lpost_getpc17315)>>32
	s_setpc_b64 s[14:15]
.LBB1_35235:
	s_getpc_b64 s[14:15]
.Lpost_getpc3281:
	s_add_u32 s14, s14, (.LBB1_13128-.Lpost_getpc3281)&4294967295
	s_addc_u32 s15, s15, (.LBB1_13128-.Lpost_getpc3281)>>32
	s_setpc_b64 s[14:15]
.LBB1_27465:
	s_movk_i32 s4, 0x80
	v_cmp_eq_u16_sdwa s[12:13], v3, s4 src0_sel:BYTE_0 src1_sel:DWORD
	s_mov_b64 s[4:5], -1
                                        ; implicit-def: $sgpr10
	s_and_saveexec_b64 s[8:9], s[12:13]
; %bb.27466:
	s_mov_b32 s10, 0x7f800001
	s_xor_b64 s[4:5], exec, -1
; %bb.27467:
	s_or_b64 exec, exec, s[8:9]
	s_and_b64 s[4:5], s[4:5], exec
	s_or_saveexec_b64 s[6:7], s[6:7]
	v_mov_b32_e32 v2, s10
	s_xor_b64 exec, exec, s[6:7]
	s_cbranch_execnz .LBB1_27468
; %bb.63305:
	s_getpc_b64 s[14:15]
.Lpost_getpc17316:
	s_add_u32 s14, s14, (.LBB1_13130-.Lpost_getpc17316)&4294967295
	s_addc_u32 s15, s15, (.LBB1_13130-.Lpost_getpc17316)>>32
	s_setpc_b64 s[14:15]
.LBB1_27468:
	v_mov_b32_e32 v2, 0
	v_cmp_ne_u16_sdwa s[8:9], v3, v2 src0_sel:BYTE_0 src1_sel:DWORD
	s_andn2_b64 s[4:5], s[4:5], exec
	s_and_b64 s[8:9], s[8:9], exec
	s_or_b64 s[4:5], s[4:5], s[8:9]
	s_or_b64 exec, exec, s[6:7]
	s_and_saveexec_b64 s[6:7], s[4:5]
	s_cbranch_execz .LBB1_35237
; %bb.63307:
	s_getpc_b64 s[14:15]
.Lpost_getpc17317:
	s_add_u32 s14, s14, (.LBB1_13131-.Lpost_getpc17317)&4294967295
	s_addc_u32 s15, s15, (.LBB1_13131-.Lpost_getpc17317)>>32
	s_setpc_b64 s[14:15]
.LBB1_35237:
	s_getpc_b64 s[14:15]
.Lpost_getpc3282:
	s_add_u32 s14, s14, (.LBB1_13132-.Lpost_getpc3282)&4294967295
	s_addc_u32 s15, s15, (.LBB1_13132-.Lpost_getpc3282)>>32
	s_setpc_b64 s[14:15]
.LBB1_27469:
	s_movk_i32 s4, 0x80
	v_cmp_eq_u16_sdwa s[12:13], v3, s4 src0_sel:BYTE_0 src1_sel:DWORD
	s_mov_b64 s[4:5], -1
                                        ; implicit-def: $sgpr10
	s_and_saveexec_b64 s[8:9], s[12:13]
; %bb.27470:
	s_mov_b32 s10, 0x7f800001
	s_xor_b64 s[4:5], exec, -1
; %bb.27471:
	s_or_b64 exec, exec, s[8:9]
	s_and_b64 s[4:5], s[4:5], exec
	s_or_saveexec_b64 s[6:7], s[6:7]
	v_mov_b32_e32 v6, s10
	s_xor_b64 exec, exec, s[6:7]
	s_cbranch_execnz .LBB1_27472
; %bb.63309:
	s_getpc_b64 s[14:15]
.Lpost_getpc17318:
	s_add_u32 s14, s14, (.LBB1_13134-.Lpost_getpc17318)&4294967295
	s_addc_u32 s15, s15, (.LBB1_13134-.Lpost_getpc17318)>>32
	s_setpc_b64 s[14:15]
.LBB1_27472:
	v_mov_b32_e32 v6, 0
	v_cmp_ne_u16_sdwa s[8:9], v3, v6 src0_sel:BYTE_0 src1_sel:DWORD
	s_andn2_b64 s[4:5], s[4:5], exec
	s_and_b64 s[8:9], s[8:9], exec
	s_or_b64 s[4:5], s[4:5], s[8:9]
	s_or_b64 exec, exec, s[6:7]
	s_and_saveexec_b64 s[6:7], s[4:5]
	s_cbranch_execz .LBB1_35239
; %bb.63311:
	s_getpc_b64 s[14:15]
.Lpost_getpc17319:
	s_add_u32 s14, s14, (.LBB1_13135-.Lpost_getpc17319)&4294967295
	s_addc_u32 s15, s15, (.LBB1_13135-.Lpost_getpc17319)>>32
	s_setpc_b64 s[14:15]
.LBB1_35239:
	s_getpc_b64 s[14:15]
.Lpost_getpc3283:
	s_add_u32 s14, s14, (.LBB1_13136-.Lpost_getpc3283)&4294967295
	s_addc_u32 s15, s15, (.LBB1_13136-.Lpost_getpc3283)>>32
	s_setpc_b64 s[14:15]
.LBB1_27473:
	s_movk_i32 s4, 0x80
	v_cmp_eq_u16_e32 vcc, s4, v3
	s_mov_b64 s[4:5], -1
                                        ; implicit-def: $sgpr10
	s_and_saveexec_b64 s[8:9], vcc
; %bb.27474:
	s_mov_b32 s10, 0x7f800001
	s_xor_b64 s[4:5], exec, -1
; %bb.27475:
	s_or_b64 exec, exec, s[8:9]
	s_and_b64 s[4:5], s[4:5], exec
                                        ; implicit-def: $vgpr3
	s_or_saveexec_b64 s[6:7], s[6:7]
	v_mov_b32_e32 v2, s10
	s_xor_b64 exec, exec, s[6:7]
	s_cbranch_execnz .LBB1_27476
; %bb.63313:
	s_getpc_b64 s[14:15]
.Lpost_getpc17320:
	s_add_u32 s14, s14, (.LBB1_13138-.Lpost_getpc17320)&4294967295
	s_addc_u32 s15, s15, (.LBB1_13138-.Lpost_getpc17320)>>32
	s_setpc_b64 s[14:15]
.LBB1_27476:
	v_cmp_ne_u16_e32 vcc, 0, v3
	s_andn2_b64 s[4:5], s[4:5], exec
	s_and_b64 s[8:9], vcc, exec
	v_mov_b32_e32 v2, 0
	s_or_b64 s[4:5], s[4:5], s[8:9]
	s_or_b64 exec, exec, s[6:7]
	s_and_saveexec_b64 s[6:7], s[4:5]
	s_cbranch_execz .LBB1_35241
; %bb.63315:
	s_getpc_b64 s[14:15]
.Lpost_getpc17321:
	s_add_u32 s14, s14, (.LBB1_13139-.Lpost_getpc17321)&4294967295
	s_addc_u32 s15, s15, (.LBB1_13139-.Lpost_getpc17321)>>32
	s_setpc_b64 s[14:15]
.LBB1_35241:
	s_getpc_b64 s[14:15]
.Lpost_getpc3284:
	s_add_u32 s14, s14, (.LBB1_13140-.Lpost_getpc3284)&4294967295
	s_addc_u32 s15, s15, (.LBB1_13140-.Lpost_getpc3284)>>32
	s_setpc_b64 s[14:15]
.LBB1_27477:
	s_movk_i32 s4, 0x80
	v_cmp_eq_u16_e32 vcc, s4, v3
	s_mov_b64 s[4:5], -1
                                        ; implicit-def: $sgpr10
	s_and_saveexec_b64 s[8:9], vcc
; %bb.27478:
	s_mov_b32 s10, 0x7f800001
	s_xor_b64 s[4:5], exec, -1
; %bb.27479:
	s_or_b64 exec, exec, s[8:9]
	s_and_b64 s[4:5], s[4:5], exec
                                        ; implicit-def: $vgpr3
	s_or_saveexec_b64 s[6:7], s[6:7]
	v_mov_b32_e32 v6, s10
	s_xor_b64 exec, exec, s[6:7]
	s_cbranch_execnz .LBB1_27480
; %bb.63317:
	s_getpc_b64 s[14:15]
.Lpost_getpc17322:
	s_add_u32 s14, s14, (.LBB1_13142-.Lpost_getpc17322)&4294967295
	s_addc_u32 s15, s15, (.LBB1_13142-.Lpost_getpc17322)>>32
	s_setpc_b64 s[14:15]
.LBB1_27480:
	v_cmp_ne_u16_e32 vcc, 0, v3
	s_andn2_b64 s[4:5], s[4:5], exec
	s_and_b64 s[8:9], vcc, exec
	v_mov_b32_e32 v6, 0
	s_or_b64 s[4:5], s[4:5], s[8:9]
	s_or_b64 exec, exec, s[6:7]
	s_and_saveexec_b64 s[6:7], s[4:5]
	s_cbranch_execz .LBB1_35243
; %bb.63319:
	s_getpc_b64 s[14:15]
.Lpost_getpc17323:
	s_add_u32 s14, s14, (.LBB1_13143-.Lpost_getpc17323)&4294967295
	s_addc_u32 s15, s15, (.LBB1_13143-.Lpost_getpc17323)>>32
	s_setpc_b64 s[14:15]
.LBB1_35243:
	s_getpc_b64 s[14:15]
.Lpost_getpc3285:
	s_add_u32 s14, s14, (.LBB1_13144-.Lpost_getpc3285)&4294967295
	s_addc_u32 s15, s15, (.LBB1_13144-.Lpost_getpc3285)>>32
	s_setpc_b64 s[14:15]
.LBB1_27481:
	s_movk_i32 s4, 0x80
	v_cmp_eq_u16_sdwa s[12:13], v8, s4 src0_sel:BYTE_3 src1_sel:DWORD
	s_mov_b64 s[4:5], -1
                                        ; implicit-def: $sgpr10
	s_and_saveexec_b64 s[8:9], s[12:13]
; %bb.27482:
	s_mov_b32 s10, 0x7f800001
	s_xor_b64 s[4:5], exec, -1
; %bb.27483:
	s_or_b64 exec, exec, s[8:9]
	s_and_b64 s[4:5], s[4:5], exec
	s_or_saveexec_b64 s[6:7], s[6:7]
	v_mov_b32_e32 v2, s10
	s_xor_b64 exec, exec, s[6:7]
	s_cbranch_execnz .LBB1_27484
; %bb.63321:
	s_getpc_b64 s[14:15]
.Lpost_getpc17324:
	s_add_u32 s14, s14, (.LBB1_13146-.Lpost_getpc17324)&4294967295
	s_addc_u32 s15, s15, (.LBB1_13146-.Lpost_getpc17324)>>32
	s_setpc_b64 s[14:15]
.LBB1_27484:
	v_mov_b32_e32 v2, 0
	v_cmp_ne_u16_sdwa s[8:9], v8, v2 src0_sel:BYTE_3 src1_sel:DWORD
	s_andn2_b64 s[4:5], s[4:5], exec
	s_and_b64 s[8:9], s[8:9], exec
	s_or_b64 s[4:5], s[4:5], s[8:9]
	s_or_b64 exec, exec, s[6:7]
	s_and_saveexec_b64 s[6:7], s[4:5]
	s_cbranch_execz .LBB1_35245
; %bb.63323:
	s_getpc_b64 s[14:15]
.Lpost_getpc17325:
	s_add_u32 s14, s14, (.LBB1_13147-.Lpost_getpc17325)&4294967295
	s_addc_u32 s15, s15, (.LBB1_13147-.Lpost_getpc17325)>>32
	s_setpc_b64 s[14:15]
.LBB1_35245:
	s_getpc_b64 s[14:15]
.Lpost_getpc3286:
	s_add_u32 s14, s14, (.LBB1_13148-.Lpost_getpc3286)&4294967295
	s_addc_u32 s15, s15, (.LBB1_13148-.Lpost_getpc3286)>>32
	s_setpc_b64 s[14:15]
.LBB1_27485:
	s_movk_i32 s4, 0x80
	v_cmp_eq_u16_sdwa s[12:13], v4, s4 src0_sel:BYTE_3 src1_sel:DWORD
	s_mov_b64 s[4:5], -1
                                        ; implicit-def: $sgpr10
	s_and_saveexec_b64 s[8:9], s[12:13]
; %bb.27486:
	s_mov_b32 s10, 0x7f800001
	s_xor_b64 s[4:5], exec, -1
; %bb.27487:
	s_or_b64 exec, exec, s[8:9]
	s_and_b64 s[4:5], s[4:5], exec
	s_or_saveexec_b64 s[6:7], s[6:7]
	v_mov_b32_e32 v3, s10
	s_xor_b64 exec, exec, s[6:7]
	s_cbranch_execnz .LBB1_27488
; %bb.63325:
	s_getpc_b64 s[14:15]
.Lpost_getpc17326:
	s_add_u32 s14, s14, (.LBB1_13150-.Lpost_getpc17326)&4294967295
	s_addc_u32 s15, s15, (.LBB1_13150-.Lpost_getpc17326)>>32
	s_setpc_b64 s[14:15]
.LBB1_27488:
	v_mov_b32_e32 v3, 0
	v_cmp_ne_u16_sdwa s[8:9], v4, v3 src0_sel:BYTE_3 src1_sel:DWORD
	s_andn2_b64 s[4:5], s[4:5], exec
	s_and_b64 s[8:9], s[8:9], exec
	s_or_b64 s[4:5], s[4:5], s[8:9]
	s_or_b64 exec, exec, s[6:7]
	s_and_saveexec_b64 s[6:7], s[4:5]
	s_cbranch_execz .LBB1_35247
; %bb.63327:
	s_getpc_b64 s[14:15]
.Lpost_getpc17327:
	s_add_u32 s14, s14, (.LBB1_13151-.Lpost_getpc17327)&4294967295
	s_addc_u32 s15, s15, (.LBB1_13151-.Lpost_getpc17327)>>32
	s_setpc_b64 s[14:15]
.LBB1_35247:
	s_getpc_b64 s[14:15]
.Lpost_getpc3287:
	s_add_u32 s14, s14, (.LBB1_13152-.Lpost_getpc3287)&4294967295
	s_addc_u32 s15, s15, (.LBB1_13152-.Lpost_getpc3287)>>32
	s_setpc_b64 s[14:15]
.LBB1_27489:
	s_movk_i32 s4, 0x80
	v_cmp_eq_u16_sdwa s[12:13], v9, s4 src0_sel:BYTE_0 src1_sel:DWORD
	s_mov_b64 s[4:5], -1
                                        ; implicit-def: $sgpr10
	s_and_saveexec_b64 s[8:9], s[12:13]
; %bb.27490:
	s_mov_b32 s10, 0x7f800001
	s_xor_b64 s[4:5], exec, -1
; %bb.27491:
	s_or_b64 exec, exec, s[8:9]
	s_and_b64 s[4:5], s[4:5], exec
	s_or_saveexec_b64 s[6:7], s[6:7]
	v_mov_b32_e32 v2, s10
	s_xor_b64 exec, exec, s[6:7]
	s_cbranch_execnz .LBB1_27492
; %bb.63329:
	s_getpc_b64 s[14:15]
.Lpost_getpc17328:
	s_add_u32 s14, s14, (.LBB1_13154-.Lpost_getpc17328)&4294967295
	s_addc_u32 s15, s15, (.LBB1_13154-.Lpost_getpc17328)>>32
	s_setpc_b64 s[14:15]
.LBB1_27492:
	v_mov_b32_e32 v2, 0
	v_cmp_ne_u16_sdwa s[8:9], v9, v2 src0_sel:BYTE_0 src1_sel:DWORD
	s_andn2_b64 s[4:5], s[4:5], exec
	s_and_b64 s[8:9], s[8:9], exec
	s_or_b64 s[4:5], s[4:5], s[8:9]
	s_or_b64 exec, exec, s[6:7]
	s_and_saveexec_b64 s[6:7], s[4:5]
	s_cbranch_execz .LBB1_35249
; %bb.63331:
	s_getpc_b64 s[14:15]
.Lpost_getpc17329:
	s_add_u32 s14, s14, (.LBB1_13155-.Lpost_getpc17329)&4294967295
	s_addc_u32 s15, s15, (.LBB1_13155-.Lpost_getpc17329)>>32
	s_setpc_b64 s[14:15]
.LBB1_35249:
	s_getpc_b64 s[14:15]
.Lpost_getpc3288:
	s_add_u32 s14, s14, (.LBB1_13156-.Lpost_getpc3288)&4294967295
	s_addc_u32 s15, s15, (.LBB1_13156-.Lpost_getpc3288)>>32
	s_setpc_b64 s[14:15]
.LBB1_27493:
	s_movk_i32 s4, 0x80
	v_cmp_eq_u16_sdwa s[12:13], v5, s4 src0_sel:BYTE_0 src1_sel:DWORD
	s_mov_b64 s[4:5], -1
                                        ; implicit-def: $sgpr10
	s_and_saveexec_b64 s[8:9], s[12:13]
; %bb.27494:
	s_mov_b32 s10, 0x7f800001
	s_xor_b64 s[4:5], exec, -1
; %bb.27495:
	s_or_b64 exec, exec, s[8:9]
	s_and_b64 s[4:5], s[4:5], exec
	s_or_saveexec_b64 s[6:7], s[6:7]
	v_mov_b32_e32 v3, s10
	s_xor_b64 exec, exec, s[6:7]
	s_cbranch_execnz .LBB1_27496
; %bb.63333:
	s_getpc_b64 s[14:15]
.Lpost_getpc17330:
	s_add_u32 s14, s14, (.LBB1_13158-.Lpost_getpc17330)&4294967295
	s_addc_u32 s15, s15, (.LBB1_13158-.Lpost_getpc17330)>>32
	s_setpc_b64 s[14:15]
.LBB1_27496:
	v_mov_b32_e32 v3, 0
	v_cmp_ne_u16_sdwa s[8:9], v5, v3 src0_sel:BYTE_0 src1_sel:DWORD
	s_andn2_b64 s[4:5], s[4:5], exec
	s_and_b64 s[8:9], s[8:9], exec
	s_or_b64 s[4:5], s[4:5], s[8:9]
	s_or_b64 exec, exec, s[6:7]
	s_and_saveexec_b64 s[6:7], s[4:5]
	s_cbranch_execz .LBB1_35251
; %bb.63335:
	s_getpc_b64 s[14:15]
.Lpost_getpc17331:
	s_add_u32 s14, s14, (.LBB1_13159-.Lpost_getpc17331)&4294967295
	s_addc_u32 s15, s15, (.LBB1_13159-.Lpost_getpc17331)>>32
	s_setpc_b64 s[14:15]
.LBB1_35251:
	s_getpc_b64 s[14:15]
.Lpost_getpc3289:
	s_add_u32 s14, s14, (.LBB1_13160-.Lpost_getpc3289)&4294967295
	s_addc_u32 s15, s15, (.LBB1_13160-.Lpost_getpc3289)>>32
	s_setpc_b64 s[14:15]
.LBB1_27497:
	s_movk_i32 s4, 0x80
	v_cmp_eq_u16_sdwa s[12:13], v3, s4 src0_sel:BYTE_0 src1_sel:DWORD
	s_mov_b64 s[4:5], -1
                                        ; implicit-def: $sgpr10
	s_and_saveexec_b64 s[8:9], s[12:13]
; %bb.27498:
	s_mov_b32 s10, 0x7f800001
	s_xor_b64 s[4:5], exec, -1
; %bb.27499:
	s_or_b64 exec, exec, s[8:9]
	s_and_b64 s[4:5], s[4:5], exec
	s_or_saveexec_b64 s[6:7], s[6:7]
	v_mov_b32_e32 v2, s10
	s_xor_b64 exec, exec, s[6:7]
	s_cbranch_execnz .LBB1_27500
; %bb.63337:
	s_getpc_b64 s[14:15]
.Lpost_getpc17332:
	s_add_u32 s14, s14, (.LBB1_13162-.Lpost_getpc17332)&4294967295
	s_addc_u32 s15, s15, (.LBB1_13162-.Lpost_getpc17332)>>32
	s_setpc_b64 s[14:15]
.LBB1_27500:
	v_mov_b32_e32 v2, 0
	v_cmp_ne_u16_sdwa s[8:9], v3, v2 src0_sel:BYTE_0 src1_sel:DWORD
	s_andn2_b64 s[4:5], s[4:5], exec
	s_and_b64 s[8:9], s[8:9], exec
	s_or_b64 s[4:5], s[4:5], s[8:9]
	s_or_b64 exec, exec, s[6:7]
	s_and_saveexec_b64 s[6:7], s[4:5]
	s_cbranch_execz .LBB1_35253
; %bb.63339:
	s_getpc_b64 s[14:15]
.Lpost_getpc17333:
	s_add_u32 s14, s14, (.LBB1_13163-.Lpost_getpc17333)&4294967295
	s_addc_u32 s15, s15, (.LBB1_13163-.Lpost_getpc17333)>>32
	s_setpc_b64 s[14:15]
.LBB1_35253:
	s_getpc_b64 s[14:15]
.Lpost_getpc3290:
	s_add_u32 s14, s14, (.LBB1_13164-.Lpost_getpc3290)&4294967295
	s_addc_u32 s15, s15, (.LBB1_13164-.Lpost_getpc3290)>>32
	s_setpc_b64 s[14:15]
.LBB1_27501:
	s_movk_i32 s4, 0x80
	v_cmp_eq_u16_sdwa s[12:13], v3, s4 src0_sel:BYTE_0 src1_sel:DWORD
	s_mov_b64 s[4:5], -1
                                        ; implicit-def: $sgpr10
	s_and_saveexec_b64 s[8:9], s[12:13]
; %bb.27502:
	s_mov_b32 s10, 0x7f800001
	s_xor_b64 s[4:5], exec, -1
; %bb.27503:
	s_or_b64 exec, exec, s[8:9]
	s_and_b64 s[4:5], s[4:5], exec
	s_or_saveexec_b64 s[6:7], s[6:7]
	v_mov_b32_e32 v4, s10
	s_xor_b64 exec, exec, s[6:7]
	s_cbranch_execnz .LBB1_27504
; %bb.63341:
	s_getpc_b64 s[14:15]
.Lpost_getpc17334:
	s_add_u32 s14, s14, (.LBB1_13166-.Lpost_getpc17334)&4294967295
	s_addc_u32 s15, s15, (.LBB1_13166-.Lpost_getpc17334)>>32
	s_setpc_b64 s[14:15]
.LBB1_27504:
	v_mov_b32_e32 v4, 0
	v_cmp_ne_u16_sdwa s[8:9], v3, v4 src0_sel:BYTE_0 src1_sel:DWORD
	s_andn2_b64 s[4:5], s[4:5], exec
	s_and_b64 s[8:9], s[8:9], exec
	s_or_b64 s[4:5], s[4:5], s[8:9]
	s_or_b64 exec, exec, s[6:7]
	s_and_saveexec_b64 s[6:7], s[4:5]
	s_cbranch_execz .LBB1_35255
; %bb.63343:
	s_getpc_b64 s[14:15]
.Lpost_getpc17335:
	s_add_u32 s14, s14, (.LBB1_13167-.Lpost_getpc17335)&4294967295
	s_addc_u32 s15, s15, (.LBB1_13167-.Lpost_getpc17335)>>32
	s_setpc_b64 s[14:15]
.LBB1_35255:
	s_getpc_b64 s[14:15]
.Lpost_getpc3291:
	s_add_u32 s14, s14, (.LBB1_13168-.Lpost_getpc3291)&4294967295
	s_addc_u32 s15, s15, (.LBB1_13168-.Lpost_getpc3291)>>32
	s_setpc_b64 s[14:15]
.LBB1_27505:
	s_movk_i32 s4, 0x80
	v_cmp_eq_u16_e32 vcc, s4, v3
	s_mov_b64 s[4:5], -1
                                        ; implicit-def: $sgpr10
	s_and_saveexec_b64 s[8:9], vcc
; %bb.27506:
	s_mov_b32 s10, 0x7f800001
	s_xor_b64 s[4:5], exec, -1
; %bb.27507:
	s_or_b64 exec, exec, s[8:9]
	s_and_b64 s[4:5], s[4:5], exec
                                        ; implicit-def: $vgpr3
	s_or_saveexec_b64 s[6:7], s[6:7]
	v_mov_b32_e32 v2, s10
	s_xor_b64 exec, exec, s[6:7]
	s_cbranch_execnz .LBB1_27508
; %bb.63345:
	s_getpc_b64 s[14:15]
.Lpost_getpc17336:
	s_add_u32 s14, s14, (.LBB1_13170-.Lpost_getpc17336)&4294967295
	s_addc_u32 s15, s15, (.LBB1_13170-.Lpost_getpc17336)>>32
	s_setpc_b64 s[14:15]
.LBB1_27508:
	v_cmp_ne_u16_e32 vcc, 0, v3
	s_andn2_b64 s[4:5], s[4:5], exec
	s_and_b64 s[8:9], vcc, exec
	v_mov_b32_e32 v2, 0
	s_or_b64 s[4:5], s[4:5], s[8:9]
	s_or_b64 exec, exec, s[6:7]
	s_and_saveexec_b64 s[6:7], s[4:5]
	s_cbranch_execz .LBB1_35257
; %bb.63347:
	s_getpc_b64 s[14:15]
.Lpost_getpc17337:
	s_add_u32 s14, s14, (.LBB1_13171-.Lpost_getpc17337)&4294967295
	s_addc_u32 s15, s15, (.LBB1_13171-.Lpost_getpc17337)>>32
	s_setpc_b64 s[14:15]
.LBB1_35257:
	s_getpc_b64 s[14:15]
.Lpost_getpc3292:
	s_add_u32 s14, s14, (.LBB1_13172-.Lpost_getpc3292)&4294967295
	s_addc_u32 s15, s15, (.LBB1_13172-.Lpost_getpc3292)>>32
	s_setpc_b64 s[14:15]
.LBB1_27509:
	s_movk_i32 s4, 0x80
	v_cmp_eq_u16_e32 vcc, s4, v3
	s_mov_b64 s[4:5], -1
                                        ; implicit-def: $sgpr10
	s_and_saveexec_b64 s[8:9], vcc
; %bb.27510:
	s_mov_b32 s10, 0x7f800001
	s_xor_b64 s[4:5], exec, -1
; %bb.27511:
	s_or_b64 exec, exec, s[8:9]
	s_and_b64 s[4:5], s[4:5], exec
                                        ; implicit-def: $vgpr3
	s_or_saveexec_b64 s[6:7], s[6:7]
	v_mov_b32_e32 v4, s10
	s_xor_b64 exec, exec, s[6:7]
	s_cbranch_execnz .LBB1_27512
; %bb.63349:
	s_getpc_b64 s[14:15]
.Lpost_getpc17338:
	s_add_u32 s14, s14, (.LBB1_13174-.Lpost_getpc17338)&4294967295
	s_addc_u32 s15, s15, (.LBB1_13174-.Lpost_getpc17338)>>32
	s_setpc_b64 s[14:15]
.LBB1_27512:
	v_cmp_ne_u16_e32 vcc, 0, v3
	s_andn2_b64 s[4:5], s[4:5], exec
	s_and_b64 s[8:9], vcc, exec
	v_mov_b32_e32 v4, 0
	s_or_b64 s[4:5], s[4:5], s[8:9]
	s_or_b64 exec, exec, s[6:7]
	s_and_saveexec_b64 s[6:7], s[4:5]
	s_cbranch_execz .LBB1_35259
; %bb.63351:
	s_getpc_b64 s[14:15]
.Lpost_getpc17339:
	s_add_u32 s14, s14, (.LBB1_13175-.Lpost_getpc17339)&4294967295
	s_addc_u32 s15, s15, (.LBB1_13175-.Lpost_getpc17339)>>32
	s_setpc_b64 s[14:15]
.LBB1_35259:
	s_getpc_b64 s[14:15]
.Lpost_getpc3293:
	s_add_u32 s14, s14, (.LBB1_13176-.Lpost_getpc3293)&4294967295
	s_addc_u32 s15, s15, (.LBB1_13176-.Lpost_getpc3293)>>32
	s_setpc_b64 s[14:15]
.LBB1_27513:
	s_movk_i32 s4, 0x80
	v_cmp_eq_u16_sdwa s[12:13], v9, s4 src0_sel:BYTE_3 src1_sel:DWORD
	s_mov_b64 s[4:5], -1
                                        ; implicit-def: $sgpr10
	s_and_saveexec_b64 s[8:9], s[12:13]
; %bb.27514:
	s_mov_b32 s10, 0x7f800001
	s_xor_b64 s[4:5], exec, -1
; %bb.27515:
	s_or_b64 exec, exec, s[8:9]
	s_and_b64 s[4:5], s[4:5], exec
	s_or_saveexec_b64 s[6:7], s[6:7]
	v_mov_b32_e32 v2, s10
	s_xor_b64 exec, exec, s[6:7]
	s_cbranch_execnz .LBB1_27516
; %bb.63353:
	s_getpc_b64 s[14:15]
.Lpost_getpc17340:
	s_add_u32 s14, s14, (.LBB1_13178-.Lpost_getpc17340)&4294967295
	s_addc_u32 s15, s15, (.LBB1_13178-.Lpost_getpc17340)>>32
	s_setpc_b64 s[14:15]
.LBB1_27516:
	v_mov_b32_e32 v2, 0
	v_cmp_ne_u16_sdwa s[8:9], v9, v2 src0_sel:BYTE_3 src1_sel:DWORD
	s_andn2_b64 s[4:5], s[4:5], exec
	s_and_b64 s[8:9], s[8:9], exec
	s_or_b64 s[4:5], s[4:5], s[8:9]
	s_or_b64 exec, exec, s[6:7]
	s_and_saveexec_b64 s[6:7], s[4:5]
	s_cbranch_execz .LBB1_35261
; %bb.63355:
	s_getpc_b64 s[14:15]
.Lpost_getpc17341:
	s_add_u32 s14, s14, (.LBB1_13179-.Lpost_getpc17341)&4294967295
	s_addc_u32 s15, s15, (.LBB1_13179-.Lpost_getpc17341)>>32
	s_setpc_b64 s[14:15]
.LBB1_35261:
	s_getpc_b64 s[14:15]
.Lpost_getpc3294:
	s_add_u32 s14, s14, (.LBB1_13180-.Lpost_getpc3294)&4294967295
	s_addc_u32 s15, s15, (.LBB1_13180-.Lpost_getpc3294)>>32
	s_setpc_b64 s[14:15]
.LBB1_27517:
	s_movk_i32 s4, 0x80
	v_cmp_eq_u16_sdwa s[12:13], v5, s4 src0_sel:BYTE_3 src1_sel:DWORD
	s_mov_b64 s[4:5], -1
                                        ; implicit-def: $sgpr10
	s_and_saveexec_b64 s[8:9], s[12:13]
; %bb.27518:
	s_mov_b32 s10, 0x7f800001
	s_xor_b64 s[4:5], exec, -1
; %bb.27519:
	s_or_b64 exec, exec, s[8:9]
	s_and_b64 s[4:5], s[4:5], exec
	s_or_saveexec_b64 s[6:7], s[6:7]
	v_mov_b32_e32 v3, s10
	s_xor_b64 exec, exec, s[6:7]
	s_cbranch_execnz .LBB1_27520
; %bb.63357:
	s_getpc_b64 s[14:15]
.Lpost_getpc17342:
	s_add_u32 s14, s14, (.LBB1_13182-.Lpost_getpc17342)&4294967295
	s_addc_u32 s15, s15, (.LBB1_13182-.Lpost_getpc17342)>>32
	s_setpc_b64 s[14:15]
.LBB1_27520:
	v_mov_b32_e32 v3, 0
	v_cmp_ne_u16_sdwa s[8:9], v5, v3 src0_sel:BYTE_3 src1_sel:DWORD
	s_andn2_b64 s[4:5], s[4:5], exec
	s_and_b64 s[8:9], s[8:9], exec
	s_or_b64 s[4:5], s[4:5], s[8:9]
	s_or_b64 exec, exec, s[6:7]
	s_and_saveexec_b64 s[6:7], s[4:5]
	s_cbranch_execz .LBB1_35263
; %bb.63359:
	s_getpc_b64 s[14:15]
.Lpost_getpc17343:
	s_add_u32 s14, s14, (.LBB1_13183-.Lpost_getpc17343)&4294967295
	s_addc_u32 s15, s15, (.LBB1_13183-.Lpost_getpc17343)>>32
	s_setpc_b64 s[14:15]
.LBB1_35263:
	s_getpc_b64 s[14:15]
.Lpost_getpc3295:
	s_add_u32 s14, s14, (.LBB1_13184-.Lpost_getpc3295)&4294967295
	s_addc_u32 s15, s15, (.LBB1_13184-.Lpost_getpc3295)>>32
	s_setpc_b64 s[14:15]
.LBB1_27521:
	s_movk_i32 s4, 0x80
	v_cmp_eq_u16_sdwa s[12:13], v6, s4 src0_sel:BYTE_0 src1_sel:DWORD
	s_mov_b64 s[4:5], -1
                                        ; implicit-def: $sgpr10
	s_and_saveexec_b64 s[8:9], s[12:13]
; %bb.27522:
	s_mov_b32 s10, 0x7f800001
	s_xor_b64 s[4:5], exec, -1
; %bb.27523:
	s_or_b64 exec, exec, s[8:9]
	s_and_b64 s[4:5], s[4:5], exec
	s_or_saveexec_b64 s[6:7], s[6:7]
	v_mov_b32_e32 v12, s10
	s_xor_b64 exec, exec, s[6:7]
	s_cbranch_execnz .LBB1_27524
; %bb.63361:
	s_getpc_b64 s[14:15]
.Lpost_getpc17344:
	s_add_u32 s14, s14, (.LBB1_13186-.Lpost_getpc17344)&4294967295
	s_addc_u32 s15, s15, (.LBB1_13186-.Lpost_getpc17344)>>32
	s_setpc_b64 s[14:15]
.LBB1_27524:
	v_mov_b32_e32 v12, 0
	v_cmp_ne_u16_sdwa s[8:9], v6, v12 src0_sel:BYTE_0 src1_sel:DWORD
	s_andn2_b64 s[4:5], s[4:5], exec
	s_and_b64 s[8:9], s[8:9], exec
	s_or_b64 s[4:5], s[4:5], s[8:9]
	s_or_b64 exec, exec, s[6:7]
	s_and_saveexec_b64 s[6:7], s[4:5]
	s_cbranch_execz .LBB1_35265
; %bb.63363:
	s_getpc_b64 s[14:15]
.Lpost_getpc17345:
	s_add_u32 s14, s14, (.LBB1_13187-.Lpost_getpc17345)&4294967295
	s_addc_u32 s15, s15, (.LBB1_13187-.Lpost_getpc17345)>>32
	s_setpc_b64 s[14:15]
.LBB1_35265:
	s_getpc_b64 s[14:15]
.Lpost_getpc3296:
	s_add_u32 s14, s14, (.LBB1_13188-.Lpost_getpc3296)&4294967295
	s_addc_u32 s15, s15, (.LBB1_13188-.Lpost_getpc3296)>>32
	s_setpc_b64 s[14:15]
.LBB1_27525:
	s_movk_i32 s4, 0x80
	v_cmp_eq_u16_sdwa s[12:13], v2, s4 src0_sel:BYTE_0 src1_sel:DWORD
	s_mov_b64 s[4:5], -1
                                        ; implicit-def: $sgpr10
	s_and_saveexec_b64 s[8:9], s[12:13]
; %bb.27526:
	s_mov_b32 s10, 0x7f800001
	s_xor_b64 s[4:5], exec, -1
; %bb.27527:
	s_or_b64 exec, exec, s[8:9]
	s_and_b64 s[4:5], s[4:5], exec
	s_or_saveexec_b64 s[6:7], s[6:7]
	v_mov_b32_e32 v13, s10
	s_xor_b64 exec, exec, s[6:7]
	s_cbranch_execnz .LBB1_27528
; %bb.63365:
	s_getpc_b64 s[14:15]
.Lpost_getpc17346:
	s_add_u32 s14, s14, (.LBB1_13190-.Lpost_getpc17346)&4294967295
	s_addc_u32 s15, s15, (.LBB1_13190-.Lpost_getpc17346)>>32
	s_setpc_b64 s[14:15]
.LBB1_27528:
	v_mov_b32_e32 v13, 0
	v_cmp_ne_u16_sdwa s[8:9], v2, v13 src0_sel:BYTE_0 src1_sel:DWORD
	s_andn2_b64 s[4:5], s[4:5], exec
	s_and_b64 s[8:9], s[8:9], exec
	s_or_b64 s[4:5], s[4:5], s[8:9]
	s_or_b64 exec, exec, s[6:7]
	s_and_saveexec_b64 s[6:7], s[4:5]
	s_cbranch_execz .LBB1_35267
; %bb.63367:
	s_getpc_b64 s[14:15]
.Lpost_getpc17347:
	s_add_u32 s14, s14, (.LBB1_13191-.Lpost_getpc17347)&4294967295
	s_addc_u32 s15, s15, (.LBB1_13191-.Lpost_getpc17347)>>32
	s_setpc_b64 s[14:15]
.LBB1_35267:
	s_getpc_b64 s[14:15]
.Lpost_getpc3297:
	s_add_u32 s14, s14, (.LBB1_13192-.Lpost_getpc3297)&4294967295
	s_addc_u32 s15, s15, (.LBB1_13192-.Lpost_getpc3297)>>32
	s_setpc_b64 s[14:15]
.LBB1_27529:
	s_movk_i32 s4, 0x80
	v_cmp_eq_u16_sdwa s[12:13], v13, s4 src0_sel:BYTE_0 src1_sel:DWORD
	s_mov_b64 s[4:5], -1
                                        ; implicit-def: $sgpr10
	s_and_saveexec_b64 s[8:9], s[12:13]
; %bb.27530:
	s_mov_b32 s10, 0x7f800001
	s_xor_b64 s[4:5], exec, -1
; %bb.27531:
	s_or_b64 exec, exec, s[8:9]
	s_and_b64 s[4:5], s[4:5], exec
	s_or_saveexec_b64 s[6:7], s[6:7]
	v_mov_b32_e32 v12, s10
	s_xor_b64 exec, exec, s[6:7]
	s_cbranch_execnz .LBB1_27532
; %bb.63369:
	s_getpc_b64 s[14:15]
.Lpost_getpc17348:
	s_add_u32 s14, s14, (.LBB1_13194-.Lpost_getpc17348)&4294967295
	s_addc_u32 s15, s15, (.LBB1_13194-.Lpost_getpc17348)>>32
	s_setpc_b64 s[14:15]
.LBB1_27532:
	v_mov_b32_e32 v12, 0
	v_cmp_ne_u16_sdwa s[8:9], v13, v12 src0_sel:BYTE_0 src1_sel:DWORD
	s_andn2_b64 s[4:5], s[4:5], exec
	s_and_b64 s[8:9], s[8:9], exec
	s_or_b64 s[4:5], s[4:5], s[8:9]
	s_or_b64 exec, exec, s[6:7]
	s_and_saveexec_b64 s[6:7], s[4:5]
	s_cbranch_execz .LBB1_35269
; %bb.63371:
	s_getpc_b64 s[14:15]
.Lpost_getpc17349:
	s_add_u32 s14, s14, (.LBB1_13195-.Lpost_getpc17349)&4294967295
	s_addc_u32 s15, s15, (.LBB1_13195-.Lpost_getpc17349)>>32
	s_setpc_b64 s[14:15]
.LBB1_35269:
	s_getpc_b64 s[14:15]
.Lpost_getpc3298:
	s_add_u32 s14, s14, (.LBB1_13196-.Lpost_getpc3298)&4294967295
	s_addc_u32 s15, s15, (.LBB1_13196-.Lpost_getpc3298)>>32
	s_setpc_b64 s[14:15]
.LBB1_27533:
	s_movk_i32 s4, 0x80
	v_cmp_eq_u16_sdwa s[12:13], v13, s4 src0_sel:BYTE_0 src1_sel:DWORD
	s_mov_b64 s[4:5], -1
                                        ; implicit-def: $sgpr10
	s_and_saveexec_b64 s[8:9], s[12:13]
; %bb.27534:
	s_mov_b32 s10, 0x7f800001
	s_xor_b64 s[4:5], exec, -1
; %bb.27535:
	s_or_b64 exec, exec, s[8:9]
	s_and_b64 s[4:5], s[4:5], exec
	s_or_saveexec_b64 s[6:7], s[6:7]
	v_mov_b32_e32 v14, s10
	s_xor_b64 exec, exec, s[6:7]
	s_cbranch_execnz .LBB1_27536
; %bb.63373:
	s_getpc_b64 s[14:15]
.Lpost_getpc17350:
	s_add_u32 s14, s14, (.LBB1_13198-.Lpost_getpc17350)&4294967295
	s_addc_u32 s15, s15, (.LBB1_13198-.Lpost_getpc17350)>>32
	s_setpc_b64 s[14:15]
.LBB1_27536:
	v_mov_b32_e32 v14, 0
	v_cmp_ne_u16_sdwa s[8:9], v13, v14 src0_sel:BYTE_0 src1_sel:DWORD
	s_andn2_b64 s[4:5], s[4:5], exec
	s_and_b64 s[8:9], s[8:9], exec
	s_or_b64 s[4:5], s[4:5], s[8:9]
	s_or_b64 exec, exec, s[6:7]
	s_and_saveexec_b64 s[6:7], s[4:5]
	s_cbranch_execz .LBB1_35271
; %bb.63375:
	s_getpc_b64 s[14:15]
.Lpost_getpc17351:
	s_add_u32 s14, s14, (.LBB1_13199-.Lpost_getpc17351)&4294967295
	s_addc_u32 s15, s15, (.LBB1_13199-.Lpost_getpc17351)>>32
	s_setpc_b64 s[14:15]
.LBB1_35271:
	s_getpc_b64 s[14:15]
.Lpost_getpc3299:
	s_add_u32 s14, s14, (.LBB1_13200-.Lpost_getpc3299)&4294967295
	s_addc_u32 s15, s15, (.LBB1_13200-.Lpost_getpc3299)>>32
	s_setpc_b64 s[14:15]
.LBB1_27537:
	s_movk_i32 s4, 0x80
	v_cmp_eq_u16_e32 vcc, s4, v13
	s_mov_b64 s[4:5], -1
                                        ; implicit-def: $sgpr10
	s_and_saveexec_b64 s[8:9], vcc
; %bb.27538:
	s_mov_b32 s10, 0x7f800001
	s_xor_b64 s[4:5], exec, -1
; %bb.27539:
	s_or_b64 exec, exec, s[8:9]
	s_and_b64 s[4:5], s[4:5], exec
                                        ; implicit-def: $vgpr13
	s_or_saveexec_b64 s[6:7], s[6:7]
	v_mov_b32_e32 v12, s10
	s_xor_b64 exec, exec, s[6:7]
	s_cbranch_execnz .LBB1_27540
; %bb.63377:
	s_getpc_b64 s[14:15]
.Lpost_getpc17352:
	s_add_u32 s14, s14, (.LBB1_13202-.Lpost_getpc17352)&4294967295
	s_addc_u32 s15, s15, (.LBB1_13202-.Lpost_getpc17352)>>32
	s_setpc_b64 s[14:15]
.LBB1_27540:
	v_cmp_ne_u16_e32 vcc, 0, v13
	s_andn2_b64 s[4:5], s[4:5], exec
	s_and_b64 s[8:9], vcc, exec
	v_mov_b32_e32 v12, 0
	s_or_b64 s[4:5], s[4:5], s[8:9]
	s_or_b64 exec, exec, s[6:7]
	s_and_saveexec_b64 s[6:7], s[4:5]
	s_cbranch_execz .LBB1_35273
; %bb.63379:
	s_getpc_b64 s[14:15]
.Lpost_getpc17353:
	s_add_u32 s14, s14, (.LBB1_13203-.Lpost_getpc17353)&4294967295
	s_addc_u32 s15, s15, (.LBB1_13203-.Lpost_getpc17353)>>32
	s_setpc_b64 s[14:15]
.LBB1_35273:
	s_getpc_b64 s[14:15]
.Lpost_getpc3300:
	s_add_u32 s14, s14, (.LBB1_13204-.Lpost_getpc3300)&4294967295
	s_addc_u32 s15, s15, (.LBB1_13204-.Lpost_getpc3300)>>32
	s_setpc_b64 s[14:15]
.LBB1_27541:
	s_movk_i32 s4, 0x80
	v_cmp_eq_u16_e32 vcc, s4, v13
	s_mov_b64 s[4:5], -1
                                        ; implicit-def: $sgpr10
	s_and_saveexec_b64 s[8:9], vcc
; %bb.27542:
	s_mov_b32 s10, 0x7f800001
	s_xor_b64 s[4:5], exec, -1
; %bb.27543:
	s_or_b64 exec, exec, s[8:9]
	s_and_b64 s[4:5], s[4:5], exec
                                        ; implicit-def: $vgpr13
	s_or_saveexec_b64 s[6:7], s[6:7]
	v_mov_b32_e32 v14, s10
	s_xor_b64 exec, exec, s[6:7]
	s_cbranch_execnz .LBB1_27544
; %bb.63381:
	s_getpc_b64 s[14:15]
.Lpost_getpc17354:
	s_add_u32 s14, s14, (.LBB1_13206-.Lpost_getpc17354)&4294967295
	s_addc_u32 s15, s15, (.LBB1_13206-.Lpost_getpc17354)>>32
	s_setpc_b64 s[14:15]
.LBB1_27544:
	v_cmp_ne_u16_e32 vcc, 0, v13
	s_andn2_b64 s[4:5], s[4:5], exec
	s_and_b64 s[8:9], vcc, exec
	v_mov_b32_e32 v14, 0
	s_or_b64 s[4:5], s[4:5], s[8:9]
	s_or_b64 exec, exec, s[6:7]
	s_and_saveexec_b64 s[6:7], s[4:5]
	s_cbranch_execz .LBB1_35275
; %bb.63383:
	s_getpc_b64 s[14:15]
.Lpost_getpc17355:
	s_add_u32 s14, s14, (.LBB1_13207-.Lpost_getpc17355)&4294967295
	s_addc_u32 s15, s15, (.LBB1_13207-.Lpost_getpc17355)>>32
	s_setpc_b64 s[14:15]
.LBB1_35275:
	s_getpc_b64 s[14:15]
.Lpost_getpc3301:
	s_add_u32 s14, s14, (.LBB1_13208-.Lpost_getpc3301)&4294967295
	s_addc_u32 s15, s15, (.LBB1_13208-.Lpost_getpc3301)>>32
	s_setpc_b64 s[14:15]
.LBB1_27545:
	s_movk_i32 s4, 0x80
	v_cmp_eq_u16_sdwa s[12:13], v6, s4 src0_sel:BYTE_3 src1_sel:DWORD
	s_mov_b64 s[4:5], -1
                                        ; implicit-def: $sgpr10
	s_and_saveexec_b64 s[8:9], s[12:13]
; %bb.27546:
	s_mov_b32 s10, 0x7f800001
	s_xor_b64 s[4:5], exec, -1
; %bb.27547:
	s_or_b64 exec, exec, s[8:9]
	s_and_b64 s[4:5], s[4:5], exec
	s_or_saveexec_b64 s[6:7], s[6:7]
	v_mov_b32_e32 v12, s10
	s_xor_b64 exec, exec, s[6:7]
	s_cbranch_execnz .LBB1_27548
; %bb.63385:
	s_getpc_b64 s[14:15]
.Lpost_getpc17356:
	s_add_u32 s14, s14, (.LBB1_13210-.Lpost_getpc17356)&4294967295
	s_addc_u32 s15, s15, (.LBB1_13210-.Lpost_getpc17356)>>32
	s_setpc_b64 s[14:15]
.LBB1_27548:
	v_mov_b32_e32 v12, 0
	v_cmp_ne_u16_sdwa s[8:9], v6, v12 src0_sel:BYTE_3 src1_sel:DWORD
	s_andn2_b64 s[4:5], s[4:5], exec
	s_and_b64 s[8:9], s[8:9], exec
	s_or_b64 s[4:5], s[4:5], s[8:9]
	s_or_b64 exec, exec, s[6:7]
	s_and_saveexec_b64 s[6:7], s[4:5]
	s_cbranch_execz .LBB1_35277
; %bb.63387:
	s_getpc_b64 s[14:15]
.Lpost_getpc17357:
	s_add_u32 s14, s14, (.LBB1_13211-.Lpost_getpc17357)&4294967295
	s_addc_u32 s15, s15, (.LBB1_13211-.Lpost_getpc17357)>>32
	s_setpc_b64 s[14:15]
.LBB1_35277:
	s_getpc_b64 s[14:15]
.Lpost_getpc3302:
	s_add_u32 s14, s14, (.LBB1_13212-.Lpost_getpc3302)&4294967295
	s_addc_u32 s15, s15, (.LBB1_13212-.Lpost_getpc3302)>>32
	s_setpc_b64 s[14:15]
.LBB1_27549:
	s_movk_i32 s4, 0x80
	v_cmp_eq_u16_sdwa s[12:13], v2, s4 src0_sel:BYTE_3 src1_sel:DWORD
	s_mov_b64 s[4:5], -1
                                        ; implicit-def: $sgpr10
	s_and_saveexec_b64 s[8:9], s[12:13]
; %bb.27550:
	s_mov_b32 s10, 0x7f800001
	s_xor_b64 s[4:5], exec, -1
; %bb.27551:
	s_or_b64 exec, exec, s[8:9]
	s_and_b64 s[4:5], s[4:5], exec
	s_or_saveexec_b64 s[6:7], s[6:7]
	v_mov_b32_e32 v6, s10
	s_xor_b64 exec, exec, s[6:7]
	s_cbranch_execnz .LBB1_27552
; %bb.63389:
	s_getpc_b64 s[14:15]
.Lpost_getpc17358:
	s_add_u32 s14, s14, (.LBB1_13214-.Lpost_getpc17358)&4294967295
	s_addc_u32 s15, s15, (.LBB1_13214-.Lpost_getpc17358)>>32
	s_setpc_b64 s[14:15]
.LBB1_27552:
	v_mov_b32_e32 v6, 0
	v_cmp_ne_u16_sdwa s[8:9], v2, v6 src0_sel:BYTE_3 src1_sel:DWORD
	s_andn2_b64 s[4:5], s[4:5], exec
	s_and_b64 s[8:9], s[8:9], exec
	s_or_b64 s[4:5], s[4:5], s[8:9]
	s_or_b64 exec, exec, s[6:7]
	s_and_saveexec_b64 s[6:7], s[4:5]
	s_cbranch_execz .LBB1_35279
; %bb.63391:
	s_getpc_b64 s[14:15]
.Lpost_getpc17359:
	s_add_u32 s14, s14, (.LBB1_13215-.Lpost_getpc17359)&4294967295
	s_addc_u32 s15, s15, (.LBB1_13215-.Lpost_getpc17359)>>32
	s_setpc_b64 s[14:15]
.LBB1_35279:
	s_getpc_b64 s[14:15]
.Lpost_getpc3303:
	s_add_u32 s14, s14, (.LBB1_13216-.Lpost_getpc3303)&4294967295
	s_addc_u32 s15, s15, (.LBB1_13216-.Lpost_getpc3303)>>32
	s_setpc_b64 s[14:15]
.LBB1_27553:
	s_movk_i32 s4, 0x80
	v_cmp_eq_u16_sdwa s[12:13], v7, s4 src0_sel:BYTE_0 src1_sel:DWORD
	s_mov_b64 s[4:5], -1
                                        ; implicit-def: $sgpr10
	s_and_saveexec_b64 s[8:9], s[12:13]
; %bb.27554:
	s_mov_b32 s10, 0x7f800001
	s_xor_b64 s[4:5], exec, -1
; %bb.27555:
	s_or_b64 exec, exec, s[8:9]
	s_and_b64 s[4:5], s[4:5], exec
	s_or_saveexec_b64 s[6:7], s[6:7]
	v_mov_b32_e32 v2, s10
	s_xor_b64 exec, exec, s[6:7]
	s_cbranch_execnz .LBB1_27556
; %bb.63393:
	s_getpc_b64 s[14:15]
.Lpost_getpc17360:
	s_add_u32 s14, s14, (.LBB1_13218-.Lpost_getpc17360)&4294967295
	s_addc_u32 s15, s15, (.LBB1_13218-.Lpost_getpc17360)>>32
	s_setpc_b64 s[14:15]
.LBB1_27556:
	v_mov_b32_e32 v2, 0
	v_cmp_ne_u16_sdwa s[8:9], v7, v2 src0_sel:BYTE_0 src1_sel:DWORD
	s_andn2_b64 s[4:5], s[4:5], exec
	s_and_b64 s[8:9], s[8:9], exec
	s_or_b64 s[4:5], s[4:5], s[8:9]
	s_or_b64 exec, exec, s[6:7]
	s_and_saveexec_b64 s[6:7], s[4:5]
	s_cbranch_execz .LBB1_35281
; %bb.63395:
	s_getpc_b64 s[14:15]
.Lpost_getpc17361:
	s_add_u32 s14, s14, (.LBB1_13219-.Lpost_getpc17361)&4294967295
	s_addc_u32 s15, s15, (.LBB1_13219-.Lpost_getpc17361)>>32
	s_setpc_b64 s[14:15]
.LBB1_35281:
	s_getpc_b64 s[14:15]
.Lpost_getpc3304:
	s_add_u32 s14, s14, (.LBB1_13220-.Lpost_getpc3304)&4294967295
	s_addc_u32 s15, s15, (.LBB1_13220-.Lpost_getpc3304)>>32
	s_setpc_b64 s[14:15]
.LBB1_27557:
	s_movk_i32 s4, 0x80
	v_cmp_eq_u16_sdwa s[12:13], v3, s4 src0_sel:BYTE_0 src1_sel:DWORD
	s_mov_b64 s[4:5], -1
                                        ; implicit-def: $sgpr10
	s_and_saveexec_b64 s[8:9], s[12:13]
; %bb.27558:
	s_mov_b32 s10, 0x7f800001
	s_xor_b64 s[4:5], exec, -1
; %bb.27559:
	s_or_b64 exec, exec, s[8:9]
	s_and_b64 s[4:5], s[4:5], exec
	s_or_saveexec_b64 s[6:7], s[6:7]
	v_mov_b32_e32 v6, s10
	s_xor_b64 exec, exec, s[6:7]
	s_cbranch_execnz .LBB1_27560
; %bb.63397:
	s_getpc_b64 s[14:15]
.Lpost_getpc17362:
	s_add_u32 s14, s14, (.LBB1_13222-.Lpost_getpc17362)&4294967295
	s_addc_u32 s15, s15, (.LBB1_13222-.Lpost_getpc17362)>>32
	s_setpc_b64 s[14:15]
.LBB1_27560:
	v_mov_b32_e32 v6, 0
	v_cmp_ne_u16_sdwa s[8:9], v3, v6 src0_sel:BYTE_0 src1_sel:DWORD
	s_andn2_b64 s[4:5], s[4:5], exec
	s_and_b64 s[8:9], s[8:9], exec
	s_or_b64 s[4:5], s[4:5], s[8:9]
	s_or_b64 exec, exec, s[6:7]
	s_and_saveexec_b64 s[6:7], s[4:5]
	s_cbranch_execz .LBB1_35283
; %bb.63399:
	s_getpc_b64 s[14:15]
.Lpost_getpc17363:
	s_add_u32 s14, s14, (.LBB1_13223-.Lpost_getpc17363)&4294967295
	s_addc_u32 s15, s15, (.LBB1_13223-.Lpost_getpc17363)>>32
	s_setpc_b64 s[14:15]
.LBB1_35283:
	s_getpc_b64 s[14:15]
.Lpost_getpc3305:
	s_add_u32 s14, s14, (.LBB1_13224-.Lpost_getpc3305)&4294967295
	s_addc_u32 s15, s15, (.LBB1_13224-.Lpost_getpc3305)>>32
	s_setpc_b64 s[14:15]
.LBB1_27561:
	s_movk_i32 s4, 0x80
	v_cmp_eq_u16_sdwa s[12:13], v6, s4 src0_sel:BYTE_0 src1_sel:DWORD
	s_mov_b64 s[4:5], -1
                                        ; implicit-def: $sgpr10
	s_and_saveexec_b64 s[8:9], s[12:13]
; %bb.27562:
	s_mov_b32 s10, 0x7f800001
	s_xor_b64 s[4:5], exec, -1
; %bb.27563:
	s_or_b64 exec, exec, s[8:9]
	s_and_b64 s[4:5], s[4:5], exec
	s_or_saveexec_b64 s[6:7], s[6:7]
	v_mov_b32_e32 v2, s10
	s_xor_b64 exec, exec, s[6:7]
	s_cbranch_execnz .LBB1_27564
; %bb.63401:
	s_getpc_b64 s[14:15]
.Lpost_getpc17364:
	s_add_u32 s14, s14, (.LBB1_13226-.Lpost_getpc17364)&4294967295
	s_addc_u32 s15, s15, (.LBB1_13226-.Lpost_getpc17364)>>32
	s_setpc_b64 s[14:15]
.LBB1_27564:
	v_mov_b32_e32 v2, 0
	v_cmp_ne_u16_sdwa s[8:9], v6, v2 src0_sel:BYTE_0 src1_sel:DWORD
	s_andn2_b64 s[4:5], s[4:5], exec
	s_and_b64 s[8:9], s[8:9], exec
	s_or_b64 s[4:5], s[4:5], s[8:9]
	s_or_b64 exec, exec, s[6:7]
	s_and_saveexec_b64 s[6:7], s[4:5]
	s_cbranch_execz .LBB1_35285
; %bb.63403:
	s_getpc_b64 s[14:15]
.Lpost_getpc17365:
	s_add_u32 s14, s14, (.LBB1_13227-.Lpost_getpc17365)&4294967295
	s_addc_u32 s15, s15, (.LBB1_13227-.Lpost_getpc17365)>>32
	s_setpc_b64 s[14:15]
.LBB1_35285:
	s_getpc_b64 s[14:15]
.Lpost_getpc3306:
	s_add_u32 s14, s14, (.LBB1_13228-.Lpost_getpc3306)&4294967295
	s_addc_u32 s15, s15, (.LBB1_13228-.Lpost_getpc3306)>>32
	s_setpc_b64 s[14:15]
.LBB1_27565:
	s_movk_i32 s4, 0x80
	v_cmp_eq_u16_sdwa s[12:13], v6, s4 src0_sel:BYTE_0 src1_sel:DWORD
	s_mov_b64 s[4:5], -1
                                        ; implicit-def: $sgpr10
	s_and_saveexec_b64 s[8:9], s[12:13]
; %bb.27566:
	s_mov_b32 s10, 0x7f800001
	s_xor_b64 s[4:5], exec, -1
; %bb.27567:
	s_or_b64 exec, exec, s[8:9]
	s_and_b64 s[4:5], s[4:5], exec
	s_or_saveexec_b64 s[6:7], s[6:7]
	v_mov_b32_e32 v12, s10
	s_xor_b64 exec, exec, s[6:7]
	s_cbranch_execnz .LBB1_27568
; %bb.63405:
	s_getpc_b64 s[14:15]
.Lpost_getpc17366:
	s_add_u32 s14, s14, (.LBB1_13230-.Lpost_getpc17366)&4294967295
	s_addc_u32 s15, s15, (.LBB1_13230-.Lpost_getpc17366)>>32
	s_setpc_b64 s[14:15]
.LBB1_27568:
	v_mov_b32_e32 v12, 0
	v_cmp_ne_u16_sdwa s[8:9], v6, v12 src0_sel:BYTE_0 src1_sel:DWORD
	s_andn2_b64 s[4:5], s[4:5], exec
	s_and_b64 s[8:9], s[8:9], exec
	s_or_b64 s[4:5], s[4:5], s[8:9]
	s_or_b64 exec, exec, s[6:7]
	s_and_saveexec_b64 s[6:7], s[4:5]
	s_cbranch_execz .LBB1_35287
; %bb.63407:
	s_getpc_b64 s[14:15]
.Lpost_getpc17367:
	s_add_u32 s14, s14, (.LBB1_13231-.Lpost_getpc17367)&4294967295
	s_addc_u32 s15, s15, (.LBB1_13231-.Lpost_getpc17367)>>32
	s_setpc_b64 s[14:15]
.LBB1_35287:
	s_getpc_b64 s[14:15]
.Lpost_getpc3307:
	s_add_u32 s14, s14, (.LBB1_13232-.Lpost_getpc3307)&4294967295
	s_addc_u32 s15, s15, (.LBB1_13232-.Lpost_getpc3307)>>32
	s_setpc_b64 s[14:15]
.LBB1_27569:
	s_movk_i32 s4, 0x80
	v_cmp_eq_u16_e32 vcc, s4, v6
	s_mov_b64 s[4:5], -1
                                        ; implicit-def: $sgpr10
	s_and_saveexec_b64 s[8:9], vcc
; %bb.27570:
	s_mov_b32 s10, 0x7f800001
	s_xor_b64 s[4:5], exec, -1
; %bb.27571:
	s_or_b64 exec, exec, s[8:9]
	s_and_b64 s[4:5], s[4:5], exec
                                        ; implicit-def: $vgpr6
	s_or_saveexec_b64 s[6:7], s[6:7]
	v_mov_b32_e32 v2, s10
	s_xor_b64 exec, exec, s[6:7]
	s_cbranch_execnz .LBB1_27572
; %bb.63409:
	s_getpc_b64 s[14:15]
.Lpost_getpc17368:
	s_add_u32 s14, s14, (.LBB1_13234-.Lpost_getpc17368)&4294967295
	s_addc_u32 s15, s15, (.LBB1_13234-.Lpost_getpc17368)>>32
	s_setpc_b64 s[14:15]
.LBB1_27572:
	v_cmp_ne_u16_e32 vcc, 0, v6
	s_andn2_b64 s[4:5], s[4:5], exec
	s_and_b64 s[8:9], vcc, exec
	v_mov_b32_e32 v2, 0
	s_or_b64 s[4:5], s[4:5], s[8:9]
	s_or_b64 exec, exec, s[6:7]
	s_and_saveexec_b64 s[6:7], s[4:5]
	s_cbranch_execz .LBB1_35289
; %bb.63411:
	s_getpc_b64 s[14:15]
.Lpost_getpc17369:
	s_add_u32 s14, s14, (.LBB1_13235-.Lpost_getpc17369)&4294967295
	s_addc_u32 s15, s15, (.LBB1_13235-.Lpost_getpc17369)>>32
	s_setpc_b64 s[14:15]
.LBB1_35289:
	s_getpc_b64 s[14:15]
.Lpost_getpc3308:
	s_add_u32 s14, s14, (.LBB1_13236-.Lpost_getpc3308)&4294967295
	s_addc_u32 s15, s15, (.LBB1_13236-.Lpost_getpc3308)>>32
	s_setpc_b64 s[14:15]
.LBB1_27573:
	s_movk_i32 s4, 0x80
	v_cmp_eq_u16_e32 vcc, s4, v6
	s_mov_b64 s[4:5], -1
                                        ; implicit-def: $sgpr10
	s_and_saveexec_b64 s[8:9], vcc
; %bb.27574:
	s_mov_b32 s10, 0x7f800001
	s_xor_b64 s[4:5], exec, -1
; %bb.27575:
	s_or_b64 exec, exec, s[8:9]
	s_and_b64 s[4:5], s[4:5], exec
                                        ; implicit-def: $vgpr6
	s_or_saveexec_b64 s[6:7], s[6:7]
	v_mov_b32_e32 v12, s10
	s_xor_b64 exec, exec, s[6:7]
	s_cbranch_execnz .LBB1_27576
; %bb.63413:
	s_getpc_b64 s[14:15]
.Lpost_getpc17370:
	s_add_u32 s14, s14, (.LBB1_13238-.Lpost_getpc17370)&4294967295
	s_addc_u32 s15, s15, (.LBB1_13238-.Lpost_getpc17370)>>32
	s_setpc_b64 s[14:15]
.LBB1_27576:
	v_cmp_ne_u16_e32 vcc, 0, v6
	s_andn2_b64 s[4:5], s[4:5], exec
	s_and_b64 s[8:9], vcc, exec
	v_mov_b32_e32 v12, 0
	s_or_b64 s[4:5], s[4:5], s[8:9]
	s_or_b64 exec, exec, s[6:7]
	s_and_saveexec_b64 s[6:7], s[4:5]
	s_cbranch_execz .LBB1_35291
; %bb.63415:
	s_getpc_b64 s[14:15]
.Lpost_getpc17371:
	s_add_u32 s14, s14, (.LBB1_13239-.Lpost_getpc17371)&4294967295
	s_addc_u32 s15, s15, (.LBB1_13239-.Lpost_getpc17371)>>32
	s_setpc_b64 s[14:15]
.LBB1_35291:
	s_getpc_b64 s[14:15]
.Lpost_getpc3309:
	s_add_u32 s14, s14, (.LBB1_13240-.Lpost_getpc3309)&4294967295
	s_addc_u32 s15, s15, (.LBB1_13240-.Lpost_getpc3309)>>32
	s_setpc_b64 s[14:15]
.LBB1_27577:
	s_movk_i32 s4, 0x80
	v_cmp_eq_u16_sdwa s[12:13], v7, s4 src0_sel:BYTE_3 src1_sel:DWORD
	s_mov_b64 s[4:5], -1
                                        ; implicit-def: $sgpr10
	s_and_saveexec_b64 s[8:9], s[12:13]
; %bb.27578:
	s_mov_b32 s10, 0x7f800001
	s_xor_b64 s[4:5], exec, -1
; %bb.27579:
	s_or_b64 exec, exec, s[8:9]
	s_and_b64 s[4:5], s[4:5], exec
	s_or_saveexec_b64 s[6:7], s[6:7]
	v_mov_b32_e32 v2, s10
	s_xor_b64 exec, exec, s[6:7]
	s_cbranch_execnz .LBB1_27580
; %bb.63417:
	s_getpc_b64 s[14:15]
.Lpost_getpc17372:
	s_add_u32 s14, s14, (.LBB1_13242-.Lpost_getpc17372)&4294967295
	s_addc_u32 s15, s15, (.LBB1_13242-.Lpost_getpc17372)>>32
	s_setpc_b64 s[14:15]
.LBB1_27580:
	v_mov_b32_e32 v2, 0
	v_cmp_ne_u16_sdwa s[8:9], v7, v2 src0_sel:BYTE_3 src1_sel:DWORD
	s_andn2_b64 s[4:5], s[4:5], exec
	s_and_b64 s[8:9], s[8:9], exec
	s_or_b64 s[4:5], s[4:5], s[8:9]
	s_or_b64 exec, exec, s[6:7]
	s_and_saveexec_b64 s[6:7], s[4:5]
	s_cbranch_execz .LBB1_35293
; %bb.63419:
	s_getpc_b64 s[14:15]
.Lpost_getpc17373:
	s_add_u32 s14, s14, (.LBB1_13243-.Lpost_getpc17373)&4294967295
	s_addc_u32 s15, s15, (.LBB1_13243-.Lpost_getpc17373)>>32
	s_setpc_b64 s[14:15]
.LBB1_35293:
	s_getpc_b64 s[14:15]
.Lpost_getpc3310:
	s_add_u32 s14, s14, (.LBB1_13244-.Lpost_getpc3310)&4294967295
	s_addc_u32 s15, s15, (.LBB1_13244-.Lpost_getpc3310)>>32
	s_setpc_b64 s[14:15]
.LBB1_27581:
	s_movk_i32 s4, 0x80
	v_cmp_eq_u16_sdwa s[12:13], v3, s4 src0_sel:BYTE_3 src1_sel:DWORD
	s_mov_b64 s[4:5], -1
                                        ; implicit-def: $sgpr10
	s_and_saveexec_b64 s[8:9], s[12:13]
; %bb.27582:
	s_mov_b32 s10, 0x7f800001
	s_xor_b64 s[4:5], exec, -1
; %bb.27583:
	s_or_b64 exec, exec, s[8:9]
	s_and_b64 s[4:5], s[4:5], exec
	s_or_saveexec_b64 s[6:7], s[6:7]
	v_mov_b32_e32 v6, s10
	s_xor_b64 exec, exec, s[6:7]
	s_cbranch_execnz .LBB1_27584
; %bb.63421:
	s_getpc_b64 s[14:15]
.Lpost_getpc17374:
	s_add_u32 s14, s14, (.LBB1_13246-.Lpost_getpc17374)&4294967295
	s_addc_u32 s15, s15, (.LBB1_13246-.Lpost_getpc17374)>>32
	s_setpc_b64 s[14:15]
.LBB1_27584:
	v_mov_b32_e32 v6, 0
	v_cmp_ne_u16_sdwa s[8:9], v3, v6 src0_sel:BYTE_3 src1_sel:DWORD
	s_andn2_b64 s[4:5], s[4:5], exec
	s_and_b64 s[8:9], s[8:9], exec
	s_or_b64 s[4:5], s[4:5], s[8:9]
	s_or_b64 exec, exec, s[6:7]
	s_and_saveexec_b64 s[6:7], s[4:5]
	s_cbranch_execz .LBB1_35295
; %bb.63423:
	s_getpc_b64 s[14:15]
.Lpost_getpc17375:
	s_add_u32 s14, s14, (.LBB1_13247-.Lpost_getpc17375)&4294967295
	s_addc_u32 s15, s15, (.LBB1_13247-.Lpost_getpc17375)>>32
	s_setpc_b64 s[14:15]
.LBB1_35295:
	s_getpc_b64 s[14:15]
.Lpost_getpc3311:
	s_add_u32 s14, s14, (.LBB1_13248-.Lpost_getpc3311)&4294967295
	s_addc_u32 s15, s15, (.LBB1_13248-.Lpost_getpc3311)>>32
	s_setpc_b64 s[14:15]
.LBB1_27585:
	s_movk_i32 s4, 0x80
	v_cmp_eq_u16_sdwa s[12:13], v8, s4 src0_sel:BYTE_0 src1_sel:DWORD
	s_mov_b64 s[4:5], -1
                                        ; implicit-def: $sgpr10
	s_and_saveexec_b64 s[8:9], s[12:13]
; %bb.27586:
	s_mov_b32 s10, 0x7f800001
	s_xor_b64 s[4:5], exec, -1
; %bb.27587:
	s_or_b64 exec, exec, s[8:9]
	s_and_b64 s[4:5], s[4:5], exec
	s_or_saveexec_b64 s[6:7], s[6:7]
	v_mov_b32_e32 v2, s10
	s_xor_b64 exec, exec, s[6:7]
	s_cbranch_execnz .LBB1_27588
; %bb.63425:
	s_getpc_b64 s[14:15]
.Lpost_getpc17376:
	s_add_u32 s14, s14, (.LBB1_13250-.Lpost_getpc17376)&4294967295
	s_addc_u32 s15, s15, (.LBB1_13250-.Lpost_getpc17376)>>32
	s_setpc_b64 s[14:15]
.LBB1_27588:
	v_mov_b32_e32 v2, 0
	v_cmp_ne_u16_sdwa s[8:9], v8, v2 src0_sel:BYTE_0 src1_sel:DWORD
	s_andn2_b64 s[4:5], s[4:5], exec
	s_and_b64 s[8:9], s[8:9], exec
	s_or_b64 s[4:5], s[4:5], s[8:9]
	s_or_b64 exec, exec, s[6:7]
	s_and_saveexec_b64 s[6:7], s[4:5]
	s_cbranch_execz .LBB1_35297
; %bb.63427:
	s_getpc_b64 s[14:15]
.Lpost_getpc17377:
	s_add_u32 s14, s14, (.LBB1_13251-.Lpost_getpc17377)&4294967295
	s_addc_u32 s15, s15, (.LBB1_13251-.Lpost_getpc17377)>>32
	s_setpc_b64 s[14:15]
.LBB1_35297:
	s_getpc_b64 s[14:15]
.Lpost_getpc3312:
	s_add_u32 s14, s14, (.LBB1_13252-.Lpost_getpc3312)&4294967295
	s_addc_u32 s15, s15, (.LBB1_13252-.Lpost_getpc3312)>>32
	s_setpc_b64 s[14:15]
.LBB1_27589:
	s_movk_i32 s4, 0x80
	v_cmp_eq_u16_sdwa s[12:13], v4, s4 src0_sel:BYTE_0 src1_sel:DWORD
	s_mov_b64 s[4:5], -1
                                        ; implicit-def: $sgpr10
	s_and_saveexec_b64 s[8:9], s[12:13]
; %bb.27590:
	s_mov_b32 s10, 0x7f800001
	s_xor_b64 s[4:5], exec, -1
; %bb.27591:
	s_or_b64 exec, exec, s[8:9]
	s_and_b64 s[4:5], s[4:5], exec
	s_or_saveexec_b64 s[6:7], s[6:7]
	v_mov_b32_e32 v3, s10
	s_xor_b64 exec, exec, s[6:7]
	s_cbranch_execnz .LBB1_27592
; %bb.63429:
	s_getpc_b64 s[14:15]
.Lpost_getpc17378:
	s_add_u32 s14, s14, (.LBB1_13254-.Lpost_getpc17378)&4294967295
	s_addc_u32 s15, s15, (.LBB1_13254-.Lpost_getpc17378)>>32
	s_setpc_b64 s[14:15]
.LBB1_27592:
	v_mov_b32_e32 v3, 0
	v_cmp_ne_u16_sdwa s[8:9], v4, v3 src0_sel:BYTE_0 src1_sel:DWORD
	s_andn2_b64 s[4:5], s[4:5], exec
	s_and_b64 s[8:9], s[8:9], exec
	s_or_b64 s[4:5], s[4:5], s[8:9]
	s_or_b64 exec, exec, s[6:7]
	s_and_saveexec_b64 s[6:7], s[4:5]
	s_cbranch_execz .LBB1_35299
; %bb.63431:
	s_getpc_b64 s[14:15]
.Lpost_getpc17379:
	s_add_u32 s14, s14, (.LBB1_13255-.Lpost_getpc17379)&4294967295
	s_addc_u32 s15, s15, (.LBB1_13255-.Lpost_getpc17379)>>32
	s_setpc_b64 s[14:15]
.LBB1_35299:
	s_getpc_b64 s[14:15]
.Lpost_getpc3313:
	s_add_u32 s14, s14, (.LBB1_13256-.Lpost_getpc3313)&4294967295
	s_addc_u32 s15, s15, (.LBB1_13256-.Lpost_getpc3313)>>32
	s_setpc_b64 s[14:15]
.LBB1_27593:
	s_movk_i32 s4, 0x80
	v_cmp_eq_u16_sdwa s[12:13], v3, s4 src0_sel:BYTE_0 src1_sel:DWORD
	s_mov_b64 s[4:5], -1
                                        ; implicit-def: $sgpr10
	s_and_saveexec_b64 s[8:9], s[12:13]
; %bb.27594:
	s_mov_b32 s10, 0x7f800001
	s_xor_b64 s[4:5], exec, -1
; %bb.27595:
	s_or_b64 exec, exec, s[8:9]
	s_and_b64 s[4:5], s[4:5], exec
	s_or_saveexec_b64 s[6:7], s[6:7]
	v_mov_b32_e32 v2, s10
	s_xor_b64 exec, exec, s[6:7]
	s_cbranch_execnz .LBB1_27596
; %bb.63433:
	s_getpc_b64 s[14:15]
.Lpost_getpc17380:
	s_add_u32 s14, s14, (.LBB1_13258-.Lpost_getpc17380)&4294967295
	s_addc_u32 s15, s15, (.LBB1_13258-.Lpost_getpc17380)>>32
	s_setpc_b64 s[14:15]
.LBB1_27596:
	v_mov_b32_e32 v2, 0
	v_cmp_ne_u16_sdwa s[8:9], v3, v2 src0_sel:BYTE_0 src1_sel:DWORD
	s_andn2_b64 s[4:5], s[4:5], exec
	s_and_b64 s[8:9], s[8:9], exec
	s_or_b64 s[4:5], s[4:5], s[8:9]
	s_or_b64 exec, exec, s[6:7]
	s_and_saveexec_b64 s[6:7], s[4:5]
	s_cbranch_execz .LBB1_35301
; %bb.63435:
	s_getpc_b64 s[14:15]
.Lpost_getpc17381:
	s_add_u32 s14, s14, (.LBB1_13259-.Lpost_getpc17381)&4294967295
	s_addc_u32 s15, s15, (.LBB1_13259-.Lpost_getpc17381)>>32
	s_setpc_b64 s[14:15]
.LBB1_35301:
	s_getpc_b64 s[14:15]
.Lpost_getpc3314:
	s_add_u32 s14, s14, (.LBB1_13260-.Lpost_getpc3314)&4294967295
	s_addc_u32 s15, s15, (.LBB1_13260-.Lpost_getpc3314)>>32
	s_setpc_b64 s[14:15]
.LBB1_27597:
	s_movk_i32 s4, 0x80
	v_cmp_eq_u16_sdwa s[12:13], v3, s4 src0_sel:BYTE_0 src1_sel:DWORD
	s_mov_b64 s[4:5], -1
                                        ; implicit-def: $sgpr10
	s_and_saveexec_b64 s[8:9], s[12:13]
; %bb.27598:
	s_mov_b32 s10, 0x7f800001
	s_xor_b64 s[4:5], exec, -1
; %bb.27599:
	s_or_b64 exec, exec, s[8:9]
	s_and_b64 s[4:5], s[4:5], exec
	s_or_saveexec_b64 s[6:7], s[6:7]
	v_mov_b32_e32 v6, s10
	s_xor_b64 exec, exec, s[6:7]
	s_cbranch_execnz .LBB1_27600
; %bb.63437:
	s_getpc_b64 s[14:15]
.Lpost_getpc17382:
	s_add_u32 s14, s14, (.LBB1_13262-.Lpost_getpc17382)&4294967295
	s_addc_u32 s15, s15, (.LBB1_13262-.Lpost_getpc17382)>>32
	s_setpc_b64 s[14:15]
.LBB1_27600:
	v_mov_b32_e32 v6, 0
	v_cmp_ne_u16_sdwa s[8:9], v3, v6 src0_sel:BYTE_0 src1_sel:DWORD
	s_andn2_b64 s[4:5], s[4:5], exec
	s_and_b64 s[8:9], s[8:9], exec
	s_or_b64 s[4:5], s[4:5], s[8:9]
	s_or_b64 exec, exec, s[6:7]
	s_and_saveexec_b64 s[6:7], s[4:5]
	s_cbranch_execz .LBB1_35303
; %bb.63439:
	s_getpc_b64 s[14:15]
.Lpost_getpc17383:
	s_add_u32 s14, s14, (.LBB1_13263-.Lpost_getpc17383)&4294967295
	s_addc_u32 s15, s15, (.LBB1_13263-.Lpost_getpc17383)>>32
	s_setpc_b64 s[14:15]
.LBB1_35303:
	s_getpc_b64 s[14:15]
.Lpost_getpc3315:
	s_add_u32 s14, s14, (.LBB1_13264-.Lpost_getpc3315)&4294967295
	s_addc_u32 s15, s15, (.LBB1_13264-.Lpost_getpc3315)>>32
	s_setpc_b64 s[14:15]
.LBB1_27601:
	s_movk_i32 s4, 0x80
	v_cmp_eq_u16_e32 vcc, s4, v3
	s_mov_b64 s[4:5], -1
                                        ; implicit-def: $sgpr10
	s_and_saveexec_b64 s[8:9], vcc
; %bb.27602:
	s_mov_b32 s10, 0x7f800001
	s_xor_b64 s[4:5], exec, -1
; %bb.27603:
	s_or_b64 exec, exec, s[8:9]
	s_and_b64 s[4:5], s[4:5], exec
                                        ; implicit-def: $vgpr3
	s_or_saveexec_b64 s[6:7], s[6:7]
	v_mov_b32_e32 v2, s10
	s_xor_b64 exec, exec, s[6:7]
	s_cbranch_execnz .LBB1_27604
; %bb.63441:
	s_getpc_b64 s[14:15]
.Lpost_getpc17384:
	s_add_u32 s14, s14, (.LBB1_13266-.Lpost_getpc17384)&4294967295
	s_addc_u32 s15, s15, (.LBB1_13266-.Lpost_getpc17384)>>32
	s_setpc_b64 s[14:15]
.LBB1_27604:
	v_cmp_ne_u16_e32 vcc, 0, v3
	s_andn2_b64 s[4:5], s[4:5], exec
	s_and_b64 s[8:9], vcc, exec
	v_mov_b32_e32 v2, 0
	s_or_b64 s[4:5], s[4:5], s[8:9]
	s_or_b64 exec, exec, s[6:7]
	s_and_saveexec_b64 s[6:7], s[4:5]
	s_cbranch_execz .LBB1_35305
; %bb.63443:
	s_getpc_b64 s[14:15]
.Lpost_getpc17385:
	s_add_u32 s14, s14, (.LBB1_13267-.Lpost_getpc17385)&4294967295
	s_addc_u32 s15, s15, (.LBB1_13267-.Lpost_getpc17385)>>32
	s_setpc_b64 s[14:15]
.LBB1_35305:
	s_getpc_b64 s[14:15]
.Lpost_getpc3316:
	s_add_u32 s14, s14, (.LBB1_13268-.Lpost_getpc3316)&4294967295
	s_addc_u32 s15, s15, (.LBB1_13268-.Lpost_getpc3316)>>32
	s_setpc_b64 s[14:15]
.LBB1_27605:
	s_movk_i32 s4, 0x80
	v_cmp_eq_u16_e32 vcc, s4, v3
	s_mov_b64 s[4:5], -1
                                        ; implicit-def: $sgpr10
	s_and_saveexec_b64 s[8:9], vcc
; %bb.27606:
	s_mov_b32 s10, 0x7f800001
	s_xor_b64 s[4:5], exec, -1
; %bb.27607:
	s_or_b64 exec, exec, s[8:9]
	s_and_b64 s[4:5], s[4:5], exec
                                        ; implicit-def: $vgpr3
	s_or_saveexec_b64 s[6:7], s[6:7]
	v_mov_b32_e32 v6, s10
	s_xor_b64 exec, exec, s[6:7]
	s_cbranch_execnz .LBB1_27608
; %bb.63445:
	s_getpc_b64 s[14:15]
.Lpost_getpc17386:
	s_add_u32 s14, s14, (.LBB1_13270-.Lpost_getpc17386)&4294967295
	s_addc_u32 s15, s15, (.LBB1_13270-.Lpost_getpc17386)>>32
	s_setpc_b64 s[14:15]
.LBB1_27608:
	v_cmp_ne_u16_e32 vcc, 0, v3
	s_andn2_b64 s[4:5], s[4:5], exec
	s_and_b64 s[8:9], vcc, exec
	v_mov_b32_e32 v6, 0
	s_or_b64 s[4:5], s[4:5], s[8:9]
	s_or_b64 exec, exec, s[6:7]
	s_and_saveexec_b64 s[6:7], s[4:5]
	s_cbranch_execz .LBB1_35307
; %bb.63447:
	s_getpc_b64 s[14:15]
.Lpost_getpc17387:
	s_add_u32 s14, s14, (.LBB1_13271-.Lpost_getpc17387)&4294967295
	s_addc_u32 s15, s15, (.LBB1_13271-.Lpost_getpc17387)>>32
	s_setpc_b64 s[14:15]
.LBB1_35307:
	s_getpc_b64 s[14:15]
.Lpost_getpc3317:
	s_add_u32 s14, s14, (.LBB1_13272-.Lpost_getpc3317)&4294967295
	s_addc_u32 s15, s15, (.LBB1_13272-.Lpost_getpc3317)>>32
	s_setpc_b64 s[14:15]
.LBB1_27609:
	s_movk_i32 s4, 0x80
	v_cmp_eq_u16_sdwa s[12:13], v8, s4 src0_sel:BYTE_3 src1_sel:DWORD
	s_mov_b64 s[4:5], -1
                                        ; implicit-def: $sgpr10
	s_and_saveexec_b64 s[8:9], s[12:13]
; %bb.27610:
	s_mov_b32 s10, 0x7f800001
	s_xor_b64 s[4:5], exec, -1
; %bb.27611:
	s_or_b64 exec, exec, s[8:9]
	s_and_b64 s[4:5], s[4:5], exec
	s_or_saveexec_b64 s[6:7], s[6:7]
	v_mov_b32_e32 v2, s10
	s_xor_b64 exec, exec, s[6:7]
	s_cbranch_execnz .LBB1_27612
; %bb.63449:
	s_getpc_b64 s[14:15]
.Lpost_getpc17388:
	s_add_u32 s14, s14, (.LBB1_13274-.Lpost_getpc17388)&4294967295
	s_addc_u32 s15, s15, (.LBB1_13274-.Lpost_getpc17388)>>32
	s_setpc_b64 s[14:15]
.LBB1_27612:
	v_mov_b32_e32 v2, 0
	v_cmp_ne_u16_sdwa s[8:9], v8, v2 src0_sel:BYTE_3 src1_sel:DWORD
	s_andn2_b64 s[4:5], s[4:5], exec
	s_and_b64 s[8:9], s[8:9], exec
	s_or_b64 s[4:5], s[4:5], s[8:9]
	s_or_b64 exec, exec, s[6:7]
	s_and_saveexec_b64 s[6:7], s[4:5]
	s_cbranch_execz .LBB1_35309
; %bb.63451:
	s_getpc_b64 s[14:15]
.Lpost_getpc17389:
	s_add_u32 s14, s14, (.LBB1_13275-.Lpost_getpc17389)&4294967295
	s_addc_u32 s15, s15, (.LBB1_13275-.Lpost_getpc17389)>>32
	s_setpc_b64 s[14:15]
.LBB1_35309:
	s_getpc_b64 s[14:15]
.Lpost_getpc3318:
	s_add_u32 s14, s14, (.LBB1_13276-.Lpost_getpc3318)&4294967295
	s_addc_u32 s15, s15, (.LBB1_13276-.Lpost_getpc3318)>>32
	s_setpc_b64 s[14:15]
.LBB1_27613:
	s_movk_i32 s4, 0x80
	v_cmp_eq_u16_sdwa s[12:13], v4, s4 src0_sel:BYTE_3 src1_sel:DWORD
	s_mov_b64 s[4:5], -1
                                        ; implicit-def: $sgpr10
	s_and_saveexec_b64 s[8:9], s[12:13]
; %bb.27614:
	s_mov_b32 s10, 0x7f800001
	s_xor_b64 s[4:5], exec, -1
; %bb.27615:
	s_or_b64 exec, exec, s[8:9]
	s_and_b64 s[4:5], s[4:5], exec
	s_or_saveexec_b64 s[6:7], s[6:7]
	v_mov_b32_e32 v3, s10
	s_xor_b64 exec, exec, s[6:7]
	s_cbranch_execnz .LBB1_27616
; %bb.63453:
	s_getpc_b64 s[14:15]
.Lpost_getpc17390:
	s_add_u32 s14, s14, (.LBB1_13278-.Lpost_getpc17390)&4294967295
	s_addc_u32 s15, s15, (.LBB1_13278-.Lpost_getpc17390)>>32
	s_setpc_b64 s[14:15]
.LBB1_27616:
	v_mov_b32_e32 v3, 0
	v_cmp_ne_u16_sdwa s[8:9], v4, v3 src0_sel:BYTE_3 src1_sel:DWORD
	s_andn2_b64 s[4:5], s[4:5], exec
	s_and_b64 s[8:9], s[8:9], exec
	s_or_b64 s[4:5], s[4:5], s[8:9]
	s_or_b64 exec, exec, s[6:7]
	s_and_saveexec_b64 s[6:7], s[4:5]
	s_cbranch_execz .LBB1_35311
; %bb.63455:
	s_getpc_b64 s[14:15]
.Lpost_getpc17391:
	s_add_u32 s14, s14, (.LBB1_13279-.Lpost_getpc17391)&4294967295
	s_addc_u32 s15, s15, (.LBB1_13279-.Lpost_getpc17391)>>32
	s_setpc_b64 s[14:15]
.LBB1_35311:
	s_getpc_b64 s[14:15]
.Lpost_getpc3319:
	s_add_u32 s14, s14, (.LBB1_13280-.Lpost_getpc3319)&4294967295
	s_addc_u32 s15, s15, (.LBB1_13280-.Lpost_getpc3319)>>32
	s_setpc_b64 s[14:15]
.LBB1_27617:
	s_movk_i32 s4, 0x80
	v_cmp_eq_u16_sdwa s[12:13], v9, s4 src0_sel:BYTE_0 src1_sel:DWORD
	s_mov_b64 s[4:5], -1
                                        ; implicit-def: $sgpr10
	s_and_saveexec_b64 s[8:9], s[12:13]
; %bb.27618:
	s_mov_b32 s10, 0x7f800001
	s_xor_b64 s[4:5], exec, -1
; %bb.27619:
	s_or_b64 exec, exec, s[8:9]
	s_and_b64 s[4:5], s[4:5], exec
	s_or_saveexec_b64 s[6:7], s[6:7]
	v_mov_b32_e32 v2, s10
	s_xor_b64 exec, exec, s[6:7]
	s_cbranch_execnz .LBB1_27620
; %bb.63457:
	s_getpc_b64 s[14:15]
.Lpost_getpc17392:
	s_add_u32 s14, s14, (.LBB1_13282-.Lpost_getpc17392)&4294967295
	s_addc_u32 s15, s15, (.LBB1_13282-.Lpost_getpc17392)>>32
	s_setpc_b64 s[14:15]
.LBB1_27620:
	v_mov_b32_e32 v2, 0
	v_cmp_ne_u16_sdwa s[8:9], v9, v2 src0_sel:BYTE_0 src1_sel:DWORD
	s_andn2_b64 s[4:5], s[4:5], exec
	s_and_b64 s[8:9], s[8:9], exec
	s_or_b64 s[4:5], s[4:5], s[8:9]
	s_or_b64 exec, exec, s[6:7]
	s_and_saveexec_b64 s[6:7], s[4:5]
	s_cbranch_execz .LBB1_35313
; %bb.63459:
	s_getpc_b64 s[14:15]
.Lpost_getpc17393:
	s_add_u32 s14, s14, (.LBB1_13283-.Lpost_getpc17393)&4294967295
	s_addc_u32 s15, s15, (.LBB1_13283-.Lpost_getpc17393)>>32
	s_setpc_b64 s[14:15]
.LBB1_35313:
	s_getpc_b64 s[14:15]
.Lpost_getpc3320:
	s_add_u32 s14, s14, (.LBB1_13284-.Lpost_getpc3320)&4294967295
	s_addc_u32 s15, s15, (.LBB1_13284-.Lpost_getpc3320)>>32
	s_setpc_b64 s[14:15]
.LBB1_27621:
	s_movk_i32 s4, 0x80
	v_cmp_eq_u16_sdwa s[12:13], v5, s4 src0_sel:BYTE_0 src1_sel:DWORD
	s_mov_b64 s[4:5], -1
                                        ; implicit-def: $sgpr10
	s_and_saveexec_b64 s[8:9], s[12:13]
; %bb.27622:
	s_mov_b32 s10, 0x7f800001
	s_xor_b64 s[4:5], exec, -1
; %bb.27623:
	s_or_b64 exec, exec, s[8:9]
	s_and_b64 s[4:5], s[4:5], exec
	s_or_saveexec_b64 s[6:7], s[6:7]
	v_mov_b32_e32 v3, s10
	s_xor_b64 exec, exec, s[6:7]
	s_cbranch_execnz .LBB1_27624
; %bb.63461:
	s_getpc_b64 s[14:15]
.Lpost_getpc17394:
	s_add_u32 s14, s14, (.LBB1_13286-.Lpost_getpc17394)&4294967295
	s_addc_u32 s15, s15, (.LBB1_13286-.Lpost_getpc17394)>>32
	s_setpc_b64 s[14:15]
.LBB1_27624:
	v_mov_b32_e32 v3, 0
	v_cmp_ne_u16_sdwa s[8:9], v5, v3 src0_sel:BYTE_0 src1_sel:DWORD
	s_andn2_b64 s[4:5], s[4:5], exec
	s_and_b64 s[8:9], s[8:9], exec
	s_or_b64 s[4:5], s[4:5], s[8:9]
	s_or_b64 exec, exec, s[6:7]
	s_and_saveexec_b64 s[6:7], s[4:5]
	s_cbranch_execz .LBB1_35315
; %bb.63463:
	s_getpc_b64 s[14:15]
.Lpost_getpc17395:
	s_add_u32 s14, s14, (.LBB1_13287-.Lpost_getpc17395)&4294967295
	s_addc_u32 s15, s15, (.LBB1_13287-.Lpost_getpc17395)>>32
	s_setpc_b64 s[14:15]
.LBB1_35315:
	s_getpc_b64 s[14:15]
.Lpost_getpc3321:
	s_add_u32 s14, s14, (.LBB1_13288-.Lpost_getpc3321)&4294967295
	s_addc_u32 s15, s15, (.LBB1_13288-.Lpost_getpc3321)>>32
	s_setpc_b64 s[14:15]
.LBB1_27625:
	s_movk_i32 s4, 0x80
	v_cmp_eq_u16_sdwa s[12:13], v3, s4 src0_sel:BYTE_0 src1_sel:DWORD
	s_mov_b64 s[4:5], -1
                                        ; implicit-def: $sgpr10
	s_and_saveexec_b64 s[8:9], s[12:13]
; %bb.27626:
	s_mov_b32 s10, 0x7f800001
	s_xor_b64 s[4:5], exec, -1
; %bb.27627:
	s_or_b64 exec, exec, s[8:9]
	s_and_b64 s[4:5], s[4:5], exec
	s_or_saveexec_b64 s[6:7], s[6:7]
	v_mov_b32_e32 v2, s10
	s_xor_b64 exec, exec, s[6:7]
	s_cbranch_execnz .LBB1_27628
; %bb.63465:
	s_getpc_b64 s[14:15]
.Lpost_getpc17396:
	s_add_u32 s14, s14, (.LBB1_13290-.Lpost_getpc17396)&4294967295
	s_addc_u32 s15, s15, (.LBB1_13290-.Lpost_getpc17396)>>32
	s_setpc_b64 s[14:15]
.LBB1_27628:
	v_mov_b32_e32 v2, 0
	v_cmp_ne_u16_sdwa s[8:9], v3, v2 src0_sel:BYTE_0 src1_sel:DWORD
	s_andn2_b64 s[4:5], s[4:5], exec
	s_and_b64 s[8:9], s[8:9], exec
	s_or_b64 s[4:5], s[4:5], s[8:9]
	s_or_b64 exec, exec, s[6:7]
	s_and_saveexec_b64 s[6:7], s[4:5]
	s_cbranch_execz .LBB1_35317
; %bb.63467:
	s_getpc_b64 s[14:15]
.Lpost_getpc17397:
	s_add_u32 s14, s14, (.LBB1_13291-.Lpost_getpc17397)&4294967295
	s_addc_u32 s15, s15, (.LBB1_13291-.Lpost_getpc17397)>>32
	s_setpc_b64 s[14:15]
.LBB1_35317:
	s_getpc_b64 s[14:15]
.Lpost_getpc3322:
	s_add_u32 s14, s14, (.LBB1_13292-.Lpost_getpc3322)&4294967295
	s_addc_u32 s15, s15, (.LBB1_13292-.Lpost_getpc3322)>>32
	s_setpc_b64 s[14:15]
.LBB1_27629:
	s_movk_i32 s4, 0x80
	v_cmp_eq_u16_sdwa s[12:13], v3, s4 src0_sel:BYTE_0 src1_sel:DWORD
	s_mov_b64 s[4:5], -1
                                        ; implicit-def: $sgpr10
	s_and_saveexec_b64 s[8:9], s[12:13]
; %bb.27630:
	s_mov_b32 s10, 0x7f800001
	s_xor_b64 s[4:5], exec, -1
; %bb.27631:
	s_or_b64 exec, exec, s[8:9]
	s_and_b64 s[4:5], s[4:5], exec
	s_or_saveexec_b64 s[6:7], s[6:7]
	v_mov_b32_e32 v4, s10
	s_xor_b64 exec, exec, s[6:7]
	s_cbranch_execnz .LBB1_27632
; %bb.63469:
	s_getpc_b64 s[14:15]
.Lpost_getpc17398:
	s_add_u32 s14, s14, (.LBB1_13294-.Lpost_getpc17398)&4294967295
	s_addc_u32 s15, s15, (.LBB1_13294-.Lpost_getpc17398)>>32
	s_setpc_b64 s[14:15]
.LBB1_27632:
	v_mov_b32_e32 v4, 0
	v_cmp_ne_u16_sdwa s[8:9], v3, v4 src0_sel:BYTE_0 src1_sel:DWORD
	s_andn2_b64 s[4:5], s[4:5], exec
	s_and_b64 s[8:9], s[8:9], exec
	s_or_b64 s[4:5], s[4:5], s[8:9]
	s_or_b64 exec, exec, s[6:7]
	s_and_saveexec_b64 s[6:7], s[4:5]
	s_cbranch_execz .LBB1_35319
; %bb.63471:
	s_getpc_b64 s[14:15]
.Lpost_getpc17399:
	s_add_u32 s14, s14, (.LBB1_13295-.Lpost_getpc17399)&4294967295
	s_addc_u32 s15, s15, (.LBB1_13295-.Lpost_getpc17399)>>32
	s_setpc_b64 s[14:15]
.LBB1_35319:
	s_getpc_b64 s[14:15]
.Lpost_getpc3323:
	s_add_u32 s14, s14, (.LBB1_13296-.Lpost_getpc3323)&4294967295
	s_addc_u32 s15, s15, (.LBB1_13296-.Lpost_getpc3323)>>32
	s_setpc_b64 s[14:15]
.LBB1_27633:
	s_movk_i32 s4, 0x80
	v_cmp_eq_u16_e32 vcc, s4, v3
	s_mov_b64 s[4:5], -1
                                        ; implicit-def: $sgpr10
	s_and_saveexec_b64 s[8:9], vcc
; %bb.27634:
	s_mov_b32 s10, 0x7f800001
	s_xor_b64 s[4:5], exec, -1
; %bb.27635:
	s_or_b64 exec, exec, s[8:9]
	s_and_b64 s[4:5], s[4:5], exec
                                        ; implicit-def: $vgpr3
	s_or_saveexec_b64 s[6:7], s[6:7]
	v_mov_b32_e32 v2, s10
	s_xor_b64 exec, exec, s[6:7]
	s_cbranch_execnz .LBB1_27636
; %bb.63473:
	s_getpc_b64 s[14:15]
.Lpost_getpc17400:
	s_add_u32 s14, s14, (.LBB1_13298-.Lpost_getpc17400)&4294967295
	s_addc_u32 s15, s15, (.LBB1_13298-.Lpost_getpc17400)>>32
	s_setpc_b64 s[14:15]
.LBB1_27636:
	v_cmp_ne_u16_e32 vcc, 0, v3
	s_andn2_b64 s[4:5], s[4:5], exec
	s_and_b64 s[8:9], vcc, exec
	v_mov_b32_e32 v2, 0
	s_or_b64 s[4:5], s[4:5], s[8:9]
	s_or_b64 exec, exec, s[6:7]
	s_and_saveexec_b64 s[6:7], s[4:5]
	s_cbranch_execz .LBB1_35321
; %bb.63475:
	s_getpc_b64 s[14:15]
.Lpost_getpc17401:
	s_add_u32 s14, s14, (.LBB1_13299-.Lpost_getpc17401)&4294967295
	s_addc_u32 s15, s15, (.LBB1_13299-.Lpost_getpc17401)>>32
	s_setpc_b64 s[14:15]
.LBB1_35321:
	s_getpc_b64 s[14:15]
.Lpost_getpc3324:
	s_add_u32 s14, s14, (.LBB1_13300-.Lpost_getpc3324)&4294967295
	s_addc_u32 s15, s15, (.LBB1_13300-.Lpost_getpc3324)>>32
	s_setpc_b64 s[14:15]
.LBB1_27637:
	s_movk_i32 s4, 0x80
	v_cmp_eq_u16_e32 vcc, s4, v3
	s_mov_b64 s[4:5], -1
                                        ; implicit-def: $sgpr10
	s_and_saveexec_b64 s[8:9], vcc
; %bb.27638:
	s_mov_b32 s10, 0x7f800001
	s_xor_b64 s[4:5], exec, -1
; %bb.27639:
	s_or_b64 exec, exec, s[8:9]
	s_and_b64 s[4:5], s[4:5], exec
                                        ; implicit-def: $vgpr3
	s_or_saveexec_b64 s[6:7], s[6:7]
	v_mov_b32_e32 v4, s10
	s_xor_b64 exec, exec, s[6:7]
	s_cbranch_execnz .LBB1_27640
; %bb.63477:
	s_getpc_b64 s[14:15]
.Lpost_getpc17402:
	s_add_u32 s14, s14, (.LBB1_13302-.Lpost_getpc17402)&4294967295
	s_addc_u32 s15, s15, (.LBB1_13302-.Lpost_getpc17402)>>32
	s_setpc_b64 s[14:15]
.LBB1_27640:
	v_cmp_ne_u16_e32 vcc, 0, v3
	s_andn2_b64 s[4:5], s[4:5], exec
	s_and_b64 s[8:9], vcc, exec
	v_mov_b32_e32 v4, 0
	s_or_b64 s[4:5], s[4:5], s[8:9]
	s_or_b64 exec, exec, s[6:7]
	s_and_saveexec_b64 s[6:7], s[4:5]
	s_cbranch_execz .LBB1_35323
; %bb.63479:
	s_getpc_b64 s[14:15]
.Lpost_getpc17403:
	s_add_u32 s14, s14, (.LBB1_13303-.Lpost_getpc17403)&4294967295
	s_addc_u32 s15, s15, (.LBB1_13303-.Lpost_getpc17403)>>32
	s_setpc_b64 s[14:15]
.LBB1_35323:
	s_getpc_b64 s[14:15]
.Lpost_getpc3325:
	s_add_u32 s14, s14, (.LBB1_13304-.Lpost_getpc3325)&4294967295
	s_addc_u32 s15, s15, (.LBB1_13304-.Lpost_getpc3325)>>32
	s_setpc_b64 s[14:15]
.LBB1_27641:
	s_movk_i32 s4, 0x80
	v_cmp_eq_u16_sdwa s[12:13], v9, s4 src0_sel:BYTE_3 src1_sel:DWORD
	s_mov_b64 s[4:5], -1
                                        ; implicit-def: $sgpr10
	s_and_saveexec_b64 s[8:9], s[12:13]
; %bb.27642:
	s_mov_b32 s10, 0x7f800001
	s_xor_b64 s[4:5], exec, -1
; %bb.27643:
	s_or_b64 exec, exec, s[8:9]
	s_and_b64 s[4:5], s[4:5], exec
	s_or_saveexec_b64 s[6:7], s[6:7]
	v_mov_b32_e32 v2, s10
	s_xor_b64 exec, exec, s[6:7]
	s_cbranch_execnz .LBB1_27644
; %bb.63481:
	s_getpc_b64 s[14:15]
.Lpost_getpc17404:
	s_add_u32 s14, s14, (.LBB1_13306-.Lpost_getpc17404)&4294967295
	s_addc_u32 s15, s15, (.LBB1_13306-.Lpost_getpc17404)>>32
	s_setpc_b64 s[14:15]
.LBB1_27644:
	v_mov_b32_e32 v2, 0
	v_cmp_ne_u16_sdwa s[8:9], v9, v2 src0_sel:BYTE_3 src1_sel:DWORD
	s_andn2_b64 s[4:5], s[4:5], exec
	s_and_b64 s[8:9], s[8:9], exec
	s_or_b64 s[4:5], s[4:5], s[8:9]
	s_or_b64 exec, exec, s[6:7]
	s_and_saveexec_b64 s[6:7], s[4:5]
	s_cbranch_execz .LBB1_35325
; %bb.63483:
	s_getpc_b64 s[14:15]
.Lpost_getpc17405:
	s_add_u32 s14, s14, (.LBB1_13307-.Lpost_getpc17405)&4294967295
	s_addc_u32 s15, s15, (.LBB1_13307-.Lpost_getpc17405)>>32
	s_setpc_b64 s[14:15]
.LBB1_35325:
	s_getpc_b64 s[14:15]
.Lpost_getpc3326:
	s_add_u32 s14, s14, (.LBB1_13308-.Lpost_getpc3326)&4294967295
	s_addc_u32 s15, s15, (.LBB1_13308-.Lpost_getpc3326)>>32
	s_setpc_b64 s[14:15]
.LBB1_27645:
	s_movk_i32 s4, 0x80
	v_cmp_eq_u16_sdwa s[12:13], v5, s4 src0_sel:BYTE_3 src1_sel:DWORD
	s_mov_b64 s[4:5], -1
                                        ; implicit-def: $sgpr10
	s_and_saveexec_b64 s[8:9], s[12:13]
; %bb.27646:
	s_mov_b32 s10, 0x7f800001
	s_xor_b64 s[4:5], exec, -1
; %bb.27647:
	s_or_b64 exec, exec, s[8:9]
	s_and_b64 s[4:5], s[4:5], exec
	s_or_saveexec_b64 s[6:7], s[6:7]
	v_mov_b32_e32 v3, s10
	s_xor_b64 exec, exec, s[6:7]
	s_cbranch_execnz .LBB1_27648
; %bb.63485:
	s_getpc_b64 s[14:15]
.Lpost_getpc17406:
	s_add_u32 s14, s14, (.LBB1_13310-.Lpost_getpc17406)&4294967295
	s_addc_u32 s15, s15, (.LBB1_13310-.Lpost_getpc17406)>>32
	s_setpc_b64 s[14:15]
.LBB1_27648:
	v_mov_b32_e32 v3, 0
	v_cmp_ne_u16_sdwa s[8:9], v5, v3 src0_sel:BYTE_3 src1_sel:DWORD
	s_andn2_b64 s[4:5], s[4:5], exec
	s_and_b64 s[8:9], s[8:9], exec
	s_or_b64 s[4:5], s[4:5], s[8:9]
	s_or_b64 exec, exec, s[6:7]
	s_and_saveexec_b64 s[6:7], s[4:5]
	s_cbranch_execz .LBB1_35327
; %bb.63487:
	s_getpc_b64 s[14:15]
.Lpost_getpc17407:
	s_add_u32 s14, s14, (.LBB1_13311-.Lpost_getpc17407)&4294967295
	s_addc_u32 s15, s15, (.LBB1_13311-.Lpost_getpc17407)>>32
	s_setpc_b64 s[14:15]
.LBB1_35327:
	s_getpc_b64 s[14:15]
.Lpost_getpc3327:
	s_add_u32 s14, s14, (.LBB1_13312-.Lpost_getpc3327)&4294967295
	s_addc_u32 s15, s15, (.LBB1_13312-.Lpost_getpc3327)>>32
	s_setpc_b64 s[14:15]
.LBB1_27649:
	s_movk_i32 s4, 0x80
	v_cmp_eq_u16_sdwa s[12:13], v6, s4 src0_sel:BYTE_0 src1_sel:DWORD
	s_mov_b64 s[4:5], -1
                                        ; implicit-def: $sgpr10
	s_and_saveexec_b64 s[8:9], s[12:13]
; %bb.27650:
	s_mov_b32 s10, 0x7f800001
	s_xor_b64 s[4:5], exec, -1
; %bb.27651:
	s_or_b64 exec, exec, s[8:9]
	s_and_b64 s[4:5], s[4:5], exec
	s_or_saveexec_b64 s[6:7], s[6:7]
	v_mov_b32_e32 v12, s10
	s_xor_b64 exec, exec, s[6:7]
	s_cbranch_execnz .LBB1_27652
; %bb.63489:
	s_getpc_b64 s[14:15]
.Lpost_getpc17408:
	s_add_u32 s14, s14, (.LBB1_13314-.Lpost_getpc17408)&4294967295
	s_addc_u32 s15, s15, (.LBB1_13314-.Lpost_getpc17408)>>32
	s_setpc_b64 s[14:15]
.LBB1_27652:
	v_mov_b32_e32 v12, 0
	v_cmp_ne_u16_sdwa s[8:9], v6, v12 src0_sel:BYTE_0 src1_sel:DWORD
	s_andn2_b64 s[4:5], s[4:5], exec
	s_and_b64 s[8:9], s[8:9], exec
	s_or_b64 s[4:5], s[4:5], s[8:9]
	s_or_b64 exec, exec, s[6:7]
	s_and_saveexec_b64 s[6:7], s[4:5]
	s_cbranch_execz .LBB1_35329
; %bb.63491:
	s_getpc_b64 s[14:15]
.Lpost_getpc17409:
	s_add_u32 s14, s14, (.LBB1_13315-.Lpost_getpc17409)&4294967295
	s_addc_u32 s15, s15, (.LBB1_13315-.Lpost_getpc17409)>>32
	s_setpc_b64 s[14:15]
.LBB1_35329:
	s_getpc_b64 s[14:15]
.Lpost_getpc3328:
	s_add_u32 s14, s14, (.LBB1_13316-.Lpost_getpc3328)&4294967295
	s_addc_u32 s15, s15, (.LBB1_13316-.Lpost_getpc3328)>>32
	s_setpc_b64 s[14:15]
.LBB1_27653:
	s_movk_i32 s4, 0x80
	v_cmp_eq_u16_sdwa s[12:13], v2, s4 src0_sel:BYTE_0 src1_sel:DWORD
	s_mov_b64 s[4:5], -1
                                        ; implicit-def: $sgpr10
	s_and_saveexec_b64 s[8:9], s[12:13]
; %bb.27654:
	s_mov_b32 s10, 0x7f800001
	s_xor_b64 s[4:5], exec, -1
; %bb.27655:
	s_or_b64 exec, exec, s[8:9]
	s_and_b64 s[4:5], s[4:5], exec
	s_or_saveexec_b64 s[6:7], s[6:7]
	v_mov_b32_e32 v13, s10
	s_xor_b64 exec, exec, s[6:7]
	s_cbranch_execnz .LBB1_27656
; %bb.63493:
	s_getpc_b64 s[14:15]
.Lpost_getpc17410:
	s_add_u32 s14, s14, (.LBB1_13318-.Lpost_getpc17410)&4294967295
	s_addc_u32 s15, s15, (.LBB1_13318-.Lpost_getpc17410)>>32
	s_setpc_b64 s[14:15]
.LBB1_27656:
	v_mov_b32_e32 v13, 0
	v_cmp_ne_u16_sdwa s[8:9], v2, v13 src0_sel:BYTE_0 src1_sel:DWORD
	s_andn2_b64 s[4:5], s[4:5], exec
	s_and_b64 s[8:9], s[8:9], exec
	s_or_b64 s[4:5], s[4:5], s[8:9]
	s_or_b64 exec, exec, s[6:7]
	s_and_saveexec_b64 s[6:7], s[4:5]
	s_cbranch_execz .LBB1_35331
; %bb.63495:
	s_getpc_b64 s[14:15]
.Lpost_getpc17411:
	s_add_u32 s14, s14, (.LBB1_13319-.Lpost_getpc17411)&4294967295
	s_addc_u32 s15, s15, (.LBB1_13319-.Lpost_getpc17411)>>32
	s_setpc_b64 s[14:15]
.LBB1_35331:
	s_getpc_b64 s[14:15]
.Lpost_getpc3329:
	s_add_u32 s14, s14, (.LBB1_13320-.Lpost_getpc3329)&4294967295
	s_addc_u32 s15, s15, (.LBB1_13320-.Lpost_getpc3329)>>32
	s_setpc_b64 s[14:15]
.LBB1_27657:
	s_movk_i32 s4, 0x80
	v_cmp_eq_u16_sdwa s[12:13], v13, s4 src0_sel:BYTE_0 src1_sel:DWORD
	s_mov_b64 s[4:5], -1
                                        ; implicit-def: $sgpr10
	s_and_saveexec_b64 s[8:9], s[12:13]
; %bb.27658:
	s_mov_b32 s10, 0x7f800001
	s_xor_b64 s[4:5], exec, -1
; %bb.27659:
	s_or_b64 exec, exec, s[8:9]
	s_and_b64 s[4:5], s[4:5], exec
	s_or_saveexec_b64 s[6:7], s[6:7]
	v_mov_b32_e32 v12, s10
	s_xor_b64 exec, exec, s[6:7]
	s_cbranch_execnz .LBB1_27660
; %bb.63497:
	s_getpc_b64 s[14:15]
.Lpost_getpc17412:
	s_add_u32 s14, s14, (.LBB1_13322-.Lpost_getpc17412)&4294967295
	s_addc_u32 s15, s15, (.LBB1_13322-.Lpost_getpc17412)>>32
	s_setpc_b64 s[14:15]
.LBB1_27660:
	v_mov_b32_e32 v12, 0
	v_cmp_ne_u16_sdwa s[8:9], v13, v12 src0_sel:BYTE_0 src1_sel:DWORD
	s_andn2_b64 s[4:5], s[4:5], exec
	s_and_b64 s[8:9], s[8:9], exec
	s_or_b64 s[4:5], s[4:5], s[8:9]
	s_or_b64 exec, exec, s[6:7]
	s_and_saveexec_b64 s[6:7], s[4:5]
	s_cbranch_execz .LBB1_35333
; %bb.63499:
	s_getpc_b64 s[14:15]
.Lpost_getpc17413:
	s_add_u32 s14, s14, (.LBB1_13323-.Lpost_getpc17413)&4294967295
	s_addc_u32 s15, s15, (.LBB1_13323-.Lpost_getpc17413)>>32
	s_setpc_b64 s[14:15]
.LBB1_35333:
	s_getpc_b64 s[14:15]
.Lpost_getpc3330:
	s_add_u32 s14, s14, (.LBB1_13324-.Lpost_getpc3330)&4294967295
	s_addc_u32 s15, s15, (.LBB1_13324-.Lpost_getpc3330)>>32
	s_setpc_b64 s[14:15]
.LBB1_27661:
	s_movk_i32 s4, 0x80
	v_cmp_eq_u16_sdwa s[12:13], v13, s4 src0_sel:BYTE_0 src1_sel:DWORD
	s_mov_b64 s[4:5], -1
                                        ; implicit-def: $sgpr10
	s_and_saveexec_b64 s[8:9], s[12:13]
; %bb.27662:
	s_mov_b32 s10, 0x7f800001
	s_xor_b64 s[4:5], exec, -1
; %bb.27663:
	s_or_b64 exec, exec, s[8:9]
	s_and_b64 s[4:5], s[4:5], exec
	s_or_saveexec_b64 s[6:7], s[6:7]
	v_mov_b32_e32 v14, s10
	s_xor_b64 exec, exec, s[6:7]
	s_cbranch_execnz .LBB1_27664
; %bb.63501:
	s_getpc_b64 s[14:15]
.Lpost_getpc17414:
	s_add_u32 s14, s14, (.LBB1_13326-.Lpost_getpc17414)&4294967295
	s_addc_u32 s15, s15, (.LBB1_13326-.Lpost_getpc17414)>>32
	s_setpc_b64 s[14:15]
.LBB1_27664:
	v_mov_b32_e32 v14, 0
	v_cmp_ne_u16_sdwa s[8:9], v13, v14 src0_sel:BYTE_0 src1_sel:DWORD
	s_andn2_b64 s[4:5], s[4:5], exec
	s_and_b64 s[8:9], s[8:9], exec
	s_or_b64 s[4:5], s[4:5], s[8:9]
	s_or_b64 exec, exec, s[6:7]
	s_and_saveexec_b64 s[6:7], s[4:5]
	s_cbranch_execz .LBB1_35335
; %bb.63503:
	s_getpc_b64 s[14:15]
.Lpost_getpc17415:
	s_add_u32 s14, s14, (.LBB1_13327-.Lpost_getpc17415)&4294967295
	s_addc_u32 s15, s15, (.LBB1_13327-.Lpost_getpc17415)>>32
	s_setpc_b64 s[14:15]
.LBB1_35335:
	s_getpc_b64 s[14:15]
.Lpost_getpc3331:
	s_add_u32 s14, s14, (.LBB1_13328-.Lpost_getpc3331)&4294967295
	s_addc_u32 s15, s15, (.LBB1_13328-.Lpost_getpc3331)>>32
	s_setpc_b64 s[14:15]
.LBB1_27665:
	s_movk_i32 s4, 0x80
	v_cmp_eq_u16_e32 vcc, s4, v13
	s_mov_b64 s[4:5], -1
                                        ; implicit-def: $sgpr10
	s_and_saveexec_b64 s[8:9], vcc
; %bb.27666:
	s_mov_b32 s10, 0x7f800001
	s_xor_b64 s[4:5], exec, -1
; %bb.27667:
	s_or_b64 exec, exec, s[8:9]
	s_and_b64 s[4:5], s[4:5], exec
                                        ; implicit-def: $vgpr13
	s_or_saveexec_b64 s[6:7], s[6:7]
	v_mov_b32_e32 v12, s10
	s_xor_b64 exec, exec, s[6:7]
	s_cbranch_execnz .LBB1_27668
; %bb.63505:
	s_getpc_b64 s[14:15]
.Lpost_getpc17416:
	s_add_u32 s14, s14, (.LBB1_13330-.Lpost_getpc17416)&4294967295
	s_addc_u32 s15, s15, (.LBB1_13330-.Lpost_getpc17416)>>32
	s_setpc_b64 s[14:15]
.LBB1_27668:
	v_cmp_ne_u16_e32 vcc, 0, v13
	s_andn2_b64 s[4:5], s[4:5], exec
	s_and_b64 s[8:9], vcc, exec
	v_mov_b32_e32 v12, 0
	s_or_b64 s[4:5], s[4:5], s[8:9]
	s_or_b64 exec, exec, s[6:7]
	s_and_saveexec_b64 s[6:7], s[4:5]
	s_cbranch_execz .LBB1_35337
; %bb.63507:
	s_getpc_b64 s[14:15]
.Lpost_getpc17417:
	s_add_u32 s14, s14, (.LBB1_13331-.Lpost_getpc17417)&4294967295
	s_addc_u32 s15, s15, (.LBB1_13331-.Lpost_getpc17417)>>32
	s_setpc_b64 s[14:15]
.LBB1_35337:
	s_getpc_b64 s[14:15]
.Lpost_getpc3332:
	s_add_u32 s14, s14, (.LBB1_13332-.Lpost_getpc3332)&4294967295
	s_addc_u32 s15, s15, (.LBB1_13332-.Lpost_getpc3332)>>32
	s_setpc_b64 s[14:15]
.LBB1_27669:
	s_movk_i32 s4, 0x80
	v_cmp_eq_u16_e32 vcc, s4, v13
	s_mov_b64 s[4:5], -1
                                        ; implicit-def: $sgpr10
	s_and_saveexec_b64 s[8:9], vcc
; %bb.27670:
	s_mov_b32 s10, 0x7f800001
	s_xor_b64 s[4:5], exec, -1
; %bb.27671:
	s_or_b64 exec, exec, s[8:9]
	s_and_b64 s[4:5], s[4:5], exec
                                        ; implicit-def: $vgpr13
	s_or_saveexec_b64 s[6:7], s[6:7]
	v_mov_b32_e32 v14, s10
	s_xor_b64 exec, exec, s[6:7]
	s_cbranch_execnz .LBB1_27672
; %bb.63509:
	s_getpc_b64 s[14:15]
.Lpost_getpc17418:
	s_add_u32 s14, s14, (.LBB1_13334-.Lpost_getpc17418)&4294967295
	s_addc_u32 s15, s15, (.LBB1_13334-.Lpost_getpc17418)>>32
	s_setpc_b64 s[14:15]
.LBB1_27672:
	v_cmp_ne_u16_e32 vcc, 0, v13
	s_andn2_b64 s[4:5], s[4:5], exec
	s_and_b64 s[8:9], vcc, exec
	v_mov_b32_e32 v14, 0
	s_or_b64 s[4:5], s[4:5], s[8:9]
	s_or_b64 exec, exec, s[6:7]
	s_and_saveexec_b64 s[6:7], s[4:5]
	s_cbranch_execz .LBB1_35339
; %bb.63511:
	s_getpc_b64 s[14:15]
.Lpost_getpc17419:
	s_add_u32 s14, s14, (.LBB1_13335-.Lpost_getpc17419)&4294967295
	s_addc_u32 s15, s15, (.LBB1_13335-.Lpost_getpc17419)>>32
	s_setpc_b64 s[14:15]
.LBB1_35339:
	s_getpc_b64 s[14:15]
.Lpost_getpc3333:
	s_add_u32 s14, s14, (.LBB1_13336-.Lpost_getpc3333)&4294967295
	s_addc_u32 s15, s15, (.LBB1_13336-.Lpost_getpc3333)>>32
	s_setpc_b64 s[14:15]
.LBB1_27673:
	s_movk_i32 s4, 0x80
	v_cmp_eq_u16_sdwa s[12:13], v6, s4 src0_sel:BYTE_3 src1_sel:DWORD
	s_mov_b64 s[4:5], -1
                                        ; implicit-def: $sgpr10
	s_and_saveexec_b64 s[8:9], s[12:13]
; %bb.27674:
	s_mov_b32 s10, 0x7f800001
	s_xor_b64 s[4:5], exec, -1
; %bb.27675:
	s_or_b64 exec, exec, s[8:9]
	s_and_b64 s[4:5], s[4:5], exec
	s_or_saveexec_b64 s[6:7], s[6:7]
	v_mov_b32_e32 v12, s10
	s_xor_b64 exec, exec, s[6:7]
	s_cbranch_execnz .LBB1_27676
; %bb.63513:
	s_getpc_b64 s[14:15]
.Lpost_getpc17420:
	s_add_u32 s14, s14, (.LBB1_13338-.Lpost_getpc17420)&4294967295
	s_addc_u32 s15, s15, (.LBB1_13338-.Lpost_getpc17420)>>32
	s_setpc_b64 s[14:15]
.LBB1_27676:
	v_mov_b32_e32 v12, 0
	v_cmp_ne_u16_sdwa s[8:9], v6, v12 src0_sel:BYTE_3 src1_sel:DWORD
	s_andn2_b64 s[4:5], s[4:5], exec
	s_and_b64 s[8:9], s[8:9], exec
	s_or_b64 s[4:5], s[4:5], s[8:9]
	s_or_b64 exec, exec, s[6:7]
	s_and_saveexec_b64 s[6:7], s[4:5]
	s_cbranch_execz .LBB1_35341
; %bb.63515:
	s_getpc_b64 s[14:15]
.Lpost_getpc17421:
	s_add_u32 s14, s14, (.LBB1_13339-.Lpost_getpc17421)&4294967295
	s_addc_u32 s15, s15, (.LBB1_13339-.Lpost_getpc17421)>>32
	s_setpc_b64 s[14:15]
.LBB1_35341:
	s_getpc_b64 s[14:15]
.Lpost_getpc3334:
	s_add_u32 s14, s14, (.LBB1_13340-.Lpost_getpc3334)&4294967295
	s_addc_u32 s15, s15, (.LBB1_13340-.Lpost_getpc3334)>>32
	s_setpc_b64 s[14:15]
.LBB1_27677:
	s_movk_i32 s4, 0x80
	v_cmp_eq_u16_sdwa s[12:13], v2, s4 src0_sel:BYTE_3 src1_sel:DWORD
	s_mov_b64 s[4:5], -1
                                        ; implicit-def: $sgpr10
	s_and_saveexec_b64 s[8:9], s[12:13]
; %bb.27678:
	s_mov_b32 s10, 0x7f800001
	s_xor_b64 s[4:5], exec, -1
; %bb.27679:
	s_or_b64 exec, exec, s[8:9]
	s_and_b64 s[4:5], s[4:5], exec
	s_or_saveexec_b64 s[6:7], s[6:7]
	v_mov_b32_e32 v6, s10
	s_xor_b64 exec, exec, s[6:7]
	s_cbranch_execnz .LBB1_27680
; %bb.63517:
	s_getpc_b64 s[14:15]
.Lpost_getpc17422:
	s_add_u32 s14, s14, (.LBB1_13342-.Lpost_getpc17422)&4294967295
	s_addc_u32 s15, s15, (.LBB1_13342-.Lpost_getpc17422)>>32
	s_setpc_b64 s[14:15]
.LBB1_27680:
	v_mov_b32_e32 v6, 0
	v_cmp_ne_u16_sdwa s[8:9], v2, v6 src0_sel:BYTE_3 src1_sel:DWORD
	s_andn2_b64 s[4:5], s[4:5], exec
	s_and_b64 s[8:9], s[8:9], exec
	s_or_b64 s[4:5], s[4:5], s[8:9]
	s_or_b64 exec, exec, s[6:7]
	s_and_saveexec_b64 s[6:7], s[4:5]
	s_cbranch_execz .LBB1_35343
; %bb.63519:
	s_getpc_b64 s[14:15]
.Lpost_getpc17423:
	s_add_u32 s14, s14, (.LBB1_13343-.Lpost_getpc17423)&4294967295
	s_addc_u32 s15, s15, (.LBB1_13343-.Lpost_getpc17423)>>32
	s_setpc_b64 s[14:15]
.LBB1_35343:
	s_getpc_b64 s[14:15]
.Lpost_getpc3335:
	s_add_u32 s14, s14, (.LBB1_13344-.Lpost_getpc3335)&4294967295
	s_addc_u32 s15, s15, (.LBB1_13344-.Lpost_getpc3335)>>32
	s_setpc_b64 s[14:15]
.LBB1_27681:
	s_movk_i32 s4, 0x80
	v_cmp_eq_u16_sdwa s[12:13], v7, s4 src0_sel:BYTE_0 src1_sel:DWORD
	s_mov_b64 s[4:5], -1
                                        ; implicit-def: $sgpr10
	s_and_saveexec_b64 s[8:9], s[12:13]
; %bb.27682:
	s_mov_b32 s10, 0x7f800001
	s_xor_b64 s[4:5], exec, -1
; %bb.27683:
	s_or_b64 exec, exec, s[8:9]
	s_and_b64 s[4:5], s[4:5], exec
	s_or_saveexec_b64 s[6:7], s[6:7]
	v_mov_b32_e32 v2, s10
	s_xor_b64 exec, exec, s[6:7]
	s_cbranch_execnz .LBB1_27684
; %bb.63521:
	s_getpc_b64 s[14:15]
.Lpost_getpc17424:
	s_add_u32 s14, s14, (.LBB1_13346-.Lpost_getpc17424)&4294967295
	s_addc_u32 s15, s15, (.LBB1_13346-.Lpost_getpc17424)>>32
	s_setpc_b64 s[14:15]
.LBB1_27684:
	v_mov_b32_e32 v2, 0
	v_cmp_ne_u16_sdwa s[8:9], v7, v2 src0_sel:BYTE_0 src1_sel:DWORD
	s_andn2_b64 s[4:5], s[4:5], exec
	s_and_b64 s[8:9], s[8:9], exec
	s_or_b64 s[4:5], s[4:5], s[8:9]
	s_or_b64 exec, exec, s[6:7]
	s_and_saveexec_b64 s[6:7], s[4:5]
	s_cbranch_execz .LBB1_35345
; %bb.63523:
	s_getpc_b64 s[14:15]
.Lpost_getpc17425:
	s_add_u32 s14, s14, (.LBB1_13347-.Lpost_getpc17425)&4294967295
	s_addc_u32 s15, s15, (.LBB1_13347-.Lpost_getpc17425)>>32
	s_setpc_b64 s[14:15]
.LBB1_35345:
	s_getpc_b64 s[14:15]
.Lpost_getpc3336:
	s_add_u32 s14, s14, (.LBB1_13348-.Lpost_getpc3336)&4294967295
	s_addc_u32 s15, s15, (.LBB1_13348-.Lpost_getpc3336)>>32
	s_setpc_b64 s[14:15]
.LBB1_27685:
	s_movk_i32 s4, 0x80
	v_cmp_eq_u16_sdwa s[12:13], v3, s4 src0_sel:BYTE_0 src1_sel:DWORD
	s_mov_b64 s[4:5], -1
                                        ; implicit-def: $sgpr10
	s_and_saveexec_b64 s[8:9], s[12:13]
; %bb.27686:
	s_mov_b32 s10, 0x7f800001
	s_xor_b64 s[4:5], exec, -1
; %bb.27687:
	s_or_b64 exec, exec, s[8:9]
	s_and_b64 s[4:5], s[4:5], exec
	s_or_saveexec_b64 s[6:7], s[6:7]
	v_mov_b32_e32 v6, s10
	s_xor_b64 exec, exec, s[6:7]
	s_cbranch_execnz .LBB1_27688
; %bb.63525:
	s_getpc_b64 s[14:15]
.Lpost_getpc17426:
	s_add_u32 s14, s14, (.LBB1_13350-.Lpost_getpc17426)&4294967295
	s_addc_u32 s15, s15, (.LBB1_13350-.Lpost_getpc17426)>>32
	s_setpc_b64 s[14:15]
.LBB1_27688:
	v_mov_b32_e32 v6, 0
	v_cmp_ne_u16_sdwa s[8:9], v3, v6 src0_sel:BYTE_0 src1_sel:DWORD
	s_andn2_b64 s[4:5], s[4:5], exec
	s_and_b64 s[8:9], s[8:9], exec
	s_or_b64 s[4:5], s[4:5], s[8:9]
	s_or_b64 exec, exec, s[6:7]
	s_and_saveexec_b64 s[6:7], s[4:5]
	s_cbranch_execz .LBB1_35347
; %bb.63527:
	s_getpc_b64 s[14:15]
.Lpost_getpc17427:
	s_add_u32 s14, s14, (.LBB1_13351-.Lpost_getpc17427)&4294967295
	s_addc_u32 s15, s15, (.LBB1_13351-.Lpost_getpc17427)>>32
	s_setpc_b64 s[14:15]
.LBB1_35347:
	s_getpc_b64 s[14:15]
.Lpost_getpc3337:
	s_add_u32 s14, s14, (.LBB1_13352-.Lpost_getpc3337)&4294967295
	s_addc_u32 s15, s15, (.LBB1_13352-.Lpost_getpc3337)>>32
	s_setpc_b64 s[14:15]
.LBB1_27689:
	s_movk_i32 s4, 0x80
	v_cmp_eq_u16_sdwa s[12:13], v6, s4 src0_sel:BYTE_0 src1_sel:DWORD
	s_mov_b64 s[4:5], -1
                                        ; implicit-def: $sgpr10
	s_and_saveexec_b64 s[8:9], s[12:13]
; %bb.27690:
	s_mov_b32 s10, 0x7f800001
	s_xor_b64 s[4:5], exec, -1
; %bb.27691:
	s_or_b64 exec, exec, s[8:9]
	s_and_b64 s[4:5], s[4:5], exec
	s_or_saveexec_b64 s[6:7], s[6:7]
	v_mov_b32_e32 v2, s10
	s_xor_b64 exec, exec, s[6:7]
	s_cbranch_execnz .LBB1_27692
; %bb.63529:
	s_getpc_b64 s[14:15]
.Lpost_getpc17428:
	s_add_u32 s14, s14, (.LBB1_13354-.Lpost_getpc17428)&4294967295
	s_addc_u32 s15, s15, (.LBB1_13354-.Lpost_getpc17428)>>32
	s_setpc_b64 s[14:15]
.LBB1_27692:
	v_mov_b32_e32 v2, 0
	v_cmp_ne_u16_sdwa s[8:9], v6, v2 src0_sel:BYTE_0 src1_sel:DWORD
	s_andn2_b64 s[4:5], s[4:5], exec
	s_and_b64 s[8:9], s[8:9], exec
	s_or_b64 s[4:5], s[4:5], s[8:9]
	s_or_b64 exec, exec, s[6:7]
	s_and_saveexec_b64 s[6:7], s[4:5]
	s_cbranch_execz .LBB1_35349
; %bb.63531:
	s_getpc_b64 s[14:15]
.Lpost_getpc17429:
	s_add_u32 s14, s14, (.LBB1_13355-.Lpost_getpc17429)&4294967295
	s_addc_u32 s15, s15, (.LBB1_13355-.Lpost_getpc17429)>>32
	s_setpc_b64 s[14:15]
.LBB1_35349:
	s_getpc_b64 s[14:15]
.Lpost_getpc3338:
	s_add_u32 s14, s14, (.LBB1_13356-.Lpost_getpc3338)&4294967295
	s_addc_u32 s15, s15, (.LBB1_13356-.Lpost_getpc3338)>>32
	s_setpc_b64 s[14:15]
.LBB1_27693:
	s_movk_i32 s4, 0x80
	v_cmp_eq_u16_sdwa s[12:13], v6, s4 src0_sel:BYTE_0 src1_sel:DWORD
	s_mov_b64 s[4:5], -1
                                        ; implicit-def: $sgpr10
	s_and_saveexec_b64 s[8:9], s[12:13]
; %bb.27694:
	s_mov_b32 s10, 0x7f800001
	s_xor_b64 s[4:5], exec, -1
; %bb.27695:
	s_or_b64 exec, exec, s[8:9]
	s_and_b64 s[4:5], s[4:5], exec
	s_or_saveexec_b64 s[6:7], s[6:7]
	v_mov_b32_e32 v12, s10
	s_xor_b64 exec, exec, s[6:7]
	s_cbranch_execnz .LBB1_27696
; %bb.63533:
	s_getpc_b64 s[14:15]
.Lpost_getpc17430:
	s_add_u32 s14, s14, (.LBB1_13358-.Lpost_getpc17430)&4294967295
	s_addc_u32 s15, s15, (.LBB1_13358-.Lpost_getpc17430)>>32
	s_setpc_b64 s[14:15]
.LBB1_27696:
	v_mov_b32_e32 v12, 0
	v_cmp_ne_u16_sdwa s[8:9], v6, v12 src0_sel:BYTE_0 src1_sel:DWORD
	s_andn2_b64 s[4:5], s[4:5], exec
	s_and_b64 s[8:9], s[8:9], exec
	s_or_b64 s[4:5], s[4:5], s[8:9]
	s_or_b64 exec, exec, s[6:7]
	s_and_saveexec_b64 s[6:7], s[4:5]
	s_cbranch_execz .LBB1_35351
; %bb.63535:
	s_getpc_b64 s[14:15]
.Lpost_getpc17431:
	s_add_u32 s14, s14, (.LBB1_13359-.Lpost_getpc17431)&4294967295
	s_addc_u32 s15, s15, (.LBB1_13359-.Lpost_getpc17431)>>32
	s_setpc_b64 s[14:15]
.LBB1_35351:
	s_getpc_b64 s[14:15]
.Lpost_getpc3339:
	s_add_u32 s14, s14, (.LBB1_13360-.Lpost_getpc3339)&4294967295
	s_addc_u32 s15, s15, (.LBB1_13360-.Lpost_getpc3339)>>32
	s_setpc_b64 s[14:15]
.LBB1_27697:
	s_movk_i32 s4, 0x80
	v_cmp_eq_u16_e32 vcc, s4, v6
	s_mov_b64 s[4:5], -1
                                        ; implicit-def: $sgpr10
	s_and_saveexec_b64 s[8:9], vcc
; %bb.27698:
	s_mov_b32 s10, 0x7f800001
	s_xor_b64 s[4:5], exec, -1
; %bb.27699:
	s_or_b64 exec, exec, s[8:9]
	s_and_b64 s[4:5], s[4:5], exec
                                        ; implicit-def: $vgpr6
	s_or_saveexec_b64 s[6:7], s[6:7]
	v_mov_b32_e32 v2, s10
	s_xor_b64 exec, exec, s[6:7]
	s_cbranch_execnz .LBB1_27700
; %bb.63537:
	s_getpc_b64 s[14:15]
.Lpost_getpc17432:
	s_add_u32 s14, s14, (.LBB1_13362-.Lpost_getpc17432)&4294967295
	s_addc_u32 s15, s15, (.LBB1_13362-.Lpost_getpc17432)>>32
	s_setpc_b64 s[14:15]
.LBB1_27700:
	v_cmp_ne_u16_e32 vcc, 0, v6
	s_andn2_b64 s[4:5], s[4:5], exec
	s_and_b64 s[8:9], vcc, exec
	v_mov_b32_e32 v2, 0
	s_or_b64 s[4:5], s[4:5], s[8:9]
	s_or_b64 exec, exec, s[6:7]
	s_and_saveexec_b64 s[6:7], s[4:5]
	s_cbranch_execz .LBB1_35353
; %bb.63539:
	s_getpc_b64 s[14:15]
.Lpost_getpc17433:
	s_add_u32 s14, s14, (.LBB1_13363-.Lpost_getpc17433)&4294967295
	s_addc_u32 s15, s15, (.LBB1_13363-.Lpost_getpc17433)>>32
	s_setpc_b64 s[14:15]
.LBB1_35353:
	s_getpc_b64 s[14:15]
.Lpost_getpc3340:
	s_add_u32 s14, s14, (.LBB1_13364-.Lpost_getpc3340)&4294967295
	s_addc_u32 s15, s15, (.LBB1_13364-.Lpost_getpc3340)>>32
	s_setpc_b64 s[14:15]
.LBB1_27701:
	s_movk_i32 s4, 0x80
	v_cmp_eq_u16_e32 vcc, s4, v6
	s_mov_b64 s[4:5], -1
                                        ; implicit-def: $sgpr10
	s_and_saveexec_b64 s[8:9], vcc
; %bb.27702:
	s_mov_b32 s10, 0x7f800001
	s_xor_b64 s[4:5], exec, -1
; %bb.27703:
	s_or_b64 exec, exec, s[8:9]
	s_and_b64 s[4:5], s[4:5], exec
                                        ; implicit-def: $vgpr6
	s_or_saveexec_b64 s[6:7], s[6:7]
	v_mov_b32_e32 v12, s10
	s_xor_b64 exec, exec, s[6:7]
	s_cbranch_execnz .LBB1_27704
; %bb.63541:
	s_getpc_b64 s[14:15]
.Lpost_getpc17434:
	s_add_u32 s14, s14, (.LBB1_13366-.Lpost_getpc17434)&4294967295
	s_addc_u32 s15, s15, (.LBB1_13366-.Lpost_getpc17434)>>32
	s_setpc_b64 s[14:15]
.LBB1_27704:
	v_cmp_ne_u16_e32 vcc, 0, v6
	s_andn2_b64 s[4:5], s[4:5], exec
	s_and_b64 s[8:9], vcc, exec
	v_mov_b32_e32 v12, 0
	s_or_b64 s[4:5], s[4:5], s[8:9]
	s_or_b64 exec, exec, s[6:7]
	s_and_saveexec_b64 s[6:7], s[4:5]
	s_cbranch_execz .LBB1_35355
; %bb.63543:
	s_getpc_b64 s[14:15]
.Lpost_getpc17435:
	s_add_u32 s14, s14, (.LBB1_13367-.Lpost_getpc17435)&4294967295
	s_addc_u32 s15, s15, (.LBB1_13367-.Lpost_getpc17435)>>32
	s_setpc_b64 s[14:15]
.LBB1_35355:
	s_getpc_b64 s[14:15]
.Lpost_getpc3341:
	s_add_u32 s14, s14, (.LBB1_13368-.Lpost_getpc3341)&4294967295
	s_addc_u32 s15, s15, (.LBB1_13368-.Lpost_getpc3341)>>32
	s_setpc_b64 s[14:15]
.LBB1_27705:
	s_movk_i32 s4, 0x80
	v_cmp_eq_u16_sdwa s[12:13], v7, s4 src0_sel:BYTE_3 src1_sel:DWORD
	s_mov_b64 s[4:5], -1
                                        ; implicit-def: $sgpr10
	s_and_saveexec_b64 s[8:9], s[12:13]
; %bb.27706:
	s_mov_b32 s10, 0x7f800001
	s_xor_b64 s[4:5], exec, -1
; %bb.27707:
	s_or_b64 exec, exec, s[8:9]
	s_and_b64 s[4:5], s[4:5], exec
	s_or_saveexec_b64 s[6:7], s[6:7]
	v_mov_b32_e32 v2, s10
	s_xor_b64 exec, exec, s[6:7]
	s_cbranch_execnz .LBB1_27708
; %bb.63545:
	s_getpc_b64 s[14:15]
.Lpost_getpc17436:
	s_add_u32 s14, s14, (.LBB1_13370-.Lpost_getpc17436)&4294967295
	s_addc_u32 s15, s15, (.LBB1_13370-.Lpost_getpc17436)>>32
	s_setpc_b64 s[14:15]
.LBB1_27708:
	v_mov_b32_e32 v2, 0
	v_cmp_ne_u16_sdwa s[8:9], v7, v2 src0_sel:BYTE_3 src1_sel:DWORD
	s_andn2_b64 s[4:5], s[4:5], exec
	s_and_b64 s[8:9], s[8:9], exec
	s_or_b64 s[4:5], s[4:5], s[8:9]
	s_or_b64 exec, exec, s[6:7]
	s_and_saveexec_b64 s[6:7], s[4:5]
	s_cbranch_execz .LBB1_35357
; %bb.63547:
	s_getpc_b64 s[14:15]
.Lpost_getpc17437:
	s_add_u32 s14, s14, (.LBB1_13371-.Lpost_getpc17437)&4294967295
	s_addc_u32 s15, s15, (.LBB1_13371-.Lpost_getpc17437)>>32
	s_setpc_b64 s[14:15]
.LBB1_35357:
	s_getpc_b64 s[14:15]
.Lpost_getpc3342:
	s_add_u32 s14, s14, (.LBB1_13372-.Lpost_getpc3342)&4294967295
	s_addc_u32 s15, s15, (.LBB1_13372-.Lpost_getpc3342)>>32
	s_setpc_b64 s[14:15]
.LBB1_27709:
	s_movk_i32 s4, 0x80
	v_cmp_eq_u16_sdwa s[12:13], v3, s4 src0_sel:BYTE_3 src1_sel:DWORD
	s_mov_b64 s[4:5], -1
                                        ; implicit-def: $sgpr10
	s_and_saveexec_b64 s[8:9], s[12:13]
; %bb.27710:
	s_mov_b32 s10, 0x7f800001
	s_xor_b64 s[4:5], exec, -1
; %bb.27711:
	s_or_b64 exec, exec, s[8:9]
	s_and_b64 s[4:5], s[4:5], exec
	s_or_saveexec_b64 s[6:7], s[6:7]
	v_mov_b32_e32 v6, s10
	s_xor_b64 exec, exec, s[6:7]
	s_cbranch_execnz .LBB1_27712
; %bb.63549:
	s_getpc_b64 s[14:15]
.Lpost_getpc17438:
	s_add_u32 s14, s14, (.LBB1_13374-.Lpost_getpc17438)&4294967295
	s_addc_u32 s15, s15, (.LBB1_13374-.Lpost_getpc17438)>>32
	s_setpc_b64 s[14:15]
.LBB1_27712:
	v_mov_b32_e32 v6, 0
	v_cmp_ne_u16_sdwa s[8:9], v3, v6 src0_sel:BYTE_3 src1_sel:DWORD
	s_andn2_b64 s[4:5], s[4:5], exec
	s_and_b64 s[8:9], s[8:9], exec
	s_or_b64 s[4:5], s[4:5], s[8:9]
	s_or_b64 exec, exec, s[6:7]
	s_and_saveexec_b64 s[6:7], s[4:5]
	s_cbranch_execz .LBB1_35359
; %bb.63551:
	s_getpc_b64 s[14:15]
.Lpost_getpc17439:
	s_add_u32 s14, s14, (.LBB1_13375-.Lpost_getpc17439)&4294967295
	s_addc_u32 s15, s15, (.LBB1_13375-.Lpost_getpc17439)>>32
	s_setpc_b64 s[14:15]
.LBB1_35359:
	s_getpc_b64 s[14:15]
.Lpost_getpc3343:
	s_add_u32 s14, s14, (.LBB1_13376-.Lpost_getpc3343)&4294967295
	s_addc_u32 s15, s15, (.LBB1_13376-.Lpost_getpc3343)>>32
	s_setpc_b64 s[14:15]
.LBB1_27713:
	s_movk_i32 s4, 0x80
	v_cmp_eq_u16_sdwa s[12:13], v8, s4 src0_sel:BYTE_0 src1_sel:DWORD
	s_mov_b64 s[4:5], -1
                                        ; implicit-def: $sgpr10
	s_and_saveexec_b64 s[8:9], s[12:13]
; %bb.27714:
	s_mov_b32 s10, 0x7f800001
	s_xor_b64 s[4:5], exec, -1
; %bb.27715:
	s_or_b64 exec, exec, s[8:9]
	s_and_b64 s[4:5], s[4:5], exec
	s_or_saveexec_b64 s[6:7], s[6:7]
	v_mov_b32_e32 v2, s10
	s_xor_b64 exec, exec, s[6:7]
	s_cbranch_execnz .LBB1_27716
; %bb.63553:
	s_getpc_b64 s[14:15]
.Lpost_getpc17440:
	s_add_u32 s14, s14, (.LBB1_13378-.Lpost_getpc17440)&4294967295
	s_addc_u32 s15, s15, (.LBB1_13378-.Lpost_getpc17440)>>32
	s_setpc_b64 s[14:15]
.LBB1_27716:
	v_mov_b32_e32 v2, 0
	v_cmp_ne_u16_sdwa s[8:9], v8, v2 src0_sel:BYTE_0 src1_sel:DWORD
	s_andn2_b64 s[4:5], s[4:5], exec
	s_and_b64 s[8:9], s[8:9], exec
	s_or_b64 s[4:5], s[4:5], s[8:9]
	s_or_b64 exec, exec, s[6:7]
	s_and_saveexec_b64 s[6:7], s[4:5]
	s_cbranch_execz .LBB1_35361
; %bb.63555:
	s_getpc_b64 s[14:15]
.Lpost_getpc17441:
	s_add_u32 s14, s14, (.LBB1_13379-.Lpost_getpc17441)&4294967295
	s_addc_u32 s15, s15, (.LBB1_13379-.Lpost_getpc17441)>>32
	s_setpc_b64 s[14:15]
.LBB1_35361:
	s_getpc_b64 s[14:15]
.Lpost_getpc3344:
	s_add_u32 s14, s14, (.LBB1_13380-.Lpost_getpc3344)&4294967295
	s_addc_u32 s15, s15, (.LBB1_13380-.Lpost_getpc3344)>>32
	s_setpc_b64 s[14:15]
.LBB1_27717:
	s_movk_i32 s4, 0x80
	v_cmp_eq_u16_sdwa s[12:13], v4, s4 src0_sel:BYTE_0 src1_sel:DWORD
	s_mov_b64 s[4:5], -1
                                        ; implicit-def: $sgpr10
	s_and_saveexec_b64 s[8:9], s[12:13]
; %bb.27718:
	s_mov_b32 s10, 0x7f800001
	s_xor_b64 s[4:5], exec, -1
; %bb.27719:
	s_or_b64 exec, exec, s[8:9]
	s_and_b64 s[4:5], s[4:5], exec
	s_or_saveexec_b64 s[6:7], s[6:7]
	v_mov_b32_e32 v3, s10
	s_xor_b64 exec, exec, s[6:7]
	s_cbranch_execnz .LBB1_27720
; %bb.63557:
	s_getpc_b64 s[14:15]
.Lpost_getpc17442:
	s_add_u32 s14, s14, (.LBB1_13382-.Lpost_getpc17442)&4294967295
	s_addc_u32 s15, s15, (.LBB1_13382-.Lpost_getpc17442)>>32
	s_setpc_b64 s[14:15]
.LBB1_27720:
	v_mov_b32_e32 v3, 0
	v_cmp_ne_u16_sdwa s[8:9], v4, v3 src0_sel:BYTE_0 src1_sel:DWORD
	s_andn2_b64 s[4:5], s[4:5], exec
	s_and_b64 s[8:9], s[8:9], exec
	s_or_b64 s[4:5], s[4:5], s[8:9]
	s_or_b64 exec, exec, s[6:7]
	s_and_saveexec_b64 s[6:7], s[4:5]
	s_cbranch_execz .LBB1_35363
; %bb.63559:
	s_getpc_b64 s[14:15]
.Lpost_getpc17443:
	s_add_u32 s14, s14, (.LBB1_13383-.Lpost_getpc17443)&4294967295
	s_addc_u32 s15, s15, (.LBB1_13383-.Lpost_getpc17443)>>32
	s_setpc_b64 s[14:15]
.LBB1_35363:
	s_getpc_b64 s[14:15]
.Lpost_getpc3345:
	s_add_u32 s14, s14, (.LBB1_13384-.Lpost_getpc3345)&4294967295
	s_addc_u32 s15, s15, (.LBB1_13384-.Lpost_getpc3345)>>32
	s_setpc_b64 s[14:15]
.LBB1_27721:
	s_movk_i32 s4, 0x80
	v_cmp_eq_u16_sdwa s[12:13], v3, s4 src0_sel:BYTE_0 src1_sel:DWORD
	s_mov_b64 s[4:5], -1
                                        ; implicit-def: $sgpr10
	s_and_saveexec_b64 s[8:9], s[12:13]
; %bb.27722:
	s_mov_b32 s10, 0x7f800001
	s_xor_b64 s[4:5], exec, -1
; %bb.27723:
	s_or_b64 exec, exec, s[8:9]
	s_and_b64 s[4:5], s[4:5], exec
	s_or_saveexec_b64 s[6:7], s[6:7]
	v_mov_b32_e32 v2, s10
	s_xor_b64 exec, exec, s[6:7]
	s_cbranch_execnz .LBB1_27724
; %bb.63561:
	s_getpc_b64 s[14:15]
.Lpost_getpc17444:
	s_add_u32 s14, s14, (.LBB1_13386-.Lpost_getpc17444)&4294967295
	s_addc_u32 s15, s15, (.LBB1_13386-.Lpost_getpc17444)>>32
	s_setpc_b64 s[14:15]
.LBB1_27724:
	v_mov_b32_e32 v2, 0
	v_cmp_ne_u16_sdwa s[8:9], v3, v2 src0_sel:BYTE_0 src1_sel:DWORD
	s_andn2_b64 s[4:5], s[4:5], exec
	s_and_b64 s[8:9], s[8:9], exec
	s_or_b64 s[4:5], s[4:5], s[8:9]
	s_or_b64 exec, exec, s[6:7]
	s_and_saveexec_b64 s[6:7], s[4:5]
	s_cbranch_execz .LBB1_35365
; %bb.63563:
	s_getpc_b64 s[14:15]
.Lpost_getpc17445:
	s_add_u32 s14, s14, (.LBB1_13387-.Lpost_getpc17445)&4294967295
	s_addc_u32 s15, s15, (.LBB1_13387-.Lpost_getpc17445)>>32
	s_setpc_b64 s[14:15]
.LBB1_35365:
	s_getpc_b64 s[14:15]
.Lpost_getpc3346:
	s_add_u32 s14, s14, (.LBB1_13388-.Lpost_getpc3346)&4294967295
	s_addc_u32 s15, s15, (.LBB1_13388-.Lpost_getpc3346)>>32
	s_setpc_b64 s[14:15]
.LBB1_27725:
	s_movk_i32 s4, 0x80
	v_cmp_eq_u16_sdwa s[12:13], v3, s4 src0_sel:BYTE_0 src1_sel:DWORD
	s_mov_b64 s[4:5], -1
                                        ; implicit-def: $sgpr10
	s_and_saveexec_b64 s[8:9], s[12:13]
; %bb.27726:
	s_mov_b32 s10, 0x7f800001
	s_xor_b64 s[4:5], exec, -1
; %bb.27727:
	s_or_b64 exec, exec, s[8:9]
	s_and_b64 s[4:5], s[4:5], exec
	s_or_saveexec_b64 s[6:7], s[6:7]
	v_mov_b32_e32 v6, s10
	s_xor_b64 exec, exec, s[6:7]
	s_cbranch_execnz .LBB1_27728
; %bb.63565:
	s_getpc_b64 s[14:15]
.Lpost_getpc17446:
	s_add_u32 s14, s14, (.LBB1_13390-.Lpost_getpc17446)&4294967295
	s_addc_u32 s15, s15, (.LBB1_13390-.Lpost_getpc17446)>>32
	s_setpc_b64 s[14:15]
.LBB1_27728:
	v_mov_b32_e32 v6, 0
	v_cmp_ne_u16_sdwa s[8:9], v3, v6 src0_sel:BYTE_0 src1_sel:DWORD
	s_andn2_b64 s[4:5], s[4:5], exec
	s_and_b64 s[8:9], s[8:9], exec
	s_or_b64 s[4:5], s[4:5], s[8:9]
	s_or_b64 exec, exec, s[6:7]
	s_and_saveexec_b64 s[6:7], s[4:5]
	s_cbranch_execz .LBB1_35367
; %bb.63567:
	s_getpc_b64 s[14:15]
.Lpost_getpc17447:
	s_add_u32 s14, s14, (.LBB1_13391-.Lpost_getpc17447)&4294967295
	s_addc_u32 s15, s15, (.LBB1_13391-.Lpost_getpc17447)>>32
	s_setpc_b64 s[14:15]
.LBB1_35367:
	s_getpc_b64 s[14:15]
.Lpost_getpc3347:
	s_add_u32 s14, s14, (.LBB1_13392-.Lpost_getpc3347)&4294967295
	s_addc_u32 s15, s15, (.LBB1_13392-.Lpost_getpc3347)>>32
	s_setpc_b64 s[14:15]
.LBB1_27729:
	s_movk_i32 s4, 0x80
	v_cmp_eq_u16_e32 vcc, s4, v3
	s_mov_b64 s[4:5], -1
                                        ; implicit-def: $sgpr10
	s_and_saveexec_b64 s[8:9], vcc
; %bb.27730:
	s_mov_b32 s10, 0x7f800001
	s_xor_b64 s[4:5], exec, -1
; %bb.27731:
	s_or_b64 exec, exec, s[8:9]
	s_and_b64 s[4:5], s[4:5], exec
                                        ; implicit-def: $vgpr3
	s_or_saveexec_b64 s[6:7], s[6:7]
	v_mov_b32_e32 v2, s10
	s_xor_b64 exec, exec, s[6:7]
	s_cbranch_execnz .LBB1_27732
; %bb.63569:
	s_getpc_b64 s[14:15]
.Lpost_getpc17448:
	s_add_u32 s14, s14, (.LBB1_13394-.Lpost_getpc17448)&4294967295
	s_addc_u32 s15, s15, (.LBB1_13394-.Lpost_getpc17448)>>32
	s_setpc_b64 s[14:15]
.LBB1_27732:
	v_cmp_ne_u16_e32 vcc, 0, v3
	s_andn2_b64 s[4:5], s[4:5], exec
	s_and_b64 s[8:9], vcc, exec
	v_mov_b32_e32 v2, 0
	s_or_b64 s[4:5], s[4:5], s[8:9]
	s_or_b64 exec, exec, s[6:7]
	s_and_saveexec_b64 s[6:7], s[4:5]
	s_cbranch_execz .LBB1_35369
; %bb.63571:
	s_getpc_b64 s[14:15]
.Lpost_getpc17449:
	s_add_u32 s14, s14, (.LBB1_13395-.Lpost_getpc17449)&4294967295
	s_addc_u32 s15, s15, (.LBB1_13395-.Lpost_getpc17449)>>32
	s_setpc_b64 s[14:15]
.LBB1_35369:
	s_getpc_b64 s[14:15]
.Lpost_getpc3348:
	s_add_u32 s14, s14, (.LBB1_13396-.Lpost_getpc3348)&4294967295
	s_addc_u32 s15, s15, (.LBB1_13396-.Lpost_getpc3348)>>32
	s_setpc_b64 s[14:15]
.LBB1_27733:
	s_movk_i32 s4, 0x80
	v_cmp_eq_u16_e32 vcc, s4, v3
	s_mov_b64 s[4:5], -1
                                        ; implicit-def: $sgpr10
	s_and_saveexec_b64 s[8:9], vcc
; %bb.27734:
	s_mov_b32 s10, 0x7f800001
	s_xor_b64 s[4:5], exec, -1
; %bb.27735:
	s_or_b64 exec, exec, s[8:9]
	s_and_b64 s[4:5], s[4:5], exec
                                        ; implicit-def: $vgpr3
	s_or_saveexec_b64 s[6:7], s[6:7]
	v_mov_b32_e32 v6, s10
	s_xor_b64 exec, exec, s[6:7]
	s_cbranch_execnz .LBB1_27736
; %bb.63573:
	s_getpc_b64 s[14:15]
.Lpost_getpc17450:
	s_add_u32 s14, s14, (.LBB1_13398-.Lpost_getpc17450)&4294967295
	s_addc_u32 s15, s15, (.LBB1_13398-.Lpost_getpc17450)>>32
	s_setpc_b64 s[14:15]
.LBB1_27736:
	v_cmp_ne_u16_e32 vcc, 0, v3
	s_andn2_b64 s[4:5], s[4:5], exec
	s_and_b64 s[8:9], vcc, exec
	v_mov_b32_e32 v6, 0
	s_or_b64 s[4:5], s[4:5], s[8:9]
	s_or_b64 exec, exec, s[6:7]
	s_and_saveexec_b64 s[6:7], s[4:5]
	s_cbranch_execz .LBB1_35371
; %bb.63575:
	s_getpc_b64 s[14:15]
.Lpost_getpc17451:
	s_add_u32 s14, s14, (.LBB1_13399-.Lpost_getpc17451)&4294967295
	s_addc_u32 s15, s15, (.LBB1_13399-.Lpost_getpc17451)>>32
	s_setpc_b64 s[14:15]
.LBB1_35371:
	s_getpc_b64 s[14:15]
.Lpost_getpc3349:
	s_add_u32 s14, s14, (.LBB1_13400-.Lpost_getpc3349)&4294967295
	s_addc_u32 s15, s15, (.LBB1_13400-.Lpost_getpc3349)>>32
	s_setpc_b64 s[14:15]
.LBB1_27737:
	s_movk_i32 s4, 0x80
	v_cmp_eq_u16_sdwa s[12:13], v8, s4 src0_sel:BYTE_3 src1_sel:DWORD
	s_mov_b64 s[4:5], -1
                                        ; implicit-def: $sgpr10
	s_and_saveexec_b64 s[8:9], s[12:13]
; %bb.27738:
	s_mov_b32 s10, 0x7f800001
	s_xor_b64 s[4:5], exec, -1
; %bb.27739:
	s_or_b64 exec, exec, s[8:9]
	s_and_b64 s[4:5], s[4:5], exec
	s_or_saveexec_b64 s[6:7], s[6:7]
	v_mov_b32_e32 v2, s10
	s_xor_b64 exec, exec, s[6:7]
	s_cbranch_execnz .LBB1_27740
; %bb.63577:
	s_getpc_b64 s[14:15]
.Lpost_getpc17452:
	s_add_u32 s14, s14, (.LBB1_13402-.Lpost_getpc17452)&4294967295
	s_addc_u32 s15, s15, (.LBB1_13402-.Lpost_getpc17452)>>32
	s_setpc_b64 s[14:15]
.LBB1_27740:
	v_mov_b32_e32 v2, 0
	v_cmp_ne_u16_sdwa s[8:9], v8, v2 src0_sel:BYTE_3 src1_sel:DWORD
	s_andn2_b64 s[4:5], s[4:5], exec
	s_and_b64 s[8:9], s[8:9], exec
	s_or_b64 s[4:5], s[4:5], s[8:9]
	s_or_b64 exec, exec, s[6:7]
	s_and_saveexec_b64 s[6:7], s[4:5]
	s_cbranch_execz .LBB1_35373
; %bb.63579:
	s_getpc_b64 s[14:15]
.Lpost_getpc17453:
	s_add_u32 s14, s14, (.LBB1_13403-.Lpost_getpc17453)&4294967295
	s_addc_u32 s15, s15, (.LBB1_13403-.Lpost_getpc17453)>>32
	s_setpc_b64 s[14:15]
.LBB1_35373:
	s_getpc_b64 s[14:15]
.Lpost_getpc3350:
	s_add_u32 s14, s14, (.LBB1_13404-.Lpost_getpc3350)&4294967295
	s_addc_u32 s15, s15, (.LBB1_13404-.Lpost_getpc3350)>>32
	s_setpc_b64 s[14:15]
.LBB1_27741:
	s_movk_i32 s4, 0x80
	v_cmp_eq_u16_sdwa s[12:13], v4, s4 src0_sel:BYTE_3 src1_sel:DWORD
	s_mov_b64 s[4:5], -1
                                        ; implicit-def: $sgpr10
	s_and_saveexec_b64 s[8:9], s[12:13]
; %bb.27742:
	s_mov_b32 s10, 0x7f800001
	s_xor_b64 s[4:5], exec, -1
; %bb.27743:
	s_or_b64 exec, exec, s[8:9]
	s_and_b64 s[4:5], s[4:5], exec
	s_or_saveexec_b64 s[6:7], s[6:7]
	v_mov_b32_e32 v3, s10
	s_xor_b64 exec, exec, s[6:7]
	s_cbranch_execnz .LBB1_27744
; %bb.63581:
	s_getpc_b64 s[14:15]
.Lpost_getpc17454:
	s_add_u32 s14, s14, (.LBB1_13406-.Lpost_getpc17454)&4294967295
	s_addc_u32 s15, s15, (.LBB1_13406-.Lpost_getpc17454)>>32
	s_setpc_b64 s[14:15]
.LBB1_27744:
	v_mov_b32_e32 v3, 0
	v_cmp_ne_u16_sdwa s[8:9], v4, v3 src0_sel:BYTE_3 src1_sel:DWORD
	s_andn2_b64 s[4:5], s[4:5], exec
	s_and_b64 s[8:9], s[8:9], exec
	s_or_b64 s[4:5], s[4:5], s[8:9]
	s_or_b64 exec, exec, s[6:7]
	s_and_saveexec_b64 s[6:7], s[4:5]
	s_cbranch_execz .LBB1_35375
; %bb.63583:
	s_getpc_b64 s[14:15]
.Lpost_getpc17455:
	s_add_u32 s14, s14, (.LBB1_13407-.Lpost_getpc17455)&4294967295
	s_addc_u32 s15, s15, (.LBB1_13407-.Lpost_getpc17455)>>32
	s_setpc_b64 s[14:15]
.LBB1_35375:
	s_getpc_b64 s[14:15]
.Lpost_getpc3351:
	s_add_u32 s14, s14, (.LBB1_13408-.Lpost_getpc3351)&4294967295
	s_addc_u32 s15, s15, (.LBB1_13408-.Lpost_getpc3351)>>32
	s_setpc_b64 s[14:15]
.LBB1_27745:
	s_movk_i32 s4, 0x80
	v_cmp_eq_u16_sdwa s[12:13], v9, s4 src0_sel:BYTE_0 src1_sel:DWORD
	s_mov_b64 s[4:5], -1
                                        ; implicit-def: $sgpr10
	s_and_saveexec_b64 s[8:9], s[12:13]
; %bb.27746:
	s_mov_b32 s10, 0x7f800001
	s_xor_b64 s[4:5], exec, -1
; %bb.27747:
	s_or_b64 exec, exec, s[8:9]
	s_and_b64 s[4:5], s[4:5], exec
	s_or_saveexec_b64 s[6:7], s[6:7]
	v_mov_b32_e32 v2, s10
	s_xor_b64 exec, exec, s[6:7]
	s_cbranch_execnz .LBB1_27748
; %bb.63585:
	s_getpc_b64 s[14:15]
.Lpost_getpc17456:
	s_add_u32 s14, s14, (.LBB1_13410-.Lpost_getpc17456)&4294967295
	s_addc_u32 s15, s15, (.LBB1_13410-.Lpost_getpc17456)>>32
	s_setpc_b64 s[14:15]
.LBB1_27748:
	v_mov_b32_e32 v2, 0
	v_cmp_ne_u16_sdwa s[8:9], v9, v2 src0_sel:BYTE_0 src1_sel:DWORD
	s_andn2_b64 s[4:5], s[4:5], exec
	s_and_b64 s[8:9], s[8:9], exec
	s_or_b64 s[4:5], s[4:5], s[8:9]
	s_or_b64 exec, exec, s[6:7]
	s_and_saveexec_b64 s[6:7], s[4:5]
	s_cbranch_execz .LBB1_35377
; %bb.63587:
	s_getpc_b64 s[14:15]
.Lpost_getpc17457:
	s_add_u32 s14, s14, (.LBB1_13411-.Lpost_getpc17457)&4294967295
	s_addc_u32 s15, s15, (.LBB1_13411-.Lpost_getpc17457)>>32
	s_setpc_b64 s[14:15]
.LBB1_35377:
	s_getpc_b64 s[14:15]
.Lpost_getpc3352:
	s_add_u32 s14, s14, (.LBB1_13412-.Lpost_getpc3352)&4294967295
	s_addc_u32 s15, s15, (.LBB1_13412-.Lpost_getpc3352)>>32
	s_setpc_b64 s[14:15]
.LBB1_27749:
	s_movk_i32 s4, 0x80
	v_cmp_eq_u16_sdwa s[12:13], v5, s4 src0_sel:BYTE_0 src1_sel:DWORD
	s_mov_b64 s[4:5], -1
                                        ; implicit-def: $sgpr10
	s_and_saveexec_b64 s[8:9], s[12:13]
; %bb.27750:
	s_mov_b32 s10, 0x7f800001
	s_xor_b64 s[4:5], exec, -1
; %bb.27751:
	s_or_b64 exec, exec, s[8:9]
	s_and_b64 s[4:5], s[4:5], exec
	s_or_saveexec_b64 s[6:7], s[6:7]
	v_mov_b32_e32 v3, s10
	s_xor_b64 exec, exec, s[6:7]
	s_cbranch_execnz .LBB1_27752
; %bb.63589:
	s_getpc_b64 s[14:15]
.Lpost_getpc17458:
	s_add_u32 s14, s14, (.LBB1_13414-.Lpost_getpc17458)&4294967295
	s_addc_u32 s15, s15, (.LBB1_13414-.Lpost_getpc17458)>>32
	s_setpc_b64 s[14:15]
.LBB1_27752:
	v_mov_b32_e32 v3, 0
	v_cmp_ne_u16_sdwa s[8:9], v5, v3 src0_sel:BYTE_0 src1_sel:DWORD
	s_andn2_b64 s[4:5], s[4:5], exec
	s_and_b64 s[8:9], s[8:9], exec
	s_or_b64 s[4:5], s[4:5], s[8:9]
	s_or_b64 exec, exec, s[6:7]
	s_and_saveexec_b64 s[6:7], s[4:5]
	s_cbranch_execz .LBB1_35379
; %bb.63591:
	s_getpc_b64 s[14:15]
.Lpost_getpc17459:
	s_add_u32 s14, s14, (.LBB1_13415-.Lpost_getpc17459)&4294967295
	s_addc_u32 s15, s15, (.LBB1_13415-.Lpost_getpc17459)>>32
	s_setpc_b64 s[14:15]
.LBB1_35379:
	s_getpc_b64 s[14:15]
.Lpost_getpc3353:
	s_add_u32 s14, s14, (.LBB1_13416-.Lpost_getpc3353)&4294967295
	s_addc_u32 s15, s15, (.LBB1_13416-.Lpost_getpc3353)>>32
	s_setpc_b64 s[14:15]
.LBB1_27753:
	s_movk_i32 s4, 0x80
	v_cmp_eq_u16_sdwa s[12:13], v3, s4 src0_sel:BYTE_0 src1_sel:DWORD
	s_mov_b64 s[4:5], -1
                                        ; implicit-def: $sgpr10
	s_and_saveexec_b64 s[8:9], s[12:13]
; %bb.27754:
	s_mov_b32 s10, 0x7f800001
	s_xor_b64 s[4:5], exec, -1
; %bb.27755:
	s_or_b64 exec, exec, s[8:9]
	s_and_b64 s[4:5], s[4:5], exec
	s_or_saveexec_b64 s[6:7], s[6:7]
	v_mov_b32_e32 v2, s10
	s_xor_b64 exec, exec, s[6:7]
	s_cbranch_execnz .LBB1_27756
; %bb.63593:
	s_getpc_b64 s[14:15]
.Lpost_getpc17460:
	s_add_u32 s14, s14, (.LBB1_13418-.Lpost_getpc17460)&4294967295
	s_addc_u32 s15, s15, (.LBB1_13418-.Lpost_getpc17460)>>32
	s_setpc_b64 s[14:15]
.LBB1_27756:
	v_mov_b32_e32 v2, 0
	v_cmp_ne_u16_sdwa s[8:9], v3, v2 src0_sel:BYTE_0 src1_sel:DWORD
	s_andn2_b64 s[4:5], s[4:5], exec
	s_and_b64 s[8:9], s[8:9], exec
	s_or_b64 s[4:5], s[4:5], s[8:9]
	s_or_b64 exec, exec, s[6:7]
	s_and_saveexec_b64 s[6:7], s[4:5]
	s_cbranch_execz .LBB1_35381
; %bb.63595:
	s_getpc_b64 s[14:15]
.Lpost_getpc17461:
	s_add_u32 s14, s14, (.LBB1_13419-.Lpost_getpc17461)&4294967295
	s_addc_u32 s15, s15, (.LBB1_13419-.Lpost_getpc17461)>>32
	s_setpc_b64 s[14:15]
.LBB1_35381:
	s_getpc_b64 s[14:15]
.Lpost_getpc3354:
	s_add_u32 s14, s14, (.LBB1_13420-.Lpost_getpc3354)&4294967295
	s_addc_u32 s15, s15, (.LBB1_13420-.Lpost_getpc3354)>>32
	s_setpc_b64 s[14:15]
.LBB1_27757:
	s_movk_i32 s4, 0x80
	v_cmp_eq_u16_sdwa s[12:13], v3, s4 src0_sel:BYTE_0 src1_sel:DWORD
	s_mov_b64 s[4:5], -1
                                        ; implicit-def: $sgpr10
	s_and_saveexec_b64 s[8:9], s[12:13]
; %bb.27758:
	s_mov_b32 s10, 0x7f800001
	s_xor_b64 s[4:5], exec, -1
; %bb.27759:
	s_or_b64 exec, exec, s[8:9]
	s_and_b64 s[4:5], s[4:5], exec
	s_or_saveexec_b64 s[6:7], s[6:7]
	v_mov_b32_e32 v4, s10
	s_xor_b64 exec, exec, s[6:7]
	s_cbranch_execnz .LBB1_27760
; %bb.63597:
	s_getpc_b64 s[14:15]
.Lpost_getpc17462:
	s_add_u32 s14, s14, (.LBB1_13422-.Lpost_getpc17462)&4294967295
	s_addc_u32 s15, s15, (.LBB1_13422-.Lpost_getpc17462)>>32
	s_setpc_b64 s[14:15]
.LBB1_27760:
	v_mov_b32_e32 v4, 0
	v_cmp_ne_u16_sdwa s[8:9], v3, v4 src0_sel:BYTE_0 src1_sel:DWORD
	s_andn2_b64 s[4:5], s[4:5], exec
	s_and_b64 s[8:9], s[8:9], exec
	s_or_b64 s[4:5], s[4:5], s[8:9]
	s_or_b64 exec, exec, s[6:7]
	s_and_saveexec_b64 s[6:7], s[4:5]
	s_cbranch_execz .LBB1_35383
; %bb.63599:
	s_getpc_b64 s[14:15]
.Lpost_getpc17463:
	s_add_u32 s14, s14, (.LBB1_13423-.Lpost_getpc17463)&4294967295
	s_addc_u32 s15, s15, (.LBB1_13423-.Lpost_getpc17463)>>32
	s_setpc_b64 s[14:15]
.LBB1_35383:
	s_getpc_b64 s[14:15]
.Lpost_getpc3355:
	s_add_u32 s14, s14, (.LBB1_13424-.Lpost_getpc3355)&4294967295
	s_addc_u32 s15, s15, (.LBB1_13424-.Lpost_getpc3355)>>32
	s_setpc_b64 s[14:15]
.LBB1_27761:
	s_movk_i32 s4, 0x80
	v_cmp_eq_u16_e32 vcc, s4, v3
	s_mov_b64 s[4:5], -1
                                        ; implicit-def: $sgpr10
	s_and_saveexec_b64 s[8:9], vcc
; %bb.27762:
	s_mov_b32 s10, 0x7f800001
	s_xor_b64 s[4:5], exec, -1
; %bb.27763:
	s_or_b64 exec, exec, s[8:9]
	s_and_b64 s[4:5], s[4:5], exec
                                        ; implicit-def: $vgpr3
	s_or_saveexec_b64 s[6:7], s[6:7]
	v_mov_b32_e32 v2, s10
	s_xor_b64 exec, exec, s[6:7]
	s_cbranch_execnz .LBB1_27764
; %bb.63601:
	s_getpc_b64 s[14:15]
.Lpost_getpc17464:
	s_add_u32 s14, s14, (.LBB1_13426-.Lpost_getpc17464)&4294967295
	s_addc_u32 s15, s15, (.LBB1_13426-.Lpost_getpc17464)>>32
	s_setpc_b64 s[14:15]
.LBB1_27764:
	v_cmp_ne_u16_e32 vcc, 0, v3
	s_andn2_b64 s[4:5], s[4:5], exec
	s_and_b64 s[8:9], vcc, exec
	v_mov_b32_e32 v2, 0
	s_or_b64 s[4:5], s[4:5], s[8:9]
	s_or_b64 exec, exec, s[6:7]
	s_and_saveexec_b64 s[6:7], s[4:5]
	s_cbranch_execz .LBB1_35385
; %bb.63603:
	s_getpc_b64 s[14:15]
.Lpost_getpc17465:
	s_add_u32 s14, s14, (.LBB1_13427-.Lpost_getpc17465)&4294967295
	s_addc_u32 s15, s15, (.LBB1_13427-.Lpost_getpc17465)>>32
	s_setpc_b64 s[14:15]
.LBB1_35385:
	s_getpc_b64 s[14:15]
.Lpost_getpc3356:
	s_add_u32 s14, s14, (.LBB1_13428-.Lpost_getpc3356)&4294967295
	s_addc_u32 s15, s15, (.LBB1_13428-.Lpost_getpc3356)>>32
	s_setpc_b64 s[14:15]
.LBB1_27765:
	s_movk_i32 s4, 0x80
	v_cmp_eq_u16_e32 vcc, s4, v3
	s_mov_b64 s[4:5], -1
                                        ; implicit-def: $sgpr10
	s_and_saveexec_b64 s[8:9], vcc
; %bb.27766:
	s_mov_b32 s10, 0x7f800001
	s_xor_b64 s[4:5], exec, -1
; %bb.27767:
	s_or_b64 exec, exec, s[8:9]
	s_and_b64 s[4:5], s[4:5], exec
                                        ; implicit-def: $vgpr3
	s_or_saveexec_b64 s[6:7], s[6:7]
	v_mov_b32_e32 v4, s10
	s_xor_b64 exec, exec, s[6:7]
	s_cbranch_execnz .LBB1_27768
; %bb.63605:
	s_getpc_b64 s[14:15]
.Lpost_getpc17466:
	s_add_u32 s14, s14, (.LBB1_13430-.Lpost_getpc17466)&4294967295
	s_addc_u32 s15, s15, (.LBB1_13430-.Lpost_getpc17466)>>32
	s_setpc_b64 s[14:15]
.LBB1_27768:
	v_cmp_ne_u16_e32 vcc, 0, v3
	s_andn2_b64 s[4:5], s[4:5], exec
	s_and_b64 s[8:9], vcc, exec
	v_mov_b32_e32 v4, 0
	s_or_b64 s[4:5], s[4:5], s[8:9]
	s_or_b64 exec, exec, s[6:7]
	s_and_saveexec_b64 s[6:7], s[4:5]
	s_cbranch_execz .LBB1_35387
; %bb.63607:
	s_getpc_b64 s[14:15]
.Lpost_getpc17467:
	s_add_u32 s14, s14, (.LBB1_13431-.Lpost_getpc17467)&4294967295
	s_addc_u32 s15, s15, (.LBB1_13431-.Lpost_getpc17467)>>32
	s_setpc_b64 s[14:15]
.LBB1_35387:
	s_getpc_b64 s[14:15]
.Lpost_getpc3357:
	s_add_u32 s14, s14, (.LBB1_13432-.Lpost_getpc3357)&4294967295
	s_addc_u32 s15, s15, (.LBB1_13432-.Lpost_getpc3357)>>32
	s_setpc_b64 s[14:15]
.LBB1_27769:
	s_movk_i32 s4, 0x80
	v_cmp_eq_u16_sdwa s[12:13], v9, s4 src0_sel:BYTE_3 src1_sel:DWORD
	s_mov_b64 s[4:5], -1
                                        ; implicit-def: $sgpr10
	s_and_saveexec_b64 s[8:9], s[12:13]
; %bb.27770:
	s_mov_b32 s10, 0x7f800001
	s_xor_b64 s[4:5], exec, -1
; %bb.27771:
	s_or_b64 exec, exec, s[8:9]
	s_and_b64 s[4:5], s[4:5], exec
	s_or_saveexec_b64 s[6:7], s[6:7]
	v_mov_b32_e32 v2, s10
	s_xor_b64 exec, exec, s[6:7]
	s_cbranch_execnz .LBB1_27772
; %bb.63609:
	s_getpc_b64 s[14:15]
.Lpost_getpc17468:
	s_add_u32 s14, s14, (.LBB1_13434-.Lpost_getpc17468)&4294967295
	s_addc_u32 s15, s15, (.LBB1_13434-.Lpost_getpc17468)>>32
	s_setpc_b64 s[14:15]
.LBB1_27772:
	v_mov_b32_e32 v2, 0
	v_cmp_ne_u16_sdwa s[8:9], v9, v2 src0_sel:BYTE_3 src1_sel:DWORD
	s_andn2_b64 s[4:5], s[4:5], exec
	s_and_b64 s[8:9], s[8:9], exec
	s_or_b64 s[4:5], s[4:5], s[8:9]
	s_or_b64 exec, exec, s[6:7]
	s_and_saveexec_b64 s[6:7], s[4:5]
	s_cbranch_execz .LBB1_35389
; %bb.63611:
	s_getpc_b64 s[14:15]
.Lpost_getpc17469:
	s_add_u32 s14, s14, (.LBB1_13435-.Lpost_getpc17469)&4294967295
	s_addc_u32 s15, s15, (.LBB1_13435-.Lpost_getpc17469)>>32
	s_setpc_b64 s[14:15]
.LBB1_35389:
	s_getpc_b64 s[14:15]
.Lpost_getpc3358:
	s_add_u32 s14, s14, (.LBB1_13436-.Lpost_getpc3358)&4294967295
	s_addc_u32 s15, s15, (.LBB1_13436-.Lpost_getpc3358)>>32
	s_setpc_b64 s[14:15]
.LBB1_27773:
	s_movk_i32 s4, 0x80
	v_cmp_eq_u16_sdwa s[12:13], v5, s4 src0_sel:BYTE_3 src1_sel:DWORD
	s_mov_b64 s[4:5], -1
                                        ; implicit-def: $sgpr10
	s_and_saveexec_b64 s[8:9], s[12:13]
; %bb.27774:
	s_mov_b32 s10, 0x7f800001
	s_xor_b64 s[4:5], exec, -1
; %bb.27775:
	s_or_b64 exec, exec, s[8:9]
	s_and_b64 s[4:5], s[4:5], exec
	s_or_saveexec_b64 s[6:7], s[6:7]
	v_mov_b32_e32 v3, s10
	s_xor_b64 exec, exec, s[6:7]
	s_cbranch_execnz .LBB1_27776
; %bb.63613:
	s_getpc_b64 s[14:15]
.Lpost_getpc17470:
	s_add_u32 s14, s14, (.LBB1_13438-.Lpost_getpc17470)&4294967295
	s_addc_u32 s15, s15, (.LBB1_13438-.Lpost_getpc17470)>>32
	s_setpc_b64 s[14:15]
.LBB1_27776:
	v_mov_b32_e32 v3, 0
	v_cmp_ne_u16_sdwa s[8:9], v5, v3 src0_sel:BYTE_3 src1_sel:DWORD
	s_andn2_b64 s[4:5], s[4:5], exec
	s_and_b64 s[8:9], s[8:9], exec
	s_or_b64 s[4:5], s[4:5], s[8:9]
	s_or_b64 exec, exec, s[6:7]
	s_and_saveexec_b64 s[6:7], s[4:5]
	s_cbranch_execz .LBB1_35391
; %bb.63615:
	s_getpc_b64 s[14:15]
.Lpost_getpc17471:
	s_add_u32 s14, s14, (.LBB1_13439-.Lpost_getpc17471)&4294967295
	s_addc_u32 s15, s15, (.LBB1_13439-.Lpost_getpc17471)>>32
	s_setpc_b64 s[14:15]
.LBB1_35391:
	s_getpc_b64 s[14:15]
.Lpost_getpc3359:
	s_add_u32 s14, s14, (.LBB1_13440-.Lpost_getpc3359)&4294967295
	s_addc_u32 s15, s15, (.LBB1_13440-.Lpost_getpc3359)>>32
	s_setpc_b64 s[14:15]
.LBB1_27777:
	s_movk_i32 s4, 0x80
	v_cmp_eq_u16_sdwa s[12:13], v6, s4 src0_sel:BYTE_0 src1_sel:DWORD
	s_mov_b64 s[4:5], -1
                                        ; implicit-def: $sgpr10
	s_and_saveexec_b64 s[8:9], s[12:13]
; %bb.27778:
	s_mov_b32 s10, 0x7f800001
	s_xor_b64 s[4:5], exec, -1
; %bb.27779:
	s_or_b64 exec, exec, s[8:9]
	s_and_b64 s[4:5], s[4:5], exec
	s_or_saveexec_b64 s[6:7], s[6:7]
	v_mov_b32_e32 v12, s10
	s_xor_b64 exec, exec, s[6:7]
	s_cbranch_execnz .LBB1_27780
; %bb.63617:
	s_getpc_b64 s[14:15]
.Lpost_getpc17472:
	s_add_u32 s14, s14, (.LBB1_13442-.Lpost_getpc17472)&4294967295
	s_addc_u32 s15, s15, (.LBB1_13442-.Lpost_getpc17472)>>32
	s_setpc_b64 s[14:15]
.LBB1_27780:
	v_mov_b32_e32 v12, 0
	v_cmp_ne_u16_sdwa s[8:9], v6, v12 src0_sel:BYTE_0 src1_sel:DWORD
	s_andn2_b64 s[4:5], s[4:5], exec
	s_and_b64 s[8:9], s[8:9], exec
	s_or_b64 s[4:5], s[4:5], s[8:9]
	s_or_b64 exec, exec, s[6:7]
	s_and_saveexec_b64 s[6:7], s[4:5]
	s_cbranch_execz .LBB1_35393
; %bb.63619:
	s_getpc_b64 s[14:15]
.Lpost_getpc17473:
	s_add_u32 s14, s14, (.LBB1_13443-.Lpost_getpc17473)&4294967295
	s_addc_u32 s15, s15, (.LBB1_13443-.Lpost_getpc17473)>>32
	s_setpc_b64 s[14:15]
.LBB1_35393:
	s_getpc_b64 s[14:15]
.Lpost_getpc3360:
	s_add_u32 s14, s14, (.LBB1_13444-.Lpost_getpc3360)&4294967295
	s_addc_u32 s15, s15, (.LBB1_13444-.Lpost_getpc3360)>>32
	s_setpc_b64 s[14:15]
.LBB1_27781:
	s_movk_i32 s4, 0x80
	v_cmp_eq_u16_sdwa s[12:13], v2, s4 src0_sel:BYTE_0 src1_sel:DWORD
	s_mov_b64 s[4:5], -1
                                        ; implicit-def: $sgpr10
	s_and_saveexec_b64 s[8:9], s[12:13]
; %bb.27782:
	s_mov_b32 s10, 0x7f800001
	s_xor_b64 s[4:5], exec, -1
; %bb.27783:
	s_or_b64 exec, exec, s[8:9]
	s_and_b64 s[4:5], s[4:5], exec
	s_or_saveexec_b64 s[6:7], s[6:7]
	v_mov_b32_e32 v13, s10
	s_xor_b64 exec, exec, s[6:7]
	s_cbranch_execnz .LBB1_27784
; %bb.63621:
	s_getpc_b64 s[14:15]
.Lpost_getpc17474:
	s_add_u32 s14, s14, (.LBB1_13446-.Lpost_getpc17474)&4294967295
	s_addc_u32 s15, s15, (.LBB1_13446-.Lpost_getpc17474)>>32
	s_setpc_b64 s[14:15]
.LBB1_27784:
	v_mov_b32_e32 v13, 0
	v_cmp_ne_u16_sdwa s[8:9], v2, v13 src0_sel:BYTE_0 src1_sel:DWORD
	s_andn2_b64 s[4:5], s[4:5], exec
	s_and_b64 s[8:9], s[8:9], exec
	s_or_b64 s[4:5], s[4:5], s[8:9]
	s_or_b64 exec, exec, s[6:7]
	s_and_saveexec_b64 s[6:7], s[4:5]
	s_cbranch_execz .LBB1_35395
; %bb.63623:
	s_getpc_b64 s[14:15]
.Lpost_getpc17475:
	s_add_u32 s14, s14, (.LBB1_13447-.Lpost_getpc17475)&4294967295
	s_addc_u32 s15, s15, (.LBB1_13447-.Lpost_getpc17475)>>32
	s_setpc_b64 s[14:15]
.LBB1_35395:
	s_getpc_b64 s[14:15]
.Lpost_getpc3361:
	s_add_u32 s14, s14, (.LBB1_13448-.Lpost_getpc3361)&4294967295
	s_addc_u32 s15, s15, (.LBB1_13448-.Lpost_getpc3361)>>32
	s_setpc_b64 s[14:15]
.LBB1_27785:
	s_movk_i32 s4, 0x80
	v_cmp_eq_u16_sdwa s[12:13], v13, s4 src0_sel:BYTE_0 src1_sel:DWORD
	s_mov_b64 s[4:5], -1
                                        ; implicit-def: $sgpr10
	s_and_saveexec_b64 s[8:9], s[12:13]
; %bb.27786:
	s_mov_b32 s10, 0x7f800001
	s_xor_b64 s[4:5], exec, -1
; %bb.27787:
	s_or_b64 exec, exec, s[8:9]
	s_and_b64 s[4:5], s[4:5], exec
	s_or_saveexec_b64 s[6:7], s[6:7]
	v_mov_b32_e32 v12, s10
	s_xor_b64 exec, exec, s[6:7]
	s_cbranch_execnz .LBB1_27788
; %bb.63625:
	s_getpc_b64 s[14:15]
.Lpost_getpc17476:
	s_add_u32 s14, s14, (.LBB1_13450-.Lpost_getpc17476)&4294967295
	s_addc_u32 s15, s15, (.LBB1_13450-.Lpost_getpc17476)>>32
	s_setpc_b64 s[14:15]
.LBB1_27788:
	v_mov_b32_e32 v12, 0
	v_cmp_ne_u16_sdwa s[8:9], v13, v12 src0_sel:BYTE_0 src1_sel:DWORD
	s_andn2_b64 s[4:5], s[4:5], exec
	s_and_b64 s[8:9], s[8:9], exec
	s_or_b64 s[4:5], s[4:5], s[8:9]
	s_or_b64 exec, exec, s[6:7]
	s_and_saveexec_b64 s[6:7], s[4:5]
	s_cbranch_execz .LBB1_35397
; %bb.63627:
	s_getpc_b64 s[14:15]
.Lpost_getpc17477:
	s_add_u32 s14, s14, (.LBB1_13451-.Lpost_getpc17477)&4294967295
	s_addc_u32 s15, s15, (.LBB1_13451-.Lpost_getpc17477)>>32
	s_setpc_b64 s[14:15]
.LBB1_35397:
	s_getpc_b64 s[14:15]
.Lpost_getpc3362:
	s_add_u32 s14, s14, (.LBB1_13452-.Lpost_getpc3362)&4294967295
	s_addc_u32 s15, s15, (.LBB1_13452-.Lpost_getpc3362)>>32
	s_setpc_b64 s[14:15]
.LBB1_27789:
	s_movk_i32 s4, 0x80
	v_cmp_eq_u16_sdwa s[12:13], v13, s4 src0_sel:BYTE_0 src1_sel:DWORD
	s_mov_b64 s[4:5], -1
                                        ; implicit-def: $sgpr10
	s_and_saveexec_b64 s[8:9], s[12:13]
; %bb.27790:
	s_mov_b32 s10, 0x7f800001
	s_xor_b64 s[4:5], exec, -1
; %bb.27791:
	s_or_b64 exec, exec, s[8:9]
	s_and_b64 s[4:5], s[4:5], exec
	s_or_saveexec_b64 s[6:7], s[6:7]
	v_mov_b32_e32 v14, s10
	s_xor_b64 exec, exec, s[6:7]
	s_cbranch_execnz .LBB1_27792
; %bb.63629:
	s_getpc_b64 s[14:15]
.Lpost_getpc17478:
	s_add_u32 s14, s14, (.LBB1_13454-.Lpost_getpc17478)&4294967295
	s_addc_u32 s15, s15, (.LBB1_13454-.Lpost_getpc17478)>>32
	s_setpc_b64 s[14:15]
.LBB1_27792:
	v_mov_b32_e32 v14, 0
	v_cmp_ne_u16_sdwa s[8:9], v13, v14 src0_sel:BYTE_0 src1_sel:DWORD
	s_andn2_b64 s[4:5], s[4:5], exec
	s_and_b64 s[8:9], s[8:9], exec
	s_or_b64 s[4:5], s[4:5], s[8:9]
	s_or_b64 exec, exec, s[6:7]
	s_and_saveexec_b64 s[6:7], s[4:5]
	s_cbranch_execz .LBB1_35399
; %bb.63631:
	s_getpc_b64 s[14:15]
.Lpost_getpc17479:
	s_add_u32 s14, s14, (.LBB1_13455-.Lpost_getpc17479)&4294967295
	s_addc_u32 s15, s15, (.LBB1_13455-.Lpost_getpc17479)>>32
	s_setpc_b64 s[14:15]
.LBB1_35399:
	s_getpc_b64 s[14:15]
.Lpost_getpc3363:
	s_add_u32 s14, s14, (.LBB1_13456-.Lpost_getpc3363)&4294967295
	s_addc_u32 s15, s15, (.LBB1_13456-.Lpost_getpc3363)>>32
	s_setpc_b64 s[14:15]
.LBB1_27793:
	s_movk_i32 s4, 0x80
	v_cmp_eq_u16_e32 vcc, s4, v13
	s_mov_b64 s[4:5], -1
                                        ; implicit-def: $sgpr10
	s_and_saveexec_b64 s[8:9], vcc
; %bb.27794:
	s_mov_b32 s10, 0x7f800001
	s_xor_b64 s[4:5], exec, -1
; %bb.27795:
	s_or_b64 exec, exec, s[8:9]
	s_and_b64 s[4:5], s[4:5], exec
                                        ; implicit-def: $vgpr13
	s_or_saveexec_b64 s[6:7], s[6:7]
	v_mov_b32_e32 v12, s10
	s_xor_b64 exec, exec, s[6:7]
	s_cbranch_execnz .LBB1_27796
; %bb.63633:
	s_getpc_b64 s[14:15]
.Lpost_getpc17480:
	s_add_u32 s14, s14, (.LBB1_13458-.Lpost_getpc17480)&4294967295
	s_addc_u32 s15, s15, (.LBB1_13458-.Lpost_getpc17480)>>32
	s_setpc_b64 s[14:15]
.LBB1_27796:
	v_cmp_ne_u16_e32 vcc, 0, v13
	s_andn2_b64 s[4:5], s[4:5], exec
	s_and_b64 s[8:9], vcc, exec
	v_mov_b32_e32 v12, 0
	s_or_b64 s[4:5], s[4:5], s[8:9]
	s_or_b64 exec, exec, s[6:7]
	s_and_saveexec_b64 s[6:7], s[4:5]
	s_cbranch_execz .LBB1_35401
; %bb.63635:
	s_getpc_b64 s[14:15]
.Lpost_getpc17481:
	s_add_u32 s14, s14, (.LBB1_13459-.Lpost_getpc17481)&4294967295
	s_addc_u32 s15, s15, (.LBB1_13459-.Lpost_getpc17481)>>32
	s_setpc_b64 s[14:15]
.LBB1_35401:
	s_getpc_b64 s[14:15]
.Lpost_getpc3364:
	s_add_u32 s14, s14, (.LBB1_13460-.Lpost_getpc3364)&4294967295
	s_addc_u32 s15, s15, (.LBB1_13460-.Lpost_getpc3364)>>32
	s_setpc_b64 s[14:15]
.LBB1_27797:
	s_movk_i32 s4, 0x80
	v_cmp_eq_u16_e32 vcc, s4, v13
	s_mov_b64 s[4:5], -1
                                        ; implicit-def: $sgpr10
	s_and_saveexec_b64 s[8:9], vcc
; %bb.27798:
	s_mov_b32 s10, 0x7f800001
	s_xor_b64 s[4:5], exec, -1
; %bb.27799:
	s_or_b64 exec, exec, s[8:9]
	s_and_b64 s[4:5], s[4:5], exec
                                        ; implicit-def: $vgpr13
	s_or_saveexec_b64 s[6:7], s[6:7]
	v_mov_b32_e32 v14, s10
	s_xor_b64 exec, exec, s[6:7]
	s_cbranch_execnz .LBB1_27800
; %bb.63637:
	s_getpc_b64 s[14:15]
.Lpost_getpc17482:
	s_add_u32 s14, s14, (.LBB1_13462-.Lpost_getpc17482)&4294967295
	s_addc_u32 s15, s15, (.LBB1_13462-.Lpost_getpc17482)>>32
	s_setpc_b64 s[14:15]
.LBB1_27800:
	v_cmp_ne_u16_e32 vcc, 0, v13
	s_andn2_b64 s[4:5], s[4:5], exec
	s_and_b64 s[8:9], vcc, exec
	v_mov_b32_e32 v14, 0
	s_or_b64 s[4:5], s[4:5], s[8:9]
	s_or_b64 exec, exec, s[6:7]
	s_and_saveexec_b64 s[6:7], s[4:5]
	s_cbranch_execz .LBB1_35403
; %bb.63639:
	s_getpc_b64 s[14:15]
.Lpost_getpc17483:
	s_add_u32 s14, s14, (.LBB1_13463-.Lpost_getpc17483)&4294967295
	s_addc_u32 s15, s15, (.LBB1_13463-.Lpost_getpc17483)>>32
	s_setpc_b64 s[14:15]
.LBB1_35403:
	s_getpc_b64 s[14:15]
.Lpost_getpc3365:
	s_add_u32 s14, s14, (.LBB1_13464-.Lpost_getpc3365)&4294967295
	s_addc_u32 s15, s15, (.LBB1_13464-.Lpost_getpc3365)>>32
	s_setpc_b64 s[14:15]
.LBB1_27801:
	s_movk_i32 s4, 0x80
	v_cmp_eq_u16_sdwa s[12:13], v6, s4 src0_sel:BYTE_3 src1_sel:DWORD
	s_mov_b64 s[4:5], -1
                                        ; implicit-def: $sgpr10
	s_and_saveexec_b64 s[8:9], s[12:13]
; %bb.27802:
	s_mov_b32 s10, 0x7f800001
	s_xor_b64 s[4:5], exec, -1
; %bb.27803:
	s_or_b64 exec, exec, s[8:9]
	s_and_b64 s[4:5], s[4:5], exec
	s_or_saveexec_b64 s[6:7], s[6:7]
	v_mov_b32_e32 v12, s10
	s_xor_b64 exec, exec, s[6:7]
	s_cbranch_execnz .LBB1_27804
; %bb.63641:
	s_getpc_b64 s[14:15]
.Lpost_getpc17484:
	s_add_u32 s14, s14, (.LBB1_13466-.Lpost_getpc17484)&4294967295
	s_addc_u32 s15, s15, (.LBB1_13466-.Lpost_getpc17484)>>32
	s_setpc_b64 s[14:15]
.LBB1_27804:
	v_mov_b32_e32 v12, 0
	v_cmp_ne_u16_sdwa s[8:9], v6, v12 src0_sel:BYTE_3 src1_sel:DWORD
	s_andn2_b64 s[4:5], s[4:5], exec
	s_and_b64 s[8:9], s[8:9], exec
	s_or_b64 s[4:5], s[4:5], s[8:9]
	s_or_b64 exec, exec, s[6:7]
	s_and_saveexec_b64 s[6:7], s[4:5]
	s_cbranch_execz .LBB1_35405
; %bb.63643:
	s_getpc_b64 s[14:15]
.Lpost_getpc17485:
	s_add_u32 s14, s14, (.LBB1_13467-.Lpost_getpc17485)&4294967295
	s_addc_u32 s15, s15, (.LBB1_13467-.Lpost_getpc17485)>>32
	s_setpc_b64 s[14:15]
.LBB1_35405:
	s_getpc_b64 s[14:15]
.Lpost_getpc3366:
	s_add_u32 s14, s14, (.LBB1_13468-.Lpost_getpc3366)&4294967295
	s_addc_u32 s15, s15, (.LBB1_13468-.Lpost_getpc3366)>>32
	s_setpc_b64 s[14:15]
.LBB1_27805:
	s_movk_i32 s4, 0x80
	v_cmp_eq_u16_sdwa s[12:13], v2, s4 src0_sel:BYTE_3 src1_sel:DWORD
	s_mov_b64 s[4:5], -1
                                        ; implicit-def: $sgpr10
	s_and_saveexec_b64 s[8:9], s[12:13]
; %bb.27806:
	s_mov_b32 s10, 0x7f800001
	s_xor_b64 s[4:5], exec, -1
; %bb.27807:
	s_or_b64 exec, exec, s[8:9]
	s_and_b64 s[4:5], s[4:5], exec
	s_or_saveexec_b64 s[6:7], s[6:7]
	v_mov_b32_e32 v6, s10
	s_xor_b64 exec, exec, s[6:7]
	s_cbranch_execnz .LBB1_27808
; %bb.63645:
	s_getpc_b64 s[14:15]
.Lpost_getpc17486:
	s_add_u32 s14, s14, (.LBB1_13470-.Lpost_getpc17486)&4294967295
	s_addc_u32 s15, s15, (.LBB1_13470-.Lpost_getpc17486)>>32
	s_setpc_b64 s[14:15]
.LBB1_27808:
	v_mov_b32_e32 v6, 0
	v_cmp_ne_u16_sdwa s[8:9], v2, v6 src0_sel:BYTE_3 src1_sel:DWORD
	s_andn2_b64 s[4:5], s[4:5], exec
	s_and_b64 s[8:9], s[8:9], exec
	s_or_b64 s[4:5], s[4:5], s[8:9]
	s_or_b64 exec, exec, s[6:7]
	s_and_saveexec_b64 s[6:7], s[4:5]
	s_cbranch_execz .LBB1_35407
; %bb.63647:
	s_getpc_b64 s[14:15]
.Lpost_getpc17487:
	s_add_u32 s14, s14, (.LBB1_13471-.Lpost_getpc17487)&4294967295
	s_addc_u32 s15, s15, (.LBB1_13471-.Lpost_getpc17487)>>32
	s_setpc_b64 s[14:15]
.LBB1_35407:
	s_getpc_b64 s[14:15]
.Lpost_getpc3367:
	s_add_u32 s14, s14, (.LBB1_13472-.Lpost_getpc3367)&4294967295
	s_addc_u32 s15, s15, (.LBB1_13472-.Lpost_getpc3367)>>32
	s_setpc_b64 s[14:15]
.LBB1_27809:
	s_movk_i32 s4, 0x80
	v_cmp_eq_u16_sdwa s[12:13], v7, s4 src0_sel:BYTE_0 src1_sel:DWORD
	s_mov_b64 s[4:5], -1
                                        ; implicit-def: $sgpr10
	s_and_saveexec_b64 s[8:9], s[12:13]
; %bb.27810:
	s_mov_b32 s10, 0x7f800001
	s_xor_b64 s[4:5], exec, -1
; %bb.27811:
	s_or_b64 exec, exec, s[8:9]
	s_and_b64 s[4:5], s[4:5], exec
	s_or_saveexec_b64 s[6:7], s[6:7]
	v_mov_b32_e32 v2, s10
	s_xor_b64 exec, exec, s[6:7]
	s_cbranch_execnz .LBB1_27812
; %bb.63649:
	s_getpc_b64 s[14:15]
.Lpost_getpc17488:
	s_add_u32 s14, s14, (.LBB1_13474-.Lpost_getpc17488)&4294967295
	s_addc_u32 s15, s15, (.LBB1_13474-.Lpost_getpc17488)>>32
	s_setpc_b64 s[14:15]
.LBB1_27812:
	v_mov_b32_e32 v2, 0
	v_cmp_ne_u16_sdwa s[8:9], v7, v2 src0_sel:BYTE_0 src1_sel:DWORD
	s_andn2_b64 s[4:5], s[4:5], exec
	s_and_b64 s[8:9], s[8:9], exec
	s_or_b64 s[4:5], s[4:5], s[8:9]
	s_or_b64 exec, exec, s[6:7]
	s_and_saveexec_b64 s[6:7], s[4:5]
	s_cbranch_execz .LBB1_35409
; %bb.63651:
	s_getpc_b64 s[14:15]
.Lpost_getpc17489:
	s_add_u32 s14, s14, (.LBB1_13475-.Lpost_getpc17489)&4294967295
	s_addc_u32 s15, s15, (.LBB1_13475-.Lpost_getpc17489)>>32
	s_setpc_b64 s[14:15]
.LBB1_35409:
	s_getpc_b64 s[14:15]
.Lpost_getpc3368:
	s_add_u32 s14, s14, (.LBB1_13476-.Lpost_getpc3368)&4294967295
	s_addc_u32 s15, s15, (.LBB1_13476-.Lpost_getpc3368)>>32
	s_setpc_b64 s[14:15]
.LBB1_27813:
	s_movk_i32 s4, 0x80
	v_cmp_eq_u16_sdwa s[12:13], v3, s4 src0_sel:BYTE_0 src1_sel:DWORD
	s_mov_b64 s[4:5], -1
                                        ; implicit-def: $sgpr10
	s_and_saveexec_b64 s[8:9], s[12:13]
; %bb.27814:
	s_mov_b32 s10, 0x7f800001
	s_xor_b64 s[4:5], exec, -1
; %bb.27815:
	s_or_b64 exec, exec, s[8:9]
	s_and_b64 s[4:5], s[4:5], exec
	s_or_saveexec_b64 s[6:7], s[6:7]
	v_mov_b32_e32 v6, s10
	s_xor_b64 exec, exec, s[6:7]
	s_cbranch_execnz .LBB1_27816
; %bb.63653:
	s_getpc_b64 s[14:15]
.Lpost_getpc17490:
	s_add_u32 s14, s14, (.LBB1_13478-.Lpost_getpc17490)&4294967295
	s_addc_u32 s15, s15, (.LBB1_13478-.Lpost_getpc17490)>>32
	s_setpc_b64 s[14:15]
.LBB1_27816:
	v_mov_b32_e32 v6, 0
	v_cmp_ne_u16_sdwa s[8:9], v3, v6 src0_sel:BYTE_0 src1_sel:DWORD
	s_andn2_b64 s[4:5], s[4:5], exec
	s_and_b64 s[8:9], s[8:9], exec
	s_or_b64 s[4:5], s[4:5], s[8:9]
	s_or_b64 exec, exec, s[6:7]
	s_and_saveexec_b64 s[6:7], s[4:5]
	s_cbranch_execz .LBB1_35411
; %bb.63655:
	s_getpc_b64 s[14:15]
.Lpost_getpc17491:
	s_add_u32 s14, s14, (.LBB1_13479-.Lpost_getpc17491)&4294967295
	s_addc_u32 s15, s15, (.LBB1_13479-.Lpost_getpc17491)>>32
	s_setpc_b64 s[14:15]
.LBB1_35411:
	s_getpc_b64 s[14:15]
.Lpost_getpc3369:
	s_add_u32 s14, s14, (.LBB1_13480-.Lpost_getpc3369)&4294967295
	s_addc_u32 s15, s15, (.LBB1_13480-.Lpost_getpc3369)>>32
	s_setpc_b64 s[14:15]
.LBB1_27817:
	s_movk_i32 s4, 0x80
	v_cmp_eq_u16_sdwa s[12:13], v6, s4 src0_sel:BYTE_0 src1_sel:DWORD
	s_mov_b64 s[4:5], -1
                                        ; implicit-def: $sgpr10
	s_and_saveexec_b64 s[8:9], s[12:13]
; %bb.27818:
	s_mov_b32 s10, 0x7f800001
	s_xor_b64 s[4:5], exec, -1
; %bb.27819:
	s_or_b64 exec, exec, s[8:9]
	s_and_b64 s[4:5], s[4:5], exec
	s_or_saveexec_b64 s[6:7], s[6:7]
	v_mov_b32_e32 v2, s10
	s_xor_b64 exec, exec, s[6:7]
	s_cbranch_execnz .LBB1_27820
; %bb.63657:
	s_getpc_b64 s[14:15]
.Lpost_getpc17492:
	s_add_u32 s14, s14, (.LBB1_13482-.Lpost_getpc17492)&4294967295
	s_addc_u32 s15, s15, (.LBB1_13482-.Lpost_getpc17492)>>32
	s_setpc_b64 s[14:15]
.LBB1_27820:
	v_mov_b32_e32 v2, 0
	v_cmp_ne_u16_sdwa s[8:9], v6, v2 src0_sel:BYTE_0 src1_sel:DWORD
	s_andn2_b64 s[4:5], s[4:5], exec
	s_and_b64 s[8:9], s[8:9], exec
	s_or_b64 s[4:5], s[4:5], s[8:9]
	s_or_b64 exec, exec, s[6:7]
	s_and_saveexec_b64 s[6:7], s[4:5]
	s_cbranch_execz .LBB1_35413
; %bb.63659:
	s_getpc_b64 s[14:15]
.Lpost_getpc17493:
	s_add_u32 s14, s14, (.LBB1_13483-.Lpost_getpc17493)&4294967295
	s_addc_u32 s15, s15, (.LBB1_13483-.Lpost_getpc17493)>>32
	s_setpc_b64 s[14:15]
.LBB1_35413:
	s_getpc_b64 s[14:15]
.Lpost_getpc3370:
	s_add_u32 s14, s14, (.LBB1_13484-.Lpost_getpc3370)&4294967295
	s_addc_u32 s15, s15, (.LBB1_13484-.Lpost_getpc3370)>>32
	s_setpc_b64 s[14:15]
.LBB1_27821:
	s_movk_i32 s4, 0x80
	v_cmp_eq_u16_sdwa s[12:13], v6, s4 src0_sel:BYTE_0 src1_sel:DWORD
	s_mov_b64 s[4:5], -1
                                        ; implicit-def: $sgpr10
	s_and_saveexec_b64 s[8:9], s[12:13]
; %bb.27822:
	s_mov_b32 s10, 0x7f800001
	s_xor_b64 s[4:5], exec, -1
; %bb.27823:
	s_or_b64 exec, exec, s[8:9]
	s_and_b64 s[4:5], s[4:5], exec
	s_or_saveexec_b64 s[6:7], s[6:7]
	v_mov_b32_e32 v12, s10
	s_xor_b64 exec, exec, s[6:7]
	s_cbranch_execnz .LBB1_27824
; %bb.63661:
	s_getpc_b64 s[14:15]
.Lpost_getpc17494:
	s_add_u32 s14, s14, (.LBB1_13486-.Lpost_getpc17494)&4294967295
	s_addc_u32 s15, s15, (.LBB1_13486-.Lpost_getpc17494)>>32
	s_setpc_b64 s[14:15]
.LBB1_27824:
	v_mov_b32_e32 v12, 0
	v_cmp_ne_u16_sdwa s[8:9], v6, v12 src0_sel:BYTE_0 src1_sel:DWORD
	s_andn2_b64 s[4:5], s[4:5], exec
	s_and_b64 s[8:9], s[8:9], exec
	s_or_b64 s[4:5], s[4:5], s[8:9]
	s_or_b64 exec, exec, s[6:7]
	s_and_saveexec_b64 s[6:7], s[4:5]
	s_cbranch_execz .LBB1_35415
; %bb.63663:
	s_getpc_b64 s[14:15]
.Lpost_getpc17495:
	s_add_u32 s14, s14, (.LBB1_13487-.Lpost_getpc17495)&4294967295
	s_addc_u32 s15, s15, (.LBB1_13487-.Lpost_getpc17495)>>32
	s_setpc_b64 s[14:15]
.LBB1_35415:
	s_getpc_b64 s[14:15]
.Lpost_getpc3371:
	s_add_u32 s14, s14, (.LBB1_13488-.Lpost_getpc3371)&4294967295
	s_addc_u32 s15, s15, (.LBB1_13488-.Lpost_getpc3371)>>32
	s_setpc_b64 s[14:15]
.LBB1_27825:
	s_movk_i32 s4, 0x80
	v_cmp_eq_u16_e32 vcc, s4, v6
	s_mov_b64 s[4:5], -1
                                        ; implicit-def: $sgpr10
	s_and_saveexec_b64 s[8:9], vcc
; %bb.27826:
	s_mov_b32 s10, 0x7f800001
	s_xor_b64 s[4:5], exec, -1
; %bb.27827:
	s_or_b64 exec, exec, s[8:9]
	s_and_b64 s[4:5], s[4:5], exec
                                        ; implicit-def: $vgpr6
	s_or_saveexec_b64 s[6:7], s[6:7]
	v_mov_b32_e32 v2, s10
	s_xor_b64 exec, exec, s[6:7]
	s_cbranch_execnz .LBB1_27828
; %bb.63665:
	s_getpc_b64 s[14:15]
.Lpost_getpc17496:
	s_add_u32 s14, s14, (.LBB1_13490-.Lpost_getpc17496)&4294967295
	s_addc_u32 s15, s15, (.LBB1_13490-.Lpost_getpc17496)>>32
	s_setpc_b64 s[14:15]
.LBB1_27828:
	v_cmp_ne_u16_e32 vcc, 0, v6
	s_andn2_b64 s[4:5], s[4:5], exec
	s_and_b64 s[8:9], vcc, exec
	v_mov_b32_e32 v2, 0
	s_or_b64 s[4:5], s[4:5], s[8:9]
	s_or_b64 exec, exec, s[6:7]
	s_and_saveexec_b64 s[6:7], s[4:5]
	s_cbranch_execz .LBB1_35417
; %bb.63667:
	s_getpc_b64 s[14:15]
.Lpost_getpc17497:
	s_add_u32 s14, s14, (.LBB1_13491-.Lpost_getpc17497)&4294967295
	s_addc_u32 s15, s15, (.LBB1_13491-.Lpost_getpc17497)>>32
	s_setpc_b64 s[14:15]
.LBB1_35417:
	s_getpc_b64 s[14:15]
.Lpost_getpc3372:
	s_add_u32 s14, s14, (.LBB1_13492-.Lpost_getpc3372)&4294967295
	s_addc_u32 s15, s15, (.LBB1_13492-.Lpost_getpc3372)>>32
	s_setpc_b64 s[14:15]
.LBB1_27829:
	s_movk_i32 s4, 0x80
	v_cmp_eq_u16_e32 vcc, s4, v6
	s_mov_b64 s[4:5], -1
                                        ; implicit-def: $sgpr10
	s_and_saveexec_b64 s[8:9], vcc
; %bb.27830:
	s_mov_b32 s10, 0x7f800001
	s_xor_b64 s[4:5], exec, -1
; %bb.27831:
	s_or_b64 exec, exec, s[8:9]
	s_and_b64 s[4:5], s[4:5], exec
                                        ; implicit-def: $vgpr6
	s_or_saveexec_b64 s[6:7], s[6:7]
	v_mov_b32_e32 v12, s10
	s_xor_b64 exec, exec, s[6:7]
	s_cbranch_execnz .LBB1_27832
; %bb.63669:
	s_getpc_b64 s[14:15]
.Lpost_getpc17498:
	s_add_u32 s14, s14, (.LBB1_13494-.Lpost_getpc17498)&4294967295
	s_addc_u32 s15, s15, (.LBB1_13494-.Lpost_getpc17498)>>32
	s_setpc_b64 s[14:15]
.LBB1_27832:
	v_cmp_ne_u16_e32 vcc, 0, v6
	s_andn2_b64 s[4:5], s[4:5], exec
	s_and_b64 s[8:9], vcc, exec
	v_mov_b32_e32 v12, 0
	s_or_b64 s[4:5], s[4:5], s[8:9]
	s_or_b64 exec, exec, s[6:7]
	s_and_saveexec_b64 s[6:7], s[4:5]
	s_cbranch_execz .LBB1_35419
; %bb.63671:
	s_getpc_b64 s[14:15]
.Lpost_getpc17499:
	s_add_u32 s14, s14, (.LBB1_13495-.Lpost_getpc17499)&4294967295
	s_addc_u32 s15, s15, (.LBB1_13495-.Lpost_getpc17499)>>32
	s_setpc_b64 s[14:15]
.LBB1_35419:
	s_getpc_b64 s[14:15]
.Lpost_getpc3373:
	s_add_u32 s14, s14, (.LBB1_13496-.Lpost_getpc3373)&4294967295
	s_addc_u32 s15, s15, (.LBB1_13496-.Lpost_getpc3373)>>32
	s_setpc_b64 s[14:15]
.LBB1_27833:
	s_movk_i32 s4, 0x80
	v_cmp_eq_u16_sdwa s[12:13], v7, s4 src0_sel:BYTE_3 src1_sel:DWORD
	s_mov_b64 s[4:5], -1
                                        ; implicit-def: $sgpr10
	s_and_saveexec_b64 s[8:9], s[12:13]
; %bb.27834:
	s_mov_b32 s10, 0x7f800001
	s_xor_b64 s[4:5], exec, -1
; %bb.27835:
	s_or_b64 exec, exec, s[8:9]
	s_and_b64 s[4:5], s[4:5], exec
	s_or_saveexec_b64 s[6:7], s[6:7]
	v_mov_b32_e32 v2, s10
	s_xor_b64 exec, exec, s[6:7]
	s_cbranch_execnz .LBB1_27836
; %bb.63673:
	s_getpc_b64 s[14:15]
.Lpost_getpc17500:
	s_add_u32 s14, s14, (.LBB1_13498-.Lpost_getpc17500)&4294967295
	s_addc_u32 s15, s15, (.LBB1_13498-.Lpost_getpc17500)>>32
	s_setpc_b64 s[14:15]
.LBB1_27836:
	v_mov_b32_e32 v2, 0
	v_cmp_ne_u16_sdwa s[8:9], v7, v2 src0_sel:BYTE_3 src1_sel:DWORD
	s_andn2_b64 s[4:5], s[4:5], exec
	s_and_b64 s[8:9], s[8:9], exec
	s_or_b64 s[4:5], s[4:5], s[8:9]
	s_or_b64 exec, exec, s[6:7]
	s_and_saveexec_b64 s[6:7], s[4:5]
	s_cbranch_execz .LBB1_35421
; %bb.63675:
	s_getpc_b64 s[14:15]
.Lpost_getpc17501:
	s_add_u32 s14, s14, (.LBB1_13499-.Lpost_getpc17501)&4294967295
	s_addc_u32 s15, s15, (.LBB1_13499-.Lpost_getpc17501)>>32
	s_setpc_b64 s[14:15]
.LBB1_35421:
	s_getpc_b64 s[14:15]
.Lpost_getpc3374:
	s_add_u32 s14, s14, (.LBB1_13500-.Lpost_getpc3374)&4294967295
	s_addc_u32 s15, s15, (.LBB1_13500-.Lpost_getpc3374)>>32
	s_setpc_b64 s[14:15]
.LBB1_27837:
	s_movk_i32 s4, 0x80
	v_cmp_eq_u16_sdwa s[12:13], v3, s4 src0_sel:BYTE_3 src1_sel:DWORD
	s_mov_b64 s[4:5], -1
                                        ; implicit-def: $sgpr10
	s_and_saveexec_b64 s[8:9], s[12:13]
; %bb.27838:
	s_mov_b32 s10, 0x7f800001
	s_xor_b64 s[4:5], exec, -1
; %bb.27839:
	s_or_b64 exec, exec, s[8:9]
	s_and_b64 s[4:5], s[4:5], exec
	s_or_saveexec_b64 s[6:7], s[6:7]
	v_mov_b32_e32 v6, s10
	s_xor_b64 exec, exec, s[6:7]
	s_cbranch_execnz .LBB1_27840
; %bb.63677:
	s_getpc_b64 s[14:15]
.Lpost_getpc17502:
	s_add_u32 s14, s14, (.LBB1_13502-.Lpost_getpc17502)&4294967295
	s_addc_u32 s15, s15, (.LBB1_13502-.Lpost_getpc17502)>>32
	s_setpc_b64 s[14:15]
.LBB1_27840:
	v_mov_b32_e32 v6, 0
	v_cmp_ne_u16_sdwa s[8:9], v3, v6 src0_sel:BYTE_3 src1_sel:DWORD
	s_andn2_b64 s[4:5], s[4:5], exec
	s_and_b64 s[8:9], s[8:9], exec
	s_or_b64 s[4:5], s[4:5], s[8:9]
	s_or_b64 exec, exec, s[6:7]
	s_and_saveexec_b64 s[6:7], s[4:5]
	s_cbranch_execz .LBB1_35423
; %bb.63679:
	s_getpc_b64 s[14:15]
.Lpost_getpc17503:
	s_add_u32 s14, s14, (.LBB1_13503-.Lpost_getpc17503)&4294967295
	s_addc_u32 s15, s15, (.LBB1_13503-.Lpost_getpc17503)>>32
	s_setpc_b64 s[14:15]
.LBB1_35423:
	s_getpc_b64 s[14:15]
.Lpost_getpc3375:
	s_add_u32 s14, s14, (.LBB1_13504-.Lpost_getpc3375)&4294967295
	s_addc_u32 s15, s15, (.LBB1_13504-.Lpost_getpc3375)>>32
	s_setpc_b64 s[14:15]
.LBB1_27841:
	s_movk_i32 s4, 0x80
	v_cmp_eq_u16_sdwa s[12:13], v8, s4 src0_sel:BYTE_0 src1_sel:DWORD
	s_mov_b64 s[4:5], -1
                                        ; implicit-def: $sgpr10
	s_and_saveexec_b64 s[8:9], s[12:13]
; %bb.27842:
	s_mov_b32 s10, 0x7f800001
	s_xor_b64 s[4:5], exec, -1
; %bb.27843:
	s_or_b64 exec, exec, s[8:9]
	s_and_b64 s[4:5], s[4:5], exec
	s_or_saveexec_b64 s[6:7], s[6:7]
	v_mov_b32_e32 v2, s10
	s_xor_b64 exec, exec, s[6:7]
	s_cbranch_execnz .LBB1_27844
; %bb.63681:
	s_getpc_b64 s[14:15]
.Lpost_getpc17504:
	s_add_u32 s14, s14, (.LBB1_13506-.Lpost_getpc17504)&4294967295
	s_addc_u32 s15, s15, (.LBB1_13506-.Lpost_getpc17504)>>32
	s_setpc_b64 s[14:15]
.LBB1_27844:
	v_mov_b32_e32 v2, 0
	v_cmp_ne_u16_sdwa s[8:9], v8, v2 src0_sel:BYTE_0 src1_sel:DWORD
	s_andn2_b64 s[4:5], s[4:5], exec
	s_and_b64 s[8:9], s[8:9], exec
	s_or_b64 s[4:5], s[4:5], s[8:9]
	s_or_b64 exec, exec, s[6:7]
	s_and_saveexec_b64 s[6:7], s[4:5]
	s_cbranch_execz .LBB1_35425
; %bb.63683:
	s_getpc_b64 s[14:15]
.Lpost_getpc17505:
	s_add_u32 s14, s14, (.LBB1_13507-.Lpost_getpc17505)&4294967295
	s_addc_u32 s15, s15, (.LBB1_13507-.Lpost_getpc17505)>>32
	s_setpc_b64 s[14:15]
.LBB1_35425:
	s_getpc_b64 s[14:15]
.Lpost_getpc3376:
	s_add_u32 s14, s14, (.LBB1_13508-.Lpost_getpc3376)&4294967295
	s_addc_u32 s15, s15, (.LBB1_13508-.Lpost_getpc3376)>>32
	s_setpc_b64 s[14:15]
.LBB1_27845:
	s_movk_i32 s4, 0x80
	v_cmp_eq_u16_sdwa s[12:13], v4, s4 src0_sel:BYTE_0 src1_sel:DWORD
	s_mov_b64 s[4:5], -1
                                        ; implicit-def: $sgpr10
	s_and_saveexec_b64 s[8:9], s[12:13]
; %bb.27846:
	s_mov_b32 s10, 0x7f800001
	s_xor_b64 s[4:5], exec, -1
; %bb.27847:
	s_or_b64 exec, exec, s[8:9]
	s_and_b64 s[4:5], s[4:5], exec
	s_or_saveexec_b64 s[6:7], s[6:7]
	v_mov_b32_e32 v3, s10
	s_xor_b64 exec, exec, s[6:7]
	s_cbranch_execnz .LBB1_27848
; %bb.63685:
	s_getpc_b64 s[14:15]
.Lpost_getpc17506:
	s_add_u32 s14, s14, (.LBB1_13510-.Lpost_getpc17506)&4294967295
	s_addc_u32 s15, s15, (.LBB1_13510-.Lpost_getpc17506)>>32
	s_setpc_b64 s[14:15]
.LBB1_27848:
	v_mov_b32_e32 v3, 0
	v_cmp_ne_u16_sdwa s[8:9], v4, v3 src0_sel:BYTE_0 src1_sel:DWORD
	s_andn2_b64 s[4:5], s[4:5], exec
	s_and_b64 s[8:9], s[8:9], exec
	s_or_b64 s[4:5], s[4:5], s[8:9]
	s_or_b64 exec, exec, s[6:7]
	s_and_saveexec_b64 s[6:7], s[4:5]
	s_cbranch_execz .LBB1_35427
; %bb.63687:
	s_getpc_b64 s[14:15]
.Lpost_getpc17507:
	s_add_u32 s14, s14, (.LBB1_13511-.Lpost_getpc17507)&4294967295
	s_addc_u32 s15, s15, (.LBB1_13511-.Lpost_getpc17507)>>32
	s_setpc_b64 s[14:15]
.LBB1_35427:
	s_getpc_b64 s[14:15]
.Lpost_getpc3377:
	s_add_u32 s14, s14, (.LBB1_13512-.Lpost_getpc3377)&4294967295
	s_addc_u32 s15, s15, (.LBB1_13512-.Lpost_getpc3377)>>32
	s_setpc_b64 s[14:15]
.LBB1_27849:
	s_movk_i32 s4, 0x80
	v_cmp_eq_u16_sdwa s[12:13], v3, s4 src0_sel:BYTE_0 src1_sel:DWORD
	s_mov_b64 s[4:5], -1
                                        ; implicit-def: $sgpr10
	s_and_saveexec_b64 s[8:9], s[12:13]
; %bb.27850:
	s_mov_b32 s10, 0x7f800001
	s_xor_b64 s[4:5], exec, -1
; %bb.27851:
	s_or_b64 exec, exec, s[8:9]
	s_and_b64 s[4:5], s[4:5], exec
	s_or_saveexec_b64 s[6:7], s[6:7]
	v_mov_b32_e32 v2, s10
	s_xor_b64 exec, exec, s[6:7]
	s_cbranch_execnz .LBB1_27852
; %bb.63689:
	s_getpc_b64 s[14:15]
.Lpost_getpc17508:
	s_add_u32 s14, s14, (.LBB1_13514-.Lpost_getpc17508)&4294967295
	s_addc_u32 s15, s15, (.LBB1_13514-.Lpost_getpc17508)>>32
	s_setpc_b64 s[14:15]
.LBB1_27852:
	v_mov_b32_e32 v2, 0
	v_cmp_ne_u16_sdwa s[8:9], v3, v2 src0_sel:BYTE_0 src1_sel:DWORD
	s_andn2_b64 s[4:5], s[4:5], exec
	s_and_b64 s[8:9], s[8:9], exec
	s_or_b64 s[4:5], s[4:5], s[8:9]
	s_or_b64 exec, exec, s[6:7]
	s_and_saveexec_b64 s[6:7], s[4:5]
	s_cbranch_execz .LBB1_35429
; %bb.63691:
	s_getpc_b64 s[14:15]
.Lpost_getpc17509:
	s_add_u32 s14, s14, (.LBB1_13515-.Lpost_getpc17509)&4294967295
	s_addc_u32 s15, s15, (.LBB1_13515-.Lpost_getpc17509)>>32
	s_setpc_b64 s[14:15]
.LBB1_35429:
	s_getpc_b64 s[14:15]
.Lpost_getpc3378:
	s_add_u32 s14, s14, (.LBB1_13516-.Lpost_getpc3378)&4294967295
	s_addc_u32 s15, s15, (.LBB1_13516-.Lpost_getpc3378)>>32
	s_setpc_b64 s[14:15]
.LBB1_27853:
	s_movk_i32 s4, 0x80
	v_cmp_eq_u16_sdwa s[12:13], v3, s4 src0_sel:BYTE_0 src1_sel:DWORD
	s_mov_b64 s[4:5], -1
                                        ; implicit-def: $sgpr10
	s_and_saveexec_b64 s[8:9], s[12:13]
; %bb.27854:
	s_mov_b32 s10, 0x7f800001
	s_xor_b64 s[4:5], exec, -1
; %bb.27855:
	s_or_b64 exec, exec, s[8:9]
	s_and_b64 s[4:5], s[4:5], exec
	s_or_saveexec_b64 s[6:7], s[6:7]
	v_mov_b32_e32 v6, s10
	s_xor_b64 exec, exec, s[6:7]
	s_cbranch_execnz .LBB1_27856
; %bb.63693:
	s_getpc_b64 s[14:15]
.Lpost_getpc17510:
	s_add_u32 s14, s14, (.LBB1_13518-.Lpost_getpc17510)&4294967295
	s_addc_u32 s15, s15, (.LBB1_13518-.Lpost_getpc17510)>>32
	s_setpc_b64 s[14:15]
.LBB1_27856:
	v_mov_b32_e32 v6, 0
	v_cmp_ne_u16_sdwa s[8:9], v3, v6 src0_sel:BYTE_0 src1_sel:DWORD
	s_andn2_b64 s[4:5], s[4:5], exec
	s_and_b64 s[8:9], s[8:9], exec
	s_or_b64 s[4:5], s[4:5], s[8:9]
	s_or_b64 exec, exec, s[6:7]
	s_and_saveexec_b64 s[6:7], s[4:5]
	s_cbranch_execz .LBB1_35431
; %bb.63695:
	s_getpc_b64 s[14:15]
.Lpost_getpc17511:
	s_add_u32 s14, s14, (.LBB1_13519-.Lpost_getpc17511)&4294967295
	s_addc_u32 s15, s15, (.LBB1_13519-.Lpost_getpc17511)>>32
	s_setpc_b64 s[14:15]
.LBB1_35431:
	s_getpc_b64 s[14:15]
.Lpost_getpc3379:
	s_add_u32 s14, s14, (.LBB1_13520-.Lpost_getpc3379)&4294967295
	s_addc_u32 s15, s15, (.LBB1_13520-.Lpost_getpc3379)>>32
	s_setpc_b64 s[14:15]
.LBB1_27857:
	s_movk_i32 s4, 0x80
	v_cmp_eq_u16_e32 vcc, s4, v3
	s_mov_b64 s[4:5], -1
                                        ; implicit-def: $sgpr10
	s_and_saveexec_b64 s[8:9], vcc
; %bb.27858:
	s_mov_b32 s10, 0x7f800001
	s_xor_b64 s[4:5], exec, -1
; %bb.27859:
	s_or_b64 exec, exec, s[8:9]
	s_and_b64 s[4:5], s[4:5], exec
                                        ; implicit-def: $vgpr3
	s_or_saveexec_b64 s[6:7], s[6:7]
	v_mov_b32_e32 v2, s10
	s_xor_b64 exec, exec, s[6:7]
	s_cbranch_execnz .LBB1_27860
; %bb.63697:
	s_getpc_b64 s[14:15]
.Lpost_getpc17512:
	s_add_u32 s14, s14, (.LBB1_13522-.Lpost_getpc17512)&4294967295
	s_addc_u32 s15, s15, (.LBB1_13522-.Lpost_getpc17512)>>32
	s_setpc_b64 s[14:15]
.LBB1_27860:
	v_cmp_ne_u16_e32 vcc, 0, v3
	s_andn2_b64 s[4:5], s[4:5], exec
	s_and_b64 s[8:9], vcc, exec
	v_mov_b32_e32 v2, 0
	s_or_b64 s[4:5], s[4:5], s[8:9]
	s_or_b64 exec, exec, s[6:7]
	s_and_saveexec_b64 s[6:7], s[4:5]
	s_cbranch_execz .LBB1_35433
; %bb.63699:
	s_getpc_b64 s[14:15]
.Lpost_getpc17513:
	s_add_u32 s14, s14, (.LBB1_13523-.Lpost_getpc17513)&4294967295
	s_addc_u32 s15, s15, (.LBB1_13523-.Lpost_getpc17513)>>32
	s_setpc_b64 s[14:15]
.LBB1_35433:
	s_getpc_b64 s[14:15]
.Lpost_getpc3380:
	s_add_u32 s14, s14, (.LBB1_13524-.Lpost_getpc3380)&4294967295
	s_addc_u32 s15, s15, (.LBB1_13524-.Lpost_getpc3380)>>32
	s_setpc_b64 s[14:15]
.LBB1_27861:
	s_movk_i32 s4, 0x80
	v_cmp_eq_u16_e32 vcc, s4, v3
	s_mov_b64 s[4:5], -1
                                        ; implicit-def: $sgpr10
	s_and_saveexec_b64 s[8:9], vcc
; %bb.27862:
	s_mov_b32 s10, 0x7f800001
	s_xor_b64 s[4:5], exec, -1
; %bb.27863:
	s_or_b64 exec, exec, s[8:9]
	s_and_b64 s[4:5], s[4:5], exec
                                        ; implicit-def: $vgpr3
	s_or_saveexec_b64 s[6:7], s[6:7]
	v_mov_b32_e32 v6, s10
	s_xor_b64 exec, exec, s[6:7]
	s_cbranch_execnz .LBB1_27864
; %bb.63701:
	s_getpc_b64 s[14:15]
.Lpost_getpc17514:
	s_add_u32 s14, s14, (.LBB1_13526-.Lpost_getpc17514)&4294967295
	s_addc_u32 s15, s15, (.LBB1_13526-.Lpost_getpc17514)>>32
	s_setpc_b64 s[14:15]
.LBB1_27864:
	v_cmp_ne_u16_e32 vcc, 0, v3
	s_andn2_b64 s[4:5], s[4:5], exec
	s_and_b64 s[8:9], vcc, exec
	v_mov_b32_e32 v6, 0
	s_or_b64 s[4:5], s[4:5], s[8:9]
	s_or_b64 exec, exec, s[6:7]
	s_and_saveexec_b64 s[6:7], s[4:5]
	s_cbranch_execz .LBB1_35435
; %bb.63703:
	s_getpc_b64 s[14:15]
.Lpost_getpc17515:
	s_add_u32 s14, s14, (.LBB1_13527-.Lpost_getpc17515)&4294967295
	s_addc_u32 s15, s15, (.LBB1_13527-.Lpost_getpc17515)>>32
	s_setpc_b64 s[14:15]
.LBB1_35435:
	s_getpc_b64 s[14:15]
.Lpost_getpc3381:
	s_add_u32 s14, s14, (.LBB1_13528-.Lpost_getpc3381)&4294967295
	s_addc_u32 s15, s15, (.LBB1_13528-.Lpost_getpc3381)>>32
	s_setpc_b64 s[14:15]
.LBB1_27865:
	s_movk_i32 s4, 0x80
	v_cmp_eq_u16_sdwa s[12:13], v8, s4 src0_sel:BYTE_3 src1_sel:DWORD
	s_mov_b64 s[4:5], -1
                                        ; implicit-def: $sgpr10
	s_and_saveexec_b64 s[8:9], s[12:13]
; %bb.27866:
	s_mov_b32 s10, 0x7f800001
	s_xor_b64 s[4:5], exec, -1
; %bb.27867:
	s_or_b64 exec, exec, s[8:9]
	s_and_b64 s[4:5], s[4:5], exec
	s_or_saveexec_b64 s[6:7], s[6:7]
	v_mov_b32_e32 v2, s10
	s_xor_b64 exec, exec, s[6:7]
	s_cbranch_execnz .LBB1_27868
; %bb.63705:
	s_getpc_b64 s[14:15]
.Lpost_getpc17516:
	s_add_u32 s14, s14, (.LBB1_13530-.Lpost_getpc17516)&4294967295
	s_addc_u32 s15, s15, (.LBB1_13530-.Lpost_getpc17516)>>32
	s_setpc_b64 s[14:15]
.LBB1_27868:
	v_mov_b32_e32 v2, 0
	v_cmp_ne_u16_sdwa s[8:9], v8, v2 src0_sel:BYTE_3 src1_sel:DWORD
	s_andn2_b64 s[4:5], s[4:5], exec
	s_and_b64 s[8:9], s[8:9], exec
	s_or_b64 s[4:5], s[4:5], s[8:9]
	s_or_b64 exec, exec, s[6:7]
	s_and_saveexec_b64 s[6:7], s[4:5]
	s_cbranch_execz .LBB1_35437
; %bb.63707:
	s_getpc_b64 s[14:15]
.Lpost_getpc17517:
	s_add_u32 s14, s14, (.LBB1_13531-.Lpost_getpc17517)&4294967295
	s_addc_u32 s15, s15, (.LBB1_13531-.Lpost_getpc17517)>>32
	s_setpc_b64 s[14:15]
.LBB1_35437:
	s_getpc_b64 s[14:15]
.Lpost_getpc3382:
	s_add_u32 s14, s14, (.LBB1_13532-.Lpost_getpc3382)&4294967295
	s_addc_u32 s15, s15, (.LBB1_13532-.Lpost_getpc3382)>>32
	s_setpc_b64 s[14:15]
.LBB1_27869:
	s_movk_i32 s4, 0x80
	v_cmp_eq_u16_sdwa s[12:13], v4, s4 src0_sel:BYTE_3 src1_sel:DWORD
	s_mov_b64 s[4:5], -1
                                        ; implicit-def: $sgpr10
	s_and_saveexec_b64 s[8:9], s[12:13]
; %bb.27870:
	s_mov_b32 s10, 0x7f800001
	s_xor_b64 s[4:5], exec, -1
; %bb.27871:
	s_or_b64 exec, exec, s[8:9]
	s_and_b64 s[4:5], s[4:5], exec
	s_or_saveexec_b64 s[6:7], s[6:7]
	v_mov_b32_e32 v3, s10
	s_xor_b64 exec, exec, s[6:7]
	s_cbranch_execnz .LBB1_27872
; %bb.63709:
	s_getpc_b64 s[14:15]
.Lpost_getpc17518:
	s_add_u32 s14, s14, (.LBB1_13534-.Lpost_getpc17518)&4294967295
	s_addc_u32 s15, s15, (.LBB1_13534-.Lpost_getpc17518)>>32
	s_setpc_b64 s[14:15]
.LBB1_27872:
	v_mov_b32_e32 v3, 0
	v_cmp_ne_u16_sdwa s[8:9], v4, v3 src0_sel:BYTE_3 src1_sel:DWORD
	s_andn2_b64 s[4:5], s[4:5], exec
	s_and_b64 s[8:9], s[8:9], exec
	s_or_b64 s[4:5], s[4:5], s[8:9]
	s_or_b64 exec, exec, s[6:7]
	s_and_saveexec_b64 s[6:7], s[4:5]
	s_cbranch_execz .LBB1_35439
; %bb.63711:
	s_getpc_b64 s[14:15]
.Lpost_getpc17519:
	s_add_u32 s14, s14, (.LBB1_13535-.Lpost_getpc17519)&4294967295
	s_addc_u32 s15, s15, (.LBB1_13535-.Lpost_getpc17519)>>32
	s_setpc_b64 s[14:15]
.LBB1_35439:
	s_getpc_b64 s[14:15]
.Lpost_getpc3383:
	s_add_u32 s14, s14, (.LBB1_13536-.Lpost_getpc3383)&4294967295
	s_addc_u32 s15, s15, (.LBB1_13536-.Lpost_getpc3383)>>32
	s_setpc_b64 s[14:15]
.LBB1_27873:
	s_movk_i32 s4, 0x80
	v_cmp_eq_u16_sdwa s[12:13], v9, s4 src0_sel:BYTE_0 src1_sel:DWORD
	s_mov_b64 s[4:5], -1
                                        ; implicit-def: $sgpr10
	s_and_saveexec_b64 s[8:9], s[12:13]
; %bb.27874:
	s_mov_b32 s10, 0x7f800001
	s_xor_b64 s[4:5], exec, -1
; %bb.27875:
	s_or_b64 exec, exec, s[8:9]
	s_and_b64 s[4:5], s[4:5], exec
	s_or_saveexec_b64 s[6:7], s[6:7]
	v_mov_b32_e32 v2, s10
	s_xor_b64 exec, exec, s[6:7]
	s_cbranch_execnz .LBB1_27876
; %bb.63713:
	s_getpc_b64 s[14:15]
.Lpost_getpc17520:
	s_add_u32 s14, s14, (.LBB1_13538-.Lpost_getpc17520)&4294967295
	s_addc_u32 s15, s15, (.LBB1_13538-.Lpost_getpc17520)>>32
	s_setpc_b64 s[14:15]
.LBB1_27876:
	v_mov_b32_e32 v2, 0
	v_cmp_ne_u16_sdwa s[8:9], v9, v2 src0_sel:BYTE_0 src1_sel:DWORD
	s_andn2_b64 s[4:5], s[4:5], exec
	s_and_b64 s[8:9], s[8:9], exec
	s_or_b64 s[4:5], s[4:5], s[8:9]
	s_or_b64 exec, exec, s[6:7]
	s_and_saveexec_b64 s[6:7], s[4:5]
	s_cbranch_execz .LBB1_35441
; %bb.63715:
	s_getpc_b64 s[14:15]
.Lpost_getpc17521:
	s_add_u32 s14, s14, (.LBB1_13539-.Lpost_getpc17521)&4294967295
	s_addc_u32 s15, s15, (.LBB1_13539-.Lpost_getpc17521)>>32
	s_setpc_b64 s[14:15]
.LBB1_35441:
	s_getpc_b64 s[14:15]
.Lpost_getpc3384:
	s_add_u32 s14, s14, (.LBB1_13540-.Lpost_getpc3384)&4294967295
	s_addc_u32 s15, s15, (.LBB1_13540-.Lpost_getpc3384)>>32
	s_setpc_b64 s[14:15]
.LBB1_27877:
	s_movk_i32 s4, 0x80
	v_cmp_eq_u16_sdwa s[12:13], v5, s4 src0_sel:BYTE_0 src1_sel:DWORD
	s_mov_b64 s[4:5], -1
                                        ; implicit-def: $sgpr10
	s_and_saveexec_b64 s[8:9], s[12:13]
; %bb.27878:
	s_mov_b32 s10, 0x7f800001
	s_xor_b64 s[4:5], exec, -1
; %bb.27879:
	s_or_b64 exec, exec, s[8:9]
	s_and_b64 s[4:5], s[4:5], exec
	s_or_saveexec_b64 s[6:7], s[6:7]
	v_mov_b32_e32 v3, s10
	s_xor_b64 exec, exec, s[6:7]
	s_cbranch_execnz .LBB1_27880
; %bb.63717:
	s_getpc_b64 s[14:15]
.Lpost_getpc17522:
	s_add_u32 s14, s14, (.LBB1_13542-.Lpost_getpc17522)&4294967295
	s_addc_u32 s15, s15, (.LBB1_13542-.Lpost_getpc17522)>>32
	s_setpc_b64 s[14:15]
.LBB1_27880:
	v_mov_b32_e32 v3, 0
	v_cmp_ne_u16_sdwa s[8:9], v5, v3 src0_sel:BYTE_0 src1_sel:DWORD
	s_andn2_b64 s[4:5], s[4:5], exec
	s_and_b64 s[8:9], s[8:9], exec
	s_or_b64 s[4:5], s[4:5], s[8:9]
	s_or_b64 exec, exec, s[6:7]
	s_and_saveexec_b64 s[6:7], s[4:5]
	s_cbranch_execz .LBB1_35443
; %bb.63719:
	s_getpc_b64 s[14:15]
.Lpost_getpc17523:
	s_add_u32 s14, s14, (.LBB1_13543-.Lpost_getpc17523)&4294967295
	s_addc_u32 s15, s15, (.LBB1_13543-.Lpost_getpc17523)>>32
	s_setpc_b64 s[14:15]
.LBB1_35443:
	s_getpc_b64 s[14:15]
.Lpost_getpc3385:
	s_add_u32 s14, s14, (.LBB1_13544-.Lpost_getpc3385)&4294967295
	s_addc_u32 s15, s15, (.LBB1_13544-.Lpost_getpc3385)>>32
	s_setpc_b64 s[14:15]
.LBB1_27881:
	s_movk_i32 s4, 0x80
	v_cmp_eq_u16_sdwa s[12:13], v3, s4 src0_sel:BYTE_0 src1_sel:DWORD
	s_mov_b64 s[4:5], -1
                                        ; implicit-def: $sgpr10
	s_and_saveexec_b64 s[8:9], s[12:13]
; %bb.27882:
	s_mov_b32 s10, 0x7f800001
	s_xor_b64 s[4:5], exec, -1
; %bb.27883:
	s_or_b64 exec, exec, s[8:9]
	s_and_b64 s[4:5], s[4:5], exec
	s_or_saveexec_b64 s[6:7], s[6:7]
	v_mov_b32_e32 v2, s10
	s_xor_b64 exec, exec, s[6:7]
	s_cbranch_execnz .LBB1_27884
; %bb.63721:
	s_getpc_b64 s[14:15]
.Lpost_getpc17524:
	s_add_u32 s14, s14, (.LBB1_13546-.Lpost_getpc17524)&4294967295
	s_addc_u32 s15, s15, (.LBB1_13546-.Lpost_getpc17524)>>32
	s_setpc_b64 s[14:15]
.LBB1_27884:
	v_mov_b32_e32 v2, 0
	v_cmp_ne_u16_sdwa s[8:9], v3, v2 src0_sel:BYTE_0 src1_sel:DWORD
	s_andn2_b64 s[4:5], s[4:5], exec
	s_and_b64 s[8:9], s[8:9], exec
	s_or_b64 s[4:5], s[4:5], s[8:9]
	s_or_b64 exec, exec, s[6:7]
	s_and_saveexec_b64 s[6:7], s[4:5]
	s_cbranch_execz .LBB1_35445
; %bb.63723:
	s_getpc_b64 s[14:15]
.Lpost_getpc17525:
	s_add_u32 s14, s14, (.LBB1_13547-.Lpost_getpc17525)&4294967295
	s_addc_u32 s15, s15, (.LBB1_13547-.Lpost_getpc17525)>>32
	s_setpc_b64 s[14:15]
.LBB1_35445:
	s_getpc_b64 s[14:15]
.Lpost_getpc3386:
	s_add_u32 s14, s14, (.LBB1_13548-.Lpost_getpc3386)&4294967295
	s_addc_u32 s15, s15, (.LBB1_13548-.Lpost_getpc3386)>>32
	s_setpc_b64 s[14:15]
.LBB1_27885:
	s_movk_i32 s4, 0x80
	v_cmp_eq_u16_sdwa s[12:13], v3, s4 src0_sel:BYTE_0 src1_sel:DWORD
	s_mov_b64 s[4:5], -1
                                        ; implicit-def: $sgpr10
	s_and_saveexec_b64 s[8:9], s[12:13]
; %bb.27886:
	s_mov_b32 s10, 0x7f800001
	s_xor_b64 s[4:5], exec, -1
; %bb.27887:
	s_or_b64 exec, exec, s[8:9]
	s_and_b64 s[4:5], s[4:5], exec
	s_or_saveexec_b64 s[6:7], s[6:7]
	v_mov_b32_e32 v4, s10
	s_xor_b64 exec, exec, s[6:7]
	s_cbranch_execnz .LBB1_27888
; %bb.63725:
	s_getpc_b64 s[14:15]
.Lpost_getpc17526:
	s_add_u32 s14, s14, (.LBB1_13550-.Lpost_getpc17526)&4294967295
	s_addc_u32 s15, s15, (.LBB1_13550-.Lpost_getpc17526)>>32
	s_setpc_b64 s[14:15]
.LBB1_27888:
	v_mov_b32_e32 v4, 0
	v_cmp_ne_u16_sdwa s[8:9], v3, v4 src0_sel:BYTE_0 src1_sel:DWORD
	s_andn2_b64 s[4:5], s[4:5], exec
	s_and_b64 s[8:9], s[8:9], exec
	s_or_b64 s[4:5], s[4:5], s[8:9]
	s_or_b64 exec, exec, s[6:7]
	s_and_saveexec_b64 s[6:7], s[4:5]
	s_cbranch_execz .LBB1_35447
; %bb.63727:
	s_getpc_b64 s[14:15]
.Lpost_getpc17527:
	s_add_u32 s14, s14, (.LBB1_13551-.Lpost_getpc17527)&4294967295
	s_addc_u32 s15, s15, (.LBB1_13551-.Lpost_getpc17527)>>32
	s_setpc_b64 s[14:15]
.LBB1_35447:
	s_getpc_b64 s[14:15]
.Lpost_getpc3387:
	s_add_u32 s14, s14, (.LBB1_13552-.Lpost_getpc3387)&4294967295
	s_addc_u32 s15, s15, (.LBB1_13552-.Lpost_getpc3387)>>32
	s_setpc_b64 s[14:15]
.LBB1_27889:
	s_movk_i32 s4, 0x80
	v_cmp_eq_u16_e32 vcc, s4, v3
	s_mov_b64 s[4:5], -1
                                        ; implicit-def: $sgpr10
	s_and_saveexec_b64 s[8:9], vcc
; %bb.27890:
	s_mov_b32 s10, 0x7f800001
	s_xor_b64 s[4:5], exec, -1
; %bb.27891:
	s_or_b64 exec, exec, s[8:9]
	s_and_b64 s[4:5], s[4:5], exec
                                        ; implicit-def: $vgpr3
	s_or_saveexec_b64 s[6:7], s[6:7]
	v_mov_b32_e32 v2, s10
	s_xor_b64 exec, exec, s[6:7]
	s_cbranch_execnz .LBB1_27892
; %bb.63729:
	s_getpc_b64 s[14:15]
.Lpost_getpc17528:
	s_add_u32 s14, s14, (.LBB1_13554-.Lpost_getpc17528)&4294967295
	s_addc_u32 s15, s15, (.LBB1_13554-.Lpost_getpc17528)>>32
	s_setpc_b64 s[14:15]
.LBB1_27892:
	v_cmp_ne_u16_e32 vcc, 0, v3
	s_andn2_b64 s[4:5], s[4:5], exec
	s_and_b64 s[8:9], vcc, exec
	v_mov_b32_e32 v2, 0
	s_or_b64 s[4:5], s[4:5], s[8:9]
	s_or_b64 exec, exec, s[6:7]
	s_and_saveexec_b64 s[6:7], s[4:5]
	s_cbranch_execz .LBB1_35449
; %bb.63731:
	s_getpc_b64 s[14:15]
.Lpost_getpc17529:
	s_add_u32 s14, s14, (.LBB1_13555-.Lpost_getpc17529)&4294967295
	s_addc_u32 s15, s15, (.LBB1_13555-.Lpost_getpc17529)>>32
	s_setpc_b64 s[14:15]
.LBB1_35449:
	s_getpc_b64 s[14:15]
.Lpost_getpc3388:
	s_add_u32 s14, s14, (.LBB1_13556-.Lpost_getpc3388)&4294967295
	s_addc_u32 s15, s15, (.LBB1_13556-.Lpost_getpc3388)>>32
	s_setpc_b64 s[14:15]
.LBB1_27893:
	s_movk_i32 s4, 0x80
	v_cmp_eq_u16_e32 vcc, s4, v3
	s_mov_b64 s[4:5], -1
                                        ; implicit-def: $sgpr10
	s_and_saveexec_b64 s[8:9], vcc
; %bb.27894:
	s_mov_b32 s10, 0x7f800001
	s_xor_b64 s[4:5], exec, -1
; %bb.27895:
	s_or_b64 exec, exec, s[8:9]
	s_and_b64 s[4:5], s[4:5], exec
                                        ; implicit-def: $vgpr3
	s_or_saveexec_b64 s[6:7], s[6:7]
	v_mov_b32_e32 v4, s10
	s_xor_b64 exec, exec, s[6:7]
	s_cbranch_execnz .LBB1_27896
; %bb.63733:
	s_getpc_b64 s[14:15]
.Lpost_getpc17530:
	s_add_u32 s14, s14, (.LBB1_13558-.Lpost_getpc17530)&4294967295
	s_addc_u32 s15, s15, (.LBB1_13558-.Lpost_getpc17530)>>32
	s_setpc_b64 s[14:15]
.LBB1_27896:
	v_cmp_ne_u16_e32 vcc, 0, v3
	s_andn2_b64 s[4:5], s[4:5], exec
	s_and_b64 s[8:9], vcc, exec
	v_mov_b32_e32 v4, 0
	s_or_b64 s[4:5], s[4:5], s[8:9]
	s_or_b64 exec, exec, s[6:7]
	s_and_saveexec_b64 s[6:7], s[4:5]
	s_cbranch_execz .LBB1_35451
; %bb.63735:
	s_getpc_b64 s[14:15]
.Lpost_getpc17531:
	s_add_u32 s14, s14, (.LBB1_13559-.Lpost_getpc17531)&4294967295
	s_addc_u32 s15, s15, (.LBB1_13559-.Lpost_getpc17531)>>32
	s_setpc_b64 s[14:15]
.LBB1_35451:
	s_getpc_b64 s[14:15]
.Lpost_getpc3389:
	s_add_u32 s14, s14, (.LBB1_13560-.Lpost_getpc3389)&4294967295
	s_addc_u32 s15, s15, (.LBB1_13560-.Lpost_getpc3389)>>32
	s_setpc_b64 s[14:15]
.LBB1_27897:
	s_movk_i32 s4, 0x80
	v_cmp_eq_u16_sdwa s[12:13], v9, s4 src0_sel:BYTE_3 src1_sel:DWORD
	s_mov_b64 s[4:5], -1
                                        ; implicit-def: $sgpr10
	s_and_saveexec_b64 s[8:9], s[12:13]
; %bb.27898:
	s_mov_b32 s10, 0x7f800001
	s_xor_b64 s[4:5], exec, -1
; %bb.27899:
	s_or_b64 exec, exec, s[8:9]
	s_and_b64 s[4:5], s[4:5], exec
	s_or_saveexec_b64 s[6:7], s[6:7]
	v_mov_b32_e32 v2, s10
	s_xor_b64 exec, exec, s[6:7]
	s_cbranch_execnz .LBB1_27900
; %bb.63737:
	s_getpc_b64 s[14:15]
.Lpost_getpc17532:
	s_add_u32 s14, s14, (.LBB1_13562-.Lpost_getpc17532)&4294967295
	s_addc_u32 s15, s15, (.LBB1_13562-.Lpost_getpc17532)>>32
	s_setpc_b64 s[14:15]
.LBB1_27900:
	v_mov_b32_e32 v2, 0
	v_cmp_ne_u16_sdwa s[8:9], v9, v2 src0_sel:BYTE_3 src1_sel:DWORD
	s_andn2_b64 s[4:5], s[4:5], exec
	s_and_b64 s[8:9], s[8:9], exec
	s_or_b64 s[4:5], s[4:5], s[8:9]
	s_or_b64 exec, exec, s[6:7]
	s_and_saveexec_b64 s[6:7], s[4:5]
	s_cbranch_execz .LBB1_35453
; %bb.63739:
	s_getpc_b64 s[14:15]
.Lpost_getpc17533:
	s_add_u32 s14, s14, (.LBB1_13563-.Lpost_getpc17533)&4294967295
	s_addc_u32 s15, s15, (.LBB1_13563-.Lpost_getpc17533)>>32
	s_setpc_b64 s[14:15]
.LBB1_35453:
	s_getpc_b64 s[14:15]
.Lpost_getpc3390:
	s_add_u32 s14, s14, (.LBB1_13564-.Lpost_getpc3390)&4294967295
	s_addc_u32 s15, s15, (.LBB1_13564-.Lpost_getpc3390)>>32
	s_setpc_b64 s[14:15]
.LBB1_27901:
	s_movk_i32 s4, 0x80
	v_cmp_eq_u16_sdwa s[12:13], v5, s4 src0_sel:BYTE_3 src1_sel:DWORD
	s_mov_b64 s[4:5], -1
                                        ; implicit-def: $sgpr10
	s_and_saveexec_b64 s[8:9], s[12:13]
; %bb.27902:
	s_mov_b32 s10, 0x7f800001
	s_xor_b64 s[4:5], exec, -1
; %bb.27903:
	s_or_b64 exec, exec, s[8:9]
	s_and_b64 s[4:5], s[4:5], exec
	s_or_saveexec_b64 s[6:7], s[6:7]
	v_mov_b32_e32 v3, s10
	s_xor_b64 exec, exec, s[6:7]
	s_cbranch_execnz .LBB1_27904
; %bb.63741:
	s_getpc_b64 s[14:15]
.Lpost_getpc17534:
	s_add_u32 s14, s14, (.LBB1_13566-.Lpost_getpc17534)&4294967295
	s_addc_u32 s15, s15, (.LBB1_13566-.Lpost_getpc17534)>>32
	s_setpc_b64 s[14:15]
.LBB1_27904:
	v_mov_b32_e32 v3, 0
	v_cmp_ne_u16_sdwa s[8:9], v5, v3 src0_sel:BYTE_3 src1_sel:DWORD
	s_andn2_b64 s[4:5], s[4:5], exec
	s_and_b64 s[8:9], s[8:9], exec
	s_or_b64 s[4:5], s[4:5], s[8:9]
	s_or_b64 exec, exec, s[6:7]
	s_and_saveexec_b64 s[6:7], s[4:5]
	s_cbranch_execz .LBB1_35455
; %bb.63743:
	s_getpc_b64 s[14:15]
.Lpost_getpc17535:
	s_add_u32 s14, s14, (.LBB1_13567-.Lpost_getpc17535)&4294967295
	s_addc_u32 s15, s15, (.LBB1_13567-.Lpost_getpc17535)>>32
	s_setpc_b64 s[14:15]
.LBB1_35455:
	s_getpc_b64 s[14:15]
.Lpost_getpc3391:
	s_add_u32 s14, s14, (.LBB1_13568-.Lpost_getpc3391)&4294967295
	s_addc_u32 s15, s15, (.LBB1_13568-.Lpost_getpc3391)>>32
	s_setpc_b64 s[14:15]
.LBB1_27905:
	s_movk_i32 s4, 0x80
	v_cmp_eq_u16_sdwa s[12:13], v6, s4 src0_sel:BYTE_0 src1_sel:DWORD
	s_mov_b64 s[4:5], -1
                                        ; implicit-def: $sgpr10
	s_and_saveexec_b64 s[8:9], s[12:13]
; %bb.27906:
	s_mov_b32 s10, 0x7f800001
	s_xor_b64 s[4:5], exec, -1
; %bb.27907:
	s_or_b64 exec, exec, s[8:9]
	s_and_b64 s[4:5], s[4:5], exec
	s_or_saveexec_b64 s[6:7], s[6:7]
	v_mov_b32_e32 v12, s10
	s_xor_b64 exec, exec, s[6:7]
	s_cbranch_execnz .LBB1_27908
; %bb.63745:
	s_getpc_b64 s[14:15]
.Lpost_getpc17536:
	s_add_u32 s14, s14, (.LBB1_13570-.Lpost_getpc17536)&4294967295
	s_addc_u32 s15, s15, (.LBB1_13570-.Lpost_getpc17536)>>32
	s_setpc_b64 s[14:15]
.LBB1_27908:
	v_mov_b32_e32 v12, 0
	v_cmp_ne_u16_sdwa s[8:9], v6, v12 src0_sel:BYTE_0 src1_sel:DWORD
	s_andn2_b64 s[4:5], s[4:5], exec
	s_and_b64 s[8:9], s[8:9], exec
	s_or_b64 s[4:5], s[4:5], s[8:9]
	s_or_b64 exec, exec, s[6:7]
	s_and_saveexec_b64 s[6:7], s[4:5]
	s_cbranch_execz .LBB1_35457
; %bb.63747:
	s_getpc_b64 s[14:15]
.Lpost_getpc17537:
	s_add_u32 s14, s14, (.LBB1_13571-.Lpost_getpc17537)&4294967295
	s_addc_u32 s15, s15, (.LBB1_13571-.Lpost_getpc17537)>>32
	s_setpc_b64 s[14:15]
.LBB1_35457:
	s_getpc_b64 s[14:15]
.Lpost_getpc3392:
	s_add_u32 s14, s14, (.LBB1_13572-.Lpost_getpc3392)&4294967295
	s_addc_u32 s15, s15, (.LBB1_13572-.Lpost_getpc3392)>>32
	s_setpc_b64 s[14:15]
.LBB1_27909:
	s_movk_i32 s4, 0x80
	v_cmp_eq_u16_sdwa s[12:13], v2, s4 src0_sel:BYTE_0 src1_sel:DWORD
	s_mov_b64 s[4:5], -1
                                        ; implicit-def: $sgpr10
	s_and_saveexec_b64 s[8:9], s[12:13]
; %bb.27910:
	s_mov_b32 s10, 0x7f800001
	s_xor_b64 s[4:5], exec, -1
; %bb.27911:
	s_or_b64 exec, exec, s[8:9]
	s_and_b64 s[4:5], s[4:5], exec
	s_or_saveexec_b64 s[6:7], s[6:7]
	v_mov_b32_e32 v13, s10
	s_xor_b64 exec, exec, s[6:7]
	s_cbranch_execnz .LBB1_27912
; %bb.63749:
	s_getpc_b64 s[14:15]
.Lpost_getpc17538:
	s_add_u32 s14, s14, (.LBB1_13574-.Lpost_getpc17538)&4294967295
	s_addc_u32 s15, s15, (.LBB1_13574-.Lpost_getpc17538)>>32
	s_setpc_b64 s[14:15]
.LBB1_27912:
	v_mov_b32_e32 v13, 0
	v_cmp_ne_u16_sdwa s[8:9], v2, v13 src0_sel:BYTE_0 src1_sel:DWORD
	s_andn2_b64 s[4:5], s[4:5], exec
	s_and_b64 s[8:9], s[8:9], exec
	s_or_b64 s[4:5], s[4:5], s[8:9]
	s_or_b64 exec, exec, s[6:7]
	s_and_saveexec_b64 s[6:7], s[4:5]
	s_cbranch_execz .LBB1_35459
; %bb.63751:
	s_getpc_b64 s[14:15]
.Lpost_getpc17539:
	s_add_u32 s14, s14, (.LBB1_13575-.Lpost_getpc17539)&4294967295
	s_addc_u32 s15, s15, (.LBB1_13575-.Lpost_getpc17539)>>32
	s_setpc_b64 s[14:15]
.LBB1_35459:
	s_getpc_b64 s[14:15]
.Lpost_getpc3393:
	s_add_u32 s14, s14, (.LBB1_13576-.Lpost_getpc3393)&4294967295
	s_addc_u32 s15, s15, (.LBB1_13576-.Lpost_getpc3393)>>32
	s_setpc_b64 s[14:15]
.LBB1_27913:
	s_movk_i32 s4, 0x80
	v_cmp_eq_u16_sdwa s[12:13], v13, s4 src0_sel:BYTE_0 src1_sel:DWORD
	s_mov_b64 s[4:5], -1
                                        ; implicit-def: $sgpr10
	s_and_saveexec_b64 s[8:9], s[12:13]
; %bb.27914:
	s_mov_b32 s10, 0x7f800001
	s_xor_b64 s[4:5], exec, -1
; %bb.27915:
	s_or_b64 exec, exec, s[8:9]
	s_and_b64 s[4:5], s[4:5], exec
	s_or_saveexec_b64 s[6:7], s[6:7]
	v_mov_b32_e32 v12, s10
	s_xor_b64 exec, exec, s[6:7]
	s_cbranch_execnz .LBB1_27916
; %bb.63753:
	s_getpc_b64 s[14:15]
.Lpost_getpc17540:
	s_add_u32 s14, s14, (.LBB1_13578-.Lpost_getpc17540)&4294967295
	s_addc_u32 s15, s15, (.LBB1_13578-.Lpost_getpc17540)>>32
	s_setpc_b64 s[14:15]
.LBB1_27916:
	v_mov_b32_e32 v12, 0
	v_cmp_ne_u16_sdwa s[8:9], v13, v12 src0_sel:BYTE_0 src1_sel:DWORD
	s_andn2_b64 s[4:5], s[4:5], exec
	s_and_b64 s[8:9], s[8:9], exec
	s_or_b64 s[4:5], s[4:5], s[8:9]
	s_or_b64 exec, exec, s[6:7]
	s_and_saveexec_b64 s[6:7], s[4:5]
	s_cbranch_execz .LBB1_35461
; %bb.63755:
	s_getpc_b64 s[14:15]
.Lpost_getpc17541:
	s_add_u32 s14, s14, (.LBB1_13579-.Lpost_getpc17541)&4294967295
	s_addc_u32 s15, s15, (.LBB1_13579-.Lpost_getpc17541)>>32
	s_setpc_b64 s[14:15]
.LBB1_35461:
	s_getpc_b64 s[14:15]
.Lpost_getpc3394:
	s_add_u32 s14, s14, (.LBB1_13580-.Lpost_getpc3394)&4294967295
	s_addc_u32 s15, s15, (.LBB1_13580-.Lpost_getpc3394)>>32
	s_setpc_b64 s[14:15]
.LBB1_27917:
	s_movk_i32 s4, 0x80
	v_cmp_eq_u16_sdwa s[12:13], v13, s4 src0_sel:BYTE_0 src1_sel:DWORD
	s_mov_b64 s[4:5], -1
                                        ; implicit-def: $sgpr10
	s_and_saveexec_b64 s[8:9], s[12:13]
; %bb.27918:
	s_mov_b32 s10, 0x7f800001
	s_xor_b64 s[4:5], exec, -1
; %bb.27919:
	s_or_b64 exec, exec, s[8:9]
	s_and_b64 s[4:5], s[4:5], exec
	s_or_saveexec_b64 s[6:7], s[6:7]
	v_mov_b32_e32 v14, s10
	s_xor_b64 exec, exec, s[6:7]
	s_cbranch_execnz .LBB1_27920
; %bb.63757:
	s_getpc_b64 s[14:15]
.Lpost_getpc17542:
	s_add_u32 s14, s14, (.LBB1_13582-.Lpost_getpc17542)&4294967295
	s_addc_u32 s15, s15, (.LBB1_13582-.Lpost_getpc17542)>>32
	s_setpc_b64 s[14:15]
.LBB1_27920:
	v_mov_b32_e32 v14, 0
	v_cmp_ne_u16_sdwa s[8:9], v13, v14 src0_sel:BYTE_0 src1_sel:DWORD
	s_andn2_b64 s[4:5], s[4:5], exec
	s_and_b64 s[8:9], s[8:9], exec
	s_or_b64 s[4:5], s[4:5], s[8:9]
	s_or_b64 exec, exec, s[6:7]
	s_and_saveexec_b64 s[6:7], s[4:5]
	s_cbranch_execz .LBB1_35463
; %bb.63759:
	s_getpc_b64 s[14:15]
.Lpost_getpc17543:
	s_add_u32 s14, s14, (.LBB1_13583-.Lpost_getpc17543)&4294967295
	s_addc_u32 s15, s15, (.LBB1_13583-.Lpost_getpc17543)>>32
	s_setpc_b64 s[14:15]
.LBB1_35463:
	s_getpc_b64 s[14:15]
.Lpost_getpc3395:
	s_add_u32 s14, s14, (.LBB1_13584-.Lpost_getpc3395)&4294967295
	s_addc_u32 s15, s15, (.LBB1_13584-.Lpost_getpc3395)>>32
	s_setpc_b64 s[14:15]
.LBB1_27921:
	s_movk_i32 s4, 0x80
	v_cmp_eq_u16_e32 vcc, s4, v13
	s_mov_b64 s[4:5], -1
                                        ; implicit-def: $sgpr10
	s_and_saveexec_b64 s[8:9], vcc
; %bb.27922:
	s_mov_b32 s10, 0x7f800001
	s_xor_b64 s[4:5], exec, -1
; %bb.27923:
	s_or_b64 exec, exec, s[8:9]
	s_and_b64 s[4:5], s[4:5], exec
                                        ; implicit-def: $vgpr13
	s_or_saveexec_b64 s[6:7], s[6:7]
	v_mov_b32_e32 v12, s10
	s_xor_b64 exec, exec, s[6:7]
	s_cbranch_execnz .LBB1_27924
; %bb.63761:
	s_getpc_b64 s[14:15]
.Lpost_getpc17544:
	s_add_u32 s14, s14, (.LBB1_13586-.Lpost_getpc17544)&4294967295
	s_addc_u32 s15, s15, (.LBB1_13586-.Lpost_getpc17544)>>32
	s_setpc_b64 s[14:15]
.LBB1_27924:
	v_cmp_ne_u16_e32 vcc, 0, v13
	s_andn2_b64 s[4:5], s[4:5], exec
	s_and_b64 s[8:9], vcc, exec
	v_mov_b32_e32 v12, 0
	s_or_b64 s[4:5], s[4:5], s[8:9]
	s_or_b64 exec, exec, s[6:7]
	s_and_saveexec_b64 s[6:7], s[4:5]
	s_cbranch_execz .LBB1_35465
; %bb.63763:
	s_getpc_b64 s[14:15]
.Lpost_getpc17545:
	s_add_u32 s14, s14, (.LBB1_13587-.Lpost_getpc17545)&4294967295
	s_addc_u32 s15, s15, (.LBB1_13587-.Lpost_getpc17545)>>32
	s_setpc_b64 s[14:15]
.LBB1_35465:
	s_getpc_b64 s[14:15]
.Lpost_getpc3396:
	s_add_u32 s14, s14, (.LBB1_13588-.Lpost_getpc3396)&4294967295
	s_addc_u32 s15, s15, (.LBB1_13588-.Lpost_getpc3396)>>32
	s_setpc_b64 s[14:15]
.LBB1_27925:
	s_movk_i32 s4, 0x80
	v_cmp_eq_u16_e32 vcc, s4, v13
	s_mov_b64 s[4:5], -1
                                        ; implicit-def: $sgpr10
	s_and_saveexec_b64 s[8:9], vcc
; %bb.27926:
	s_mov_b32 s10, 0x7f800001
	s_xor_b64 s[4:5], exec, -1
; %bb.27927:
	s_or_b64 exec, exec, s[8:9]
	s_and_b64 s[4:5], s[4:5], exec
                                        ; implicit-def: $vgpr13
	s_or_saveexec_b64 s[6:7], s[6:7]
	v_mov_b32_e32 v14, s10
	s_xor_b64 exec, exec, s[6:7]
	s_cbranch_execnz .LBB1_27928
; %bb.63765:
	s_getpc_b64 s[14:15]
.Lpost_getpc17546:
	s_add_u32 s14, s14, (.LBB1_13590-.Lpost_getpc17546)&4294967295
	s_addc_u32 s15, s15, (.LBB1_13590-.Lpost_getpc17546)>>32
	s_setpc_b64 s[14:15]
.LBB1_27928:
	v_cmp_ne_u16_e32 vcc, 0, v13
	s_andn2_b64 s[4:5], s[4:5], exec
	s_and_b64 s[8:9], vcc, exec
	v_mov_b32_e32 v14, 0
	s_or_b64 s[4:5], s[4:5], s[8:9]
	s_or_b64 exec, exec, s[6:7]
	s_and_saveexec_b64 s[6:7], s[4:5]
	s_cbranch_execz .LBB1_35467
; %bb.63767:
	s_getpc_b64 s[14:15]
.Lpost_getpc17547:
	s_add_u32 s14, s14, (.LBB1_13591-.Lpost_getpc17547)&4294967295
	s_addc_u32 s15, s15, (.LBB1_13591-.Lpost_getpc17547)>>32
	s_setpc_b64 s[14:15]
.LBB1_35467:
	s_getpc_b64 s[14:15]
.Lpost_getpc3397:
	s_add_u32 s14, s14, (.LBB1_13592-.Lpost_getpc3397)&4294967295
	s_addc_u32 s15, s15, (.LBB1_13592-.Lpost_getpc3397)>>32
	s_setpc_b64 s[14:15]
.LBB1_27929:
	s_movk_i32 s4, 0x80
	v_cmp_eq_u16_sdwa s[12:13], v6, s4 src0_sel:BYTE_3 src1_sel:DWORD
	s_mov_b64 s[4:5], -1
                                        ; implicit-def: $sgpr10
	s_and_saveexec_b64 s[8:9], s[12:13]
; %bb.27930:
	s_mov_b32 s10, 0x7f800001
	s_xor_b64 s[4:5], exec, -1
; %bb.27931:
	s_or_b64 exec, exec, s[8:9]
	s_and_b64 s[4:5], s[4:5], exec
	s_or_saveexec_b64 s[6:7], s[6:7]
	v_mov_b32_e32 v12, s10
	s_xor_b64 exec, exec, s[6:7]
	s_cbranch_execnz .LBB1_27932
; %bb.63769:
	s_getpc_b64 s[14:15]
.Lpost_getpc17548:
	s_add_u32 s14, s14, (.LBB1_13594-.Lpost_getpc17548)&4294967295
	s_addc_u32 s15, s15, (.LBB1_13594-.Lpost_getpc17548)>>32
	s_setpc_b64 s[14:15]
.LBB1_27932:
	v_mov_b32_e32 v12, 0
	v_cmp_ne_u16_sdwa s[8:9], v6, v12 src0_sel:BYTE_3 src1_sel:DWORD
	s_andn2_b64 s[4:5], s[4:5], exec
	s_and_b64 s[8:9], s[8:9], exec
	s_or_b64 s[4:5], s[4:5], s[8:9]
	s_or_b64 exec, exec, s[6:7]
	s_and_saveexec_b64 s[6:7], s[4:5]
	s_cbranch_execz .LBB1_35469
; %bb.63771:
	s_getpc_b64 s[14:15]
.Lpost_getpc17549:
	s_add_u32 s14, s14, (.LBB1_13595-.Lpost_getpc17549)&4294967295
	s_addc_u32 s15, s15, (.LBB1_13595-.Lpost_getpc17549)>>32
	s_setpc_b64 s[14:15]
.LBB1_35469:
	s_getpc_b64 s[14:15]
.Lpost_getpc3398:
	s_add_u32 s14, s14, (.LBB1_13596-.Lpost_getpc3398)&4294967295
	s_addc_u32 s15, s15, (.LBB1_13596-.Lpost_getpc3398)>>32
	s_setpc_b64 s[14:15]
.LBB1_27933:
	s_movk_i32 s4, 0x80
	v_cmp_eq_u16_sdwa s[12:13], v2, s4 src0_sel:BYTE_3 src1_sel:DWORD
	s_mov_b64 s[4:5], -1
                                        ; implicit-def: $sgpr10
	s_and_saveexec_b64 s[8:9], s[12:13]
; %bb.27934:
	s_mov_b32 s10, 0x7f800001
	s_xor_b64 s[4:5], exec, -1
; %bb.27935:
	s_or_b64 exec, exec, s[8:9]
	s_and_b64 s[4:5], s[4:5], exec
	s_or_saveexec_b64 s[6:7], s[6:7]
	v_mov_b32_e32 v6, s10
	s_xor_b64 exec, exec, s[6:7]
	s_cbranch_execnz .LBB1_27936
; %bb.63773:
	s_getpc_b64 s[14:15]
.Lpost_getpc17550:
	s_add_u32 s14, s14, (.LBB1_13598-.Lpost_getpc17550)&4294967295
	s_addc_u32 s15, s15, (.LBB1_13598-.Lpost_getpc17550)>>32
	s_setpc_b64 s[14:15]
.LBB1_27936:
	v_mov_b32_e32 v6, 0
	v_cmp_ne_u16_sdwa s[8:9], v2, v6 src0_sel:BYTE_3 src1_sel:DWORD
	s_andn2_b64 s[4:5], s[4:5], exec
	s_and_b64 s[8:9], s[8:9], exec
	s_or_b64 s[4:5], s[4:5], s[8:9]
	s_or_b64 exec, exec, s[6:7]
	s_and_saveexec_b64 s[6:7], s[4:5]
	s_cbranch_execz .LBB1_35471
; %bb.63775:
	s_getpc_b64 s[14:15]
.Lpost_getpc17551:
	s_add_u32 s14, s14, (.LBB1_13599-.Lpost_getpc17551)&4294967295
	s_addc_u32 s15, s15, (.LBB1_13599-.Lpost_getpc17551)>>32
	s_setpc_b64 s[14:15]
.LBB1_35471:
	s_getpc_b64 s[14:15]
.Lpost_getpc3399:
	s_add_u32 s14, s14, (.LBB1_13600-.Lpost_getpc3399)&4294967295
	s_addc_u32 s15, s15, (.LBB1_13600-.Lpost_getpc3399)>>32
	s_setpc_b64 s[14:15]
.LBB1_27937:
	s_movk_i32 s4, 0x80
	v_cmp_eq_u16_sdwa s[12:13], v7, s4 src0_sel:BYTE_0 src1_sel:DWORD
	s_mov_b64 s[4:5], -1
                                        ; implicit-def: $sgpr10
	s_and_saveexec_b64 s[8:9], s[12:13]
; %bb.27938:
	s_mov_b32 s10, 0x7f800001
	s_xor_b64 s[4:5], exec, -1
; %bb.27939:
	s_or_b64 exec, exec, s[8:9]
	s_and_b64 s[4:5], s[4:5], exec
	s_or_saveexec_b64 s[6:7], s[6:7]
	v_mov_b32_e32 v2, s10
	s_xor_b64 exec, exec, s[6:7]
	s_cbranch_execnz .LBB1_27940
; %bb.63777:
	s_getpc_b64 s[14:15]
.Lpost_getpc17552:
	s_add_u32 s14, s14, (.LBB1_13602-.Lpost_getpc17552)&4294967295
	s_addc_u32 s15, s15, (.LBB1_13602-.Lpost_getpc17552)>>32
	s_setpc_b64 s[14:15]
.LBB1_27940:
	v_mov_b32_e32 v2, 0
	v_cmp_ne_u16_sdwa s[8:9], v7, v2 src0_sel:BYTE_0 src1_sel:DWORD
	s_andn2_b64 s[4:5], s[4:5], exec
	s_and_b64 s[8:9], s[8:9], exec
	s_or_b64 s[4:5], s[4:5], s[8:9]
	s_or_b64 exec, exec, s[6:7]
	s_and_saveexec_b64 s[6:7], s[4:5]
	s_cbranch_execz .LBB1_35473
; %bb.63779:
	s_getpc_b64 s[14:15]
.Lpost_getpc17553:
	s_add_u32 s14, s14, (.LBB1_13603-.Lpost_getpc17553)&4294967295
	s_addc_u32 s15, s15, (.LBB1_13603-.Lpost_getpc17553)>>32
	s_setpc_b64 s[14:15]
.LBB1_35473:
	s_getpc_b64 s[14:15]
.Lpost_getpc3400:
	s_add_u32 s14, s14, (.LBB1_13604-.Lpost_getpc3400)&4294967295
	s_addc_u32 s15, s15, (.LBB1_13604-.Lpost_getpc3400)>>32
	s_setpc_b64 s[14:15]
.LBB1_27941:
	s_movk_i32 s4, 0x80
	v_cmp_eq_u16_sdwa s[12:13], v3, s4 src0_sel:BYTE_0 src1_sel:DWORD
	s_mov_b64 s[4:5], -1
                                        ; implicit-def: $sgpr10
	s_and_saveexec_b64 s[8:9], s[12:13]
; %bb.27942:
	s_mov_b32 s10, 0x7f800001
	s_xor_b64 s[4:5], exec, -1
; %bb.27943:
	s_or_b64 exec, exec, s[8:9]
	s_and_b64 s[4:5], s[4:5], exec
	s_or_saveexec_b64 s[6:7], s[6:7]
	v_mov_b32_e32 v6, s10
	s_xor_b64 exec, exec, s[6:7]
	s_cbranch_execnz .LBB1_27944
; %bb.63781:
	s_getpc_b64 s[14:15]
.Lpost_getpc17554:
	s_add_u32 s14, s14, (.LBB1_13606-.Lpost_getpc17554)&4294967295
	s_addc_u32 s15, s15, (.LBB1_13606-.Lpost_getpc17554)>>32
	s_setpc_b64 s[14:15]
.LBB1_27944:
	v_mov_b32_e32 v6, 0
	v_cmp_ne_u16_sdwa s[8:9], v3, v6 src0_sel:BYTE_0 src1_sel:DWORD
	s_andn2_b64 s[4:5], s[4:5], exec
	s_and_b64 s[8:9], s[8:9], exec
	s_or_b64 s[4:5], s[4:5], s[8:9]
	s_or_b64 exec, exec, s[6:7]
	s_and_saveexec_b64 s[6:7], s[4:5]
	s_cbranch_execz .LBB1_35475
; %bb.63783:
	s_getpc_b64 s[14:15]
.Lpost_getpc17555:
	s_add_u32 s14, s14, (.LBB1_13607-.Lpost_getpc17555)&4294967295
	s_addc_u32 s15, s15, (.LBB1_13607-.Lpost_getpc17555)>>32
	s_setpc_b64 s[14:15]
.LBB1_35475:
	s_getpc_b64 s[14:15]
.Lpost_getpc3401:
	s_add_u32 s14, s14, (.LBB1_13608-.Lpost_getpc3401)&4294967295
	s_addc_u32 s15, s15, (.LBB1_13608-.Lpost_getpc3401)>>32
	s_setpc_b64 s[14:15]
.LBB1_27945:
	s_movk_i32 s4, 0x80
	v_cmp_eq_u16_sdwa s[12:13], v6, s4 src0_sel:BYTE_0 src1_sel:DWORD
	s_mov_b64 s[4:5], -1
                                        ; implicit-def: $sgpr10
	s_and_saveexec_b64 s[8:9], s[12:13]
; %bb.27946:
	s_mov_b32 s10, 0x7f800001
	s_xor_b64 s[4:5], exec, -1
; %bb.27947:
	s_or_b64 exec, exec, s[8:9]
	s_and_b64 s[4:5], s[4:5], exec
	s_or_saveexec_b64 s[6:7], s[6:7]
	v_mov_b32_e32 v2, s10
	s_xor_b64 exec, exec, s[6:7]
	s_cbranch_execnz .LBB1_27948
; %bb.63785:
	s_getpc_b64 s[14:15]
.Lpost_getpc17556:
	s_add_u32 s14, s14, (.LBB1_13610-.Lpost_getpc17556)&4294967295
	s_addc_u32 s15, s15, (.LBB1_13610-.Lpost_getpc17556)>>32
	s_setpc_b64 s[14:15]
.LBB1_27948:
	v_mov_b32_e32 v2, 0
	v_cmp_ne_u16_sdwa s[8:9], v6, v2 src0_sel:BYTE_0 src1_sel:DWORD
	s_andn2_b64 s[4:5], s[4:5], exec
	s_and_b64 s[8:9], s[8:9], exec
	s_or_b64 s[4:5], s[4:5], s[8:9]
	s_or_b64 exec, exec, s[6:7]
	s_and_saveexec_b64 s[6:7], s[4:5]
	s_cbranch_execz .LBB1_35477
; %bb.63787:
	s_getpc_b64 s[14:15]
.Lpost_getpc17557:
	s_add_u32 s14, s14, (.LBB1_13611-.Lpost_getpc17557)&4294967295
	s_addc_u32 s15, s15, (.LBB1_13611-.Lpost_getpc17557)>>32
	s_setpc_b64 s[14:15]
.LBB1_35477:
	s_getpc_b64 s[14:15]
.Lpost_getpc3402:
	s_add_u32 s14, s14, (.LBB1_13612-.Lpost_getpc3402)&4294967295
	s_addc_u32 s15, s15, (.LBB1_13612-.Lpost_getpc3402)>>32
	s_setpc_b64 s[14:15]
.LBB1_27949:
	s_movk_i32 s4, 0x80
	v_cmp_eq_u16_sdwa s[12:13], v6, s4 src0_sel:BYTE_0 src1_sel:DWORD
	s_mov_b64 s[4:5], -1
                                        ; implicit-def: $sgpr10
	s_and_saveexec_b64 s[8:9], s[12:13]
; %bb.27950:
	s_mov_b32 s10, 0x7f800001
	s_xor_b64 s[4:5], exec, -1
; %bb.27951:
	s_or_b64 exec, exec, s[8:9]
	s_and_b64 s[4:5], s[4:5], exec
	s_or_saveexec_b64 s[6:7], s[6:7]
	v_mov_b32_e32 v12, s10
	s_xor_b64 exec, exec, s[6:7]
	s_cbranch_execnz .LBB1_27952
; %bb.63789:
	s_getpc_b64 s[14:15]
.Lpost_getpc17558:
	s_add_u32 s14, s14, (.LBB1_13614-.Lpost_getpc17558)&4294967295
	s_addc_u32 s15, s15, (.LBB1_13614-.Lpost_getpc17558)>>32
	s_setpc_b64 s[14:15]
.LBB1_27952:
	v_mov_b32_e32 v12, 0
	v_cmp_ne_u16_sdwa s[8:9], v6, v12 src0_sel:BYTE_0 src1_sel:DWORD
	s_andn2_b64 s[4:5], s[4:5], exec
	s_and_b64 s[8:9], s[8:9], exec
	s_or_b64 s[4:5], s[4:5], s[8:9]
	s_or_b64 exec, exec, s[6:7]
	s_and_saveexec_b64 s[6:7], s[4:5]
	s_cbranch_execz .LBB1_35479
; %bb.63791:
	s_getpc_b64 s[14:15]
.Lpost_getpc17559:
	s_add_u32 s14, s14, (.LBB1_13615-.Lpost_getpc17559)&4294967295
	s_addc_u32 s15, s15, (.LBB1_13615-.Lpost_getpc17559)>>32
	s_setpc_b64 s[14:15]
.LBB1_35479:
	s_getpc_b64 s[14:15]
.Lpost_getpc3403:
	s_add_u32 s14, s14, (.LBB1_13616-.Lpost_getpc3403)&4294967295
	s_addc_u32 s15, s15, (.LBB1_13616-.Lpost_getpc3403)>>32
	s_setpc_b64 s[14:15]
.LBB1_27953:
	s_movk_i32 s4, 0x80
	v_cmp_eq_u16_e32 vcc, s4, v6
	s_mov_b64 s[4:5], -1
                                        ; implicit-def: $sgpr10
	s_and_saveexec_b64 s[8:9], vcc
; %bb.27954:
	s_mov_b32 s10, 0x7f800001
	s_xor_b64 s[4:5], exec, -1
; %bb.27955:
	s_or_b64 exec, exec, s[8:9]
	s_and_b64 s[4:5], s[4:5], exec
                                        ; implicit-def: $vgpr6
	s_or_saveexec_b64 s[6:7], s[6:7]
	v_mov_b32_e32 v2, s10
	s_xor_b64 exec, exec, s[6:7]
	s_cbranch_execnz .LBB1_27956
; %bb.63793:
	s_getpc_b64 s[14:15]
.Lpost_getpc17560:
	s_add_u32 s14, s14, (.LBB1_13618-.Lpost_getpc17560)&4294967295
	s_addc_u32 s15, s15, (.LBB1_13618-.Lpost_getpc17560)>>32
	s_setpc_b64 s[14:15]
.LBB1_27956:
	v_cmp_ne_u16_e32 vcc, 0, v6
	s_andn2_b64 s[4:5], s[4:5], exec
	s_and_b64 s[8:9], vcc, exec
	v_mov_b32_e32 v2, 0
	s_or_b64 s[4:5], s[4:5], s[8:9]
	s_or_b64 exec, exec, s[6:7]
	s_and_saveexec_b64 s[6:7], s[4:5]
	s_cbranch_execz .LBB1_35481
; %bb.63795:
	s_getpc_b64 s[14:15]
.Lpost_getpc17561:
	s_add_u32 s14, s14, (.LBB1_13619-.Lpost_getpc17561)&4294967295
	s_addc_u32 s15, s15, (.LBB1_13619-.Lpost_getpc17561)>>32
	s_setpc_b64 s[14:15]
.LBB1_35481:
	s_getpc_b64 s[14:15]
.Lpost_getpc3404:
	s_add_u32 s14, s14, (.LBB1_13620-.Lpost_getpc3404)&4294967295
	s_addc_u32 s15, s15, (.LBB1_13620-.Lpost_getpc3404)>>32
	s_setpc_b64 s[14:15]
.LBB1_27957:
	s_movk_i32 s4, 0x80
	v_cmp_eq_u16_e32 vcc, s4, v6
	s_mov_b64 s[4:5], -1
                                        ; implicit-def: $sgpr10
	s_and_saveexec_b64 s[8:9], vcc
; %bb.27958:
	s_mov_b32 s10, 0x7f800001
	s_xor_b64 s[4:5], exec, -1
; %bb.27959:
	s_or_b64 exec, exec, s[8:9]
	s_and_b64 s[4:5], s[4:5], exec
                                        ; implicit-def: $vgpr6
	s_or_saveexec_b64 s[6:7], s[6:7]
	v_mov_b32_e32 v12, s10
	s_xor_b64 exec, exec, s[6:7]
	s_cbranch_execnz .LBB1_27960
; %bb.63797:
	s_getpc_b64 s[14:15]
.Lpost_getpc17562:
	s_add_u32 s14, s14, (.LBB1_13622-.Lpost_getpc17562)&4294967295
	s_addc_u32 s15, s15, (.LBB1_13622-.Lpost_getpc17562)>>32
	s_setpc_b64 s[14:15]
.LBB1_27960:
	v_cmp_ne_u16_e32 vcc, 0, v6
	s_andn2_b64 s[4:5], s[4:5], exec
	s_and_b64 s[8:9], vcc, exec
	v_mov_b32_e32 v12, 0
	s_or_b64 s[4:5], s[4:5], s[8:9]
	s_or_b64 exec, exec, s[6:7]
	s_and_saveexec_b64 s[6:7], s[4:5]
	s_cbranch_execz .LBB1_35483
; %bb.63799:
	s_getpc_b64 s[14:15]
.Lpost_getpc17563:
	s_add_u32 s14, s14, (.LBB1_13623-.Lpost_getpc17563)&4294967295
	s_addc_u32 s15, s15, (.LBB1_13623-.Lpost_getpc17563)>>32
	s_setpc_b64 s[14:15]
.LBB1_35483:
	s_getpc_b64 s[14:15]
.Lpost_getpc3405:
	s_add_u32 s14, s14, (.LBB1_13624-.Lpost_getpc3405)&4294967295
	s_addc_u32 s15, s15, (.LBB1_13624-.Lpost_getpc3405)>>32
	s_setpc_b64 s[14:15]
.LBB1_27961:
	s_movk_i32 s4, 0x80
	v_cmp_eq_u16_sdwa s[12:13], v7, s4 src0_sel:BYTE_3 src1_sel:DWORD
	s_mov_b64 s[4:5], -1
                                        ; implicit-def: $sgpr10
	s_and_saveexec_b64 s[8:9], s[12:13]
; %bb.27962:
	s_mov_b32 s10, 0x7f800001
	s_xor_b64 s[4:5], exec, -1
; %bb.27963:
	s_or_b64 exec, exec, s[8:9]
	s_and_b64 s[4:5], s[4:5], exec
	s_or_saveexec_b64 s[6:7], s[6:7]
	v_mov_b32_e32 v2, s10
	s_xor_b64 exec, exec, s[6:7]
	s_cbranch_execnz .LBB1_27964
; %bb.63801:
	s_getpc_b64 s[14:15]
.Lpost_getpc17564:
	s_add_u32 s14, s14, (.LBB1_13626-.Lpost_getpc17564)&4294967295
	s_addc_u32 s15, s15, (.LBB1_13626-.Lpost_getpc17564)>>32
	s_setpc_b64 s[14:15]
.LBB1_27964:
	v_mov_b32_e32 v2, 0
	v_cmp_ne_u16_sdwa s[8:9], v7, v2 src0_sel:BYTE_3 src1_sel:DWORD
	s_andn2_b64 s[4:5], s[4:5], exec
	s_and_b64 s[8:9], s[8:9], exec
	s_or_b64 s[4:5], s[4:5], s[8:9]
	s_or_b64 exec, exec, s[6:7]
	s_and_saveexec_b64 s[6:7], s[4:5]
	s_cbranch_execz .LBB1_35485
; %bb.63803:
	s_getpc_b64 s[14:15]
.Lpost_getpc17565:
	s_add_u32 s14, s14, (.LBB1_13627-.Lpost_getpc17565)&4294967295
	s_addc_u32 s15, s15, (.LBB1_13627-.Lpost_getpc17565)>>32
	s_setpc_b64 s[14:15]
.LBB1_35485:
	s_getpc_b64 s[14:15]
.Lpost_getpc3406:
	s_add_u32 s14, s14, (.LBB1_13628-.Lpost_getpc3406)&4294967295
	s_addc_u32 s15, s15, (.LBB1_13628-.Lpost_getpc3406)>>32
	s_setpc_b64 s[14:15]
.LBB1_27965:
	s_movk_i32 s4, 0x80
	v_cmp_eq_u16_sdwa s[12:13], v3, s4 src0_sel:BYTE_3 src1_sel:DWORD
	s_mov_b64 s[4:5], -1
                                        ; implicit-def: $sgpr10
	s_and_saveexec_b64 s[8:9], s[12:13]
; %bb.27966:
	s_mov_b32 s10, 0x7f800001
	s_xor_b64 s[4:5], exec, -1
; %bb.27967:
	s_or_b64 exec, exec, s[8:9]
	s_and_b64 s[4:5], s[4:5], exec
	s_or_saveexec_b64 s[6:7], s[6:7]
	v_mov_b32_e32 v6, s10
	s_xor_b64 exec, exec, s[6:7]
	s_cbranch_execnz .LBB1_27968
; %bb.63805:
	s_getpc_b64 s[14:15]
.Lpost_getpc17566:
	s_add_u32 s14, s14, (.LBB1_13630-.Lpost_getpc17566)&4294967295
	s_addc_u32 s15, s15, (.LBB1_13630-.Lpost_getpc17566)>>32
	s_setpc_b64 s[14:15]
.LBB1_27968:
	v_mov_b32_e32 v6, 0
	v_cmp_ne_u16_sdwa s[8:9], v3, v6 src0_sel:BYTE_3 src1_sel:DWORD
	s_andn2_b64 s[4:5], s[4:5], exec
	s_and_b64 s[8:9], s[8:9], exec
	s_or_b64 s[4:5], s[4:5], s[8:9]
	s_or_b64 exec, exec, s[6:7]
	s_and_saveexec_b64 s[6:7], s[4:5]
	s_cbranch_execz .LBB1_35487
; %bb.63807:
	s_getpc_b64 s[14:15]
.Lpost_getpc17567:
	s_add_u32 s14, s14, (.LBB1_13631-.Lpost_getpc17567)&4294967295
	s_addc_u32 s15, s15, (.LBB1_13631-.Lpost_getpc17567)>>32
	s_setpc_b64 s[14:15]
.LBB1_35487:
	s_getpc_b64 s[14:15]
.Lpost_getpc3407:
	s_add_u32 s14, s14, (.LBB1_13632-.Lpost_getpc3407)&4294967295
	s_addc_u32 s15, s15, (.LBB1_13632-.Lpost_getpc3407)>>32
	s_setpc_b64 s[14:15]
.LBB1_27969:
	s_movk_i32 s4, 0x80
	v_cmp_eq_u16_sdwa s[12:13], v8, s4 src0_sel:BYTE_0 src1_sel:DWORD
	s_mov_b64 s[4:5], -1
                                        ; implicit-def: $sgpr10
	s_and_saveexec_b64 s[8:9], s[12:13]
; %bb.27970:
	s_mov_b32 s10, 0x7f800001
	s_xor_b64 s[4:5], exec, -1
; %bb.27971:
	s_or_b64 exec, exec, s[8:9]
	s_and_b64 s[4:5], s[4:5], exec
	s_or_saveexec_b64 s[6:7], s[6:7]
	v_mov_b32_e32 v2, s10
	s_xor_b64 exec, exec, s[6:7]
	s_cbranch_execnz .LBB1_27972
; %bb.63809:
	s_getpc_b64 s[14:15]
.Lpost_getpc17568:
	s_add_u32 s14, s14, (.LBB1_13634-.Lpost_getpc17568)&4294967295
	s_addc_u32 s15, s15, (.LBB1_13634-.Lpost_getpc17568)>>32
	s_setpc_b64 s[14:15]
.LBB1_27972:
	v_mov_b32_e32 v2, 0
	v_cmp_ne_u16_sdwa s[8:9], v8, v2 src0_sel:BYTE_0 src1_sel:DWORD
	s_andn2_b64 s[4:5], s[4:5], exec
	s_and_b64 s[8:9], s[8:9], exec
	s_or_b64 s[4:5], s[4:5], s[8:9]
	s_or_b64 exec, exec, s[6:7]
	s_and_saveexec_b64 s[6:7], s[4:5]
	s_cbranch_execz .LBB1_35489
; %bb.63811:
	s_getpc_b64 s[14:15]
.Lpost_getpc17569:
	s_add_u32 s14, s14, (.LBB1_13635-.Lpost_getpc17569)&4294967295
	s_addc_u32 s15, s15, (.LBB1_13635-.Lpost_getpc17569)>>32
	s_setpc_b64 s[14:15]
.LBB1_35489:
	s_getpc_b64 s[14:15]
.Lpost_getpc3408:
	s_add_u32 s14, s14, (.LBB1_13636-.Lpost_getpc3408)&4294967295
	s_addc_u32 s15, s15, (.LBB1_13636-.Lpost_getpc3408)>>32
	s_setpc_b64 s[14:15]
.LBB1_27973:
	s_movk_i32 s4, 0x80
	v_cmp_eq_u16_sdwa s[12:13], v4, s4 src0_sel:BYTE_0 src1_sel:DWORD
	s_mov_b64 s[4:5], -1
                                        ; implicit-def: $sgpr10
	s_and_saveexec_b64 s[8:9], s[12:13]
; %bb.27974:
	s_mov_b32 s10, 0x7f800001
	s_xor_b64 s[4:5], exec, -1
; %bb.27975:
	s_or_b64 exec, exec, s[8:9]
	s_and_b64 s[4:5], s[4:5], exec
	s_or_saveexec_b64 s[6:7], s[6:7]
	v_mov_b32_e32 v3, s10
	s_xor_b64 exec, exec, s[6:7]
	s_cbranch_execnz .LBB1_27976
; %bb.63813:
	s_getpc_b64 s[14:15]
.Lpost_getpc17570:
	s_add_u32 s14, s14, (.LBB1_13638-.Lpost_getpc17570)&4294967295
	s_addc_u32 s15, s15, (.LBB1_13638-.Lpost_getpc17570)>>32
	s_setpc_b64 s[14:15]
.LBB1_27976:
	v_mov_b32_e32 v3, 0
	v_cmp_ne_u16_sdwa s[8:9], v4, v3 src0_sel:BYTE_0 src1_sel:DWORD
	s_andn2_b64 s[4:5], s[4:5], exec
	s_and_b64 s[8:9], s[8:9], exec
	s_or_b64 s[4:5], s[4:5], s[8:9]
	s_or_b64 exec, exec, s[6:7]
	s_and_saveexec_b64 s[6:7], s[4:5]
	s_cbranch_execz .LBB1_35491
; %bb.63815:
	s_getpc_b64 s[14:15]
.Lpost_getpc17571:
	s_add_u32 s14, s14, (.LBB1_13639-.Lpost_getpc17571)&4294967295
	s_addc_u32 s15, s15, (.LBB1_13639-.Lpost_getpc17571)>>32
	s_setpc_b64 s[14:15]
.LBB1_35491:
	s_getpc_b64 s[14:15]
.Lpost_getpc3409:
	s_add_u32 s14, s14, (.LBB1_13640-.Lpost_getpc3409)&4294967295
	s_addc_u32 s15, s15, (.LBB1_13640-.Lpost_getpc3409)>>32
	s_setpc_b64 s[14:15]
.LBB1_27977:
	s_movk_i32 s4, 0x80
	v_cmp_eq_u16_sdwa s[12:13], v3, s4 src0_sel:BYTE_0 src1_sel:DWORD
	s_mov_b64 s[4:5], -1
                                        ; implicit-def: $sgpr10
	s_and_saveexec_b64 s[8:9], s[12:13]
; %bb.27978:
	s_mov_b32 s10, 0x7f800001
	s_xor_b64 s[4:5], exec, -1
; %bb.27979:
	s_or_b64 exec, exec, s[8:9]
	s_and_b64 s[4:5], s[4:5], exec
	s_or_saveexec_b64 s[6:7], s[6:7]
	v_mov_b32_e32 v2, s10
	s_xor_b64 exec, exec, s[6:7]
	s_cbranch_execnz .LBB1_27980
; %bb.63817:
	s_getpc_b64 s[14:15]
.Lpost_getpc17572:
	s_add_u32 s14, s14, (.LBB1_13642-.Lpost_getpc17572)&4294967295
	s_addc_u32 s15, s15, (.LBB1_13642-.Lpost_getpc17572)>>32
	s_setpc_b64 s[14:15]
.LBB1_27980:
	v_mov_b32_e32 v2, 0
	v_cmp_ne_u16_sdwa s[8:9], v3, v2 src0_sel:BYTE_0 src1_sel:DWORD
	s_andn2_b64 s[4:5], s[4:5], exec
	s_and_b64 s[8:9], s[8:9], exec
	s_or_b64 s[4:5], s[4:5], s[8:9]
	s_or_b64 exec, exec, s[6:7]
	s_and_saveexec_b64 s[6:7], s[4:5]
	s_cbranch_execz .LBB1_35493
; %bb.63819:
	s_getpc_b64 s[14:15]
.Lpost_getpc17573:
	s_add_u32 s14, s14, (.LBB1_13643-.Lpost_getpc17573)&4294967295
	s_addc_u32 s15, s15, (.LBB1_13643-.Lpost_getpc17573)>>32
	s_setpc_b64 s[14:15]
.LBB1_35493:
	s_getpc_b64 s[14:15]
.Lpost_getpc3410:
	s_add_u32 s14, s14, (.LBB1_13644-.Lpost_getpc3410)&4294967295
	s_addc_u32 s15, s15, (.LBB1_13644-.Lpost_getpc3410)>>32
	s_setpc_b64 s[14:15]
.LBB1_27981:
	s_movk_i32 s4, 0x80
	v_cmp_eq_u16_sdwa s[12:13], v3, s4 src0_sel:BYTE_0 src1_sel:DWORD
	s_mov_b64 s[4:5], -1
                                        ; implicit-def: $sgpr10
	s_and_saveexec_b64 s[8:9], s[12:13]
; %bb.27982:
	s_mov_b32 s10, 0x7f800001
	s_xor_b64 s[4:5], exec, -1
; %bb.27983:
	s_or_b64 exec, exec, s[8:9]
	s_and_b64 s[4:5], s[4:5], exec
	s_or_saveexec_b64 s[6:7], s[6:7]
	v_mov_b32_e32 v6, s10
	s_xor_b64 exec, exec, s[6:7]
	s_cbranch_execnz .LBB1_27984
; %bb.63821:
	s_getpc_b64 s[14:15]
.Lpost_getpc17574:
	s_add_u32 s14, s14, (.LBB1_13646-.Lpost_getpc17574)&4294967295
	s_addc_u32 s15, s15, (.LBB1_13646-.Lpost_getpc17574)>>32
	s_setpc_b64 s[14:15]
.LBB1_27984:
	v_mov_b32_e32 v6, 0
	v_cmp_ne_u16_sdwa s[8:9], v3, v6 src0_sel:BYTE_0 src1_sel:DWORD
	s_andn2_b64 s[4:5], s[4:5], exec
	s_and_b64 s[8:9], s[8:9], exec
	s_or_b64 s[4:5], s[4:5], s[8:9]
	s_or_b64 exec, exec, s[6:7]
	s_and_saveexec_b64 s[6:7], s[4:5]
	s_cbranch_execz .LBB1_35495
; %bb.63823:
	s_getpc_b64 s[14:15]
.Lpost_getpc17575:
	s_add_u32 s14, s14, (.LBB1_13647-.Lpost_getpc17575)&4294967295
	s_addc_u32 s15, s15, (.LBB1_13647-.Lpost_getpc17575)>>32
	s_setpc_b64 s[14:15]
.LBB1_35495:
	s_getpc_b64 s[14:15]
.Lpost_getpc3411:
	s_add_u32 s14, s14, (.LBB1_13648-.Lpost_getpc3411)&4294967295
	s_addc_u32 s15, s15, (.LBB1_13648-.Lpost_getpc3411)>>32
	s_setpc_b64 s[14:15]
.LBB1_27985:
	s_movk_i32 s4, 0x80
	v_cmp_eq_u16_e32 vcc, s4, v3
	s_mov_b64 s[4:5], -1
                                        ; implicit-def: $sgpr10
	s_and_saveexec_b64 s[8:9], vcc
; %bb.27986:
	s_mov_b32 s10, 0x7f800001
	s_xor_b64 s[4:5], exec, -1
; %bb.27987:
	s_or_b64 exec, exec, s[8:9]
	s_and_b64 s[4:5], s[4:5], exec
                                        ; implicit-def: $vgpr3
	s_or_saveexec_b64 s[6:7], s[6:7]
	v_mov_b32_e32 v2, s10
	s_xor_b64 exec, exec, s[6:7]
	s_cbranch_execnz .LBB1_27988
; %bb.63825:
	s_getpc_b64 s[14:15]
.Lpost_getpc17576:
	s_add_u32 s14, s14, (.LBB1_13650-.Lpost_getpc17576)&4294967295
	s_addc_u32 s15, s15, (.LBB1_13650-.Lpost_getpc17576)>>32
	s_setpc_b64 s[14:15]
.LBB1_27988:
	v_cmp_ne_u16_e32 vcc, 0, v3
	s_andn2_b64 s[4:5], s[4:5], exec
	s_and_b64 s[8:9], vcc, exec
	v_mov_b32_e32 v2, 0
	s_or_b64 s[4:5], s[4:5], s[8:9]
	s_or_b64 exec, exec, s[6:7]
	s_and_saveexec_b64 s[6:7], s[4:5]
	s_cbranch_execz .LBB1_35497
; %bb.63827:
	s_getpc_b64 s[14:15]
.Lpost_getpc17577:
	s_add_u32 s14, s14, (.LBB1_13651-.Lpost_getpc17577)&4294967295
	s_addc_u32 s15, s15, (.LBB1_13651-.Lpost_getpc17577)>>32
	s_setpc_b64 s[14:15]
.LBB1_35497:
	s_getpc_b64 s[14:15]
.Lpost_getpc3412:
	s_add_u32 s14, s14, (.LBB1_13652-.Lpost_getpc3412)&4294967295
	s_addc_u32 s15, s15, (.LBB1_13652-.Lpost_getpc3412)>>32
	s_setpc_b64 s[14:15]
.LBB1_27989:
	s_movk_i32 s4, 0x80
	v_cmp_eq_u16_e32 vcc, s4, v3
	s_mov_b64 s[4:5], -1
                                        ; implicit-def: $sgpr10
	s_and_saveexec_b64 s[8:9], vcc
; %bb.27990:
	s_mov_b32 s10, 0x7f800001
	s_xor_b64 s[4:5], exec, -1
; %bb.27991:
	s_or_b64 exec, exec, s[8:9]
	s_and_b64 s[4:5], s[4:5], exec
                                        ; implicit-def: $vgpr3
	s_or_saveexec_b64 s[6:7], s[6:7]
	v_mov_b32_e32 v6, s10
	s_xor_b64 exec, exec, s[6:7]
	s_cbranch_execnz .LBB1_27992
; %bb.63829:
	s_getpc_b64 s[14:15]
.Lpost_getpc17578:
	s_add_u32 s14, s14, (.LBB1_13654-.Lpost_getpc17578)&4294967295
	s_addc_u32 s15, s15, (.LBB1_13654-.Lpost_getpc17578)>>32
	s_setpc_b64 s[14:15]
.LBB1_27992:
	v_cmp_ne_u16_e32 vcc, 0, v3
	s_andn2_b64 s[4:5], s[4:5], exec
	s_and_b64 s[8:9], vcc, exec
	v_mov_b32_e32 v6, 0
	s_or_b64 s[4:5], s[4:5], s[8:9]
	s_or_b64 exec, exec, s[6:7]
	s_and_saveexec_b64 s[6:7], s[4:5]
	s_cbranch_execz .LBB1_35499
; %bb.63831:
	s_getpc_b64 s[14:15]
.Lpost_getpc17579:
	s_add_u32 s14, s14, (.LBB1_13655-.Lpost_getpc17579)&4294967295
	s_addc_u32 s15, s15, (.LBB1_13655-.Lpost_getpc17579)>>32
	s_setpc_b64 s[14:15]
.LBB1_35499:
	s_getpc_b64 s[14:15]
.Lpost_getpc3413:
	s_add_u32 s14, s14, (.LBB1_13656-.Lpost_getpc3413)&4294967295
	s_addc_u32 s15, s15, (.LBB1_13656-.Lpost_getpc3413)>>32
	s_setpc_b64 s[14:15]
.LBB1_27993:
	s_movk_i32 s4, 0x80
	v_cmp_eq_u16_sdwa s[12:13], v8, s4 src0_sel:BYTE_3 src1_sel:DWORD
	s_mov_b64 s[4:5], -1
                                        ; implicit-def: $sgpr10
	s_and_saveexec_b64 s[8:9], s[12:13]
; %bb.27994:
	s_mov_b32 s10, 0x7f800001
	s_xor_b64 s[4:5], exec, -1
; %bb.27995:
	s_or_b64 exec, exec, s[8:9]
	s_and_b64 s[4:5], s[4:5], exec
	s_or_saveexec_b64 s[6:7], s[6:7]
	v_mov_b32_e32 v2, s10
	s_xor_b64 exec, exec, s[6:7]
	s_cbranch_execnz .LBB1_27996
; %bb.63833:
	s_getpc_b64 s[14:15]
.Lpost_getpc17580:
	s_add_u32 s14, s14, (.LBB1_13658-.Lpost_getpc17580)&4294967295
	s_addc_u32 s15, s15, (.LBB1_13658-.Lpost_getpc17580)>>32
	s_setpc_b64 s[14:15]
.LBB1_27996:
	v_mov_b32_e32 v2, 0
	v_cmp_ne_u16_sdwa s[8:9], v8, v2 src0_sel:BYTE_3 src1_sel:DWORD
	s_andn2_b64 s[4:5], s[4:5], exec
	s_and_b64 s[8:9], s[8:9], exec
	s_or_b64 s[4:5], s[4:5], s[8:9]
	s_or_b64 exec, exec, s[6:7]
	s_and_saveexec_b64 s[6:7], s[4:5]
	s_cbranch_execz .LBB1_35501
; %bb.63835:
	s_getpc_b64 s[14:15]
.Lpost_getpc17581:
	s_add_u32 s14, s14, (.LBB1_13659-.Lpost_getpc17581)&4294967295
	s_addc_u32 s15, s15, (.LBB1_13659-.Lpost_getpc17581)>>32
	s_setpc_b64 s[14:15]
.LBB1_35501:
	s_getpc_b64 s[14:15]
.Lpost_getpc3414:
	s_add_u32 s14, s14, (.LBB1_13660-.Lpost_getpc3414)&4294967295
	s_addc_u32 s15, s15, (.LBB1_13660-.Lpost_getpc3414)>>32
	s_setpc_b64 s[14:15]
.LBB1_27997:
	s_movk_i32 s4, 0x80
	v_cmp_eq_u16_sdwa s[12:13], v4, s4 src0_sel:BYTE_3 src1_sel:DWORD
	s_mov_b64 s[4:5], -1
                                        ; implicit-def: $sgpr10
	s_and_saveexec_b64 s[8:9], s[12:13]
; %bb.27998:
	s_mov_b32 s10, 0x7f800001
	s_xor_b64 s[4:5], exec, -1
; %bb.27999:
	s_or_b64 exec, exec, s[8:9]
	s_and_b64 s[4:5], s[4:5], exec
	s_or_saveexec_b64 s[6:7], s[6:7]
	v_mov_b32_e32 v3, s10
	s_xor_b64 exec, exec, s[6:7]
	s_cbranch_execnz .LBB1_28000
; %bb.63837:
	s_getpc_b64 s[14:15]
.Lpost_getpc17582:
	s_add_u32 s14, s14, (.LBB1_13662-.Lpost_getpc17582)&4294967295
	s_addc_u32 s15, s15, (.LBB1_13662-.Lpost_getpc17582)>>32
	s_setpc_b64 s[14:15]
.LBB1_28000:
	v_mov_b32_e32 v3, 0
	v_cmp_ne_u16_sdwa s[8:9], v4, v3 src0_sel:BYTE_3 src1_sel:DWORD
	s_andn2_b64 s[4:5], s[4:5], exec
	s_and_b64 s[8:9], s[8:9], exec
	s_or_b64 s[4:5], s[4:5], s[8:9]
	s_or_b64 exec, exec, s[6:7]
	s_and_saveexec_b64 s[6:7], s[4:5]
	s_cbranch_execz .LBB1_35503
; %bb.63839:
	s_getpc_b64 s[14:15]
.Lpost_getpc17583:
	s_add_u32 s14, s14, (.LBB1_13663-.Lpost_getpc17583)&4294967295
	s_addc_u32 s15, s15, (.LBB1_13663-.Lpost_getpc17583)>>32
	s_setpc_b64 s[14:15]
.LBB1_35503:
	s_getpc_b64 s[14:15]
.Lpost_getpc3415:
	s_add_u32 s14, s14, (.LBB1_13664-.Lpost_getpc3415)&4294967295
	s_addc_u32 s15, s15, (.LBB1_13664-.Lpost_getpc3415)>>32
	s_setpc_b64 s[14:15]
.LBB1_28001:
	s_movk_i32 s4, 0x80
	v_cmp_eq_u16_sdwa s[12:13], v9, s4 src0_sel:BYTE_0 src1_sel:DWORD
	s_mov_b64 s[4:5], -1
                                        ; implicit-def: $sgpr10
	s_and_saveexec_b64 s[8:9], s[12:13]
; %bb.28002:
	s_mov_b32 s10, 0x7f800001
	s_xor_b64 s[4:5], exec, -1
; %bb.28003:
	s_or_b64 exec, exec, s[8:9]
	s_and_b64 s[4:5], s[4:5], exec
	s_or_saveexec_b64 s[6:7], s[6:7]
	v_mov_b32_e32 v2, s10
	s_xor_b64 exec, exec, s[6:7]
	s_cbranch_execnz .LBB1_28004
; %bb.63841:
	s_getpc_b64 s[14:15]
.Lpost_getpc17584:
	s_add_u32 s14, s14, (.LBB1_13666-.Lpost_getpc17584)&4294967295
	s_addc_u32 s15, s15, (.LBB1_13666-.Lpost_getpc17584)>>32
	s_setpc_b64 s[14:15]
.LBB1_28004:
	v_mov_b32_e32 v2, 0
	v_cmp_ne_u16_sdwa s[8:9], v9, v2 src0_sel:BYTE_0 src1_sel:DWORD
	s_andn2_b64 s[4:5], s[4:5], exec
	s_and_b64 s[8:9], s[8:9], exec
	s_or_b64 s[4:5], s[4:5], s[8:9]
	s_or_b64 exec, exec, s[6:7]
	s_and_saveexec_b64 s[6:7], s[4:5]
	s_cbranch_execz .LBB1_35505
; %bb.63843:
	s_getpc_b64 s[14:15]
.Lpost_getpc17585:
	s_add_u32 s14, s14, (.LBB1_13667-.Lpost_getpc17585)&4294967295
	s_addc_u32 s15, s15, (.LBB1_13667-.Lpost_getpc17585)>>32
	s_setpc_b64 s[14:15]
.LBB1_35505:
	s_getpc_b64 s[14:15]
.Lpost_getpc3416:
	s_add_u32 s14, s14, (.LBB1_13668-.Lpost_getpc3416)&4294967295
	s_addc_u32 s15, s15, (.LBB1_13668-.Lpost_getpc3416)>>32
	s_setpc_b64 s[14:15]
.LBB1_28005:
	s_movk_i32 s4, 0x80
	v_cmp_eq_u16_sdwa s[12:13], v5, s4 src0_sel:BYTE_0 src1_sel:DWORD
	s_mov_b64 s[4:5], -1
                                        ; implicit-def: $sgpr10
	s_and_saveexec_b64 s[8:9], s[12:13]
; %bb.28006:
	s_mov_b32 s10, 0x7f800001
	s_xor_b64 s[4:5], exec, -1
; %bb.28007:
	s_or_b64 exec, exec, s[8:9]
	s_and_b64 s[4:5], s[4:5], exec
	s_or_saveexec_b64 s[6:7], s[6:7]
	v_mov_b32_e32 v3, s10
	s_xor_b64 exec, exec, s[6:7]
	s_cbranch_execnz .LBB1_28008
; %bb.63845:
	s_getpc_b64 s[14:15]
.Lpost_getpc17586:
	s_add_u32 s14, s14, (.LBB1_13670-.Lpost_getpc17586)&4294967295
	s_addc_u32 s15, s15, (.LBB1_13670-.Lpost_getpc17586)>>32
	s_setpc_b64 s[14:15]
.LBB1_28008:
	v_mov_b32_e32 v3, 0
	v_cmp_ne_u16_sdwa s[8:9], v5, v3 src0_sel:BYTE_0 src1_sel:DWORD
	s_andn2_b64 s[4:5], s[4:5], exec
	s_and_b64 s[8:9], s[8:9], exec
	s_or_b64 s[4:5], s[4:5], s[8:9]
	s_or_b64 exec, exec, s[6:7]
	s_and_saveexec_b64 s[6:7], s[4:5]
	s_cbranch_execz .LBB1_35507
; %bb.63847:
	s_getpc_b64 s[14:15]
.Lpost_getpc17587:
	s_add_u32 s14, s14, (.LBB1_13671-.Lpost_getpc17587)&4294967295
	s_addc_u32 s15, s15, (.LBB1_13671-.Lpost_getpc17587)>>32
	s_setpc_b64 s[14:15]
.LBB1_35507:
	s_getpc_b64 s[14:15]
.Lpost_getpc3417:
	s_add_u32 s14, s14, (.LBB1_13672-.Lpost_getpc3417)&4294967295
	s_addc_u32 s15, s15, (.LBB1_13672-.Lpost_getpc3417)>>32
	s_setpc_b64 s[14:15]
.LBB1_28009:
	s_movk_i32 s4, 0x80
	v_cmp_eq_u16_sdwa s[12:13], v3, s4 src0_sel:BYTE_0 src1_sel:DWORD
	s_mov_b64 s[4:5], -1
                                        ; implicit-def: $sgpr10
	s_and_saveexec_b64 s[8:9], s[12:13]
; %bb.28010:
	s_mov_b32 s10, 0x7f800001
	s_xor_b64 s[4:5], exec, -1
; %bb.28011:
	s_or_b64 exec, exec, s[8:9]
	s_and_b64 s[4:5], s[4:5], exec
	s_or_saveexec_b64 s[6:7], s[6:7]
	v_mov_b32_e32 v2, s10
	s_xor_b64 exec, exec, s[6:7]
	s_cbranch_execnz .LBB1_28012
; %bb.63849:
	s_getpc_b64 s[14:15]
.Lpost_getpc17588:
	s_add_u32 s14, s14, (.LBB1_13674-.Lpost_getpc17588)&4294967295
	s_addc_u32 s15, s15, (.LBB1_13674-.Lpost_getpc17588)>>32
	s_setpc_b64 s[14:15]
.LBB1_28012:
	v_mov_b32_e32 v2, 0
	v_cmp_ne_u16_sdwa s[8:9], v3, v2 src0_sel:BYTE_0 src1_sel:DWORD
	s_andn2_b64 s[4:5], s[4:5], exec
	s_and_b64 s[8:9], s[8:9], exec
	s_or_b64 s[4:5], s[4:5], s[8:9]
	s_or_b64 exec, exec, s[6:7]
	s_and_saveexec_b64 s[6:7], s[4:5]
	s_cbranch_execz .LBB1_35509
; %bb.63851:
	s_getpc_b64 s[14:15]
.Lpost_getpc17589:
	s_add_u32 s14, s14, (.LBB1_13675-.Lpost_getpc17589)&4294967295
	s_addc_u32 s15, s15, (.LBB1_13675-.Lpost_getpc17589)>>32
	s_setpc_b64 s[14:15]
.LBB1_35509:
	s_getpc_b64 s[14:15]
.Lpost_getpc3418:
	s_add_u32 s14, s14, (.LBB1_13676-.Lpost_getpc3418)&4294967295
	s_addc_u32 s15, s15, (.LBB1_13676-.Lpost_getpc3418)>>32
	s_setpc_b64 s[14:15]
.LBB1_28013:
	s_movk_i32 s4, 0x80
	v_cmp_eq_u16_sdwa s[12:13], v3, s4 src0_sel:BYTE_0 src1_sel:DWORD
	s_mov_b64 s[4:5], -1
                                        ; implicit-def: $sgpr10
	s_and_saveexec_b64 s[8:9], s[12:13]
; %bb.28014:
	s_mov_b32 s10, 0x7f800001
	s_xor_b64 s[4:5], exec, -1
; %bb.28015:
	s_or_b64 exec, exec, s[8:9]
	s_and_b64 s[4:5], s[4:5], exec
	s_or_saveexec_b64 s[6:7], s[6:7]
	v_mov_b32_e32 v4, s10
	s_xor_b64 exec, exec, s[6:7]
	s_cbranch_execnz .LBB1_28016
; %bb.63853:
	s_getpc_b64 s[14:15]
.Lpost_getpc17590:
	s_add_u32 s14, s14, (.LBB1_13678-.Lpost_getpc17590)&4294967295
	s_addc_u32 s15, s15, (.LBB1_13678-.Lpost_getpc17590)>>32
	s_setpc_b64 s[14:15]
.LBB1_28016:
	v_mov_b32_e32 v4, 0
	v_cmp_ne_u16_sdwa s[8:9], v3, v4 src0_sel:BYTE_0 src1_sel:DWORD
	s_andn2_b64 s[4:5], s[4:5], exec
	s_and_b64 s[8:9], s[8:9], exec
	s_or_b64 s[4:5], s[4:5], s[8:9]
	s_or_b64 exec, exec, s[6:7]
	s_and_saveexec_b64 s[6:7], s[4:5]
	s_cbranch_execz .LBB1_35511
; %bb.63855:
	s_getpc_b64 s[14:15]
.Lpost_getpc17591:
	s_add_u32 s14, s14, (.LBB1_13679-.Lpost_getpc17591)&4294967295
	s_addc_u32 s15, s15, (.LBB1_13679-.Lpost_getpc17591)>>32
	s_setpc_b64 s[14:15]
.LBB1_35511:
	s_getpc_b64 s[14:15]
.Lpost_getpc3419:
	s_add_u32 s14, s14, (.LBB1_13680-.Lpost_getpc3419)&4294967295
	s_addc_u32 s15, s15, (.LBB1_13680-.Lpost_getpc3419)>>32
	s_setpc_b64 s[14:15]
.LBB1_28017:
	s_movk_i32 s4, 0x80
	v_cmp_eq_u16_e32 vcc, s4, v3
	s_mov_b64 s[4:5], -1
                                        ; implicit-def: $sgpr10
	s_and_saveexec_b64 s[8:9], vcc
; %bb.28018:
	s_mov_b32 s10, 0x7f800001
	s_xor_b64 s[4:5], exec, -1
; %bb.28019:
	s_or_b64 exec, exec, s[8:9]
	s_and_b64 s[4:5], s[4:5], exec
                                        ; implicit-def: $vgpr3
	s_or_saveexec_b64 s[6:7], s[6:7]
	v_mov_b32_e32 v2, s10
	s_xor_b64 exec, exec, s[6:7]
	s_cbranch_execnz .LBB1_28020
; %bb.63857:
	s_getpc_b64 s[14:15]
.Lpost_getpc17592:
	s_add_u32 s14, s14, (.LBB1_13682-.Lpost_getpc17592)&4294967295
	s_addc_u32 s15, s15, (.LBB1_13682-.Lpost_getpc17592)>>32
	s_setpc_b64 s[14:15]
.LBB1_28020:
	v_cmp_ne_u16_e32 vcc, 0, v3
	s_andn2_b64 s[4:5], s[4:5], exec
	s_and_b64 s[8:9], vcc, exec
	v_mov_b32_e32 v2, 0
	s_or_b64 s[4:5], s[4:5], s[8:9]
	s_or_b64 exec, exec, s[6:7]
	s_and_saveexec_b64 s[6:7], s[4:5]
	s_cbranch_execz .LBB1_35513
; %bb.63859:
	s_getpc_b64 s[14:15]
.Lpost_getpc17593:
	s_add_u32 s14, s14, (.LBB1_13683-.Lpost_getpc17593)&4294967295
	s_addc_u32 s15, s15, (.LBB1_13683-.Lpost_getpc17593)>>32
	s_setpc_b64 s[14:15]
.LBB1_35513:
	s_getpc_b64 s[14:15]
.Lpost_getpc3420:
	s_add_u32 s14, s14, (.LBB1_13684-.Lpost_getpc3420)&4294967295
	s_addc_u32 s15, s15, (.LBB1_13684-.Lpost_getpc3420)>>32
	s_setpc_b64 s[14:15]
.LBB1_28021:
	s_movk_i32 s4, 0x80
	v_cmp_eq_u16_e32 vcc, s4, v3
	s_mov_b64 s[4:5], -1
                                        ; implicit-def: $sgpr10
	s_and_saveexec_b64 s[8:9], vcc
; %bb.28022:
	s_mov_b32 s10, 0x7f800001
	s_xor_b64 s[4:5], exec, -1
; %bb.28023:
	s_or_b64 exec, exec, s[8:9]
	s_and_b64 s[4:5], s[4:5], exec
                                        ; implicit-def: $vgpr3
	s_or_saveexec_b64 s[6:7], s[6:7]
	v_mov_b32_e32 v4, s10
	s_xor_b64 exec, exec, s[6:7]
	s_cbranch_execnz .LBB1_28024
; %bb.63861:
	s_getpc_b64 s[14:15]
.Lpost_getpc17594:
	s_add_u32 s14, s14, (.LBB1_13686-.Lpost_getpc17594)&4294967295
	s_addc_u32 s15, s15, (.LBB1_13686-.Lpost_getpc17594)>>32
	s_setpc_b64 s[14:15]
.LBB1_28024:
	v_cmp_ne_u16_e32 vcc, 0, v3
	s_andn2_b64 s[4:5], s[4:5], exec
	s_and_b64 s[8:9], vcc, exec
	v_mov_b32_e32 v4, 0
	s_or_b64 s[4:5], s[4:5], s[8:9]
	s_or_b64 exec, exec, s[6:7]
	s_and_saveexec_b64 s[6:7], s[4:5]
	s_cbranch_execz .LBB1_35515
; %bb.63863:
	s_getpc_b64 s[14:15]
.Lpost_getpc17595:
	s_add_u32 s14, s14, (.LBB1_13687-.Lpost_getpc17595)&4294967295
	s_addc_u32 s15, s15, (.LBB1_13687-.Lpost_getpc17595)>>32
	s_setpc_b64 s[14:15]
.LBB1_35515:
	s_getpc_b64 s[14:15]
.Lpost_getpc3421:
	s_add_u32 s14, s14, (.LBB1_13688-.Lpost_getpc3421)&4294967295
	s_addc_u32 s15, s15, (.LBB1_13688-.Lpost_getpc3421)>>32
	s_setpc_b64 s[14:15]
.LBB1_28025:
	s_movk_i32 s4, 0x80
	v_cmp_eq_u16_sdwa s[12:13], v9, s4 src0_sel:BYTE_3 src1_sel:DWORD
	s_mov_b64 s[4:5], -1
                                        ; implicit-def: $sgpr10
	s_and_saveexec_b64 s[8:9], s[12:13]
; %bb.28026:
	s_mov_b32 s10, 0x7f800001
	s_xor_b64 s[4:5], exec, -1
; %bb.28027:
	s_or_b64 exec, exec, s[8:9]
	s_and_b64 s[4:5], s[4:5], exec
	s_or_saveexec_b64 s[6:7], s[6:7]
	v_mov_b32_e32 v2, s10
	s_xor_b64 exec, exec, s[6:7]
	s_cbranch_execnz .LBB1_28028
; %bb.63865:
	s_getpc_b64 s[14:15]
.Lpost_getpc17596:
	s_add_u32 s14, s14, (.LBB1_13690-.Lpost_getpc17596)&4294967295
	s_addc_u32 s15, s15, (.LBB1_13690-.Lpost_getpc17596)>>32
	s_setpc_b64 s[14:15]
.LBB1_28028:
	v_mov_b32_e32 v2, 0
	v_cmp_ne_u16_sdwa s[8:9], v9, v2 src0_sel:BYTE_3 src1_sel:DWORD
	s_andn2_b64 s[4:5], s[4:5], exec
	s_and_b64 s[8:9], s[8:9], exec
	s_or_b64 s[4:5], s[4:5], s[8:9]
	s_or_b64 exec, exec, s[6:7]
	s_and_saveexec_b64 s[6:7], s[4:5]
	s_cbranch_execz .LBB1_35517
; %bb.63867:
	s_getpc_b64 s[14:15]
.Lpost_getpc17597:
	s_add_u32 s14, s14, (.LBB1_13691-.Lpost_getpc17597)&4294967295
	s_addc_u32 s15, s15, (.LBB1_13691-.Lpost_getpc17597)>>32
	s_setpc_b64 s[14:15]
.LBB1_35517:
	s_getpc_b64 s[14:15]
.Lpost_getpc3422:
	s_add_u32 s14, s14, (.LBB1_13692-.Lpost_getpc3422)&4294967295
	s_addc_u32 s15, s15, (.LBB1_13692-.Lpost_getpc3422)>>32
	s_setpc_b64 s[14:15]
.LBB1_28029:
	s_movk_i32 s4, 0x80
	v_cmp_eq_u16_sdwa s[12:13], v5, s4 src0_sel:BYTE_3 src1_sel:DWORD
	s_mov_b64 s[4:5], -1
                                        ; implicit-def: $sgpr10
	s_and_saveexec_b64 s[8:9], s[12:13]
; %bb.28030:
	s_mov_b32 s10, 0x7f800001
	s_xor_b64 s[4:5], exec, -1
; %bb.28031:
	s_or_b64 exec, exec, s[8:9]
	s_and_b64 s[4:5], s[4:5], exec
	s_or_saveexec_b64 s[6:7], s[6:7]
	v_mov_b32_e32 v3, s10
	s_xor_b64 exec, exec, s[6:7]
	s_cbranch_execnz .LBB1_28032
; %bb.63869:
	s_getpc_b64 s[14:15]
.Lpost_getpc17598:
	s_add_u32 s14, s14, (.LBB1_13694-.Lpost_getpc17598)&4294967295
	s_addc_u32 s15, s15, (.LBB1_13694-.Lpost_getpc17598)>>32
	s_setpc_b64 s[14:15]
.LBB1_28032:
	v_mov_b32_e32 v3, 0
	v_cmp_ne_u16_sdwa s[8:9], v5, v3 src0_sel:BYTE_3 src1_sel:DWORD
	s_andn2_b64 s[4:5], s[4:5], exec
	s_and_b64 s[8:9], s[8:9], exec
	s_or_b64 s[4:5], s[4:5], s[8:9]
	s_or_b64 exec, exec, s[6:7]
	s_and_saveexec_b64 s[6:7], s[4:5]
	s_cbranch_execz .LBB1_35519
; %bb.63871:
	s_getpc_b64 s[14:15]
.Lpost_getpc17599:
	s_add_u32 s14, s14, (.LBB1_13695-.Lpost_getpc17599)&4294967295
	s_addc_u32 s15, s15, (.LBB1_13695-.Lpost_getpc17599)>>32
	s_setpc_b64 s[14:15]
.LBB1_35519:
	s_getpc_b64 s[14:15]
.Lpost_getpc3423:
	s_add_u32 s14, s14, (.LBB1_13696-.Lpost_getpc3423)&4294967295
	s_addc_u32 s15, s15, (.LBB1_13696-.Lpost_getpc3423)>>32
	s_setpc_b64 s[14:15]
.LBB1_28033:
	s_movk_i32 s4, 0x80
	v_cmp_eq_u16_sdwa s[12:13], v6, s4 src0_sel:BYTE_0 src1_sel:DWORD
	s_mov_b64 s[4:5], -1
                                        ; implicit-def: $sgpr10
	s_and_saveexec_b64 s[8:9], s[12:13]
; %bb.28034:
	s_mov_b32 s10, 0x7f800001
	s_xor_b64 s[4:5], exec, -1
; %bb.28035:
	s_or_b64 exec, exec, s[8:9]
	s_and_b64 s[4:5], s[4:5], exec
	s_or_saveexec_b64 s[6:7], s[6:7]
	v_mov_b32_e32 v12, s10
	s_xor_b64 exec, exec, s[6:7]
	s_cbranch_execnz .LBB1_28036
; %bb.63873:
	s_getpc_b64 s[14:15]
.Lpost_getpc17600:
	s_add_u32 s14, s14, (.LBB1_13698-.Lpost_getpc17600)&4294967295
	s_addc_u32 s15, s15, (.LBB1_13698-.Lpost_getpc17600)>>32
	s_setpc_b64 s[14:15]
.LBB1_28036:
	v_mov_b32_e32 v12, 0
	v_cmp_ne_u16_sdwa s[8:9], v6, v12 src0_sel:BYTE_0 src1_sel:DWORD
	s_andn2_b64 s[4:5], s[4:5], exec
	s_and_b64 s[8:9], s[8:9], exec
	s_or_b64 s[4:5], s[4:5], s[8:9]
	s_or_b64 exec, exec, s[6:7]
	s_and_saveexec_b64 s[6:7], s[4:5]
	s_cbranch_execz .LBB1_35521
; %bb.63875:
	s_getpc_b64 s[14:15]
.Lpost_getpc17601:
	s_add_u32 s14, s14, (.LBB1_13699-.Lpost_getpc17601)&4294967295
	s_addc_u32 s15, s15, (.LBB1_13699-.Lpost_getpc17601)>>32
	s_setpc_b64 s[14:15]
.LBB1_35521:
	s_getpc_b64 s[14:15]
.Lpost_getpc3424:
	s_add_u32 s14, s14, (.LBB1_13700-.Lpost_getpc3424)&4294967295
	s_addc_u32 s15, s15, (.LBB1_13700-.Lpost_getpc3424)>>32
	s_setpc_b64 s[14:15]
.LBB1_28037:
	s_movk_i32 s4, 0x80
	v_cmp_eq_u16_sdwa s[12:13], v2, s4 src0_sel:BYTE_0 src1_sel:DWORD
	s_mov_b64 s[4:5], -1
                                        ; implicit-def: $sgpr10
	s_and_saveexec_b64 s[8:9], s[12:13]
; %bb.28038:
	s_mov_b32 s10, 0x7f800001
	s_xor_b64 s[4:5], exec, -1
; %bb.28039:
	s_or_b64 exec, exec, s[8:9]
	s_and_b64 s[4:5], s[4:5], exec
	s_or_saveexec_b64 s[6:7], s[6:7]
	v_mov_b32_e32 v13, s10
	s_xor_b64 exec, exec, s[6:7]
	s_cbranch_execnz .LBB1_28040
; %bb.63877:
	s_getpc_b64 s[14:15]
.Lpost_getpc17602:
	s_add_u32 s14, s14, (.LBB1_13702-.Lpost_getpc17602)&4294967295
	s_addc_u32 s15, s15, (.LBB1_13702-.Lpost_getpc17602)>>32
	s_setpc_b64 s[14:15]
.LBB1_28040:
	v_mov_b32_e32 v13, 0
	v_cmp_ne_u16_sdwa s[8:9], v2, v13 src0_sel:BYTE_0 src1_sel:DWORD
	s_andn2_b64 s[4:5], s[4:5], exec
	s_and_b64 s[8:9], s[8:9], exec
	s_or_b64 s[4:5], s[4:5], s[8:9]
	s_or_b64 exec, exec, s[6:7]
	s_and_saveexec_b64 s[6:7], s[4:5]
	s_cbranch_execz .LBB1_35523
; %bb.63879:
	s_getpc_b64 s[14:15]
.Lpost_getpc17603:
	s_add_u32 s14, s14, (.LBB1_13703-.Lpost_getpc17603)&4294967295
	s_addc_u32 s15, s15, (.LBB1_13703-.Lpost_getpc17603)>>32
	s_setpc_b64 s[14:15]
.LBB1_35523:
	s_getpc_b64 s[14:15]
.Lpost_getpc3425:
	s_add_u32 s14, s14, (.LBB1_13704-.Lpost_getpc3425)&4294967295
	s_addc_u32 s15, s15, (.LBB1_13704-.Lpost_getpc3425)>>32
	s_setpc_b64 s[14:15]
.LBB1_28041:
	s_movk_i32 s4, 0x80
	v_cmp_eq_u16_sdwa s[12:13], v13, s4 src0_sel:BYTE_0 src1_sel:DWORD
	s_mov_b64 s[4:5], -1
                                        ; implicit-def: $sgpr10
	s_and_saveexec_b64 s[8:9], s[12:13]
; %bb.28042:
	s_mov_b32 s10, 0x7f800001
	s_xor_b64 s[4:5], exec, -1
; %bb.28043:
	s_or_b64 exec, exec, s[8:9]
	s_and_b64 s[4:5], s[4:5], exec
	s_or_saveexec_b64 s[6:7], s[6:7]
	v_mov_b32_e32 v12, s10
	s_xor_b64 exec, exec, s[6:7]
	s_cbranch_execnz .LBB1_28044
; %bb.63881:
	s_getpc_b64 s[14:15]
.Lpost_getpc17604:
	s_add_u32 s14, s14, (.LBB1_13706-.Lpost_getpc17604)&4294967295
	s_addc_u32 s15, s15, (.LBB1_13706-.Lpost_getpc17604)>>32
	s_setpc_b64 s[14:15]
.LBB1_28044:
	v_mov_b32_e32 v12, 0
	v_cmp_ne_u16_sdwa s[8:9], v13, v12 src0_sel:BYTE_0 src1_sel:DWORD
	s_andn2_b64 s[4:5], s[4:5], exec
	s_and_b64 s[8:9], s[8:9], exec
	s_or_b64 s[4:5], s[4:5], s[8:9]
	s_or_b64 exec, exec, s[6:7]
	s_and_saveexec_b64 s[6:7], s[4:5]
	s_cbranch_execz .LBB1_35525
; %bb.63883:
	s_getpc_b64 s[14:15]
.Lpost_getpc17605:
	s_add_u32 s14, s14, (.LBB1_13707-.Lpost_getpc17605)&4294967295
	s_addc_u32 s15, s15, (.LBB1_13707-.Lpost_getpc17605)>>32
	s_setpc_b64 s[14:15]
.LBB1_35525:
	s_getpc_b64 s[14:15]
.Lpost_getpc3426:
	s_add_u32 s14, s14, (.LBB1_13708-.Lpost_getpc3426)&4294967295
	s_addc_u32 s15, s15, (.LBB1_13708-.Lpost_getpc3426)>>32
	s_setpc_b64 s[14:15]
.LBB1_28045:
	s_movk_i32 s4, 0x80
	v_cmp_eq_u16_sdwa s[12:13], v13, s4 src0_sel:BYTE_0 src1_sel:DWORD
	s_mov_b64 s[4:5], -1
                                        ; implicit-def: $sgpr10
	s_and_saveexec_b64 s[8:9], s[12:13]
; %bb.28046:
	s_mov_b32 s10, 0x7f800001
	s_xor_b64 s[4:5], exec, -1
; %bb.28047:
	s_or_b64 exec, exec, s[8:9]
	s_and_b64 s[4:5], s[4:5], exec
	s_or_saveexec_b64 s[6:7], s[6:7]
	v_mov_b32_e32 v14, s10
	s_xor_b64 exec, exec, s[6:7]
	s_cbranch_execnz .LBB1_28048
; %bb.63885:
	s_getpc_b64 s[14:15]
.Lpost_getpc17606:
	s_add_u32 s14, s14, (.LBB1_13710-.Lpost_getpc17606)&4294967295
	s_addc_u32 s15, s15, (.LBB1_13710-.Lpost_getpc17606)>>32
	s_setpc_b64 s[14:15]
.LBB1_28048:
	v_mov_b32_e32 v14, 0
	v_cmp_ne_u16_sdwa s[8:9], v13, v14 src0_sel:BYTE_0 src1_sel:DWORD
	s_andn2_b64 s[4:5], s[4:5], exec
	s_and_b64 s[8:9], s[8:9], exec
	s_or_b64 s[4:5], s[4:5], s[8:9]
	s_or_b64 exec, exec, s[6:7]
	s_and_saveexec_b64 s[6:7], s[4:5]
	s_cbranch_execz .LBB1_35527
; %bb.63887:
	s_getpc_b64 s[14:15]
.Lpost_getpc17607:
	s_add_u32 s14, s14, (.LBB1_13711-.Lpost_getpc17607)&4294967295
	s_addc_u32 s15, s15, (.LBB1_13711-.Lpost_getpc17607)>>32
	s_setpc_b64 s[14:15]
.LBB1_35527:
	s_getpc_b64 s[14:15]
.Lpost_getpc3427:
	s_add_u32 s14, s14, (.LBB1_13712-.Lpost_getpc3427)&4294967295
	s_addc_u32 s15, s15, (.LBB1_13712-.Lpost_getpc3427)>>32
	s_setpc_b64 s[14:15]
.LBB1_28049:
	s_movk_i32 s4, 0x80
	v_cmp_eq_u16_e32 vcc, s4, v13
	s_mov_b64 s[4:5], -1
                                        ; implicit-def: $sgpr10
	s_and_saveexec_b64 s[8:9], vcc
; %bb.28050:
	s_mov_b32 s10, 0x7f800001
	s_xor_b64 s[4:5], exec, -1
; %bb.28051:
	s_or_b64 exec, exec, s[8:9]
	s_and_b64 s[4:5], s[4:5], exec
                                        ; implicit-def: $vgpr13
	s_or_saveexec_b64 s[6:7], s[6:7]
	v_mov_b32_e32 v12, s10
	s_xor_b64 exec, exec, s[6:7]
	s_cbranch_execnz .LBB1_28052
; %bb.63889:
	s_getpc_b64 s[14:15]
.Lpost_getpc17608:
	s_add_u32 s14, s14, (.LBB1_13714-.Lpost_getpc17608)&4294967295
	s_addc_u32 s15, s15, (.LBB1_13714-.Lpost_getpc17608)>>32
	s_setpc_b64 s[14:15]
.LBB1_28052:
	v_cmp_ne_u16_e32 vcc, 0, v13
	s_andn2_b64 s[4:5], s[4:5], exec
	s_and_b64 s[8:9], vcc, exec
	v_mov_b32_e32 v12, 0
	s_or_b64 s[4:5], s[4:5], s[8:9]
	s_or_b64 exec, exec, s[6:7]
	s_and_saveexec_b64 s[6:7], s[4:5]
	s_cbranch_execz .LBB1_35529
; %bb.63891:
	s_getpc_b64 s[14:15]
.Lpost_getpc17609:
	s_add_u32 s14, s14, (.LBB1_13715-.Lpost_getpc17609)&4294967295
	s_addc_u32 s15, s15, (.LBB1_13715-.Lpost_getpc17609)>>32
	s_setpc_b64 s[14:15]
.LBB1_35529:
	s_getpc_b64 s[14:15]
.Lpost_getpc3428:
	s_add_u32 s14, s14, (.LBB1_13716-.Lpost_getpc3428)&4294967295
	s_addc_u32 s15, s15, (.LBB1_13716-.Lpost_getpc3428)>>32
	s_setpc_b64 s[14:15]
.LBB1_28053:
	s_movk_i32 s4, 0x80
	v_cmp_eq_u16_e32 vcc, s4, v13
	s_mov_b64 s[4:5], -1
                                        ; implicit-def: $sgpr10
	s_and_saveexec_b64 s[8:9], vcc
; %bb.28054:
	s_mov_b32 s10, 0x7f800001
	s_xor_b64 s[4:5], exec, -1
; %bb.28055:
	s_or_b64 exec, exec, s[8:9]
	s_and_b64 s[4:5], s[4:5], exec
                                        ; implicit-def: $vgpr13
	s_or_saveexec_b64 s[6:7], s[6:7]
	v_mov_b32_e32 v14, s10
	s_xor_b64 exec, exec, s[6:7]
	s_cbranch_execnz .LBB1_28056
; %bb.63893:
	s_getpc_b64 s[14:15]
.Lpost_getpc17610:
	s_add_u32 s14, s14, (.LBB1_13718-.Lpost_getpc17610)&4294967295
	s_addc_u32 s15, s15, (.LBB1_13718-.Lpost_getpc17610)>>32
	s_setpc_b64 s[14:15]
.LBB1_28056:
	v_cmp_ne_u16_e32 vcc, 0, v13
	s_andn2_b64 s[4:5], s[4:5], exec
	s_and_b64 s[8:9], vcc, exec
	v_mov_b32_e32 v14, 0
	s_or_b64 s[4:5], s[4:5], s[8:9]
	s_or_b64 exec, exec, s[6:7]
	s_and_saveexec_b64 s[6:7], s[4:5]
	s_cbranch_execz .LBB1_35531
; %bb.63895:
	s_getpc_b64 s[14:15]
.Lpost_getpc17611:
	s_add_u32 s14, s14, (.LBB1_13719-.Lpost_getpc17611)&4294967295
	s_addc_u32 s15, s15, (.LBB1_13719-.Lpost_getpc17611)>>32
	s_setpc_b64 s[14:15]
.LBB1_35531:
	s_getpc_b64 s[14:15]
.Lpost_getpc3429:
	s_add_u32 s14, s14, (.LBB1_13720-.Lpost_getpc3429)&4294967295
	s_addc_u32 s15, s15, (.LBB1_13720-.Lpost_getpc3429)>>32
	s_setpc_b64 s[14:15]
.LBB1_28057:
	s_movk_i32 s4, 0x80
	v_cmp_eq_u16_sdwa s[12:13], v6, s4 src0_sel:BYTE_3 src1_sel:DWORD
	s_mov_b64 s[4:5], -1
                                        ; implicit-def: $sgpr10
	s_and_saveexec_b64 s[8:9], s[12:13]
; %bb.28058:
	s_mov_b32 s10, 0x7f800001
	s_xor_b64 s[4:5], exec, -1
; %bb.28059:
	s_or_b64 exec, exec, s[8:9]
	s_and_b64 s[4:5], s[4:5], exec
	s_or_saveexec_b64 s[6:7], s[6:7]
	v_mov_b32_e32 v12, s10
	s_xor_b64 exec, exec, s[6:7]
	s_cbranch_execnz .LBB1_28060
; %bb.63897:
	s_getpc_b64 s[14:15]
.Lpost_getpc17612:
	s_add_u32 s14, s14, (.LBB1_13722-.Lpost_getpc17612)&4294967295
	s_addc_u32 s15, s15, (.LBB1_13722-.Lpost_getpc17612)>>32
	s_setpc_b64 s[14:15]
.LBB1_28060:
	v_mov_b32_e32 v12, 0
	v_cmp_ne_u16_sdwa s[8:9], v6, v12 src0_sel:BYTE_3 src1_sel:DWORD
	s_andn2_b64 s[4:5], s[4:5], exec
	s_and_b64 s[8:9], s[8:9], exec
	s_or_b64 s[4:5], s[4:5], s[8:9]
	s_or_b64 exec, exec, s[6:7]
	s_and_saveexec_b64 s[6:7], s[4:5]
	s_cbranch_execz .LBB1_35533
; %bb.63899:
	s_getpc_b64 s[14:15]
.Lpost_getpc17613:
	s_add_u32 s14, s14, (.LBB1_13723-.Lpost_getpc17613)&4294967295
	s_addc_u32 s15, s15, (.LBB1_13723-.Lpost_getpc17613)>>32
	s_setpc_b64 s[14:15]
.LBB1_35533:
	s_getpc_b64 s[14:15]
.Lpost_getpc3430:
	s_add_u32 s14, s14, (.LBB1_13724-.Lpost_getpc3430)&4294967295
	s_addc_u32 s15, s15, (.LBB1_13724-.Lpost_getpc3430)>>32
	s_setpc_b64 s[14:15]
.LBB1_28061:
	s_movk_i32 s4, 0x80
	v_cmp_eq_u16_sdwa s[12:13], v2, s4 src0_sel:BYTE_3 src1_sel:DWORD
	s_mov_b64 s[4:5], -1
                                        ; implicit-def: $sgpr10
	s_and_saveexec_b64 s[8:9], s[12:13]
; %bb.28062:
	s_mov_b32 s10, 0x7f800001
	s_xor_b64 s[4:5], exec, -1
; %bb.28063:
	s_or_b64 exec, exec, s[8:9]
	s_and_b64 s[4:5], s[4:5], exec
	s_or_saveexec_b64 s[6:7], s[6:7]
	v_mov_b32_e32 v6, s10
	s_xor_b64 exec, exec, s[6:7]
	s_cbranch_execnz .LBB1_28064
; %bb.63901:
	s_getpc_b64 s[14:15]
.Lpost_getpc17614:
	s_add_u32 s14, s14, (.LBB1_13726-.Lpost_getpc17614)&4294967295
	s_addc_u32 s15, s15, (.LBB1_13726-.Lpost_getpc17614)>>32
	s_setpc_b64 s[14:15]
.LBB1_28064:
	v_mov_b32_e32 v6, 0
	v_cmp_ne_u16_sdwa s[8:9], v2, v6 src0_sel:BYTE_3 src1_sel:DWORD
	s_andn2_b64 s[4:5], s[4:5], exec
	s_and_b64 s[8:9], s[8:9], exec
	s_or_b64 s[4:5], s[4:5], s[8:9]
	s_or_b64 exec, exec, s[6:7]
	s_and_saveexec_b64 s[6:7], s[4:5]
	s_cbranch_execz .LBB1_35535
; %bb.63903:
	s_getpc_b64 s[14:15]
.Lpost_getpc17615:
	s_add_u32 s14, s14, (.LBB1_13727-.Lpost_getpc17615)&4294967295
	s_addc_u32 s15, s15, (.LBB1_13727-.Lpost_getpc17615)>>32
	s_setpc_b64 s[14:15]
.LBB1_35535:
	s_getpc_b64 s[14:15]
.Lpost_getpc3431:
	s_add_u32 s14, s14, (.LBB1_13728-.Lpost_getpc3431)&4294967295
	s_addc_u32 s15, s15, (.LBB1_13728-.Lpost_getpc3431)>>32
	s_setpc_b64 s[14:15]
.LBB1_28065:
	s_movk_i32 s4, 0x80
	v_cmp_eq_u16_sdwa s[12:13], v7, s4 src0_sel:BYTE_0 src1_sel:DWORD
	s_mov_b64 s[4:5], -1
                                        ; implicit-def: $sgpr10
	s_and_saveexec_b64 s[8:9], s[12:13]
; %bb.28066:
	s_mov_b32 s10, 0x7f800001
	s_xor_b64 s[4:5], exec, -1
; %bb.28067:
	s_or_b64 exec, exec, s[8:9]
	s_and_b64 s[4:5], s[4:5], exec
	s_or_saveexec_b64 s[6:7], s[6:7]
	v_mov_b32_e32 v2, s10
	s_xor_b64 exec, exec, s[6:7]
	s_cbranch_execnz .LBB1_28068
; %bb.63905:
	s_getpc_b64 s[14:15]
.Lpost_getpc17616:
	s_add_u32 s14, s14, (.LBB1_13730-.Lpost_getpc17616)&4294967295
	s_addc_u32 s15, s15, (.LBB1_13730-.Lpost_getpc17616)>>32
	s_setpc_b64 s[14:15]
.LBB1_28068:
	v_mov_b32_e32 v2, 0
	v_cmp_ne_u16_sdwa s[8:9], v7, v2 src0_sel:BYTE_0 src1_sel:DWORD
	s_andn2_b64 s[4:5], s[4:5], exec
	s_and_b64 s[8:9], s[8:9], exec
	s_or_b64 s[4:5], s[4:5], s[8:9]
	s_or_b64 exec, exec, s[6:7]
	s_and_saveexec_b64 s[6:7], s[4:5]
	s_cbranch_execz .LBB1_35537
; %bb.63907:
	s_getpc_b64 s[14:15]
.Lpost_getpc17617:
	s_add_u32 s14, s14, (.LBB1_13731-.Lpost_getpc17617)&4294967295
	s_addc_u32 s15, s15, (.LBB1_13731-.Lpost_getpc17617)>>32
	s_setpc_b64 s[14:15]
.LBB1_35537:
	s_getpc_b64 s[14:15]
.Lpost_getpc3432:
	s_add_u32 s14, s14, (.LBB1_13732-.Lpost_getpc3432)&4294967295
	s_addc_u32 s15, s15, (.LBB1_13732-.Lpost_getpc3432)>>32
	s_setpc_b64 s[14:15]
.LBB1_28069:
	s_movk_i32 s4, 0x80
	v_cmp_eq_u16_sdwa s[12:13], v3, s4 src0_sel:BYTE_0 src1_sel:DWORD
	s_mov_b64 s[4:5], -1
                                        ; implicit-def: $sgpr10
	s_and_saveexec_b64 s[8:9], s[12:13]
; %bb.28070:
	s_mov_b32 s10, 0x7f800001
	s_xor_b64 s[4:5], exec, -1
; %bb.28071:
	s_or_b64 exec, exec, s[8:9]
	s_and_b64 s[4:5], s[4:5], exec
	s_or_saveexec_b64 s[6:7], s[6:7]
	v_mov_b32_e32 v6, s10
	s_xor_b64 exec, exec, s[6:7]
	s_cbranch_execnz .LBB1_28072
; %bb.63909:
	s_getpc_b64 s[14:15]
.Lpost_getpc17618:
	s_add_u32 s14, s14, (.LBB1_13734-.Lpost_getpc17618)&4294967295
	s_addc_u32 s15, s15, (.LBB1_13734-.Lpost_getpc17618)>>32
	s_setpc_b64 s[14:15]
.LBB1_28072:
	v_mov_b32_e32 v6, 0
	v_cmp_ne_u16_sdwa s[8:9], v3, v6 src0_sel:BYTE_0 src1_sel:DWORD
	s_andn2_b64 s[4:5], s[4:5], exec
	s_and_b64 s[8:9], s[8:9], exec
	s_or_b64 s[4:5], s[4:5], s[8:9]
	s_or_b64 exec, exec, s[6:7]
	s_and_saveexec_b64 s[6:7], s[4:5]
	s_cbranch_execz .LBB1_35539
; %bb.63911:
	s_getpc_b64 s[14:15]
.Lpost_getpc17619:
	s_add_u32 s14, s14, (.LBB1_13735-.Lpost_getpc17619)&4294967295
	s_addc_u32 s15, s15, (.LBB1_13735-.Lpost_getpc17619)>>32
	s_setpc_b64 s[14:15]
.LBB1_35539:
	s_getpc_b64 s[14:15]
.Lpost_getpc3433:
	s_add_u32 s14, s14, (.LBB1_13736-.Lpost_getpc3433)&4294967295
	s_addc_u32 s15, s15, (.LBB1_13736-.Lpost_getpc3433)>>32
	s_setpc_b64 s[14:15]
.LBB1_28073:
	s_movk_i32 s4, 0x80
	v_cmp_eq_u16_sdwa s[12:13], v6, s4 src0_sel:BYTE_0 src1_sel:DWORD
	s_mov_b64 s[4:5], -1
                                        ; implicit-def: $sgpr10
	s_and_saveexec_b64 s[8:9], s[12:13]
; %bb.28074:
	s_mov_b32 s10, 0x7f800001
	s_xor_b64 s[4:5], exec, -1
; %bb.28075:
	s_or_b64 exec, exec, s[8:9]
	s_and_b64 s[4:5], s[4:5], exec
	s_or_saveexec_b64 s[6:7], s[6:7]
	v_mov_b32_e32 v2, s10
	s_xor_b64 exec, exec, s[6:7]
	s_cbranch_execnz .LBB1_28076
; %bb.63913:
	s_getpc_b64 s[14:15]
.Lpost_getpc17620:
	s_add_u32 s14, s14, (.LBB1_13738-.Lpost_getpc17620)&4294967295
	s_addc_u32 s15, s15, (.LBB1_13738-.Lpost_getpc17620)>>32
	s_setpc_b64 s[14:15]
.LBB1_28076:
	v_mov_b32_e32 v2, 0
	v_cmp_ne_u16_sdwa s[8:9], v6, v2 src0_sel:BYTE_0 src1_sel:DWORD
	s_andn2_b64 s[4:5], s[4:5], exec
	s_and_b64 s[8:9], s[8:9], exec
	s_or_b64 s[4:5], s[4:5], s[8:9]
	s_or_b64 exec, exec, s[6:7]
	s_and_saveexec_b64 s[6:7], s[4:5]
	s_cbranch_execz .LBB1_35541
; %bb.63915:
	s_getpc_b64 s[14:15]
.Lpost_getpc17621:
	s_add_u32 s14, s14, (.LBB1_13739-.Lpost_getpc17621)&4294967295
	s_addc_u32 s15, s15, (.LBB1_13739-.Lpost_getpc17621)>>32
	s_setpc_b64 s[14:15]
.LBB1_35541:
	s_getpc_b64 s[14:15]
.Lpost_getpc3434:
	s_add_u32 s14, s14, (.LBB1_13740-.Lpost_getpc3434)&4294967295
	s_addc_u32 s15, s15, (.LBB1_13740-.Lpost_getpc3434)>>32
	s_setpc_b64 s[14:15]
.LBB1_28077:
	s_movk_i32 s4, 0x80
	v_cmp_eq_u16_sdwa s[12:13], v6, s4 src0_sel:BYTE_0 src1_sel:DWORD
	s_mov_b64 s[4:5], -1
                                        ; implicit-def: $sgpr10
	s_and_saveexec_b64 s[8:9], s[12:13]
; %bb.28078:
	s_mov_b32 s10, 0x7f800001
	s_xor_b64 s[4:5], exec, -1
; %bb.28079:
	s_or_b64 exec, exec, s[8:9]
	s_and_b64 s[4:5], s[4:5], exec
	s_or_saveexec_b64 s[6:7], s[6:7]
	v_mov_b32_e32 v12, s10
	s_xor_b64 exec, exec, s[6:7]
	s_cbranch_execnz .LBB1_28080
; %bb.63917:
	s_getpc_b64 s[14:15]
.Lpost_getpc17622:
	s_add_u32 s14, s14, (.LBB1_13742-.Lpost_getpc17622)&4294967295
	s_addc_u32 s15, s15, (.LBB1_13742-.Lpost_getpc17622)>>32
	s_setpc_b64 s[14:15]
.LBB1_28080:
	v_mov_b32_e32 v12, 0
	v_cmp_ne_u16_sdwa s[8:9], v6, v12 src0_sel:BYTE_0 src1_sel:DWORD
	s_andn2_b64 s[4:5], s[4:5], exec
	s_and_b64 s[8:9], s[8:9], exec
	s_or_b64 s[4:5], s[4:5], s[8:9]
	s_or_b64 exec, exec, s[6:7]
	s_and_saveexec_b64 s[6:7], s[4:5]
	s_cbranch_execz .LBB1_35543
; %bb.63919:
	s_getpc_b64 s[14:15]
.Lpost_getpc17623:
	s_add_u32 s14, s14, (.LBB1_13743-.Lpost_getpc17623)&4294967295
	s_addc_u32 s15, s15, (.LBB1_13743-.Lpost_getpc17623)>>32
	s_setpc_b64 s[14:15]
.LBB1_35543:
	s_getpc_b64 s[14:15]
.Lpost_getpc3435:
	s_add_u32 s14, s14, (.LBB1_13744-.Lpost_getpc3435)&4294967295
	s_addc_u32 s15, s15, (.LBB1_13744-.Lpost_getpc3435)>>32
	s_setpc_b64 s[14:15]
.LBB1_28081:
	s_movk_i32 s4, 0x80
	v_cmp_eq_u16_e32 vcc, s4, v6
	s_mov_b64 s[4:5], -1
                                        ; implicit-def: $sgpr10
	s_and_saveexec_b64 s[8:9], vcc
; %bb.28082:
	s_mov_b32 s10, 0x7f800001
	s_xor_b64 s[4:5], exec, -1
; %bb.28083:
	s_or_b64 exec, exec, s[8:9]
	s_and_b64 s[4:5], s[4:5], exec
                                        ; implicit-def: $vgpr6
	s_or_saveexec_b64 s[6:7], s[6:7]
	v_mov_b32_e32 v2, s10
	s_xor_b64 exec, exec, s[6:7]
	s_cbranch_execnz .LBB1_28084
; %bb.63921:
	s_getpc_b64 s[14:15]
.Lpost_getpc17624:
	s_add_u32 s14, s14, (.LBB1_13746-.Lpost_getpc17624)&4294967295
	s_addc_u32 s15, s15, (.LBB1_13746-.Lpost_getpc17624)>>32
	s_setpc_b64 s[14:15]
.LBB1_28084:
	v_cmp_ne_u16_e32 vcc, 0, v6
	s_andn2_b64 s[4:5], s[4:5], exec
	s_and_b64 s[8:9], vcc, exec
	v_mov_b32_e32 v2, 0
	s_or_b64 s[4:5], s[4:5], s[8:9]
	s_or_b64 exec, exec, s[6:7]
	s_and_saveexec_b64 s[6:7], s[4:5]
	s_cbranch_execz .LBB1_35545
; %bb.63923:
	s_getpc_b64 s[14:15]
.Lpost_getpc17625:
	s_add_u32 s14, s14, (.LBB1_13747-.Lpost_getpc17625)&4294967295
	s_addc_u32 s15, s15, (.LBB1_13747-.Lpost_getpc17625)>>32
	s_setpc_b64 s[14:15]
.LBB1_35545:
	s_getpc_b64 s[14:15]
.Lpost_getpc3436:
	s_add_u32 s14, s14, (.LBB1_13748-.Lpost_getpc3436)&4294967295
	s_addc_u32 s15, s15, (.LBB1_13748-.Lpost_getpc3436)>>32
	s_setpc_b64 s[14:15]
.LBB1_28085:
	s_movk_i32 s4, 0x80
	v_cmp_eq_u16_e32 vcc, s4, v6
	s_mov_b64 s[4:5], -1
                                        ; implicit-def: $sgpr10
	s_and_saveexec_b64 s[8:9], vcc
; %bb.28086:
	s_mov_b32 s10, 0x7f800001
	s_xor_b64 s[4:5], exec, -1
; %bb.28087:
	s_or_b64 exec, exec, s[8:9]
	s_and_b64 s[4:5], s[4:5], exec
                                        ; implicit-def: $vgpr6
	s_or_saveexec_b64 s[6:7], s[6:7]
	v_mov_b32_e32 v12, s10
	s_xor_b64 exec, exec, s[6:7]
	s_cbranch_execnz .LBB1_28088
; %bb.63925:
	s_getpc_b64 s[14:15]
.Lpost_getpc17626:
	s_add_u32 s14, s14, (.LBB1_13750-.Lpost_getpc17626)&4294967295
	s_addc_u32 s15, s15, (.LBB1_13750-.Lpost_getpc17626)>>32
	s_setpc_b64 s[14:15]
.LBB1_28088:
	v_cmp_ne_u16_e32 vcc, 0, v6
	s_andn2_b64 s[4:5], s[4:5], exec
	s_and_b64 s[8:9], vcc, exec
	v_mov_b32_e32 v12, 0
	s_or_b64 s[4:5], s[4:5], s[8:9]
	s_or_b64 exec, exec, s[6:7]
	s_and_saveexec_b64 s[6:7], s[4:5]
	s_cbranch_execz .LBB1_35547
; %bb.63927:
	s_getpc_b64 s[14:15]
.Lpost_getpc17627:
	s_add_u32 s14, s14, (.LBB1_13751-.Lpost_getpc17627)&4294967295
	s_addc_u32 s15, s15, (.LBB1_13751-.Lpost_getpc17627)>>32
	s_setpc_b64 s[14:15]
.LBB1_35547:
	s_getpc_b64 s[14:15]
.Lpost_getpc3437:
	s_add_u32 s14, s14, (.LBB1_13752-.Lpost_getpc3437)&4294967295
	s_addc_u32 s15, s15, (.LBB1_13752-.Lpost_getpc3437)>>32
	s_setpc_b64 s[14:15]
.LBB1_28089:
	s_movk_i32 s4, 0x80
	v_cmp_eq_u16_sdwa s[12:13], v7, s4 src0_sel:BYTE_3 src1_sel:DWORD
	s_mov_b64 s[4:5], -1
                                        ; implicit-def: $sgpr10
	s_and_saveexec_b64 s[8:9], s[12:13]
; %bb.28090:
	s_mov_b32 s10, 0x7f800001
	s_xor_b64 s[4:5], exec, -1
; %bb.28091:
	s_or_b64 exec, exec, s[8:9]
	s_and_b64 s[4:5], s[4:5], exec
	s_or_saveexec_b64 s[6:7], s[6:7]
	v_mov_b32_e32 v2, s10
	s_xor_b64 exec, exec, s[6:7]
	s_cbranch_execnz .LBB1_28092
; %bb.63929:
	s_getpc_b64 s[14:15]
.Lpost_getpc17628:
	s_add_u32 s14, s14, (.LBB1_13754-.Lpost_getpc17628)&4294967295
	s_addc_u32 s15, s15, (.LBB1_13754-.Lpost_getpc17628)>>32
	s_setpc_b64 s[14:15]
.LBB1_28092:
	v_mov_b32_e32 v2, 0
	v_cmp_ne_u16_sdwa s[8:9], v7, v2 src0_sel:BYTE_3 src1_sel:DWORD
	s_andn2_b64 s[4:5], s[4:5], exec
	s_and_b64 s[8:9], s[8:9], exec
	s_or_b64 s[4:5], s[4:5], s[8:9]
	s_or_b64 exec, exec, s[6:7]
	s_and_saveexec_b64 s[6:7], s[4:5]
	s_cbranch_execz .LBB1_35549
; %bb.63931:
	s_getpc_b64 s[14:15]
.Lpost_getpc17629:
	s_add_u32 s14, s14, (.LBB1_13755-.Lpost_getpc17629)&4294967295
	s_addc_u32 s15, s15, (.LBB1_13755-.Lpost_getpc17629)>>32
	s_setpc_b64 s[14:15]
.LBB1_35549:
	s_getpc_b64 s[14:15]
.Lpost_getpc3438:
	s_add_u32 s14, s14, (.LBB1_13756-.Lpost_getpc3438)&4294967295
	s_addc_u32 s15, s15, (.LBB1_13756-.Lpost_getpc3438)>>32
	s_setpc_b64 s[14:15]
.LBB1_28093:
	s_movk_i32 s4, 0x80
	v_cmp_eq_u16_sdwa s[12:13], v3, s4 src0_sel:BYTE_3 src1_sel:DWORD
	s_mov_b64 s[4:5], -1
                                        ; implicit-def: $sgpr10
	s_and_saveexec_b64 s[8:9], s[12:13]
; %bb.28094:
	s_mov_b32 s10, 0x7f800001
	s_xor_b64 s[4:5], exec, -1
; %bb.28095:
	s_or_b64 exec, exec, s[8:9]
	s_and_b64 s[4:5], s[4:5], exec
	s_or_saveexec_b64 s[6:7], s[6:7]
	v_mov_b32_e32 v6, s10
	s_xor_b64 exec, exec, s[6:7]
	s_cbranch_execnz .LBB1_28096
; %bb.63933:
	s_getpc_b64 s[14:15]
.Lpost_getpc17630:
	s_add_u32 s14, s14, (.LBB1_13758-.Lpost_getpc17630)&4294967295
	s_addc_u32 s15, s15, (.LBB1_13758-.Lpost_getpc17630)>>32
	s_setpc_b64 s[14:15]
.LBB1_28096:
	v_mov_b32_e32 v6, 0
	v_cmp_ne_u16_sdwa s[8:9], v3, v6 src0_sel:BYTE_3 src1_sel:DWORD
	s_andn2_b64 s[4:5], s[4:5], exec
	s_and_b64 s[8:9], s[8:9], exec
	s_or_b64 s[4:5], s[4:5], s[8:9]
	s_or_b64 exec, exec, s[6:7]
	s_and_saveexec_b64 s[6:7], s[4:5]
	s_cbranch_execz .LBB1_35551
; %bb.63935:
	s_getpc_b64 s[14:15]
.Lpost_getpc17631:
	s_add_u32 s14, s14, (.LBB1_13759-.Lpost_getpc17631)&4294967295
	s_addc_u32 s15, s15, (.LBB1_13759-.Lpost_getpc17631)>>32
	s_setpc_b64 s[14:15]
.LBB1_35551:
	s_getpc_b64 s[14:15]
.Lpost_getpc3439:
	s_add_u32 s14, s14, (.LBB1_13760-.Lpost_getpc3439)&4294967295
	s_addc_u32 s15, s15, (.LBB1_13760-.Lpost_getpc3439)>>32
	s_setpc_b64 s[14:15]
.LBB1_28097:
	s_movk_i32 s4, 0x80
	v_cmp_eq_u16_sdwa s[12:13], v8, s4 src0_sel:BYTE_0 src1_sel:DWORD
	s_mov_b64 s[4:5], -1
                                        ; implicit-def: $sgpr10
	s_and_saveexec_b64 s[8:9], s[12:13]
; %bb.28098:
	s_mov_b32 s10, 0x7f800001
	s_xor_b64 s[4:5], exec, -1
; %bb.28099:
	s_or_b64 exec, exec, s[8:9]
	s_and_b64 s[4:5], s[4:5], exec
	s_or_saveexec_b64 s[6:7], s[6:7]
	v_mov_b32_e32 v2, s10
	s_xor_b64 exec, exec, s[6:7]
	s_cbranch_execnz .LBB1_28100
; %bb.63937:
	s_getpc_b64 s[14:15]
.Lpost_getpc17632:
	s_add_u32 s14, s14, (.LBB1_13762-.Lpost_getpc17632)&4294967295
	s_addc_u32 s15, s15, (.LBB1_13762-.Lpost_getpc17632)>>32
	s_setpc_b64 s[14:15]
.LBB1_28100:
	v_mov_b32_e32 v2, 0
	v_cmp_ne_u16_sdwa s[8:9], v8, v2 src0_sel:BYTE_0 src1_sel:DWORD
	s_andn2_b64 s[4:5], s[4:5], exec
	s_and_b64 s[8:9], s[8:9], exec
	s_or_b64 s[4:5], s[4:5], s[8:9]
	s_or_b64 exec, exec, s[6:7]
	s_and_saveexec_b64 s[6:7], s[4:5]
	s_cbranch_execz .LBB1_35553
; %bb.63939:
	s_getpc_b64 s[14:15]
.Lpost_getpc17633:
	s_add_u32 s14, s14, (.LBB1_13763-.Lpost_getpc17633)&4294967295
	s_addc_u32 s15, s15, (.LBB1_13763-.Lpost_getpc17633)>>32
	s_setpc_b64 s[14:15]
.LBB1_35553:
	s_getpc_b64 s[14:15]
.Lpost_getpc3440:
	s_add_u32 s14, s14, (.LBB1_13764-.Lpost_getpc3440)&4294967295
	s_addc_u32 s15, s15, (.LBB1_13764-.Lpost_getpc3440)>>32
	s_setpc_b64 s[14:15]
.LBB1_28101:
	s_movk_i32 s4, 0x80
	v_cmp_eq_u16_sdwa s[12:13], v4, s4 src0_sel:BYTE_0 src1_sel:DWORD
	s_mov_b64 s[4:5], -1
                                        ; implicit-def: $sgpr10
	s_and_saveexec_b64 s[8:9], s[12:13]
; %bb.28102:
	s_mov_b32 s10, 0x7f800001
	s_xor_b64 s[4:5], exec, -1
; %bb.28103:
	s_or_b64 exec, exec, s[8:9]
	s_and_b64 s[4:5], s[4:5], exec
	s_or_saveexec_b64 s[6:7], s[6:7]
	v_mov_b32_e32 v3, s10
	s_xor_b64 exec, exec, s[6:7]
	s_cbranch_execnz .LBB1_28104
; %bb.63941:
	s_getpc_b64 s[14:15]
.Lpost_getpc17634:
	s_add_u32 s14, s14, (.LBB1_13766-.Lpost_getpc17634)&4294967295
	s_addc_u32 s15, s15, (.LBB1_13766-.Lpost_getpc17634)>>32
	s_setpc_b64 s[14:15]
.LBB1_28104:
	v_mov_b32_e32 v3, 0
	v_cmp_ne_u16_sdwa s[8:9], v4, v3 src0_sel:BYTE_0 src1_sel:DWORD
	s_andn2_b64 s[4:5], s[4:5], exec
	s_and_b64 s[8:9], s[8:9], exec
	s_or_b64 s[4:5], s[4:5], s[8:9]
	s_or_b64 exec, exec, s[6:7]
	s_and_saveexec_b64 s[6:7], s[4:5]
	s_cbranch_execz .LBB1_35555
; %bb.63943:
	s_getpc_b64 s[14:15]
.Lpost_getpc17635:
	s_add_u32 s14, s14, (.LBB1_13767-.Lpost_getpc17635)&4294967295
	s_addc_u32 s15, s15, (.LBB1_13767-.Lpost_getpc17635)>>32
	s_setpc_b64 s[14:15]
.LBB1_35555:
	s_getpc_b64 s[14:15]
.Lpost_getpc3441:
	s_add_u32 s14, s14, (.LBB1_13768-.Lpost_getpc3441)&4294967295
	s_addc_u32 s15, s15, (.LBB1_13768-.Lpost_getpc3441)>>32
	s_setpc_b64 s[14:15]
.LBB1_28105:
	s_movk_i32 s4, 0x80
	v_cmp_eq_u16_sdwa s[12:13], v3, s4 src0_sel:BYTE_0 src1_sel:DWORD
	s_mov_b64 s[4:5], -1
                                        ; implicit-def: $sgpr10
	s_and_saveexec_b64 s[8:9], s[12:13]
; %bb.28106:
	s_mov_b32 s10, 0x7f800001
	s_xor_b64 s[4:5], exec, -1
; %bb.28107:
	s_or_b64 exec, exec, s[8:9]
	s_and_b64 s[4:5], s[4:5], exec
	s_or_saveexec_b64 s[6:7], s[6:7]
	v_mov_b32_e32 v2, s10
	s_xor_b64 exec, exec, s[6:7]
	s_cbranch_execnz .LBB1_28108
; %bb.63945:
	s_getpc_b64 s[14:15]
.Lpost_getpc17636:
	s_add_u32 s14, s14, (.LBB1_13770-.Lpost_getpc17636)&4294967295
	s_addc_u32 s15, s15, (.LBB1_13770-.Lpost_getpc17636)>>32
	s_setpc_b64 s[14:15]
.LBB1_28108:
	v_mov_b32_e32 v2, 0
	v_cmp_ne_u16_sdwa s[8:9], v3, v2 src0_sel:BYTE_0 src1_sel:DWORD
	s_andn2_b64 s[4:5], s[4:5], exec
	s_and_b64 s[8:9], s[8:9], exec
	s_or_b64 s[4:5], s[4:5], s[8:9]
	s_or_b64 exec, exec, s[6:7]
	s_and_saveexec_b64 s[6:7], s[4:5]
	s_cbranch_execz .LBB1_35557
; %bb.63947:
	s_getpc_b64 s[14:15]
.Lpost_getpc17637:
	s_add_u32 s14, s14, (.LBB1_13771-.Lpost_getpc17637)&4294967295
	s_addc_u32 s15, s15, (.LBB1_13771-.Lpost_getpc17637)>>32
	s_setpc_b64 s[14:15]
.LBB1_35557:
	s_getpc_b64 s[14:15]
.Lpost_getpc3442:
	s_add_u32 s14, s14, (.LBB1_13772-.Lpost_getpc3442)&4294967295
	s_addc_u32 s15, s15, (.LBB1_13772-.Lpost_getpc3442)>>32
	s_setpc_b64 s[14:15]
.LBB1_28109:
	s_movk_i32 s4, 0x80
	v_cmp_eq_u16_sdwa s[12:13], v3, s4 src0_sel:BYTE_0 src1_sel:DWORD
	s_mov_b64 s[4:5], -1
                                        ; implicit-def: $sgpr10
	s_and_saveexec_b64 s[8:9], s[12:13]
; %bb.28110:
	s_mov_b32 s10, 0x7f800001
	s_xor_b64 s[4:5], exec, -1
; %bb.28111:
	s_or_b64 exec, exec, s[8:9]
	s_and_b64 s[4:5], s[4:5], exec
	s_or_saveexec_b64 s[6:7], s[6:7]
	v_mov_b32_e32 v6, s10
	s_xor_b64 exec, exec, s[6:7]
	s_cbranch_execnz .LBB1_28112
; %bb.63949:
	s_getpc_b64 s[14:15]
.Lpost_getpc17638:
	s_add_u32 s14, s14, (.LBB1_13774-.Lpost_getpc17638)&4294967295
	s_addc_u32 s15, s15, (.LBB1_13774-.Lpost_getpc17638)>>32
	s_setpc_b64 s[14:15]
.LBB1_28112:
	v_mov_b32_e32 v6, 0
	v_cmp_ne_u16_sdwa s[8:9], v3, v6 src0_sel:BYTE_0 src1_sel:DWORD
	s_andn2_b64 s[4:5], s[4:5], exec
	s_and_b64 s[8:9], s[8:9], exec
	s_or_b64 s[4:5], s[4:5], s[8:9]
	s_or_b64 exec, exec, s[6:7]
	s_and_saveexec_b64 s[6:7], s[4:5]
	s_cbranch_execz .LBB1_35559
; %bb.63951:
	s_getpc_b64 s[14:15]
.Lpost_getpc17639:
	s_add_u32 s14, s14, (.LBB1_13775-.Lpost_getpc17639)&4294967295
	s_addc_u32 s15, s15, (.LBB1_13775-.Lpost_getpc17639)>>32
	s_setpc_b64 s[14:15]
.LBB1_35559:
	s_getpc_b64 s[14:15]
.Lpost_getpc3443:
	s_add_u32 s14, s14, (.LBB1_13776-.Lpost_getpc3443)&4294967295
	s_addc_u32 s15, s15, (.LBB1_13776-.Lpost_getpc3443)>>32
	s_setpc_b64 s[14:15]
.LBB1_28113:
	s_movk_i32 s4, 0x80
	v_cmp_eq_u16_e32 vcc, s4, v3
	s_mov_b64 s[4:5], -1
                                        ; implicit-def: $sgpr10
	s_and_saveexec_b64 s[8:9], vcc
; %bb.28114:
	s_mov_b32 s10, 0x7f800001
	s_xor_b64 s[4:5], exec, -1
; %bb.28115:
	s_or_b64 exec, exec, s[8:9]
	s_and_b64 s[4:5], s[4:5], exec
                                        ; implicit-def: $vgpr3
	s_or_saveexec_b64 s[6:7], s[6:7]
	v_mov_b32_e32 v2, s10
	s_xor_b64 exec, exec, s[6:7]
	s_cbranch_execnz .LBB1_28116
; %bb.63953:
	s_getpc_b64 s[14:15]
.Lpost_getpc17640:
	s_add_u32 s14, s14, (.LBB1_13778-.Lpost_getpc17640)&4294967295
	s_addc_u32 s15, s15, (.LBB1_13778-.Lpost_getpc17640)>>32
	s_setpc_b64 s[14:15]
.LBB1_28116:
	v_cmp_ne_u16_e32 vcc, 0, v3
	s_andn2_b64 s[4:5], s[4:5], exec
	s_and_b64 s[8:9], vcc, exec
	v_mov_b32_e32 v2, 0
	s_or_b64 s[4:5], s[4:5], s[8:9]
	s_or_b64 exec, exec, s[6:7]
	s_and_saveexec_b64 s[6:7], s[4:5]
	s_cbranch_execz .LBB1_35561
; %bb.63955:
	s_getpc_b64 s[14:15]
.Lpost_getpc17641:
	s_add_u32 s14, s14, (.LBB1_13779-.Lpost_getpc17641)&4294967295
	s_addc_u32 s15, s15, (.LBB1_13779-.Lpost_getpc17641)>>32
	s_setpc_b64 s[14:15]
.LBB1_35561:
	s_getpc_b64 s[14:15]
.Lpost_getpc3444:
	s_add_u32 s14, s14, (.LBB1_13780-.Lpost_getpc3444)&4294967295
	s_addc_u32 s15, s15, (.LBB1_13780-.Lpost_getpc3444)>>32
	s_setpc_b64 s[14:15]
.LBB1_28117:
	s_movk_i32 s4, 0x80
	v_cmp_eq_u16_e32 vcc, s4, v3
	s_mov_b64 s[4:5], -1
                                        ; implicit-def: $sgpr10
	s_and_saveexec_b64 s[8:9], vcc
; %bb.28118:
	s_mov_b32 s10, 0x7f800001
	s_xor_b64 s[4:5], exec, -1
; %bb.28119:
	s_or_b64 exec, exec, s[8:9]
	s_and_b64 s[4:5], s[4:5], exec
                                        ; implicit-def: $vgpr3
	s_or_saveexec_b64 s[6:7], s[6:7]
	v_mov_b32_e32 v6, s10
	s_xor_b64 exec, exec, s[6:7]
	s_cbranch_execnz .LBB1_28120
; %bb.63957:
	s_getpc_b64 s[14:15]
.Lpost_getpc17642:
	s_add_u32 s14, s14, (.LBB1_13782-.Lpost_getpc17642)&4294967295
	s_addc_u32 s15, s15, (.LBB1_13782-.Lpost_getpc17642)>>32
	s_setpc_b64 s[14:15]
.LBB1_28120:
	v_cmp_ne_u16_e32 vcc, 0, v3
	s_andn2_b64 s[4:5], s[4:5], exec
	s_and_b64 s[8:9], vcc, exec
	v_mov_b32_e32 v6, 0
	s_or_b64 s[4:5], s[4:5], s[8:9]
	s_or_b64 exec, exec, s[6:7]
	s_and_saveexec_b64 s[6:7], s[4:5]
	s_cbranch_execz .LBB1_35563
; %bb.63959:
	s_getpc_b64 s[14:15]
.Lpost_getpc17643:
	s_add_u32 s14, s14, (.LBB1_13783-.Lpost_getpc17643)&4294967295
	s_addc_u32 s15, s15, (.LBB1_13783-.Lpost_getpc17643)>>32
	s_setpc_b64 s[14:15]
.LBB1_35563:
	s_getpc_b64 s[14:15]
.Lpost_getpc3445:
	s_add_u32 s14, s14, (.LBB1_13784-.Lpost_getpc3445)&4294967295
	s_addc_u32 s15, s15, (.LBB1_13784-.Lpost_getpc3445)>>32
	s_setpc_b64 s[14:15]
.LBB1_28121:
	s_movk_i32 s4, 0x80
	v_cmp_eq_u16_sdwa s[12:13], v8, s4 src0_sel:BYTE_3 src1_sel:DWORD
	s_mov_b64 s[4:5], -1
                                        ; implicit-def: $sgpr10
	s_and_saveexec_b64 s[8:9], s[12:13]
; %bb.28122:
	s_mov_b32 s10, 0x7f800001
	s_xor_b64 s[4:5], exec, -1
; %bb.28123:
	s_or_b64 exec, exec, s[8:9]
	s_and_b64 s[4:5], s[4:5], exec
	s_or_saveexec_b64 s[6:7], s[6:7]
	v_mov_b32_e32 v2, s10
	s_xor_b64 exec, exec, s[6:7]
	s_cbranch_execnz .LBB1_28124
; %bb.63961:
	s_getpc_b64 s[14:15]
.Lpost_getpc17644:
	s_add_u32 s14, s14, (.LBB1_13786-.Lpost_getpc17644)&4294967295
	s_addc_u32 s15, s15, (.LBB1_13786-.Lpost_getpc17644)>>32
	s_setpc_b64 s[14:15]
.LBB1_28124:
	v_mov_b32_e32 v2, 0
	v_cmp_ne_u16_sdwa s[8:9], v8, v2 src0_sel:BYTE_3 src1_sel:DWORD
	s_andn2_b64 s[4:5], s[4:5], exec
	s_and_b64 s[8:9], s[8:9], exec
	s_or_b64 s[4:5], s[4:5], s[8:9]
	s_or_b64 exec, exec, s[6:7]
	s_and_saveexec_b64 s[6:7], s[4:5]
	s_cbranch_execz .LBB1_35565
; %bb.63963:
	s_getpc_b64 s[14:15]
.Lpost_getpc17645:
	s_add_u32 s14, s14, (.LBB1_13787-.Lpost_getpc17645)&4294967295
	s_addc_u32 s15, s15, (.LBB1_13787-.Lpost_getpc17645)>>32
	s_setpc_b64 s[14:15]
.LBB1_35565:
	s_getpc_b64 s[14:15]
.Lpost_getpc3446:
	s_add_u32 s14, s14, (.LBB1_13788-.Lpost_getpc3446)&4294967295
	s_addc_u32 s15, s15, (.LBB1_13788-.Lpost_getpc3446)>>32
	s_setpc_b64 s[14:15]
.LBB1_28125:
	s_movk_i32 s4, 0x80
	v_cmp_eq_u16_sdwa s[12:13], v4, s4 src0_sel:BYTE_3 src1_sel:DWORD
	s_mov_b64 s[4:5], -1
                                        ; implicit-def: $sgpr10
	s_and_saveexec_b64 s[8:9], s[12:13]
; %bb.28126:
	s_mov_b32 s10, 0x7f800001
	s_xor_b64 s[4:5], exec, -1
; %bb.28127:
	s_or_b64 exec, exec, s[8:9]
	s_and_b64 s[4:5], s[4:5], exec
	s_or_saveexec_b64 s[6:7], s[6:7]
	v_mov_b32_e32 v3, s10
	s_xor_b64 exec, exec, s[6:7]
	s_cbranch_execnz .LBB1_28128
; %bb.63965:
	s_getpc_b64 s[14:15]
.Lpost_getpc17646:
	s_add_u32 s14, s14, (.LBB1_13790-.Lpost_getpc17646)&4294967295
	s_addc_u32 s15, s15, (.LBB1_13790-.Lpost_getpc17646)>>32
	s_setpc_b64 s[14:15]
.LBB1_28128:
	v_mov_b32_e32 v3, 0
	v_cmp_ne_u16_sdwa s[8:9], v4, v3 src0_sel:BYTE_3 src1_sel:DWORD
	s_andn2_b64 s[4:5], s[4:5], exec
	s_and_b64 s[8:9], s[8:9], exec
	s_or_b64 s[4:5], s[4:5], s[8:9]
	s_or_b64 exec, exec, s[6:7]
	s_and_saveexec_b64 s[6:7], s[4:5]
	s_cbranch_execz .LBB1_35567
; %bb.63967:
	s_getpc_b64 s[14:15]
.Lpost_getpc17647:
	s_add_u32 s14, s14, (.LBB1_13791-.Lpost_getpc17647)&4294967295
	s_addc_u32 s15, s15, (.LBB1_13791-.Lpost_getpc17647)>>32
	s_setpc_b64 s[14:15]
.LBB1_35567:
	s_getpc_b64 s[14:15]
.Lpost_getpc3447:
	s_add_u32 s14, s14, (.LBB1_13792-.Lpost_getpc3447)&4294967295
	s_addc_u32 s15, s15, (.LBB1_13792-.Lpost_getpc3447)>>32
	s_setpc_b64 s[14:15]
.LBB1_28129:
	s_movk_i32 s4, 0x80
	v_cmp_eq_u16_sdwa s[12:13], v9, s4 src0_sel:BYTE_0 src1_sel:DWORD
	s_mov_b64 s[4:5], -1
                                        ; implicit-def: $sgpr10
	s_and_saveexec_b64 s[8:9], s[12:13]
; %bb.28130:
	s_mov_b32 s10, 0x7f800001
	s_xor_b64 s[4:5], exec, -1
; %bb.28131:
	s_or_b64 exec, exec, s[8:9]
	s_and_b64 s[4:5], s[4:5], exec
	s_or_saveexec_b64 s[6:7], s[6:7]
	v_mov_b32_e32 v2, s10
	s_xor_b64 exec, exec, s[6:7]
	s_cbranch_execnz .LBB1_28132
; %bb.63969:
	s_getpc_b64 s[14:15]
.Lpost_getpc17648:
	s_add_u32 s14, s14, (.LBB1_13794-.Lpost_getpc17648)&4294967295
	s_addc_u32 s15, s15, (.LBB1_13794-.Lpost_getpc17648)>>32
	s_setpc_b64 s[14:15]
.LBB1_28132:
	v_mov_b32_e32 v2, 0
	v_cmp_ne_u16_sdwa s[8:9], v9, v2 src0_sel:BYTE_0 src1_sel:DWORD
	s_andn2_b64 s[4:5], s[4:5], exec
	s_and_b64 s[8:9], s[8:9], exec
	s_or_b64 s[4:5], s[4:5], s[8:9]
	s_or_b64 exec, exec, s[6:7]
	s_and_saveexec_b64 s[6:7], s[4:5]
	s_cbranch_execz .LBB1_35569
; %bb.63971:
	s_getpc_b64 s[14:15]
.Lpost_getpc17649:
	s_add_u32 s14, s14, (.LBB1_13795-.Lpost_getpc17649)&4294967295
	s_addc_u32 s15, s15, (.LBB1_13795-.Lpost_getpc17649)>>32
	s_setpc_b64 s[14:15]
.LBB1_35569:
	s_getpc_b64 s[14:15]
.Lpost_getpc3448:
	s_add_u32 s14, s14, (.LBB1_13796-.Lpost_getpc3448)&4294967295
	s_addc_u32 s15, s15, (.LBB1_13796-.Lpost_getpc3448)>>32
	s_setpc_b64 s[14:15]
.LBB1_28133:
	s_movk_i32 s4, 0x80
	v_cmp_eq_u16_sdwa s[12:13], v5, s4 src0_sel:BYTE_0 src1_sel:DWORD
	s_mov_b64 s[4:5], -1
                                        ; implicit-def: $sgpr10
	s_and_saveexec_b64 s[8:9], s[12:13]
; %bb.28134:
	s_mov_b32 s10, 0x7f800001
	s_xor_b64 s[4:5], exec, -1
; %bb.28135:
	s_or_b64 exec, exec, s[8:9]
	s_and_b64 s[4:5], s[4:5], exec
	s_or_saveexec_b64 s[6:7], s[6:7]
	v_mov_b32_e32 v3, s10
	s_xor_b64 exec, exec, s[6:7]
	s_cbranch_execnz .LBB1_28136
; %bb.63973:
	s_getpc_b64 s[14:15]
.Lpost_getpc17650:
	s_add_u32 s14, s14, (.LBB1_13798-.Lpost_getpc17650)&4294967295
	s_addc_u32 s15, s15, (.LBB1_13798-.Lpost_getpc17650)>>32
	s_setpc_b64 s[14:15]
.LBB1_28136:
	v_mov_b32_e32 v3, 0
	v_cmp_ne_u16_sdwa s[8:9], v5, v3 src0_sel:BYTE_0 src1_sel:DWORD
	s_andn2_b64 s[4:5], s[4:5], exec
	s_and_b64 s[8:9], s[8:9], exec
	s_or_b64 s[4:5], s[4:5], s[8:9]
	s_or_b64 exec, exec, s[6:7]
	s_and_saveexec_b64 s[6:7], s[4:5]
	s_cbranch_execz .LBB1_35571
; %bb.63975:
	s_getpc_b64 s[14:15]
.Lpost_getpc17651:
	s_add_u32 s14, s14, (.LBB1_13799-.Lpost_getpc17651)&4294967295
	s_addc_u32 s15, s15, (.LBB1_13799-.Lpost_getpc17651)>>32
	s_setpc_b64 s[14:15]
.LBB1_35571:
	s_getpc_b64 s[14:15]
.Lpost_getpc3449:
	s_add_u32 s14, s14, (.LBB1_13800-.Lpost_getpc3449)&4294967295
	s_addc_u32 s15, s15, (.LBB1_13800-.Lpost_getpc3449)>>32
	s_setpc_b64 s[14:15]
.LBB1_28137:
	s_movk_i32 s4, 0x80
	v_cmp_eq_u16_sdwa s[12:13], v3, s4 src0_sel:BYTE_0 src1_sel:DWORD
	s_mov_b64 s[4:5], -1
                                        ; implicit-def: $sgpr10
	s_and_saveexec_b64 s[8:9], s[12:13]
; %bb.28138:
	s_mov_b32 s10, 0x7f800001
	s_xor_b64 s[4:5], exec, -1
; %bb.28139:
	s_or_b64 exec, exec, s[8:9]
	s_and_b64 s[4:5], s[4:5], exec
	s_or_saveexec_b64 s[6:7], s[6:7]
	v_mov_b32_e32 v2, s10
	s_xor_b64 exec, exec, s[6:7]
	s_cbranch_execnz .LBB1_28140
; %bb.63977:
	s_getpc_b64 s[14:15]
.Lpost_getpc17652:
	s_add_u32 s14, s14, (.LBB1_13802-.Lpost_getpc17652)&4294967295
	s_addc_u32 s15, s15, (.LBB1_13802-.Lpost_getpc17652)>>32
	s_setpc_b64 s[14:15]
.LBB1_28140:
	v_mov_b32_e32 v2, 0
	v_cmp_ne_u16_sdwa s[8:9], v3, v2 src0_sel:BYTE_0 src1_sel:DWORD
	s_andn2_b64 s[4:5], s[4:5], exec
	s_and_b64 s[8:9], s[8:9], exec
	s_or_b64 s[4:5], s[4:5], s[8:9]
	s_or_b64 exec, exec, s[6:7]
	s_and_saveexec_b64 s[6:7], s[4:5]
	s_cbranch_execz .LBB1_35573
; %bb.63979:
	s_getpc_b64 s[14:15]
.Lpost_getpc17653:
	s_add_u32 s14, s14, (.LBB1_13803-.Lpost_getpc17653)&4294967295
	s_addc_u32 s15, s15, (.LBB1_13803-.Lpost_getpc17653)>>32
	s_setpc_b64 s[14:15]
.LBB1_35573:
	s_getpc_b64 s[14:15]
.Lpost_getpc3450:
	s_add_u32 s14, s14, (.LBB1_13804-.Lpost_getpc3450)&4294967295
	s_addc_u32 s15, s15, (.LBB1_13804-.Lpost_getpc3450)>>32
	s_setpc_b64 s[14:15]
.LBB1_28141:
	s_movk_i32 s4, 0x80
	v_cmp_eq_u16_sdwa s[12:13], v3, s4 src0_sel:BYTE_0 src1_sel:DWORD
	s_mov_b64 s[4:5], -1
                                        ; implicit-def: $sgpr10
	s_and_saveexec_b64 s[8:9], s[12:13]
; %bb.28142:
	s_mov_b32 s10, 0x7f800001
	s_xor_b64 s[4:5], exec, -1
; %bb.28143:
	s_or_b64 exec, exec, s[8:9]
	s_and_b64 s[4:5], s[4:5], exec
	s_or_saveexec_b64 s[6:7], s[6:7]
	v_mov_b32_e32 v4, s10
	s_xor_b64 exec, exec, s[6:7]
	s_cbranch_execnz .LBB1_28144
; %bb.63981:
	s_getpc_b64 s[14:15]
.Lpost_getpc17654:
	s_add_u32 s14, s14, (.LBB1_13806-.Lpost_getpc17654)&4294967295
	s_addc_u32 s15, s15, (.LBB1_13806-.Lpost_getpc17654)>>32
	s_setpc_b64 s[14:15]
.LBB1_28144:
	v_mov_b32_e32 v4, 0
	v_cmp_ne_u16_sdwa s[8:9], v3, v4 src0_sel:BYTE_0 src1_sel:DWORD
	s_andn2_b64 s[4:5], s[4:5], exec
	s_and_b64 s[8:9], s[8:9], exec
	s_or_b64 s[4:5], s[4:5], s[8:9]
	s_or_b64 exec, exec, s[6:7]
	s_and_saveexec_b64 s[6:7], s[4:5]
	s_cbranch_execz .LBB1_35575
; %bb.63983:
	s_getpc_b64 s[14:15]
.Lpost_getpc17655:
	s_add_u32 s14, s14, (.LBB1_13807-.Lpost_getpc17655)&4294967295
	s_addc_u32 s15, s15, (.LBB1_13807-.Lpost_getpc17655)>>32
	s_setpc_b64 s[14:15]
.LBB1_35575:
	s_getpc_b64 s[14:15]
.Lpost_getpc3451:
	s_add_u32 s14, s14, (.LBB1_13808-.Lpost_getpc3451)&4294967295
	s_addc_u32 s15, s15, (.LBB1_13808-.Lpost_getpc3451)>>32
	s_setpc_b64 s[14:15]
.LBB1_28145:
	s_movk_i32 s4, 0x80
	v_cmp_eq_u16_e32 vcc, s4, v3
	s_mov_b64 s[4:5], -1
                                        ; implicit-def: $sgpr10
	s_and_saveexec_b64 s[8:9], vcc
; %bb.28146:
	s_mov_b32 s10, 0x7f800001
	s_xor_b64 s[4:5], exec, -1
; %bb.28147:
	s_or_b64 exec, exec, s[8:9]
	s_and_b64 s[4:5], s[4:5], exec
                                        ; implicit-def: $vgpr3
	s_or_saveexec_b64 s[6:7], s[6:7]
	v_mov_b32_e32 v2, s10
	s_xor_b64 exec, exec, s[6:7]
	s_cbranch_execnz .LBB1_28148
; %bb.63985:
	s_getpc_b64 s[14:15]
.Lpost_getpc17656:
	s_add_u32 s14, s14, (.LBB1_13810-.Lpost_getpc17656)&4294967295
	s_addc_u32 s15, s15, (.LBB1_13810-.Lpost_getpc17656)>>32
	s_setpc_b64 s[14:15]
.LBB1_28148:
	v_cmp_ne_u16_e32 vcc, 0, v3
	s_andn2_b64 s[4:5], s[4:5], exec
	s_and_b64 s[8:9], vcc, exec
	v_mov_b32_e32 v2, 0
	s_or_b64 s[4:5], s[4:5], s[8:9]
	s_or_b64 exec, exec, s[6:7]
	s_and_saveexec_b64 s[6:7], s[4:5]
	s_cbranch_execz .LBB1_35577
; %bb.63987:
	s_getpc_b64 s[14:15]
.Lpost_getpc17657:
	s_add_u32 s14, s14, (.LBB1_13811-.Lpost_getpc17657)&4294967295
	s_addc_u32 s15, s15, (.LBB1_13811-.Lpost_getpc17657)>>32
	s_setpc_b64 s[14:15]
.LBB1_35577:
	s_getpc_b64 s[14:15]
.Lpost_getpc3452:
	s_add_u32 s14, s14, (.LBB1_13812-.Lpost_getpc3452)&4294967295
	s_addc_u32 s15, s15, (.LBB1_13812-.Lpost_getpc3452)>>32
	s_setpc_b64 s[14:15]
.LBB1_28149:
	s_movk_i32 s4, 0x80
	v_cmp_eq_u16_e32 vcc, s4, v3
	s_mov_b64 s[4:5], -1
                                        ; implicit-def: $sgpr10
	s_and_saveexec_b64 s[8:9], vcc
; %bb.28150:
	s_mov_b32 s10, 0x7f800001
	s_xor_b64 s[4:5], exec, -1
; %bb.28151:
	s_or_b64 exec, exec, s[8:9]
	s_and_b64 s[4:5], s[4:5], exec
                                        ; implicit-def: $vgpr3
	s_or_saveexec_b64 s[6:7], s[6:7]
	v_mov_b32_e32 v4, s10
	s_xor_b64 exec, exec, s[6:7]
	s_cbranch_execnz .LBB1_28152
; %bb.63989:
	s_getpc_b64 s[14:15]
.Lpost_getpc17658:
	s_add_u32 s14, s14, (.LBB1_13814-.Lpost_getpc17658)&4294967295
	s_addc_u32 s15, s15, (.LBB1_13814-.Lpost_getpc17658)>>32
	s_setpc_b64 s[14:15]
.LBB1_28152:
	v_cmp_ne_u16_e32 vcc, 0, v3
	s_andn2_b64 s[4:5], s[4:5], exec
	s_and_b64 s[8:9], vcc, exec
	v_mov_b32_e32 v4, 0
	s_or_b64 s[4:5], s[4:5], s[8:9]
	s_or_b64 exec, exec, s[6:7]
	s_and_saveexec_b64 s[6:7], s[4:5]
	s_cbranch_execz .LBB1_35579
; %bb.63991:
	s_getpc_b64 s[14:15]
.Lpost_getpc17659:
	s_add_u32 s14, s14, (.LBB1_13815-.Lpost_getpc17659)&4294967295
	s_addc_u32 s15, s15, (.LBB1_13815-.Lpost_getpc17659)>>32
	s_setpc_b64 s[14:15]
.LBB1_35579:
	s_getpc_b64 s[14:15]
.Lpost_getpc3453:
	s_add_u32 s14, s14, (.LBB1_13816-.Lpost_getpc3453)&4294967295
	s_addc_u32 s15, s15, (.LBB1_13816-.Lpost_getpc3453)>>32
	s_setpc_b64 s[14:15]
.LBB1_28153:
	s_movk_i32 s4, 0x80
	v_cmp_eq_u16_sdwa s[12:13], v9, s4 src0_sel:BYTE_3 src1_sel:DWORD
	s_mov_b64 s[4:5], -1
                                        ; implicit-def: $sgpr10
	s_and_saveexec_b64 s[8:9], s[12:13]
; %bb.28154:
	s_mov_b32 s10, 0x7f800001
	s_xor_b64 s[4:5], exec, -1
; %bb.28155:
	s_or_b64 exec, exec, s[8:9]
	s_and_b64 s[4:5], s[4:5], exec
	s_or_saveexec_b64 s[6:7], s[6:7]
	v_mov_b32_e32 v2, s10
	s_xor_b64 exec, exec, s[6:7]
	s_cbranch_execnz .LBB1_28156
; %bb.63993:
	s_getpc_b64 s[14:15]
.Lpost_getpc17660:
	s_add_u32 s14, s14, (.LBB1_13818-.Lpost_getpc17660)&4294967295
	s_addc_u32 s15, s15, (.LBB1_13818-.Lpost_getpc17660)>>32
	s_setpc_b64 s[14:15]
.LBB1_28156:
	v_mov_b32_e32 v2, 0
	v_cmp_ne_u16_sdwa s[8:9], v9, v2 src0_sel:BYTE_3 src1_sel:DWORD
	s_andn2_b64 s[4:5], s[4:5], exec
	s_and_b64 s[8:9], s[8:9], exec
	s_or_b64 s[4:5], s[4:5], s[8:9]
	s_or_b64 exec, exec, s[6:7]
	s_and_saveexec_b64 s[6:7], s[4:5]
	s_cbranch_execz .LBB1_35581
; %bb.63995:
	s_getpc_b64 s[14:15]
.Lpost_getpc17661:
	s_add_u32 s14, s14, (.LBB1_13819-.Lpost_getpc17661)&4294967295
	s_addc_u32 s15, s15, (.LBB1_13819-.Lpost_getpc17661)>>32
	s_setpc_b64 s[14:15]
.LBB1_35581:
	s_getpc_b64 s[14:15]
.Lpost_getpc3454:
	s_add_u32 s14, s14, (.LBB1_13820-.Lpost_getpc3454)&4294967295
	s_addc_u32 s15, s15, (.LBB1_13820-.Lpost_getpc3454)>>32
	s_setpc_b64 s[14:15]
.LBB1_28157:
	s_movk_i32 s4, 0x80
	v_cmp_eq_u16_sdwa s[12:13], v5, s4 src0_sel:BYTE_3 src1_sel:DWORD
	s_mov_b64 s[4:5], -1
                                        ; implicit-def: $sgpr10
	s_and_saveexec_b64 s[8:9], s[12:13]
; %bb.28158:
	s_mov_b32 s10, 0x7f800001
	s_xor_b64 s[4:5], exec, -1
; %bb.28159:
	s_or_b64 exec, exec, s[8:9]
	s_and_b64 s[4:5], s[4:5], exec
	s_or_saveexec_b64 s[6:7], s[6:7]
	v_mov_b32_e32 v3, s10
	s_xor_b64 exec, exec, s[6:7]
	s_cbranch_execnz .LBB1_28160
; %bb.63997:
	s_getpc_b64 s[14:15]
.Lpost_getpc17662:
	s_add_u32 s14, s14, (.LBB1_13822-.Lpost_getpc17662)&4294967295
	s_addc_u32 s15, s15, (.LBB1_13822-.Lpost_getpc17662)>>32
	s_setpc_b64 s[14:15]
.LBB1_28160:
	v_mov_b32_e32 v3, 0
	v_cmp_ne_u16_sdwa s[8:9], v5, v3 src0_sel:BYTE_3 src1_sel:DWORD
	s_andn2_b64 s[4:5], s[4:5], exec
	s_and_b64 s[8:9], s[8:9], exec
	s_or_b64 s[4:5], s[4:5], s[8:9]
	s_or_b64 exec, exec, s[6:7]
	s_and_saveexec_b64 s[6:7], s[4:5]
	s_cbranch_execz .LBB1_35583
; %bb.63999:
	s_getpc_b64 s[14:15]
.Lpost_getpc17663:
	s_add_u32 s14, s14, (.LBB1_13823-.Lpost_getpc17663)&4294967295
	s_addc_u32 s15, s15, (.LBB1_13823-.Lpost_getpc17663)>>32
	s_setpc_b64 s[14:15]
.LBB1_35583:
	s_getpc_b64 s[14:15]
.Lpost_getpc3455:
	s_add_u32 s14, s14, (.LBB1_13824-.Lpost_getpc3455)&4294967295
	s_addc_u32 s15, s15, (.LBB1_13824-.Lpost_getpc3455)>>32
	s_setpc_b64 s[14:15]
.LBB1_28161:
	s_movk_i32 s4, 0x80
	v_cmp_eq_u16_sdwa s[12:13], v6, s4 src0_sel:BYTE_0 src1_sel:DWORD
	s_mov_b64 s[4:5], -1
                                        ; implicit-def: $sgpr10
	s_and_saveexec_b64 s[8:9], s[12:13]
; %bb.28162:
	s_mov_b32 s10, 0x7f800001
	s_xor_b64 s[4:5], exec, -1
; %bb.28163:
	s_or_b64 exec, exec, s[8:9]
	s_and_b64 s[4:5], s[4:5], exec
	s_or_saveexec_b64 s[6:7], s[6:7]
	v_mov_b32_e32 v12, s10
	s_xor_b64 exec, exec, s[6:7]
	s_cbranch_execnz .LBB1_28164
; %bb.64001:
	s_getpc_b64 s[14:15]
.Lpost_getpc17664:
	s_add_u32 s14, s14, (.LBB1_13826-.Lpost_getpc17664)&4294967295
	s_addc_u32 s15, s15, (.LBB1_13826-.Lpost_getpc17664)>>32
	s_setpc_b64 s[14:15]
.LBB1_28164:
	v_mov_b32_e32 v12, 0
	v_cmp_ne_u16_sdwa s[8:9], v6, v12 src0_sel:BYTE_0 src1_sel:DWORD
	s_andn2_b64 s[4:5], s[4:5], exec
	s_and_b64 s[8:9], s[8:9], exec
	s_or_b64 s[4:5], s[4:5], s[8:9]
	s_or_b64 exec, exec, s[6:7]
	s_and_saveexec_b64 s[6:7], s[4:5]
	s_cbranch_execz .LBB1_35585
; %bb.64003:
	s_getpc_b64 s[14:15]
.Lpost_getpc17665:
	s_add_u32 s14, s14, (.LBB1_13827-.Lpost_getpc17665)&4294967295
	s_addc_u32 s15, s15, (.LBB1_13827-.Lpost_getpc17665)>>32
	s_setpc_b64 s[14:15]
.LBB1_35585:
	s_getpc_b64 s[14:15]
.Lpost_getpc3456:
	s_add_u32 s14, s14, (.LBB1_13828-.Lpost_getpc3456)&4294967295
	s_addc_u32 s15, s15, (.LBB1_13828-.Lpost_getpc3456)>>32
	s_setpc_b64 s[14:15]
.LBB1_28165:
	s_movk_i32 s4, 0x80
	v_cmp_eq_u16_sdwa s[12:13], v2, s4 src0_sel:BYTE_0 src1_sel:DWORD
	s_mov_b64 s[4:5], -1
                                        ; implicit-def: $sgpr10
	s_and_saveexec_b64 s[8:9], s[12:13]
; %bb.28166:
	s_mov_b32 s10, 0x7f800001
	s_xor_b64 s[4:5], exec, -1
; %bb.28167:
	s_or_b64 exec, exec, s[8:9]
	s_and_b64 s[4:5], s[4:5], exec
	s_or_saveexec_b64 s[6:7], s[6:7]
	v_mov_b32_e32 v13, s10
	s_xor_b64 exec, exec, s[6:7]
	s_cbranch_execnz .LBB1_28168
; %bb.64005:
	s_getpc_b64 s[14:15]
.Lpost_getpc17666:
	s_add_u32 s14, s14, (.LBB1_13830-.Lpost_getpc17666)&4294967295
	s_addc_u32 s15, s15, (.LBB1_13830-.Lpost_getpc17666)>>32
	s_setpc_b64 s[14:15]
.LBB1_28168:
	v_mov_b32_e32 v13, 0
	v_cmp_ne_u16_sdwa s[8:9], v2, v13 src0_sel:BYTE_0 src1_sel:DWORD
	s_andn2_b64 s[4:5], s[4:5], exec
	s_and_b64 s[8:9], s[8:9], exec
	s_or_b64 s[4:5], s[4:5], s[8:9]
	s_or_b64 exec, exec, s[6:7]
	s_and_saveexec_b64 s[6:7], s[4:5]
	s_cbranch_execz .LBB1_35587
; %bb.64007:
	s_getpc_b64 s[14:15]
.Lpost_getpc17667:
	s_add_u32 s14, s14, (.LBB1_13831-.Lpost_getpc17667)&4294967295
	s_addc_u32 s15, s15, (.LBB1_13831-.Lpost_getpc17667)>>32
	s_setpc_b64 s[14:15]
.LBB1_35587:
	s_getpc_b64 s[14:15]
.Lpost_getpc3457:
	s_add_u32 s14, s14, (.LBB1_13832-.Lpost_getpc3457)&4294967295
	s_addc_u32 s15, s15, (.LBB1_13832-.Lpost_getpc3457)>>32
	s_setpc_b64 s[14:15]
.LBB1_28169:
	s_movk_i32 s4, 0x80
	v_cmp_eq_u16_sdwa s[12:13], v13, s4 src0_sel:BYTE_0 src1_sel:DWORD
	s_mov_b64 s[4:5], -1
                                        ; implicit-def: $sgpr10
	s_and_saveexec_b64 s[8:9], s[12:13]
; %bb.28170:
	s_mov_b32 s10, 0x7f800001
	s_xor_b64 s[4:5], exec, -1
; %bb.28171:
	s_or_b64 exec, exec, s[8:9]
	s_and_b64 s[4:5], s[4:5], exec
	s_or_saveexec_b64 s[6:7], s[6:7]
	v_mov_b32_e32 v12, s10
	s_xor_b64 exec, exec, s[6:7]
	s_cbranch_execnz .LBB1_28172
; %bb.64009:
	s_getpc_b64 s[14:15]
.Lpost_getpc17668:
	s_add_u32 s14, s14, (.LBB1_13834-.Lpost_getpc17668)&4294967295
	s_addc_u32 s15, s15, (.LBB1_13834-.Lpost_getpc17668)>>32
	s_setpc_b64 s[14:15]
.LBB1_28172:
	v_mov_b32_e32 v12, 0
	v_cmp_ne_u16_sdwa s[8:9], v13, v12 src0_sel:BYTE_0 src1_sel:DWORD
	s_andn2_b64 s[4:5], s[4:5], exec
	s_and_b64 s[8:9], s[8:9], exec
	s_or_b64 s[4:5], s[4:5], s[8:9]
	s_or_b64 exec, exec, s[6:7]
	s_and_saveexec_b64 s[6:7], s[4:5]
	s_cbranch_execz .LBB1_35589
; %bb.64011:
	s_getpc_b64 s[14:15]
.Lpost_getpc17669:
	s_add_u32 s14, s14, (.LBB1_13835-.Lpost_getpc17669)&4294967295
	s_addc_u32 s15, s15, (.LBB1_13835-.Lpost_getpc17669)>>32
	s_setpc_b64 s[14:15]
.LBB1_35589:
	s_getpc_b64 s[14:15]
.Lpost_getpc3458:
	s_add_u32 s14, s14, (.LBB1_13836-.Lpost_getpc3458)&4294967295
	s_addc_u32 s15, s15, (.LBB1_13836-.Lpost_getpc3458)>>32
	s_setpc_b64 s[14:15]
.LBB1_28173:
	s_movk_i32 s4, 0x80
	v_cmp_eq_u16_sdwa s[12:13], v13, s4 src0_sel:BYTE_0 src1_sel:DWORD
	s_mov_b64 s[4:5], -1
                                        ; implicit-def: $sgpr10
	s_and_saveexec_b64 s[8:9], s[12:13]
; %bb.28174:
	s_mov_b32 s10, 0x7f800001
	s_xor_b64 s[4:5], exec, -1
; %bb.28175:
	s_or_b64 exec, exec, s[8:9]
	s_and_b64 s[4:5], s[4:5], exec
	s_or_saveexec_b64 s[6:7], s[6:7]
	v_mov_b32_e32 v14, s10
	s_xor_b64 exec, exec, s[6:7]
	s_cbranch_execnz .LBB1_28176
; %bb.64013:
	s_getpc_b64 s[14:15]
.Lpost_getpc17670:
	s_add_u32 s14, s14, (.LBB1_13838-.Lpost_getpc17670)&4294967295
	s_addc_u32 s15, s15, (.LBB1_13838-.Lpost_getpc17670)>>32
	s_setpc_b64 s[14:15]
.LBB1_28176:
	v_mov_b32_e32 v14, 0
	v_cmp_ne_u16_sdwa s[8:9], v13, v14 src0_sel:BYTE_0 src1_sel:DWORD
	s_andn2_b64 s[4:5], s[4:5], exec
	s_and_b64 s[8:9], s[8:9], exec
	s_or_b64 s[4:5], s[4:5], s[8:9]
	s_or_b64 exec, exec, s[6:7]
	s_and_saveexec_b64 s[6:7], s[4:5]
	s_cbranch_execz .LBB1_35591
; %bb.64015:
	s_getpc_b64 s[14:15]
.Lpost_getpc17671:
	s_add_u32 s14, s14, (.LBB1_13839-.Lpost_getpc17671)&4294967295
	s_addc_u32 s15, s15, (.LBB1_13839-.Lpost_getpc17671)>>32
	s_setpc_b64 s[14:15]
.LBB1_35591:
	s_getpc_b64 s[14:15]
.Lpost_getpc3459:
	s_add_u32 s14, s14, (.LBB1_13840-.Lpost_getpc3459)&4294967295
	s_addc_u32 s15, s15, (.LBB1_13840-.Lpost_getpc3459)>>32
	s_setpc_b64 s[14:15]
.LBB1_28177:
	s_movk_i32 s4, 0x80
	v_cmp_eq_u16_e32 vcc, s4, v13
	s_mov_b64 s[4:5], -1
                                        ; implicit-def: $sgpr10
	s_and_saveexec_b64 s[8:9], vcc
; %bb.28178:
	s_mov_b32 s10, 0x7f800001
	s_xor_b64 s[4:5], exec, -1
; %bb.28179:
	s_or_b64 exec, exec, s[8:9]
	s_and_b64 s[4:5], s[4:5], exec
                                        ; implicit-def: $vgpr13
	s_or_saveexec_b64 s[6:7], s[6:7]
	v_mov_b32_e32 v12, s10
	s_xor_b64 exec, exec, s[6:7]
	s_cbranch_execnz .LBB1_28180
; %bb.64017:
	s_getpc_b64 s[14:15]
.Lpost_getpc17672:
	s_add_u32 s14, s14, (.LBB1_13842-.Lpost_getpc17672)&4294967295
	s_addc_u32 s15, s15, (.LBB1_13842-.Lpost_getpc17672)>>32
	s_setpc_b64 s[14:15]
.LBB1_28180:
	v_cmp_ne_u16_e32 vcc, 0, v13
	s_andn2_b64 s[4:5], s[4:5], exec
	s_and_b64 s[8:9], vcc, exec
	v_mov_b32_e32 v12, 0
	s_or_b64 s[4:5], s[4:5], s[8:9]
	s_or_b64 exec, exec, s[6:7]
	s_and_saveexec_b64 s[6:7], s[4:5]
	s_cbranch_execz .LBB1_35593
; %bb.64019:
	s_getpc_b64 s[14:15]
.Lpost_getpc17673:
	s_add_u32 s14, s14, (.LBB1_13843-.Lpost_getpc17673)&4294967295
	s_addc_u32 s15, s15, (.LBB1_13843-.Lpost_getpc17673)>>32
	s_setpc_b64 s[14:15]
.LBB1_35593:
	s_getpc_b64 s[14:15]
.Lpost_getpc3460:
	s_add_u32 s14, s14, (.LBB1_13844-.Lpost_getpc3460)&4294967295
	s_addc_u32 s15, s15, (.LBB1_13844-.Lpost_getpc3460)>>32
	s_setpc_b64 s[14:15]
.LBB1_28181:
	s_movk_i32 s4, 0x80
	v_cmp_eq_u16_e32 vcc, s4, v13
	s_mov_b64 s[4:5], -1
                                        ; implicit-def: $sgpr10
	s_and_saveexec_b64 s[8:9], vcc
; %bb.28182:
	s_mov_b32 s10, 0x7f800001
	s_xor_b64 s[4:5], exec, -1
; %bb.28183:
	s_or_b64 exec, exec, s[8:9]
	s_and_b64 s[4:5], s[4:5], exec
                                        ; implicit-def: $vgpr13
	s_or_saveexec_b64 s[6:7], s[6:7]
	v_mov_b32_e32 v14, s10
	s_xor_b64 exec, exec, s[6:7]
	s_cbranch_execnz .LBB1_28184
; %bb.64021:
	s_getpc_b64 s[14:15]
.Lpost_getpc17674:
	s_add_u32 s14, s14, (.LBB1_13846-.Lpost_getpc17674)&4294967295
	s_addc_u32 s15, s15, (.LBB1_13846-.Lpost_getpc17674)>>32
	s_setpc_b64 s[14:15]
.LBB1_28184:
	v_cmp_ne_u16_e32 vcc, 0, v13
	s_andn2_b64 s[4:5], s[4:5], exec
	s_and_b64 s[8:9], vcc, exec
	v_mov_b32_e32 v14, 0
	s_or_b64 s[4:5], s[4:5], s[8:9]
	s_or_b64 exec, exec, s[6:7]
	s_and_saveexec_b64 s[6:7], s[4:5]
	s_cbranch_execz .LBB1_35595
; %bb.64023:
	s_getpc_b64 s[14:15]
.Lpost_getpc17675:
	s_add_u32 s14, s14, (.LBB1_13847-.Lpost_getpc17675)&4294967295
	s_addc_u32 s15, s15, (.LBB1_13847-.Lpost_getpc17675)>>32
	s_setpc_b64 s[14:15]
.LBB1_35595:
	s_getpc_b64 s[14:15]
.Lpost_getpc3461:
	s_add_u32 s14, s14, (.LBB1_13848-.Lpost_getpc3461)&4294967295
	s_addc_u32 s15, s15, (.LBB1_13848-.Lpost_getpc3461)>>32
	s_setpc_b64 s[14:15]
.LBB1_28185:
	s_movk_i32 s4, 0x80
	v_cmp_eq_u16_sdwa s[12:13], v6, s4 src0_sel:BYTE_3 src1_sel:DWORD
	s_mov_b64 s[4:5], -1
                                        ; implicit-def: $sgpr10
	s_and_saveexec_b64 s[8:9], s[12:13]
; %bb.28186:
	s_mov_b32 s10, 0x7f800001
	s_xor_b64 s[4:5], exec, -1
; %bb.28187:
	s_or_b64 exec, exec, s[8:9]
	s_and_b64 s[4:5], s[4:5], exec
	s_or_saveexec_b64 s[6:7], s[6:7]
	v_mov_b32_e32 v12, s10
	s_xor_b64 exec, exec, s[6:7]
	s_cbranch_execnz .LBB1_28188
; %bb.64025:
	s_getpc_b64 s[14:15]
.Lpost_getpc17676:
	s_add_u32 s14, s14, (.LBB1_13850-.Lpost_getpc17676)&4294967295
	s_addc_u32 s15, s15, (.LBB1_13850-.Lpost_getpc17676)>>32
	s_setpc_b64 s[14:15]
.LBB1_28188:
	v_mov_b32_e32 v12, 0
	v_cmp_ne_u16_sdwa s[8:9], v6, v12 src0_sel:BYTE_3 src1_sel:DWORD
	s_andn2_b64 s[4:5], s[4:5], exec
	s_and_b64 s[8:9], s[8:9], exec
	s_or_b64 s[4:5], s[4:5], s[8:9]
	s_or_b64 exec, exec, s[6:7]
	s_and_saveexec_b64 s[6:7], s[4:5]
	s_cbranch_execz .LBB1_35597
; %bb.64027:
	s_getpc_b64 s[14:15]
.Lpost_getpc17677:
	s_add_u32 s14, s14, (.LBB1_13851-.Lpost_getpc17677)&4294967295
	s_addc_u32 s15, s15, (.LBB1_13851-.Lpost_getpc17677)>>32
	s_setpc_b64 s[14:15]
.LBB1_35597:
	s_getpc_b64 s[14:15]
.Lpost_getpc3462:
	s_add_u32 s14, s14, (.LBB1_13852-.Lpost_getpc3462)&4294967295
	s_addc_u32 s15, s15, (.LBB1_13852-.Lpost_getpc3462)>>32
	s_setpc_b64 s[14:15]
.LBB1_28189:
	s_movk_i32 s4, 0x80
	v_cmp_eq_u16_sdwa s[12:13], v2, s4 src0_sel:BYTE_3 src1_sel:DWORD
	s_mov_b64 s[4:5], -1
                                        ; implicit-def: $sgpr10
	s_and_saveexec_b64 s[8:9], s[12:13]
; %bb.28190:
	s_mov_b32 s10, 0x7f800001
	s_xor_b64 s[4:5], exec, -1
; %bb.28191:
	s_or_b64 exec, exec, s[8:9]
	s_and_b64 s[4:5], s[4:5], exec
	s_or_saveexec_b64 s[6:7], s[6:7]
	v_mov_b32_e32 v6, s10
	s_xor_b64 exec, exec, s[6:7]
	s_cbranch_execnz .LBB1_28192
; %bb.64029:
	s_getpc_b64 s[14:15]
.Lpost_getpc17678:
	s_add_u32 s14, s14, (.LBB1_13854-.Lpost_getpc17678)&4294967295
	s_addc_u32 s15, s15, (.LBB1_13854-.Lpost_getpc17678)>>32
	s_setpc_b64 s[14:15]
.LBB1_28192:
	v_mov_b32_e32 v6, 0
	v_cmp_ne_u16_sdwa s[8:9], v2, v6 src0_sel:BYTE_3 src1_sel:DWORD
	s_andn2_b64 s[4:5], s[4:5], exec
	s_and_b64 s[8:9], s[8:9], exec
	s_or_b64 s[4:5], s[4:5], s[8:9]
	s_or_b64 exec, exec, s[6:7]
	s_and_saveexec_b64 s[6:7], s[4:5]
	s_cbranch_execz .LBB1_35599
; %bb.64031:
	s_getpc_b64 s[14:15]
.Lpost_getpc17679:
	s_add_u32 s14, s14, (.LBB1_13855-.Lpost_getpc17679)&4294967295
	s_addc_u32 s15, s15, (.LBB1_13855-.Lpost_getpc17679)>>32
	s_setpc_b64 s[14:15]
.LBB1_35599:
	s_getpc_b64 s[14:15]
.Lpost_getpc3463:
	s_add_u32 s14, s14, (.LBB1_13856-.Lpost_getpc3463)&4294967295
	s_addc_u32 s15, s15, (.LBB1_13856-.Lpost_getpc3463)>>32
	s_setpc_b64 s[14:15]
.LBB1_28193:
	s_movk_i32 s4, 0x80
	v_cmp_eq_u16_sdwa s[12:13], v7, s4 src0_sel:BYTE_0 src1_sel:DWORD
	s_mov_b64 s[4:5], -1
                                        ; implicit-def: $sgpr10
	s_and_saveexec_b64 s[8:9], s[12:13]
; %bb.28194:
	s_mov_b32 s10, 0x7f800001
	s_xor_b64 s[4:5], exec, -1
; %bb.28195:
	s_or_b64 exec, exec, s[8:9]
	s_and_b64 s[4:5], s[4:5], exec
	s_or_saveexec_b64 s[6:7], s[6:7]
	v_mov_b32_e32 v2, s10
	s_xor_b64 exec, exec, s[6:7]
	s_cbranch_execnz .LBB1_28196
; %bb.64033:
	s_getpc_b64 s[14:15]
.Lpost_getpc17680:
	s_add_u32 s14, s14, (.LBB1_13858-.Lpost_getpc17680)&4294967295
	s_addc_u32 s15, s15, (.LBB1_13858-.Lpost_getpc17680)>>32
	s_setpc_b64 s[14:15]
.LBB1_28196:
	v_mov_b32_e32 v2, 0
	v_cmp_ne_u16_sdwa s[8:9], v7, v2 src0_sel:BYTE_0 src1_sel:DWORD
	s_andn2_b64 s[4:5], s[4:5], exec
	s_and_b64 s[8:9], s[8:9], exec
	s_or_b64 s[4:5], s[4:5], s[8:9]
	s_or_b64 exec, exec, s[6:7]
	s_and_saveexec_b64 s[6:7], s[4:5]
	s_cbranch_execz .LBB1_35601
; %bb.64035:
	s_getpc_b64 s[14:15]
.Lpost_getpc17681:
	s_add_u32 s14, s14, (.LBB1_13859-.Lpost_getpc17681)&4294967295
	s_addc_u32 s15, s15, (.LBB1_13859-.Lpost_getpc17681)>>32
	s_setpc_b64 s[14:15]
.LBB1_35601:
	s_getpc_b64 s[14:15]
.Lpost_getpc3464:
	s_add_u32 s14, s14, (.LBB1_13860-.Lpost_getpc3464)&4294967295
	s_addc_u32 s15, s15, (.LBB1_13860-.Lpost_getpc3464)>>32
	s_setpc_b64 s[14:15]
.LBB1_28197:
	s_movk_i32 s4, 0x80
	v_cmp_eq_u16_sdwa s[12:13], v3, s4 src0_sel:BYTE_0 src1_sel:DWORD
	s_mov_b64 s[4:5], -1
                                        ; implicit-def: $sgpr10
	s_and_saveexec_b64 s[8:9], s[12:13]
; %bb.28198:
	s_mov_b32 s10, 0x7f800001
	s_xor_b64 s[4:5], exec, -1
; %bb.28199:
	s_or_b64 exec, exec, s[8:9]
	s_and_b64 s[4:5], s[4:5], exec
	s_or_saveexec_b64 s[6:7], s[6:7]
	v_mov_b32_e32 v6, s10
	s_xor_b64 exec, exec, s[6:7]
	s_cbranch_execnz .LBB1_28200
; %bb.64037:
	s_getpc_b64 s[14:15]
.Lpost_getpc17682:
	s_add_u32 s14, s14, (.LBB1_13862-.Lpost_getpc17682)&4294967295
	s_addc_u32 s15, s15, (.LBB1_13862-.Lpost_getpc17682)>>32
	s_setpc_b64 s[14:15]
.LBB1_28200:
	v_mov_b32_e32 v6, 0
	v_cmp_ne_u16_sdwa s[8:9], v3, v6 src0_sel:BYTE_0 src1_sel:DWORD
	s_andn2_b64 s[4:5], s[4:5], exec
	s_and_b64 s[8:9], s[8:9], exec
	s_or_b64 s[4:5], s[4:5], s[8:9]
	s_or_b64 exec, exec, s[6:7]
	s_and_saveexec_b64 s[6:7], s[4:5]
	s_cbranch_execz .LBB1_35603
; %bb.64039:
	s_getpc_b64 s[14:15]
.Lpost_getpc17683:
	s_add_u32 s14, s14, (.LBB1_13863-.Lpost_getpc17683)&4294967295
	s_addc_u32 s15, s15, (.LBB1_13863-.Lpost_getpc17683)>>32
	s_setpc_b64 s[14:15]
.LBB1_35603:
	s_getpc_b64 s[14:15]
.Lpost_getpc3465:
	s_add_u32 s14, s14, (.LBB1_13864-.Lpost_getpc3465)&4294967295
	s_addc_u32 s15, s15, (.LBB1_13864-.Lpost_getpc3465)>>32
	s_setpc_b64 s[14:15]
.LBB1_28201:
	s_movk_i32 s4, 0x80
	v_cmp_eq_u16_sdwa s[12:13], v6, s4 src0_sel:BYTE_0 src1_sel:DWORD
	s_mov_b64 s[4:5], -1
                                        ; implicit-def: $sgpr10
	s_and_saveexec_b64 s[8:9], s[12:13]
; %bb.28202:
	s_mov_b32 s10, 0x7f800001
	s_xor_b64 s[4:5], exec, -1
; %bb.28203:
	s_or_b64 exec, exec, s[8:9]
	s_and_b64 s[4:5], s[4:5], exec
	s_or_saveexec_b64 s[6:7], s[6:7]
	v_mov_b32_e32 v2, s10
	s_xor_b64 exec, exec, s[6:7]
	s_cbranch_execnz .LBB1_28204
; %bb.64041:
	s_getpc_b64 s[14:15]
.Lpost_getpc17684:
	s_add_u32 s14, s14, (.LBB1_13866-.Lpost_getpc17684)&4294967295
	s_addc_u32 s15, s15, (.LBB1_13866-.Lpost_getpc17684)>>32
	s_setpc_b64 s[14:15]
.LBB1_28204:
	v_mov_b32_e32 v2, 0
	v_cmp_ne_u16_sdwa s[8:9], v6, v2 src0_sel:BYTE_0 src1_sel:DWORD
	s_andn2_b64 s[4:5], s[4:5], exec
	s_and_b64 s[8:9], s[8:9], exec
	s_or_b64 s[4:5], s[4:5], s[8:9]
	s_or_b64 exec, exec, s[6:7]
	s_and_saveexec_b64 s[6:7], s[4:5]
	s_cbranch_execz .LBB1_35605
; %bb.64043:
	s_getpc_b64 s[14:15]
.Lpost_getpc17685:
	s_add_u32 s14, s14, (.LBB1_13867-.Lpost_getpc17685)&4294967295
	s_addc_u32 s15, s15, (.LBB1_13867-.Lpost_getpc17685)>>32
	s_setpc_b64 s[14:15]
.LBB1_35605:
	s_getpc_b64 s[14:15]
.Lpost_getpc3466:
	s_add_u32 s14, s14, (.LBB1_13868-.Lpost_getpc3466)&4294967295
	s_addc_u32 s15, s15, (.LBB1_13868-.Lpost_getpc3466)>>32
	s_setpc_b64 s[14:15]
.LBB1_28205:
	s_movk_i32 s4, 0x80
	v_cmp_eq_u16_sdwa s[12:13], v6, s4 src0_sel:BYTE_0 src1_sel:DWORD
	s_mov_b64 s[4:5], -1
                                        ; implicit-def: $sgpr10
	s_and_saveexec_b64 s[8:9], s[12:13]
; %bb.28206:
	s_mov_b32 s10, 0x7f800001
	s_xor_b64 s[4:5], exec, -1
; %bb.28207:
	s_or_b64 exec, exec, s[8:9]
	s_and_b64 s[4:5], s[4:5], exec
	s_or_saveexec_b64 s[6:7], s[6:7]
	v_mov_b32_e32 v12, s10
	s_xor_b64 exec, exec, s[6:7]
	s_cbranch_execnz .LBB1_28208
; %bb.64045:
	s_getpc_b64 s[14:15]
.Lpost_getpc17686:
	s_add_u32 s14, s14, (.LBB1_13870-.Lpost_getpc17686)&4294967295
	s_addc_u32 s15, s15, (.LBB1_13870-.Lpost_getpc17686)>>32
	s_setpc_b64 s[14:15]
.LBB1_28208:
	v_mov_b32_e32 v12, 0
	v_cmp_ne_u16_sdwa s[8:9], v6, v12 src0_sel:BYTE_0 src1_sel:DWORD
	s_andn2_b64 s[4:5], s[4:5], exec
	s_and_b64 s[8:9], s[8:9], exec
	s_or_b64 s[4:5], s[4:5], s[8:9]
	s_or_b64 exec, exec, s[6:7]
	s_and_saveexec_b64 s[6:7], s[4:5]
	s_cbranch_execz .LBB1_35607
; %bb.64047:
	s_getpc_b64 s[14:15]
.Lpost_getpc17687:
	s_add_u32 s14, s14, (.LBB1_13871-.Lpost_getpc17687)&4294967295
	s_addc_u32 s15, s15, (.LBB1_13871-.Lpost_getpc17687)>>32
	s_setpc_b64 s[14:15]
.LBB1_35607:
	s_getpc_b64 s[14:15]
.Lpost_getpc3467:
	s_add_u32 s14, s14, (.LBB1_13872-.Lpost_getpc3467)&4294967295
	s_addc_u32 s15, s15, (.LBB1_13872-.Lpost_getpc3467)>>32
	s_setpc_b64 s[14:15]
.LBB1_28209:
	s_movk_i32 s4, 0x80
	v_cmp_eq_u16_e32 vcc, s4, v6
	s_mov_b64 s[4:5], -1
                                        ; implicit-def: $sgpr10
	s_and_saveexec_b64 s[8:9], vcc
; %bb.28210:
	s_mov_b32 s10, 0x7f800001
	s_xor_b64 s[4:5], exec, -1
; %bb.28211:
	s_or_b64 exec, exec, s[8:9]
	s_and_b64 s[4:5], s[4:5], exec
                                        ; implicit-def: $vgpr6
	s_or_saveexec_b64 s[6:7], s[6:7]
	v_mov_b32_e32 v2, s10
	s_xor_b64 exec, exec, s[6:7]
	s_cbranch_execnz .LBB1_28212
; %bb.64049:
	s_getpc_b64 s[14:15]
.Lpost_getpc17688:
	s_add_u32 s14, s14, (.LBB1_13874-.Lpost_getpc17688)&4294967295
	s_addc_u32 s15, s15, (.LBB1_13874-.Lpost_getpc17688)>>32
	s_setpc_b64 s[14:15]
.LBB1_28212:
	v_cmp_ne_u16_e32 vcc, 0, v6
	s_andn2_b64 s[4:5], s[4:5], exec
	s_and_b64 s[8:9], vcc, exec
	v_mov_b32_e32 v2, 0
	s_or_b64 s[4:5], s[4:5], s[8:9]
	s_or_b64 exec, exec, s[6:7]
	s_and_saveexec_b64 s[6:7], s[4:5]
	s_cbranch_execz .LBB1_35609
; %bb.64051:
	s_getpc_b64 s[14:15]
.Lpost_getpc17689:
	s_add_u32 s14, s14, (.LBB1_13875-.Lpost_getpc17689)&4294967295
	s_addc_u32 s15, s15, (.LBB1_13875-.Lpost_getpc17689)>>32
	s_setpc_b64 s[14:15]
.LBB1_35609:
	s_getpc_b64 s[14:15]
.Lpost_getpc3468:
	s_add_u32 s14, s14, (.LBB1_13876-.Lpost_getpc3468)&4294967295
	s_addc_u32 s15, s15, (.LBB1_13876-.Lpost_getpc3468)>>32
	s_setpc_b64 s[14:15]
.LBB1_28213:
	s_movk_i32 s4, 0x80
	v_cmp_eq_u16_e32 vcc, s4, v6
	s_mov_b64 s[4:5], -1
                                        ; implicit-def: $sgpr10
	s_and_saveexec_b64 s[8:9], vcc
; %bb.28214:
	s_mov_b32 s10, 0x7f800001
	s_xor_b64 s[4:5], exec, -1
; %bb.28215:
	s_or_b64 exec, exec, s[8:9]
	s_and_b64 s[4:5], s[4:5], exec
                                        ; implicit-def: $vgpr6
	s_or_saveexec_b64 s[6:7], s[6:7]
	v_mov_b32_e32 v12, s10
	s_xor_b64 exec, exec, s[6:7]
	s_cbranch_execnz .LBB1_28216
; %bb.64053:
	s_getpc_b64 s[14:15]
.Lpost_getpc17690:
	s_add_u32 s14, s14, (.LBB1_13878-.Lpost_getpc17690)&4294967295
	s_addc_u32 s15, s15, (.LBB1_13878-.Lpost_getpc17690)>>32
	s_setpc_b64 s[14:15]
.LBB1_28216:
	v_cmp_ne_u16_e32 vcc, 0, v6
	s_andn2_b64 s[4:5], s[4:5], exec
	s_and_b64 s[8:9], vcc, exec
	v_mov_b32_e32 v12, 0
	s_or_b64 s[4:5], s[4:5], s[8:9]
	s_or_b64 exec, exec, s[6:7]
	s_and_saveexec_b64 s[6:7], s[4:5]
	s_cbranch_execz .LBB1_35611
; %bb.64055:
	s_getpc_b64 s[14:15]
.Lpost_getpc17691:
	s_add_u32 s14, s14, (.LBB1_13879-.Lpost_getpc17691)&4294967295
	s_addc_u32 s15, s15, (.LBB1_13879-.Lpost_getpc17691)>>32
	s_setpc_b64 s[14:15]
.LBB1_35611:
	s_getpc_b64 s[14:15]
.Lpost_getpc3469:
	s_add_u32 s14, s14, (.LBB1_13880-.Lpost_getpc3469)&4294967295
	s_addc_u32 s15, s15, (.LBB1_13880-.Lpost_getpc3469)>>32
	s_setpc_b64 s[14:15]
.LBB1_28217:
	s_movk_i32 s4, 0x80
	v_cmp_eq_u16_sdwa s[12:13], v7, s4 src0_sel:BYTE_3 src1_sel:DWORD
	s_mov_b64 s[4:5], -1
                                        ; implicit-def: $sgpr10
	s_and_saveexec_b64 s[8:9], s[12:13]
; %bb.28218:
	s_mov_b32 s10, 0x7f800001
	s_xor_b64 s[4:5], exec, -1
; %bb.28219:
	s_or_b64 exec, exec, s[8:9]
	s_and_b64 s[4:5], s[4:5], exec
	s_or_saveexec_b64 s[6:7], s[6:7]
	v_mov_b32_e32 v2, s10
	s_xor_b64 exec, exec, s[6:7]
	s_cbranch_execnz .LBB1_28220
; %bb.64057:
	s_getpc_b64 s[14:15]
.Lpost_getpc17692:
	s_add_u32 s14, s14, (.LBB1_13882-.Lpost_getpc17692)&4294967295
	s_addc_u32 s15, s15, (.LBB1_13882-.Lpost_getpc17692)>>32
	s_setpc_b64 s[14:15]
.LBB1_28220:
	v_mov_b32_e32 v2, 0
	v_cmp_ne_u16_sdwa s[8:9], v7, v2 src0_sel:BYTE_3 src1_sel:DWORD
	s_andn2_b64 s[4:5], s[4:5], exec
	s_and_b64 s[8:9], s[8:9], exec
	s_or_b64 s[4:5], s[4:5], s[8:9]
	s_or_b64 exec, exec, s[6:7]
	s_and_saveexec_b64 s[6:7], s[4:5]
	s_cbranch_execz .LBB1_35613
; %bb.64059:
	s_getpc_b64 s[14:15]
.Lpost_getpc17693:
	s_add_u32 s14, s14, (.LBB1_13883-.Lpost_getpc17693)&4294967295
	s_addc_u32 s15, s15, (.LBB1_13883-.Lpost_getpc17693)>>32
	s_setpc_b64 s[14:15]
.LBB1_35613:
	s_getpc_b64 s[14:15]
.Lpost_getpc3470:
	s_add_u32 s14, s14, (.LBB1_13884-.Lpost_getpc3470)&4294967295
	s_addc_u32 s15, s15, (.LBB1_13884-.Lpost_getpc3470)>>32
	s_setpc_b64 s[14:15]
.LBB1_28221:
	s_movk_i32 s4, 0x80
	v_cmp_eq_u16_sdwa s[12:13], v3, s4 src0_sel:BYTE_3 src1_sel:DWORD
	s_mov_b64 s[4:5], -1
                                        ; implicit-def: $sgpr10
	s_and_saveexec_b64 s[8:9], s[12:13]
; %bb.28222:
	s_mov_b32 s10, 0x7f800001
	s_xor_b64 s[4:5], exec, -1
; %bb.28223:
	s_or_b64 exec, exec, s[8:9]
	s_and_b64 s[4:5], s[4:5], exec
	s_or_saveexec_b64 s[6:7], s[6:7]
	v_mov_b32_e32 v6, s10
	s_xor_b64 exec, exec, s[6:7]
	s_cbranch_execnz .LBB1_28224
; %bb.64061:
	s_getpc_b64 s[14:15]
.Lpost_getpc17694:
	s_add_u32 s14, s14, (.LBB1_13886-.Lpost_getpc17694)&4294967295
	s_addc_u32 s15, s15, (.LBB1_13886-.Lpost_getpc17694)>>32
	s_setpc_b64 s[14:15]
.LBB1_28224:
	v_mov_b32_e32 v6, 0
	v_cmp_ne_u16_sdwa s[8:9], v3, v6 src0_sel:BYTE_3 src1_sel:DWORD
	s_andn2_b64 s[4:5], s[4:5], exec
	s_and_b64 s[8:9], s[8:9], exec
	s_or_b64 s[4:5], s[4:5], s[8:9]
	s_or_b64 exec, exec, s[6:7]
	s_and_saveexec_b64 s[6:7], s[4:5]
	s_cbranch_execz .LBB1_35615
; %bb.64063:
	s_getpc_b64 s[14:15]
.Lpost_getpc17695:
	s_add_u32 s14, s14, (.LBB1_13887-.Lpost_getpc17695)&4294967295
	s_addc_u32 s15, s15, (.LBB1_13887-.Lpost_getpc17695)>>32
	s_setpc_b64 s[14:15]
.LBB1_35615:
	s_getpc_b64 s[14:15]
.Lpost_getpc3471:
	s_add_u32 s14, s14, (.LBB1_13888-.Lpost_getpc3471)&4294967295
	s_addc_u32 s15, s15, (.LBB1_13888-.Lpost_getpc3471)>>32
	s_setpc_b64 s[14:15]
.LBB1_28225:
	s_movk_i32 s4, 0x80
	v_cmp_eq_u16_sdwa s[12:13], v8, s4 src0_sel:BYTE_0 src1_sel:DWORD
	s_mov_b64 s[4:5], -1
                                        ; implicit-def: $sgpr10
	s_and_saveexec_b64 s[8:9], s[12:13]
; %bb.28226:
	s_mov_b32 s10, 0x7f800001
	s_xor_b64 s[4:5], exec, -1
; %bb.28227:
	s_or_b64 exec, exec, s[8:9]
	s_and_b64 s[4:5], s[4:5], exec
	s_or_saveexec_b64 s[6:7], s[6:7]
	v_mov_b32_e32 v2, s10
	s_xor_b64 exec, exec, s[6:7]
	s_cbranch_execnz .LBB1_28228
; %bb.64065:
	s_getpc_b64 s[14:15]
.Lpost_getpc17696:
	s_add_u32 s14, s14, (.LBB1_13890-.Lpost_getpc17696)&4294967295
	s_addc_u32 s15, s15, (.LBB1_13890-.Lpost_getpc17696)>>32
	s_setpc_b64 s[14:15]
.LBB1_28228:
	v_mov_b32_e32 v2, 0
	v_cmp_ne_u16_sdwa s[8:9], v8, v2 src0_sel:BYTE_0 src1_sel:DWORD
	s_andn2_b64 s[4:5], s[4:5], exec
	s_and_b64 s[8:9], s[8:9], exec
	s_or_b64 s[4:5], s[4:5], s[8:9]
	s_or_b64 exec, exec, s[6:7]
	s_and_saveexec_b64 s[6:7], s[4:5]
	s_cbranch_execz .LBB1_35617
; %bb.64067:
	s_getpc_b64 s[14:15]
.Lpost_getpc17697:
	s_add_u32 s14, s14, (.LBB1_13891-.Lpost_getpc17697)&4294967295
	s_addc_u32 s15, s15, (.LBB1_13891-.Lpost_getpc17697)>>32
	s_setpc_b64 s[14:15]
.LBB1_35617:
	s_getpc_b64 s[14:15]
.Lpost_getpc3472:
	s_add_u32 s14, s14, (.LBB1_13892-.Lpost_getpc3472)&4294967295
	s_addc_u32 s15, s15, (.LBB1_13892-.Lpost_getpc3472)>>32
	s_setpc_b64 s[14:15]
.LBB1_28229:
	s_movk_i32 s4, 0x80
	v_cmp_eq_u16_sdwa s[12:13], v4, s4 src0_sel:BYTE_0 src1_sel:DWORD
	s_mov_b64 s[4:5], -1
                                        ; implicit-def: $sgpr10
	s_and_saveexec_b64 s[8:9], s[12:13]
; %bb.28230:
	s_mov_b32 s10, 0x7f800001
	s_xor_b64 s[4:5], exec, -1
; %bb.28231:
	s_or_b64 exec, exec, s[8:9]
	s_and_b64 s[4:5], s[4:5], exec
	s_or_saveexec_b64 s[6:7], s[6:7]
	v_mov_b32_e32 v3, s10
	s_xor_b64 exec, exec, s[6:7]
	s_cbranch_execnz .LBB1_28232
; %bb.64069:
	s_getpc_b64 s[14:15]
.Lpost_getpc17698:
	s_add_u32 s14, s14, (.LBB1_13894-.Lpost_getpc17698)&4294967295
	s_addc_u32 s15, s15, (.LBB1_13894-.Lpost_getpc17698)>>32
	s_setpc_b64 s[14:15]
.LBB1_28232:
	v_mov_b32_e32 v3, 0
	v_cmp_ne_u16_sdwa s[8:9], v4, v3 src0_sel:BYTE_0 src1_sel:DWORD
	s_andn2_b64 s[4:5], s[4:5], exec
	s_and_b64 s[8:9], s[8:9], exec
	s_or_b64 s[4:5], s[4:5], s[8:9]
	s_or_b64 exec, exec, s[6:7]
	s_and_saveexec_b64 s[6:7], s[4:5]
	s_cbranch_execz .LBB1_35619
; %bb.64071:
	s_getpc_b64 s[14:15]
.Lpost_getpc17699:
	s_add_u32 s14, s14, (.LBB1_13895-.Lpost_getpc17699)&4294967295
	s_addc_u32 s15, s15, (.LBB1_13895-.Lpost_getpc17699)>>32
	s_setpc_b64 s[14:15]
.LBB1_35619:
	s_getpc_b64 s[14:15]
.Lpost_getpc3473:
	s_add_u32 s14, s14, (.LBB1_13896-.Lpost_getpc3473)&4294967295
	s_addc_u32 s15, s15, (.LBB1_13896-.Lpost_getpc3473)>>32
	s_setpc_b64 s[14:15]
.LBB1_28233:
	s_movk_i32 s4, 0x80
	v_cmp_eq_u16_sdwa s[12:13], v3, s4 src0_sel:BYTE_0 src1_sel:DWORD
	s_mov_b64 s[4:5], -1
                                        ; implicit-def: $sgpr10
	s_and_saveexec_b64 s[8:9], s[12:13]
; %bb.28234:
	s_mov_b32 s10, 0x7f800001
	s_xor_b64 s[4:5], exec, -1
; %bb.28235:
	s_or_b64 exec, exec, s[8:9]
	s_and_b64 s[4:5], s[4:5], exec
	s_or_saveexec_b64 s[6:7], s[6:7]
	v_mov_b32_e32 v2, s10
	s_xor_b64 exec, exec, s[6:7]
	s_cbranch_execnz .LBB1_28236
; %bb.64073:
	s_getpc_b64 s[14:15]
.Lpost_getpc17700:
	s_add_u32 s14, s14, (.LBB1_13898-.Lpost_getpc17700)&4294967295
	s_addc_u32 s15, s15, (.LBB1_13898-.Lpost_getpc17700)>>32
	s_setpc_b64 s[14:15]
.LBB1_28236:
	v_mov_b32_e32 v2, 0
	v_cmp_ne_u16_sdwa s[8:9], v3, v2 src0_sel:BYTE_0 src1_sel:DWORD
	s_andn2_b64 s[4:5], s[4:5], exec
	s_and_b64 s[8:9], s[8:9], exec
	s_or_b64 s[4:5], s[4:5], s[8:9]
	s_or_b64 exec, exec, s[6:7]
	s_and_saveexec_b64 s[6:7], s[4:5]
	s_cbranch_execz .LBB1_35621
; %bb.64075:
	s_getpc_b64 s[14:15]
.Lpost_getpc17701:
	s_add_u32 s14, s14, (.LBB1_13899-.Lpost_getpc17701)&4294967295
	s_addc_u32 s15, s15, (.LBB1_13899-.Lpost_getpc17701)>>32
	s_setpc_b64 s[14:15]
.LBB1_35621:
	s_getpc_b64 s[14:15]
.Lpost_getpc3474:
	s_add_u32 s14, s14, (.LBB1_13900-.Lpost_getpc3474)&4294967295
	s_addc_u32 s15, s15, (.LBB1_13900-.Lpost_getpc3474)>>32
	s_setpc_b64 s[14:15]
.LBB1_28237:
	s_movk_i32 s4, 0x80
	v_cmp_eq_u16_sdwa s[12:13], v3, s4 src0_sel:BYTE_0 src1_sel:DWORD
	s_mov_b64 s[4:5], -1
                                        ; implicit-def: $sgpr10
	s_and_saveexec_b64 s[8:9], s[12:13]
; %bb.28238:
	s_mov_b32 s10, 0x7f800001
	s_xor_b64 s[4:5], exec, -1
; %bb.28239:
	s_or_b64 exec, exec, s[8:9]
	s_and_b64 s[4:5], s[4:5], exec
	s_or_saveexec_b64 s[6:7], s[6:7]
	v_mov_b32_e32 v6, s10
	s_xor_b64 exec, exec, s[6:7]
	s_cbranch_execnz .LBB1_28240
; %bb.64077:
	s_getpc_b64 s[14:15]
.Lpost_getpc17702:
	s_add_u32 s14, s14, (.LBB1_13902-.Lpost_getpc17702)&4294967295
	s_addc_u32 s15, s15, (.LBB1_13902-.Lpost_getpc17702)>>32
	s_setpc_b64 s[14:15]
.LBB1_28240:
	v_mov_b32_e32 v6, 0
	v_cmp_ne_u16_sdwa s[8:9], v3, v6 src0_sel:BYTE_0 src1_sel:DWORD
	s_andn2_b64 s[4:5], s[4:5], exec
	s_and_b64 s[8:9], s[8:9], exec
	s_or_b64 s[4:5], s[4:5], s[8:9]
	s_or_b64 exec, exec, s[6:7]
	s_and_saveexec_b64 s[6:7], s[4:5]
	s_cbranch_execz .LBB1_35623
; %bb.64079:
	s_getpc_b64 s[14:15]
.Lpost_getpc17703:
	s_add_u32 s14, s14, (.LBB1_13903-.Lpost_getpc17703)&4294967295
	s_addc_u32 s15, s15, (.LBB1_13903-.Lpost_getpc17703)>>32
	s_setpc_b64 s[14:15]
.LBB1_35623:
	s_getpc_b64 s[14:15]
.Lpost_getpc3475:
	s_add_u32 s14, s14, (.LBB1_13904-.Lpost_getpc3475)&4294967295
	s_addc_u32 s15, s15, (.LBB1_13904-.Lpost_getpc3475)>>32
	s_setpc_b64 s[14:15]
.LBB1_28241:
	s_movk_i32 s4, 0x80
	v_cmp_eq_u16_e32 vcc, s4, v3
	s_mov_b64 s[4:5], -1
                                        ; implicit-def: $sgpr10
	s_and_saveexec_b64 s[8:9], vcc
; %bb.28242:
	s_mov_b32 s10, 0x7f800001
	s_xor_b64 s[4:5], exec, -1
; %bb.28243:
	s_or_b64 exec, exec, s[8:9]
	s_and_b64 s[4:5], s[4:5], exec
                                        ; implicit-def: $vgpr3
	s_or_saveexec_b64 s[6:7], s[6:7]
	v_mov_b32_e32 v2, s10
	s_xor_b64 exec, exec, s[6:7]
	s_cbranch_execnz .LBB1_28244
; %bb.64081:
	s_getpc_b64 s[14:15]
.Lpost_getpc17704:
	s_add_u32 s14, s14, (.LBB1_13906-.Lpost_getpc17704)&4294967295
	s_addc_u32 s15, s15, (.LBB1_13906-.Lpost_getpc17704)>>32
	s_setpc_b64 s[14:15]
.LBB1_28244:
	v_cmp_ne_u16_e32 vcc, 0, v3
	s_andn2_b64 s[4:5], s[4:5], exec
	s_and_b64 s[8:9], vcc, exec
	v_mov_b32_e32 v2, 0
	s_or_b64 s[4:5], s[4:5], s[8:9]
	s_or_b64 exec, exec, s[6:7]
	s_and_saveexec_b64 s[6:7], s[4:5]
	s_cbranch_execz .LBB1_35625
; %bb.64083:
	s_getpc_b64 s[14:15]
.Lpost_getpc17705:
	s_add_u32 s14, s14, (.LBB1_13907-.Lpost_getpc17705)&4294967295
	s_addc_u32 s15, s15, (.LBB1_13907-.Lpost_getpc17705)>>32
	s_setpc_b64 s[14:15]
.LBB1_35625:
	s_getpc_b64 s[14:15]
.Lpost_getpc3476:
	s_add_u32 s14, s14, (.LBB1_13908-.Lpost_getpc3476)&4294967295
	s_addc_u32 s15, s15, (.LBB1_13908-.Lpost_getpc3476)>>32
	s_setpc_b64 s[14:15]
.LBB1_28245:
	s_movk_i32 s4, 0x80
	v_cmp_eq_u16_e32 vcc, s4, v3
	s_mov_b64 s[4:5], -1
                                        ; implicit-def: $sgpr10
	s_and_saveexec_b64 s[8:9], vcc
; %bb.28246:
	s_mov_b32 s10, 0x7f800001
	s_xor_b64 s[4:5], exec, -1
; %bb.28247:
	s_or_b64 exec, exec, s[8:9]
	s_and_b64 s[4:5], s[4:5], exec
                                        ; implicit-def: $vgpr3
	s_or_saveexec_b64 s[6:7], s[6:7]
	v_mov_b32_e32 v6, s10
	s_xor_b64 exec, exec, s[6:7]
	s_cbranch_execnz .LBB1_28248
; %bb.64085:
	s_getpc_b64 s[14:15]
.Lpost_getpc17706:
	s_add_u32 s14, s14, (.LBB1_13910-.Lpost_getpc17706)&4294967295
	s_addc_u32 s15, s15, (.LBB1_13910-.Lpost_getpc17706)>>32
	s_setpc_b64 s[14:15]
.LBB1_28248:
	v_cmp_ne_u16_e32 vcc, 0, v3
	s_andn2_b64 s[4:5], s[4:5], exec
	s_and_b64 s[8:9], vcc, exec
	v_mov_b32_e32 v6, 0
	s_or_b64 s[4:5], s[4:5], s[8:9]
	s_or_b64 exec, exec, s[6:7]
	s_and_saveexec_b64 s[6:7], s[4:5]
	s_cbranch_execz .LBB1_35627
; %bb.64087:
	s_getpc_b64 s[14:15]
.Lpost_getpc17707:
	s_add_u32 s14, s14, (.LBB1_13911-.Lpost_getpc17707)&4294967295
	s_addc_u32 s15, s15, (.LBB1_13911-.Lpost_getpc17707)>>32
	s_setpc_b64 s[14:15]
.LBB1_35627:
	s_getpc_b64 s[14:15]
.Lpost_getpc3477:
	s_add_u32 s14, s14, (.LBB1_13912-.Lpost_getpc3477)&4294967295
	s_addc_u32 s15, s15, (.LBB1_13912-.Lpost_getpc3477)>>32
	s_setpc_b64 s[14:15]
.LBB1_28249:
	s_movk_i32 s4, 0x80
	v_cmp_eq_u16_sdwa s[12:13], v8, s4 src0_sel:BYTE_3 src1_sel:DWORD
	s_mov_b64 s[4:5], -1
                                        ; implicit-def: $sgpr10
	s_and_saveexec_b64 s[8:9], s[12:13]
; %bb.28250:
	s_mov_b32 s10, 0x7f800001
	s_xor_b64 s[4:5], exec, -1
; %bb.28251:
	s_or_b64 exec, exec, s[8:9]
	s_and_b64 s[4:5], s[4:5], exec
	s_or_saveexec_b64 s[6:7], s[6:7]
	v_mov_b32_e32 v2, s10
	s_xor_b64 exec, exec, s[6:7]
	s_cbranch_execnz .LBB1_28252
; %bb.64089:
	s_getpc_b64 s[14:15]
.Lpost_getpc17708:
	s_add_u32 s14, s14, (.LBB1_13914-.Lpost_getpc17708)&4294967295
	s_addc_u32 s15, s15, (.LBB1_13914-.Lpost_getpc17708)>>32
	s_setpc_b64 s[14:15]
.LBB1_28252:
	v_mov_b32_e32 v2, 0
	v_cmp_ne_u16_sdwa s[8:9], v8, v2 src0_sel:BYTE_3 src1_sel:DWORD
	s_andn2_b64 s[4:5], s[4:5], exec
	s_and_b64 s[8:9], s[8:9], exec
	s_or_b64 s[4:5], s[4:5], s[8:9]
	s_or_b64 exec, exec, s[6:7]
	s_and_saveexec_b64 s[6:7], s[4:5]
	s_cbranch_execz .LBB1_35629
; %bb.64091:
	s_getpc_b64 s[14:15]
.Lpost_getpc17709:
	s_add_u32 s14, s14, (.LBB1_13915-.Lpost_getpc17709)&4294967295
	s_addc_u32 s15, s15, (.LBB1_13915-.Lpost_getpc17709)>>32
	s_setpc_b64 s[14:15]
.LBB1_35629:
	s_getpc_b64 s[14:15]
.Lpost_getpc3478:
	s_add_u32 s14, s14, (.LBB1_13916-.Lpost_getpc3478)&4294967295
	s_addc_u32 s15, s15, (.LBB1_13916-.Lpost_getpc3478)>>32
	s_setpc_b64 s[14:15]
.LBB1_28253:
	s_movk_i32 s4, 0x80
	v_cmp_eq_u16_sdwa s[12:13], v4, s4 src0_sel:BYTE_3 src1_sel:DWORD
	s_mov_b64 s[4:5], -1
                                        ; implicit-def: $sgpr10
	s_and_saveexec_b64 s[8:9], s[12:13]
; %bb.28254:
	s_mov_b32 s10, 0x7f800001
	s_xor_b64 s[4:5], exec, -1
; %bb.28255:
	s_or_b64 exec, exec, s[8:9]
	s_and_b64 s[4:5], s[4:5], exec
	s_or_saveexec_b64 s[6:7], s[6:7]
	v_mov_b32_e32 v3, s10
	s_xor_b64 exec, exec, s[6:7]
	s_cbranch_execnz .LBB1_28256
; %bb.64093:
	s_getpc_b64 s[14:15]
.Lpost_getpc17710:
	s_add_u32 s14, s14, (.LBB1_13918-.Lpost_getpc17710)&4294967295
	s_addc_u32 s15, s15, (.LBB1_13918-.Lpost_getpc17710)>>32
	s_setpc_b64 s[14:15]
.LBB1_28256:
	v_mov_b32_e32 v3, 0
	v_cmp_ne_u16_sdwa s[8:9], v4, v3 src0_sel:BYTE_3 src1_sel:DWORD
	s_andn2_b64 s[4:5], s[4:5], exec
	s_and_b64 s[8:9], s[8:9], exec
	s_or_b64 s[4:5], s[4:5], s[8:9]
	s_or_b64 exec, exec, s[6:7]
	s_and_saveexec_b64 s[6:7], s[4:5]
	s_cbranch_execz .LBB1_35631
; %bb.64095:
	s_getpc_b64 s[14:15]
.Lpost_getpc17711:
	s_add_u32 s14, s14, (.LBB1_13919-.Lpost_getpc17711)&4294967295
	s_addc_u32 s15, s15, (.LBB1_13919-.Lpost_getpc17711)>>32
	s_setpc_b64 s[14:15]
.LBB1_35631:
	s_getpc_b64 s[14:15]
.Lpost_getpc3479:
	s_add_u32 s14, s14, (.LBB1_13920-.Lpost_getpc3479)&4294967295
	s_addc_u32 s15, s15, (.LBB1_13920-.Lpost_getpc3479)>>32
	s_setpc_b64 s[14:15]
.LBB1_28257:
	s_movk_i32 s4, 0x80
	v_cmp_eq_u16_sdwa s[12:13], v9, s4 src0_sel:BYTE_0 src1_sel:DWORD
	s_mov_b64 s[4:5], -1
                                        ; implicit-def: $sgpr10
	s_and_saveexec_b64 s[8:9], s[12:13]
; %bb.28258:
	s_mov_b32 s10, 0x7f800001
	s_xor_b64 s[4:5], exec, -1
; %bb.28259:
	s_or_b64 exec, exec, s[8:9]
	s_and_b64 s[4:5], s[4:5], exec
	s_or_saveexec_b64 s[6:7], s[6:7]
	v_mov_b32_e32 v2, s10
	s_xor_b64 exec, exec, s[6:7]
	s_cbranch_execnz .LBB1_28260
; %bb.64097:
	s_getpc_b64 s[14:15]
.Lpost_getpc17712:
	s_add_u32 s14, s14, (.LBB1_13922-.Lpost_getpc17712)&4294967295
	s_addc_u32 s15, s15, (.LBB1_13922-.Lpost_getpc17712)>>32
	s_setpc_b64 s[14:15]
.LBB1_28260:
	v_mov_b32_e32 v2, 0
	v_cmp_ne_u16_sdwa s[8:9], v9, v2 src0_sel:BYTE_0 src1_sel:DWORD
	s_andn2_b64 s[4:5], s[4:5], exec
	s_and_b64 s[8:9], s[8:9], exec
	s_or_b64 s[4:5], s[4:5], s[8:9]
	s_or_b64 exec, exec, s[6:7]
	s_and_saveexec_b64 s[6:7], s[4:5]
	s_cbranch_execz .LBB1_35633
; %bb.64099:
	s_getpc_b64 s[14:15]
.Lpost_getpc17713:
	s_add_u32 s14, s14, (.LBB1_13923-.Lpost_getpc17713)&4294967295
	s_addc_u32 s15, s15, (.LBB1_13923-.Lpost_getpc17713)>>32
	s_setpc_b64 s[14:15]
.LBB1_35633:
	s_getpc_b64 s[14:15]
.Lpost_getpc3480:
	s_add_u32 s14, s14, (.LBB1_13924-.Lpost_getpc3480)&4294967295
	s_addc_u32 s15, s15, (.LBB1_13924-.Lpost_getpc3480)>>32
	s_setpc_b64 s[14:15]
.LBB1_28261:
	s_movk_i32 s4, 0x80
	v_cmp_eq_u16_sdwa s[12:13], v5, s4 src0_sel:BYTE_0 src1_sel:DWORD
	s_mov_b64 s[4:5], -1
                                        ; implicit-def: $sgpr10
	s_and_saveexec_b64 s[8:9], s[12:13]
; %bb.28262:
	s_mov_b32 s10, 0x7f800001
	s_xor_b64 s[4:5], exec, -1
; %bb.28263:
	s_or_b64 exec, exec, s[8:9]
	s_and_b64 s[4:5], s[4:5], exec
	s_or_saveexec_b64 s[6:7], s[6:7]
	v_mov_b32_e32 v3, s10
	s_xor_b64 exec, exec, s[6:7]
	s_cbranch_execnz .LBB1_28264
; %bb.64101:
	s_getpc_b64 s[14:15]
.Lpost_getpc17714:
	s_add_u32 s14, s14, (.LBB1_13926-.Lpost_getpc17714)&4294967295
	s_addc_u32 s15, s15, (.LBB1_13926-.Lpost_getpc17714)>>32
	s_setpc_b64 s[14:15]
.LBB1_28264:
	v_mov_b32_e32 v3, 0
	v_cmp_ne_u16_sdwa s[8:9], v5, v3 src0_sel:BYTE_0 src1_sel:DWORD
	s_andn2_b64 s[4:5], s[4:5], exec
	s_and_b64 s[8:9], s[8:9], exec
	s_or_b64 s[4:5], s[4:5], s[8:9]
	s_or_b64 exec, exec, s[6:7]
	s_and_saveexec_b64 s[6:7], s[4:5]
	s_cbranch_execz .LBB1_35635
; %bb.64103:
	s_getpc_b64 s[14:15]
.Lpost_getpc17715:
	s_add_u32 s14, s14, (.LBB1_13927-.Lpost_getpc17715)&4294967295
	s_addc_u32 s15, s15, (.LBB1_13927-.Lpost_getpc17715)>>32
	s_setpc_b64 s[14:15]
.LBB1_35635:
	s_getpc_b64 s[14:15]
.Lpost_getpc3481:
	s_add_u32 s14, s14, (.LBB1_13928-.Lpost_getpc3481)&4294967295
	s_addc_u32 s15, s15, (.LBB1_13928-.Lpost_getpc3481)>>32
	s_setpc_b64 s[14:15]
.LBB1_28265:
	s_movk_i32 s4, 0x80
	v_cmp_eq_u16_sdwa s[12:13], v3, s4 src0_sel:BYTE_0 src1_sel:DWORD
	s_mov_b64 s[4:5], -1
                                        ; implicit-def: $sgpr10
	s_and_saveexec_b64 s[8:9], s[12:13]
; %bb.28266:
	s_mov_b32 s10, 0x7f800001
	s_xor_b64 s[4:5], exec, -1
; %bb.28267:
	s_or_b64 exec, exec, s[8:9]
	s_and_b64 s[4:5], s[4:5], exec
	s_or_saveexec_b64 s[6:7], s[6:7]
	v_mov_b32_e32 v2, s10
	s_xor_b64 exec, exec, s[6:7]
	s_cbranch_execnz .LBB1_28268
; %bb.64105:
	s_getpc_b64 s[14:15]
.Lpost_getpc17716:
	s_add_u32 s14, s14, (.LBB1_13930-.Lpost_getpc17716)&4294967295
	s_addc_u32 s15, s15, (.LBB1_13930-.Lpost_getpc17716)>>32
	s_setpc_b64 s[14:15]
.LBB1_28268:
	v_mov_b32_e32 v2, 0
	v_cmp_ne_u16_sdwa s[8:9], v3, v2 src0_sel:BYTE_0 src1_sel:DWORD
	s_andn2_b64 s[4:5], s[4:5], exec
	s_and_b64 s[8:9], s[8:9], exec
	s_or_b64 s[4:5], s[4:5], s[8:9]
	s_or_b64 exec, exec, s[6:7]
	s_and_saveexec_b64 s[6:7], s[4:5]
	s_cbranch_execz .LBB1_35637
; %bb.64107:
	s_getpc_b64 s[14:15]
.Lpost_getpc17717:
	s_add_u32 s14, s14, (.LBB1_13931-.Lpost_getpc17717)&4294967295
	s_addc_u32 s15, s15, (.LBB1_13931-.Lpost_getpc17717)>>32
	s_setpc_b64 s[14:15]
.LBB1_35637:
	s_getpc_b64 s[14:15]
.Lpost_getpc3482:
	s_add_u32 s14, s14, (.LBB1_13932-.Lpost_getpc3482)&4294967295
	s_addc_u32 s15, s15, (.LBB1_13932-.Lpost_getpc3482)>>32
	s_setpc_b64 s[14:15]
.LBB1_28269:
	s_movk_i32 s4, 0x80
	v_cmp_eq_u16_sdwa s[12:13], v3, s4 src0_sel:BYTE_0 src1_sel:DWORD
	s_mov_b64 s[4:5], -1
                                        ; implicit-def: $sgpr10
	s_and_saveexec_b64 s[8:9], s[12:13]
; %bb.28270:
	s_mov_b32 s10, 0x7f800001
	s_xor_b64 s[4:5], exec, -1
; %bb.28271:
	s_or_b64 exec, exec, s[8:9]
	s_and_b64 s[4:5], s[4:5], exec
	s_or_saveexec_b64 s[6:7], s[6:7]
	v_mov_b32_e32 v4, s10
	s_xor_b64 exec, exec, s[6:7]
	s_cbranch_execnz .LBB1_28272
; %bb.64109:
	s_getpc_b64 s[14:15]
.Lpost_getpc17718:
	s_add_u32 s14, s14, (.LBB1_13934-.Lpost_getpc17718)&4294967295
	s_addc_u32 s15, s15, (.LBB1_13934-.Lpost_getpc17718)>>32
	s_setpc_b64 s[14:15]
.LBB1_28272:
	v_mov_b32_e32 v4, 0
	v_cmp_ne_u16_sdwa s[8:9], v3, v4 src0_sel:BYTE_0 src1_sel:DWORD
	s_andn2_b64 s[4:5], s[4:5], exec
	s_and_b64 s[8:9], s[8:9], exec
	s_or_b64 s[4:5], s[4:5], s[8:9]
	s_or_b64 exec, exec, s[6:7]
	s_and_saveexec_b64 s[6:7], s[4:5]
	s_cbranch_execz .LBB1_35639
; %bb.64111:
	s_getpc_b64 s[14:15]
.Lpost_getpc17719:
	s_add_u32 s14, s14, (.LBB1_13935-.Lpost_getpc17719)&4294967295
	s_addc_u32 s15, s15, (.LBB1_13935-.Lpost_getpc17719)>>32
	s_setpc_b64 s[14:15]
.LBB1_35639:
	s_getpc_b64 s[14:15]
.Lpost_getpc3483:
	s_add_u32 s14, s14, (.LBB1_13936-.Lpost_getpc3483)&4294967295
	s_addc_u32 s15, s15, (.LBB1_13936-.Lpost_getpc3483)>>32
	s_setpc_b64 s[14:15]
.LBB1_28273:
	s_movk_i32 s4, 0x80
	v_cmp_eq_u16_e32 vcc, s4, v3
	s_mov_b64 s[4:5], -1
                                        ; implicit-def: $sgpr10
	s_and_saveexec_b64 s[8:9], vcc
; %bb.28274:
	s_mov_b32 s10, 0x7f800001
	s_xor_b64 s[4:5], exec, -1
; %bb.28275:
	s_or_b64 exec, exec, s[8:9]
	s_and_b64 s[4:5], s[4:5], exec
                                        ; implicit-def: $vgpr3
	s_or_saveexec_b64 s[6:7], s[6:7]
	v_mov_b32_e32 v2, s10
	s_xor_b64 exec, exec, s[6:7]
	s_cbranch_execnz .LBB1_28276
; %bb.64113:
	s_getpc_b64 s[14:15]
.Lpost_getpc17720:
	s_add_u32 s14, s14, (.LBB1_13938-.Lpost_getpc17720)&4294967295
	s_addc_u32 s15, s15, (.LBB1_13938-.Lpost_getpc17720)>>32
	s_setpc_b64 s[14:15]
.LBB1_28276:
	v_cmp_ne_u16_e32 vcc, 0, v3
	s_andn2_b64 s[4:5], s[4:5], exec
	s_and_b64 s[8:9], vcc, exec
	v_mov_b32_e32 v2, 0
	s_or_b64 s[4:5], s[4:5], s[8:9]
	s_or_b64 exec, exec, s[6:7]
	s_and_saveexec_b64 s[6:7], s[4:5]
	s_cbranch_execz .LBB1_35641
; %bb.64115:
	s_getpc_b64 s[14:15]
.Lpost_getpc17721:
	s_add_u32 s14, s14, (.LBB1_13939-.Lpost_getpc17721)&4294967295
	s_addc_u32 s15, s15, (.LBB1_13939-.Lpost_getpc17721)>>32
	s_setpc_b64 s[14:15]
.LBB1_35641:
	s_getpc_b64 s[14:15]
.Lpost_getpc3484:
	s_add_u32 s14, s14, (.LBB1_13940-.Lpost_getpc3484)&4294967295
	s_addc_u32 s15, s15, (.LBB1_13940-.Lpost_getpc3484)>>32
	s_setpc_b64 s[14:15]
.LBB1_28277:
	s_movk_i32 s4, 0x80
	v_cmp_eq_u16_e32 vcc, s4, v3
	s_mov_b64 s[4:5], -1
                                        ; implicit-def: $sgpr10
	s_and_saveexec_b64 s[8:9], vcc
; %bb.28278:
	s_mov_b32 s10, 0x7f800001
	s_xor_b64 s[4:5], exec, -1
; %bb.28279:
	s_or_b64 exec, exec, s[8:9]
	s_and_b64 s[4:5], s[4:5], exec
                                        ; implicit-def: $vgpr3
	s_or_saveexec_b64 s[6:7], s[6:7]
	v_mov_b32_e32 v4, s10
	s_xor_b64 exec, exec, s[6:7]
	s_cbranch_execnz .LBB1_28280
; %bb.64117:
	s_getpc_b64 s[14:15]
.Lpost_getpc17722:
	s_add_u32 s14, s14, (.LBB1_13942-.Lpost_getpc17722)&4294967295
	s_addc_u32 s15, s15, (.LBB1_13942-.Lpost_getpc17722)>>32
	s_setpc_b64 s[14:15]
.LBB1_28280:
	v_cmp_ne_u16_e32 vcc, 0, v3
	s_andn2_b64 s[4:5], s[4:5], exec
	s_and_b64 s[8:9], vcc, exec
	v_mov_b32_e32 v4, 0
	s_or_b64 s[4:5], s[4:5], s[8:9]
	s_or_b64 exec, exec, s[6:7]
	s_and_saveexec_b64 s[6:7], s[4:5]
	s_cbranch_execz .LBB1_35643
; %bb.64119:
	s_getpc_b64 s[14:15]
.Lpost_getpc17723:
	s_add_u32 s14, s14, (.LBB1_13943-.Lpost_getpc17723)&4294967295
	s_addc_u32 s15, s15, (.LBB1_13943-.Lpost_getpc17723)>>32
	s_setpc_b64 s[14:15]
.LBB1_35643:
	s_getpc_b64 s[14:15]
.Lpost_getpc3485:
	s_add_u32 s14, s14, (.LBB1_13944-.Lpost_getpc3485)&4294967295
	s_addc_u32 s15, s15, (.LBB1_13944-.Lpost_getpc3485)>>32
	s_setpc_b64 s[14:15]
.LBB1_28281:
	s_movk_i32 s4, 0x80
	v_cmp_eq_u16_sdwa s[12:13], v9, s4 src0_sel:BYTE_3 src1_sel:DWORD
	s_mov_b64 s[4:5], -1
                                        ; implicit-def: $sgpr10
	s_and_saveexec_b64 s[8:9], s[12:13]
; %bb.28282:
	s_mov_b32 s10, 0x7f800001
	s_xor_b64 s[4:5], exec, -1
; %bb.28283:
	s_or_b64 exec, exec, s[8:9]
	s_and_b64 s[4:5], s[4:5], exec
	s_or_saveexec_b64 s[6:7], s[6:7]
	v_mov_b32_e32 v2, s10
	s_xor_b64 exec, exec, s[6:7]
	s_cbranch_execnz .LBB1_28284
; %bb.64121:
	s_getpc_b64 s[14:15]
.Lpost_getpc17724:
	s_add_u32 s14, s14, (.LBB1_13946-.Lpost_getpc17724)&4294967295
	s_addc_u32 s15, s15, (.LBB1_13946-.Lpost_getpc17724)>>32
	s_setpc_b64 s[14:15]
.LBB1_28284:
	v_mov_b32_e32 v2, 0
	v_cmp_ne_u16_sdwa s[8:9], v9, v2 src0_sel:BYTE_3 src1_sel:DWORD
	s_andn2_b64 s[4:5], s[4:5], exec
	s_and_b64 s[8:9], s[8:9], exec
	s_or_b64 s[4:5], s[4:5], s[8:9]
	s_or_b64 exec, exec, s[6:7]
	s_and_saveexec_b64 s[6:7], s[4:5]
	s_cbranch_execz .LBB1_35645
; %bb.64123:
	s_getpc_b64 s[14:15]
.Lpost_getpc17725:
	s_add_u32 s14, s14, (.LBB1_13947-.Lpost_getpc17725)&4294967295
	s_addc_u32 s15, s15, (.LBB1_13947-.Lpost_getpc17725)>>32
	s_setpc_b64 s[14:15]
.LBB1_35645:
	s_getpc_b64 s[14:15]
.Lpost_getpc3486:
	s_add_u32 s14, s14, (.LBB1_13948-.Lpost_getpc3486)&4294967295
	s_addc_u32 s15, s15, (.LBB1_13948-.Lpost_getpc3486)>>32
	s_setpc_b64 s[14:15]
.LBB1_28285:
	s_movk_i32 s4, 0x80
	v_cmp_eq_u16_sdwa s[12:13], v5, s4 src0_sel:BYTE_3 src1_sel:DWORD
	s_mov_b64 s[4:5], -1
                                        ; implicit-def: $sgpr10
	s_and_saveexec_b64 s[8:9], s[12:13]
; %bb.28286:
	s_mov_b32 s10, 0x7f800001
	s_xor_b64 s[4:5], exec, -1
; %bb.28287:
	s_or_b64 exec, exec, s[8:9]
	s_and_b64 s[4:5], s[4:5], exec
	s_or_saveexec_b64 s[6:7], s[6:7]
	v_mov_b32_e32 v3, s10
	s_xor_b64 exec, exec, s[6:7]
	s_cbranch_execnz .LBB1_28288
; %bb.64125:
	s_getpc_b64 s[14:15]
.Lpost_getpc17726:
	s_add_u32 s14, s14, (.LBB1_13950-.Lpost_getpc17726)&4294967295
	s_addc_u32 s15, s15, (.LBB1_13950-.Lpost_getpc17726)>>32
	s_setpc_b64 s[14:15]
.LBB1_28288:
	v_mov_b32_e32 v3, 0
	v_cmp_ne_u16_sdwa s[8:9], v5, v3 src0_sel:BYTE_3 src1_sel:DWORD
	s_andn2_b64 s[4:5], s[4:5], exec
	s_and_b64 s[8:9], s[8:9], exec
	s_or_b64 s[4:5], s[4:5], s[8:9]
	s_or_b64 exec, exec, s[6:7]
	s_and_saveexec_b64 s[6:7], s[4:5]
	s_cbranch_execz .LBB1_35647
; %bb.64127:
	s_getpc_b64 s[14:15]
.Lpost_getpc17727:
	s_add_u32 s14, s14, (.LBB1_13951-.Lpost_getpc17727)&4294967295
	s_addc_u32 s15, s15, (.LBB1_13951-.Lpost_getpc17727)>>32
	s_setpc_b64 s[14:15]
.LBB1_35647:
	s_getpc_b64 s[14:15]
.Lpost_getpc3487:
	s_add_u32 s14, s14, (.LBB1_13952-.Lpost_getpc3487)&4294967295
	s_addc_u32 s15, s15, (.LBB1_13952-.Lpost_getpc3487)>>32
	s_setpc_b64 s[14:15]
.LBB1_28289:
	s_movk_i32 s4, 0x80
	v_cmp_eq_u16_sdwa s[12:13], v6, s4 src0_sel:BYTE_0 src1_sel:DWORD
	s_mov_b64 s[4:5], -1
                                        ; implicit-def: $sgpr10
	s_and_saveexec_b64 s[8:9], s[12:13]
; %bb.28290:
	s_mov_b32 s10, 0x7f800001
	s_xor_b64 s[4:5], exec, -1
; %bb.28291:
	s_or_b64 exec, exec, s[8:9]
	s_and_b64 s[4:5], s[4:5], exec
	s_or_saveexec_b64 s[6:7], s[6:7]
	v_mov_b32_e32 v12, s10
	s_xor_b64 exec, exec, s[6:7]
	s_cbranch_execnz .LBB1_28292
; %bb.64129:
	s_getpc_b64 s[14:15]
.Lpost_getpc17728:
	s_add_u32 s14, s14, (.LBB1_13954-.Lpost_getpc17728)&4294967295
	s_addc_u32 s15, s15, (.LBB1_13954-.Lpost_getpc17728)>>32
	s_setpc_b64 s[14:15]
.LBB1_28292:
	v_mov_b32_e32 v12, 0
	v_cmp_ne_u16_sdwa s[8:9], v6, v12 src0_sel:BYTE_0 src1_sel:DWORD
	s_andn2_b64 s[4:5], s[4:5], exec
	s_and_b64 s[8:9], s[8:9], exec
	s_or_b64 s[4:5], s[4:5], s[8:9]
	s_or_b64 exec, exec, s[6:7]
	s_and_saveexec_b64 s[6:7], s[4:5]
	s_cbranch_execz .LBB1_35649
; %bb.64131:
	s_getpc_b64 s[14:15]
.Lpost_getpc17729:
	s_add_u32 s14, s14, (.LBB1_13955-.Lpost_getpc17729)&4294967295
	s_addc_u32 s15, s15, (.LBB1_13955-.Lpost_getpc17729)>>32
	s_setpc_b64 s[14:15]
.LBB1_35649:
	s_getpc_b64 s[14:15]
.Lpost_getpc3488:
	s_add_u32 s14, s14, (.LBB1_13956-.Lpost_getpc3488)&4294967295
	s_addc_u32 s15, s15, (.LBB1_13956-.Lpost_getpc3488)>>32
	s_setpc_b64 s[14:15]
.LBB1_28293:
	s_movk_i32 s4, 0x80
	v_cmp_eq_u16_sdwa s[12:13], v2, s4 src0_sel:BYTE_0 src1_sel:DWORD
	s_mov_b64 s[4:5], -1
                                        ; implicit-def: $sgpr10
	s_and_saveexec_b64 s[8:9], s[12:13]
; %bb.28294:
	s_mov_b32 s10, 0x7f800001
	s_xor_b64 s[4:5], exec, -1
; %bb.28295:
	s_or_b64 exec, exec, s[8:9]
	s_and_b64 s[4:5], s[4:5], exec
	s_or_saveexec_b64 s[6:7], s[6:7]
	v_mov_b32_e32 v13, s10
	s_xor_b64 exec, exec, s[6:7]
	s_cbranch_execnz .LBB1_28296
; %bb.64133:
	s_getpc_b64 s[14:15]
.Lpost_getpc17730:
	s_add_u32 s14, s14, (.LBB1_13958-.Lpost_getpc17730)&4294967295
	s_addc_u32 s15, s15, (.LBB1_13958-.Lpost_getpc17730)>>32
	s_setpc_b64 s[14:15]
.LBB1_28296:
	v_mov_b32_e32 v13, 0
	v_cmp_ne_u16_sdwa s[8:9], v2, v13 src0_sel:BYTE_0 src1_sel:DWORD
	s_andn2_b64 s[4:5], s[4:5], exec
	s_and_b64 s[8:9], s[8:9], exec
	s_or_b64 s[4:5], s[4:5], s[8:9]
	s_or_b64 exec, exec, s[6:7]
	s_and_saveexec_b64 s[6:7], s[4:5]
	s_cbranch_execz .LBB1_35651
; %bb.64135:
	s_getpc_b64 s[14:15]
.Lpost_getpc17731:
	s_add_u32 s14, s14, (.LBB1_13959-.Lpost_getpc17731)&4294967295
	s_addc_u32 s15, s15, (.LBB1_13959-.Lpost_getpc17731)>>32
	s_setpc_b64 s[14:15]
.LBB1_35651:
	s_getpc_b64 s[14:15]
.Lpost_getpc3489:
	s_add_u32 s14, s14, (.LBB1_13960-.Lpost_getpc3489)&4294967295
	s_addc_u32 s15, s15, (.LBB1_13960-.Lpost_getpc3489)>>32
	s_setpc_b64 s[14:15]
.LBB1_28297:
	s_movk_i32 s4, 0x80
	v_cmp_eq_u16_sdwa s[12:13], v13, s4 src0_sel:BYTE_0 src1_sel:DWORD
	s_mov_b64 s[4:5], -1
                                        ; implicit-def: $sgpr10
	s_and_saveexec_b64 s[8:9], s[12:13]
; %bb.28298:
	s_mov_b32 s10, 0x7f800001
	s_xor_b64 s[4:5], exec, -1
; %bb.28299:
	s_or_b64 exec, exec, s[8:9]
	s_and_b64 s[4:5], s[4:5], exec
	s_or_saveexec_b64 s[6:7], s[6:7]
	v_mov_b32_e32 v12, s10
	s_xor_b64 exec, exec, s[6:7]
	s_cbranch_execnz .LBB1_28300
; %bb.64137:
	s_getpc_b64 s[14:15]
.Lpost_getpc17732:
	s_add_u32 s14, s14, (.LBB1_13962-.Lpost_getpc17732)&4294967295
	s_addc_u32 s15, s15, (.LBB1_13962-.Lpost_getpc17732)>>32
	s_setpc_b64 s[14:15]
.LBB1_28300:
	v_mov_b32_e32 v12, 0
	v_cmp_ne_u16_sdwa s[8:9], v13, v12 src0_sel:BYTE_0 src1_sel:DWORD
	s_andn2_b64 s[4:5], s[4:5], exec
	s_and_b64 s[8:9], s[8:9], exec
	s_or_b64 s[4:5], s[4:5], s[8:9]
	s_or_b64 exec, exec, s[6:7]
	s_and_saveexec_b64 s[6:7], s[4:5]
	s_cbranch_execz .LBB1_35653
; %bb.64139:
	s_getpc_b64 s[14:15]
.Lpost_getpc17733:
	s_add_u32 s14, s14, (.LBB1_13963-.Lpost_getpc17733)&4294967295
	s_addc_u32 s15, s15, (.LBB1_13963-.Lpost_getpc17733)>>32
	s_setpc_b64 s[14:15]
.LBB1_35653:
	s_getpc_b64 s[14:15]
.Lpost_getpc3490:
	s_add_u32 s14, s14, (.LBB1_13964-.Lpost_getpc3490)&4294967295
	s_addc_u32 s15, s15, (.LBB1_13964-.Lpost_getpc3490)>>32
	s_setpc_b64 s[14:15]
.LBB1_28301:
	s_movk_i32 s4, 0x80
	v_cmp_eq_u16_sdwa s[12:13], v13, s4 src0_sel:BYTE_0 src1_sel:DWORD
	s_mov_b64 s[4:5], -1
                                        ; implicit-def: $sgpr10
	s_and_saveexec_b64 s[8:9], s[12:13]
; %bb.28302:
	s_mov_b32 s10, 0x7f800001
	s_xor_b64 s[4:5], exec, -1
; %bb.28303:
	s_or_b64 exec, exec, s[8:9]
	s_and_b64 s[4:5], s[4:5], exec
	s_or_saveexec_b64 s[6:7], s[6:7]
	v_mov_b32_e32 v14, s10
	s_xor_b64 exec, exec, s[6:7]
	s_cbranch_execnz .LBB1_28304
; %bb.64141:
	s_getpc_b64 s[14:15]
.Lpost_getpc17734:
	s_add_u32 s14, s14, (.LBB1_13966-.Lpost_getpc17734)&4294967295
	s_addc_u32 s15, s15, (.LBB1_13966-.Lpost_getpc17734)>>32
	s_setpc_b64 s[14:15]
.LBB1_28304:
	v_mov_b32_e32 v14, 0
	v_cmp_ne_u16_sdwa s[8:9], v13, v14 src0_sel:BYTE_0 src1_sel:DWORD
	s_andn2_b64 s[4:5], s[4:5], exec
	s_and_b64 s[8:9], s[8:9], exec
	s_or_b64 s[4:5], s[4:5], s[8:9]
	s_or_b64 exec, exec, s[6:7]
	s_and_saveexec_b64 s[6:7], s[4:5]
	s_cbranch_execz .LBB1_35655
; %bb.64143:
	s_getpc_b64 s[14:15]
.Lpost_getpc17735:
	s_add_u32 s14, s14, (.LBB1_13967-.Lpost_getpc17735)&4294967295
	s_addc_u32 s15, s15, (.LBB1_13967-.Lpost_getpc17735)>>32
	s_setpc_b64 s[14:15]
.LBB1_35655:
	s_getpc_b64 s[14:15]
.Lpost_getpc3491:
	s_add_u32 s14, s14, (.LBB1_13968-.Lpost_getpc3491)&4294967295
	s_addc_u32 s15, s15, (.LBB1_13968-.Lpost_getpc3491)>>32
	s_setpc_b64 s[14:15]
.LBB1_28305:
	s_movk_i32 s4, 0x80
	v_cmp_eq_u16_e32 vcc, s4, v13
	s_mov_b64 s[4:5], -1
                                        ; implicit-def: $sgpr10
	s_and_saveexec_b64 s[8:9], vcc
; %bb.28306:
	s_mov_b32 s10, 0x7f800001
	s_xor_b64 s[4:5], exec, -1
; %bb.28307:
	s_or_b64 exec, exec, s[8:9]
	s_and_b64 s[4:5], s[4:5], exec
                                        ; implicit-def: $vgpr13
	s_or_saveexec_b64 s[6:7], s[6:7]
	v_mov_b32_e32 v12, s10
	s_xor_b64 exec, exec, s[6:7]
	s_cbranch_execnz .LBB1_28308
; %bb.64145:
	s_getpc_b64 s[14:15]
.Lpost_getpc17736:
	s_add_u32 s14, s14, (.LBB1_13970-.Lpost_getpc17736)&4294967295
	s_addc_u32 s15, s15, (.LBB1_13970-.Lpost_getpc17736)>>32
	s_setpc_b64 s[14:15]
.LBB1_28308:
	v_cmp_ne_u16_e32 vcc, 0, v13
	s_andn2_b64 s[4:5], s[4:5], exec
	s_and_b64 s[8:9], vcc, exec
	v_mov_b32_e32 v12, 0
	s_or_b64 s[4:5], s[4:5], s[8:9]
	s_or_b64 exec, exec, s[6:7]
	s_and_saveexec_b64 s[6:7], s[4:5]
	s_cbranch_execz .LBB1_35657
; %bb.64147:
	s_getpc_b64 s[14:15]
.Lpost_getpc17737:
	s_add_u32 s14, s14, (.LBB1_13971-.Lpost_getpc17737)&4294967295
	s_addc_u32 s15, s15, (.LBB1_13971-.Lpost_getpc17737)>>32
	s_setpc_b64 s[14:15]
.LBB1_35657:
	s_getpc_b64 s[14:15]
.Lpost_getpc3492:
	s_add_u32 s14, s14, (.LBB1_13972-.Lpost_getpc3492)&4294967295
	s_addc_u32 s15, s15, (.LBB1_13972-.Lpost_getpc3492)>>32
	s_setpc_b64 s[14:15]
.LBB1_28309:
	s_movk_i32 s4, 0x80
	v_cmp_eq_u16_e32 vcc, s4, v13
	s_mov_b64 s[4:5], -1
                                        ; implicit-def: $sgpr10
	s_and_saveexec_b64 s[8:9], vcc
; %bb.28310:
	s_mov_b32 s10, 0x7f800001
	s_xor_b64 s[4:5], exec, -1
; %bb.28311:
	s_or_b64 exec, exec, s[8:9]
	s_and_b64 s[4:5], s[4:5], exec
                                        ; implicit-def: $vgpr13
	s_or_saveexec_b64 s[6:7], s[6:7]
	v_mov_b32_e32 v14, s10
	s_xor_b64 exec, exec, s[6:7]
	s_cbranch_execnz .LBB1_28312
; %bb.64149:
	s_getpc_b64 s[14:15]
.Lpost_getpc17738:
	s_add_u32 s14, s14, (.LBB1_13974-.Lpost_getpc17738)&4294967295
	s_addc_u32 s15, s15, (.LBB1_13974-.Lpost_getpc17738)>>32
	s_setpc_b64 s[14:15]
.LBB1_28312:
	v_cmp_ne_u16_e32 vcc, 0, v13
	s_andn2_b64 s[4:5], s[4:5], exec
	s_and_b64 s[8:9], vcc, exec
	v_mov_b32_e32 v14, 0
	s_or_b64 s[4:5], s[4:5], s[8:9]
	s_or_b64 exec, exec, s[6:7]
	s_and_saveexec_b64 s[6:7], s[4:5]
	s_cbranch_execz .LBB1_35659
; %bb.64151:
	s_getpc_b64 s[14:15]
.Lpost_getpc17739:
	s_add_u32 s14, s14, (.LBB1_13975-.Lpost_getpc17739)&4294967295
	s_addc_u32 s15, s15, (.LBB1_13975-.Lpost_getpc17739)>>32
	s_setpc_b64 s[14:15]
.LBB1_35659:
	s_getpc_b64 s[14:15]
.Lpost_getpc3493:
	s_add_u32 s14, s14, (.LBB1_13976-.Lpost_getpc3493)&4294967295
	s_addc_u32 s15, s15, (.LBB1_13976-.Lpost_getpc3493)>>32
	s_setpc_b64 s[14:15]
.LBB1_28313:
	s_movk_i32 s4, 0x80
	v_cmp_eq_u16_sdwa s[12:13], v6, s4 src0_sel:BYTE_3 src1_sel:DWORD
	s_mov_b64 s[4:5], -1
                                        ; implicit-def: $sgpr10
	s_and_saveexec_b64 s[8:9], s[12:13]
; %bb.28314:
	s_mov_b32 s10, 0x7f800001
	s_xor_b64 s[4:5], exec, -1
; %bb.28315:
	s_or_b64 exec, exec, s[8:9]
	s_and_b64 s[4:5], s[4:5], exec
	s_or_saveexec_b64 s[6:7], s[6:7]
	v_mov_b32_e32 v12, s10
	s_xor_b64 exec, exec, s[6:7]
	s_cbranch_execnz .LBB1_28316
; %bb.64153:
	s_getpc_b64 s[14:15]
.Lpost_getpc17740:
	s_add_u32 s14, s14, (.LBB1_13978-.Lpost_getpc17740)&4294967295
	s_addc_u32 s15, s15, (.LBB1_13978-.Lpost_getpc17740)>>32
	s_setpc_b64 s[14:15]
.LBB1_28316:
	v_mov_b32_e32 v12, 0
	v_cmp_ne_u16_sdwa s[8:9], v6, v12 src0_sel:BYTE_3 src1_sel:DWORD
	s_andn2_b64 s[4:5], s[4:5], exec
	s_and_b64 s[8:9], s[8:9], exec
	s_or_b64 s[4:5], s[4:5], s[8:9]
	s_or_b64 exec, exec, s[6:7]
	s_and_saveexec_b64 s[6:7], s[4:5]
	s_cbranch_execz .LBB1_35661
; %bb.64155:
	s_getpc_b64 s[14:15]
.Lpost_getpc17741:
	s_add_u32 s14, s14, (.LBB1_13979-.Lpost_getpc17741)&4294967295
	s_addc_u32 s15, s15, (.LBB1_13979-.Lpost_getpc17741)>>32
	s_setpc_b64 s[14:15]
.LBB1_35661:
	s_getpc_b64 s[14:15]
.Lpost_getpc3494:
	s_add_u32 s14, s14, (.LBB1_13980-.Lpost_getpc3494)&4294967295
	s_addc_u32 s15, s15, (.LBB1_13980-.Lpost_getpc3494)>>32
	s_setpc_b64 s[14:15]
.LBB1_28317:
	s_movk_i32 s4, 0x80
	v_cmp_eq_u16_sdwa s[12:13], v2, s4 src0_sel:BYTE_3 src1_sel:DWORD
	s_mov_b64 s[4:5], -1
                                        ; implicit-def: $sgpr10
	s_and_saveexec_b64 s[8:9], s[12:13]
; %bb.28318:
	s_mov_b32 s10, 0x7f800001
	s_xor_b64 s[4:5], exec, -1
; %bb.28319:
	s_or_b64 exec, exec, s[8:9]
	s_and_b64 s[4:5], s[4:5], exec
	s_or_saveexec_b64 s[6:7], s[6:7]
	v_mov_b32_e32 v6, s10
	s_xor_b64 exec, exec, s[6:7]
	s_cbranch_execnz .LBB1_28320
; %bb.64157:
	s_getpc_b64 s[14:15]
.Lpost_getpc17742:
	s_add_u32 s14, s14, (.LBB1_13982-.Lpost_getpc17742)&4294967295
	s_addc_u32 s15, s15, (.LBB1_13982-.Lpost_getpc17742)>>32
	s_setpc_b64 s[14:15]
.LBB1_28320:
	v_mov_b32_e32 v6, 0
	v_cmp_ne_u16_sdwa s[8:9], v2, v6 src0_sel:BYTE_3 src1_sel:DWORD
	s_andn2_b64 s[4:5], s[4:5], exec
	s_and_b64 s[8:9], s[8:9], exec
	s_or_b64 s[4:5], s[4:5], s[8:9]
	s_or_b64 exec, exec, s[6:7]
	s_and_saveexec_b64 s[6:7], s[4:5]
	s_cbranch_execz .LBB1_35663
; %bb.64159:
	s_getpc_b64 s[14:15]
.Lpost_getpc17743:
	s_add_u32 s14, s14, (.LBB1_13983-.Lpost_getpc17743)&4294967295
	s_addc_u32 s15, s15, (.LBB1_13983-.Lpost_getpc17743)>>32
	s_setpc_b64 s[14:15]
.LBB1_35663:
	s_getpc_b64 s[14:15]
.Lpost_getpc3495:
	s_add_u32 s14, s14, (.LBB1_13984-.Lpost_getpc3495)&4294967295
	s_addc_u32 s15, s15, (.LBB1_13984-.Lpost_getpc3495)>>32
	s_setpc_b64 s[14:15]
.LBB1_28321:
	s_movk_i32 s4, 0x80
	v_cmp_eq_u16_sdwa s[12:13], v7, s4 src0_sel:BYTE_0 src1_sel:DWORD
	s_mov_b64 s[4:5], -1
                                        ; implicit-def: $sgpr10
	s_and_saveexec_b64 s[8:9], s[12:13]
; %bb.28322:
	s_mov_b32 s10, 0x7f800001
	s_xor_b64 s[4:5], exec, -1
; %bb.28323:
	s_or_b64 exec, exec, s[8:9]
	s_and_b64 s[4:5], s[4:5], exec
	s_or_saveexec_b64 s[6:7], s[6:7]
	v_mov_b32_e32 v2, s10
	s_xor_b64 exec, exec, s[6:7]
	s_cbranch_execnz .LBB1_28324
; %bb.64161:
	s_getpc_b64 s[14:15]
.Lpost_getpc17744:
	s_add_u32 s14, s14, (.LBB1_13986-.Lpost_getpc17744)&4294967295
	s_addc_u32 s15, s15, (.LBB1_13986-.Lpost_getpc17744)>>32
	s_setpc_b64 s[14:15]
.LBB1_28324:
	v_mov_b32_e32 v2, 0
	v_cmp_ne_u16_sdwa s[8:9], v7, v2 src0_sel:BYTE_0 src1_sel:DWORD
	s_andn2_b64 s[4:5], s[4:5], exec
	s_and_b64 s[8:9], s[8:9], exec
	s_or_b64 s[4:5], s[4:5], s[8:9]
	s_or_b64 exec, exec, s[6:7]
	s_and_saveexec_b64 s[6:7], s[4:5]
	s_cbranch_execz .LBB1_35665
; %bb.64163:
	s_getpc_b64 s[14:15]
.Lpost_getpc17745:
	s_add_u32 s14, s14, (.LBB1_13987-.Lpost_getpc17745)&4294967295
	s_addc_u32 s15, s15, (.LBB1_13987-.Lpost_getpc17745)>>32
	s_setpc_b64 s[14:15]
.LBB1_35665:
	s_getpc_b64 s[14:15]
.Lpost_getpc3496:
	s_add_u32 s14, s14, (.LBB1_13988-.Lpost_getpc3496)&4294967295
	s_addc_u32 s15, s15, (.LBB1_13988-.Lpost_getpc3496)>>32
	s_setpc_b64 s[14:15]
.LBB1_28325:
	s_movk_i32 s4, 0x80
	v_cmp_eq_u16_sdwa s[12:13], v3, s4 src0_sel:BYTE_0 src1_sel:DWORD
	s_mov_b64 s[4:5], -1
                                        ; implicit-def: $sgpr10
	s_and_saveexec_b64 s[8:9], s[12:13]
; %bb.28326:
	s_mov_b32 s10, 0x7f800001
	s_xor_b64 s[4:5], exec, -1
; %bb.28327:
	s_or_b64 exec, exec, s[8:9]
	s_and_b64 s[4:5], s[4:5], exec
	s_or_saveexec_b64 s[6:7], s[6:7]
	v_mov_b32_e32 v6, s10
	s_xor_b64 exec, exec, s[6:7]
	s_cbranch_execnz .LBB1_28328
; %bb.64165:
	s_getpc_b64 s[14:15]
.Lpost_getpc17746:
	s_add_u32 s14, s14, (.LBB1_13990-.Lpost_getpc17746)&4294967295
	s_addc_u32 s15, s15, (.LBB1_13990-.Lpost_getpc17746)>>32
	s_setpc_b64 s[14:15]
.LBB1_28328:
	v_mov_b32_e32 v6, 0
	v_cmp_ne_u16_sdwa s[8:9], v3, v6 src0_sel:BYTE_0 src1_sel:DWORD
	s_andn2_b64 s[4:5], s[4:5], exec
	s_and_b64 s[8:9], s[8:9], exec
	s_or_b64 s[4:5], s[4:5], s[8:9]
	s_or_b64 exec, exec, s[6:7]
	s_and_saveexec_b64 s[6:7], s[4:5]
	s_cbranch_execz .LBB1_35667
; %bb.64167:
	s_getpc_b64 s[14:15]
.Lpost_getpc17747:
	s_add_u32 s14, s14, (.LBB1_13991-.Lpost_getpc17747)&4294967295
	s_addc_u32 s15, s15, (.LBB1_13991-.Lpost_getpc17747)>>32
	s_setpc_b64 s[14:15]
.LBB1_35667:
	s_getpc_b64 s[14:15]
.Lpost_getpc3497:
	s_add_u32 s14, s14, (.LBB1_13992-.Lpost_getpc3497)&4294967295
	s_addc_u32 s15, s15, (.LBB1_13992-.Lpost_getpc3497)>>32
	s_setpc_b64 s[14:15]
.LBB1_28329:
	s_movk_i32 s4, 0x80
	v_cmp_eq_u16_sdwa s[12:13], v6, s4 src0_sel:BYTE_0 src1_sel:DWORD
	s_mov_b64 s[4:5], -1
                                        ; implicit-def: $sgpr10
	s_and_saveexec_b64 s[8:9], s[12:13]
; %bb.28330:
	s_mov_b32 s10, 0x7f800001
	s_xor_b64 s[4:5], exec, -1
; %bb.28331:
	s_or_b64 exec, exec, s[8:9]
	s_and_b64 s[4:5], s[4:5], exec
	s_or_saveexec_b64 s[6:7], s[6:7]
	v_mov_b32_e32 v2, s10
	s_xor_b64 exec, exec, s[6:7]
	s_cbranch_execnz .LBB1_28332
; %bb.64169:
	s_getpc_b64 s[14:15]
.Lpost_getpc17748:
	s_add_u32 s14, s14, (.LBB1_13994-.Lpost_getpc17748)&4294967295
	s_addc_u32 s15, s15, (.LBB1_13994-.Lpost_getpc17748)>>32
	s_setpc_b64 s[14:15]
.LBB1_28332:
	v_mov_b32_e32 v2, 0
	v_cmp_ne_u16_sdwa s[8:9], v6, v2 src0_sel:BYTE_0 src1_sel:DWORD
	s_andn2_b64 s[4:5], s[4:5], exec
	s_and_b64 s[8:9], s[8:9], exec
	s_or_b64 s[4:5], s[4:5], s[8:9]
	s_or_b64 exec, exec, s[6:7]
	s_and_saveexec_b64 s[6:7], s[4:5]
	s_cbranch_execz .LBB1_35669
; %bb.64171:
	s_getpc_b64 s[14:15]
.Lpost_getpc17749:
	s_add_u32 s14, s14, (.LBB1_13995-.Lpost_getpc17749)&4294967295
	s_addc_u32 s15, s15, (.LBB1_13995-.Lpost_getpc17749)>>32
	s_setpc_b64 s[14:15]
.LBB1_35669:
	s_getpc_b64 s[14:15]
.Lpost_getpc3498:
	s_add_u32 s14, s14, (.LBB1_13996-.Lpost_getpc3498)&4294967295
	s_addc_u32 s15, s15, (.LBB1_13996-.Lpost_getpc3498)>>32
	s_setpc_b64 s[14:15]
.LBB1_28333:
	s_movk_i32 s4, 0x80
	v_cmp_eq_u16_sdwa s[12:13], v6, s4 src0_sel:BYTE_0 src1_sel:DWORD
	s_mov_b64 s[4:5], -1
                                        ; implicit-def: $sgpr10
	s_and_saveexec_b64 s[8:9], s[12:13]
; %bb.28334:
	s_mov_b32 s10, 0x7f800001
	s_xor_b64 s[4:5], exec, -1
; %bb.28335:
	s_or_b64 exec, exec, s[8:9]
	s_and_b64 s[4:5], s[4:5], exec
	s_or_saveexec_b64 s[6:7], s[6:7]
	v_mov_b32_e32 v12, s10
	s_xor_b64 exec, exec, s[6:7]
	s_cbranch_execnz .LBB1_28336
; %bb.64173:
	s_getpc_b64 s[14:15]
.Lpost_getpc17750:
	s_add_u32 s14, s14, (.LBB1_13998-.Lpost_getpc17750)&4294967295
	s_addc_u32 s15, s15, (.LBB1_13998-.Lpost_getpc17750)>>32
	s_setpc_b64 s[14:15]
.LBB1_28336:
	v_mov_b32_e32 v12, 0
	v_cmp_ne_u16_sdwa s[8:9], v6, v12 src0_sel:BYTE_0 src1_sel:DWORD
	s_andn2_b64 s[4:5], s[4:5], exec
	s_and_b64 s[8:9], s[8:9], exec
	s_or_b64 s[4:5], s[4:5], s[8:9]
	s_or_b64 exec, exec, s[6:7]
	s_and_saveexec_b64 s[6:7], s[4:5]
	s_cbranch_execz .LBB1_35671
; %bb.64175:
	s_getpc_b64 s[14:15]
.Lpost_getpc17751:
	s_add_u32 s14, s14, (.LBB1_13999-.Lpost_getpc17751)&4294967295
	s_addc_u32 s15, s15, (.LBB1_13999-.Lpost_getpc17751)>>32
	s_setpc_b64 s[14:15]
.LBB1_35671:
	s_getpc_b64 s[14:15]
.Lpost_getpc3499:
	s_add_u32 s14, s14, (.LBB1_14000-.Lpost_getpc3499)&4294967295
	s_addc_u32 s15, s15, (.LBB1_14000-.Lpost_getpc3499)>>32
	s_setpc_b64 s[14:15]
.LBB1_28337:
	s_movk_i32 s4, 0x80
	v_cmp_eq_u16_e32 vcc, s4, v6
	s_mov_b64 s[4:5], -1
                                        ; implicit-def: $sgpr10
	s_and_saveexec_b64 s[8:9], vcc
; %bb.28338:
	s_mov_b32 s10, 0x7f800001
	s_xor_b64 s[4:5], exec, -1
; %bb.28339:
	s_or_b64 exec, exec, s[8:9]
	s_and_b64 s[4:5], s[4:5], exec
                                        ; implicit-def: $vgpr6
	s_or_saveexec_b64 s[6:7], s[6:7]
	v_mov_b32_e32 v2, s10
	s_xor_b64 exec, exec, s[6:7]
	s_cbranch_execnz .LBB1_28340
; %bb.64177:
	s_getpc_b64 s[14:15]
.Lpost_getpc17752:
	s_add_u32 s14, s14, (.LBB1_14002-.Lpost_getpc17752)&4294967295
	s_addc_u32 s15, s15, (.LBB1_14002-.Lpost_getpc17752)>>32
	s_setpc_b64 s[14:15]
.LBB1_28340:
	v_cmp_ne_u16_e32 vcc, 0, v6
	s_andn2_b64 s[4:5], s[4:5], exec
	s_and_b64 s[8:9], vcc, exec
	v_mov_b32_e32 v2, 0
	s_or_b64 s[4:5], s[4:5], s[8:9]
	s_or_b64 exec, exec, s[6:7]
	s_and_saveexec_b64 s[6:7], s[4:5]
	s_cbranch_execz .LBB1_35673
; %bb.64179:
	s_getpc_b64 s[14:15]
.Lpost_getpc17753:
	s_add_u32 s14, s14, (.LBB1_14003-.Lpost_getpc17753)&4294967295
	s_addc_u32 s15, s15, (.LBB1_14003-.Lpost_getpc17753)>>32
	s_setpc_b64 s[14:15]
.LBB1_35673:
	s_getpc_b64 s[14:15]
.Lpost_getpc3500:
	s_add_u32 s14, s14, (.LBB1_14004-.Lpost_getpc3500)&4294967295
	s_addc_u32 s15, s15, (.LBB1_14004-.Lpost_getpc3500)>>32
	s_setpc_b64 s[14:15]
.LBB1_28341:
	s_movk_i32 s4, 0x80
	v_cmp_eq_u16_e32 vcc, s4, v6
	s_mov_b64 s[4:5], -1
                                        ; implicit-def: $sgpr10
	s_and_saveexec_b64 s[8:9], vcc
; %bb.28342:
	s_mov_b32 s10, 0x7f800001
	s_xor_b64 s[4:5], exec, -1
; %bb.28343:
	s_or_b64 exec, exec, s[8:9]
	s_and_b64 s[4:5], s[4:5], exec
                                        ; implicit-def: $vgpr6
	s_or_saveexec_b64 s[6:7], s[6:7]
	v_mov_b32_e32 v12, s10
	s_xor_b64 exec, exec, s[6:7]
	s_cbranch_execnz .LBB1_28344
; %bb.64181:
	s_getpc_b64 s[14:15]
.Lpost_getpc17754:
	s_add_u32 s14, s14, (.LBB1_14006-.Lpost_getpc17754)&4294967295
	s_addc_u32 s15, s15, (.LBB1_14006-.Lpost_getpc17754)>>32
	s_setpc_b64 s[14:15]
.LBB1_28344:
	v_cmp_ne_u16_e32 vcc, 0, v6
	s_andn2_b64 s[4:5], s[4:5], exec
	s_and_b64 s[8:9], vcc, exec
	v_mov_b32_e32 v12, 0
	s_or_b64 s[4:5], s[4:5], s[8:9]
	s_or_b64 exec, exec, s[6:7]
	s_and_saveexec_b64 s[6:7], s[4:5]
	s_cbranch_execz .LBB1_35675
; %bb.64183:
	s_getpc_b64 s[14:15]
.Lpost_getpc17755:
	s_add_u32 s14, s14, (.LBB1_14007-.Lpost_getpc17755)&4294967295
	s_addc_u32 s15, s15, (.LBB1_14007-.Lpost_getpc17755)>>32
	s_setpc_b64 s[14:15]
.LBB1_35675:
	s_getpc_b64 s[14:15]
.Lpost_getpc3501:
	s_add_u32 s14, s14, (.LBB1_14008-.Lpost_getpc3501)&4294967295
	s_addc_u32 s15, s15, (.LBB1_14008-.Lpost_getpc3501)>>32
	s_setpc_b64 s[14:15]
.LBB1_28345:
	s_movk_i32 s4, 0x80
	v_cmp_eq_u16_sdwa s[12:13], v7, s4 src0_sel:BYTE_3 src1_sel:DWORD
	s_mov_b64 s[4:5], -1
                                        ; implicit-def: $sgpr10
	s_and_saveexec_b64 s[8:9], s[12:13]
; %bb.28346:
	s_mov_b32 s10, 0x7f800001
	s_xor_b64 s[4:5], exec, -1
; %bb.28347:
	s_or_b64 exec, exec, s[8:9]
	s_and_b64 s[4:5], s[4:5], exec
	s_or_saveexec_b64 s[6:7], s[6:7]
	v_mov_b32_e32 v2, s10
	s_xor_b64 exec, exec, s[6:7]
	s_cbranch_execnz .LBB1_28348
; %bb.64185:
	s_getpc_b64 s[14:15]
.Lpost_getpc17756:
	s_add_u32 s14, s14, (.LBB1_14010-.Lpost_getpc17756)&4294967295
	s_addc_u32 s15, s15, (.LBB1_14010-.Lpost_getpc17756)>>32
	s_setpc_b64 s[14:15]
.LBB1_28348:
	v_mov_b32_e32 v2, 0
	v_cmp_ne_u16_sdwa s[8:9], v7, v2 src0_sel:BYTE_3 src1_sel:DWORD
	s_andn2_b64 s[4:5], s[4:5], exec
	s_and_b64 s[8:9], s[8:9], exec
	s_or_b64 s[4:5], s[4:5], s[8:9]
	s_or_b64 exec, exec, s[6:7]
	s_and_saveexec_b64 s[6:7], s[4:5]
	s_cbranch_execz .LBB1_35677
; %bb.64187:
	s_getpc_b64 s[14:15]
.Lpost_getpc17757:
	s_add_u32 s14, s14, (.LBB1_14011-.Lpost_getpc17757)&4294967295
	s_addc_u32 s15, s15, (.LBB1_14011-.Lpost_getpc17757)>>32
	s_setpc_b64 s[14:15]
.LBB1_35677:
	s_getpc_b64 s[14:15]
.Lpost_getpc3502:
	s_add_u32 s14, s14, (.LBB1_14012-.Lpost_getpc3502)&4294967295
	s_addc_u32 s15, s15, (.LBB1_14012-.Lpost_getpc3502)>>32
	s_setpc_b64 s[14:15]
.LBB1_28349:
	s_movk_i32 s4, 0x80
	v_cmp_eq_u16_sdwa s[12:13], v3, s4 src0_sel:BYTE_3 src1_sel:DWORD
	s_mov_b64 s[4:5], -1
                                        ; implicit-def: $sgpr10
	s_and_saveexec_b64 s[8:9], s[12:13]
; %bb.28350:
	s_mov_b32 s10, 0x7f800001
	s_xor_b64 s[4:5], exec, -1
; %bb.28351:
	s_or_b64 exec, exec, s[8:9]
	s_and_b64 s[4:5], s[4:5], exec
	s_or_saveexec_b64 s[6:7], s[6:7]
	v_mov_b32_e32 v6, s10
	s_xor_b64 exec, exec, s[6:7]
	s_cbranch_execnz .LBB1_28352
; %bb.64189:
	s_getpc_b64 s[14:15]
.Lpost_getpc17758:
	s_add_u32 s14, s14, (.LBB1_14014-.Lpost_getpc17758)&4294967295
	s_addc_u32 s15, s15, (.LBB1_14014-.Lpost_getpc17758)>>32
	s_setpc_b64 s[14:15]
.LBB1_28352:
	v_mov_b32_e32 v6, 0
	v_cmp_ne_u16_sdwa s[8:9], v3, v6 src0_sel:BYTE_3 src1_sel:DWORD
	s_andn2_b64 s[4:5], s[4:5], exec
	s_and_b64 s[8:9], s[8:9], exec
	s_or_b64 s[4:5], s[4:5], s[8:9]
	s_or_b64 exec, exec, s[6:7]
	s_and_saveexec_b64 s[6:7], s[4:5]
	s_cbranch_execz .LBB1_35679
; %bb.64191:
	s_getpc_b64 s[14:15]
.Lpost_getpc17759:
	s_add_u32 s14, s14, (.LBB1_14015-.Lpost_getpc17759)&4294967295
	s_addc_u32 s15, s15, (.LBB1_14015-.Lpost_getpc17759)>>32
	s_setpc_b64 s[14:15]
.LBB1_35679:
	s_getpc_b64 s[14:15]
.Lpost_getpc3503:
	s_add_u32 s14, s14, (.LBB1_14016-.Lpost_getpc3503)&4294967295
	s_addc_u32 s15, s15, (.LBB1_14016-.Lpost_getpc3503)>>32
	s_setpc_b64 s[14:15]
.LBB1_28353:
	s_movk_i32 s4, 0x80
	v_cmp_eq_u16_sdwa s[12:13], v8, s4 src0_sel:BYTE_0 src1_sel:DWORD
	s_mov_b64 s[4:5], -1
                                        ; implicit-def: $sgpr10
	s_and_saveexec_b64 s[8:9], s[12:13]
; %bb.28354:
	s_mov_b32 s10, 0x7f800001
	s_xor_b64 s[4:5], exec, -1
; %bb.28355:
	s_or_b64 exec, exec, s[8:9]
	s_and_b64 s[4:5], s[4:5], exec
	s_or_saveexec_b64 s[6:7], s[6:7]
	v_mov_b32_e32 v2, s10
	s_xor_b64 exec, exec, s[6:7]
	s_cbranch_execnz .LBB1_28356
; %bb.64193:
	s_getpc_b64 s[14:15]
.Lpost_getpc17760:
	s_add_u32 s14, s14, (.LBB1_14018-.Lpost_getpc17760)&4294967295
	s_addc_u32 s15, s15, (.LBB1_14018-.Lpost_getpc17760)>>32
	s_setpc_b64 s[14:15]
.LBB1_28356:
	v_mov_b32_e32 v2, 0
	v_cmp_ne_u16_sdwa s[8:9], v8, v2 src0_sel:BYTE_0 src1_sel:DWORD
	s_andn2_b64 s[4:5], s[4:5], exec
	s_and_b64 s[8:9], s[8:9], exec
	s_or_b64 s[4:5], s[4:5], s[8:9]
	s_or_b64 exec, exec, s[6:7]
	s_and_saveexec_b64 s[6:7], s[4:5]
	s_cbranch_execz .LBB1_35681
; %bb.64195:
	s_getpc_b64 s[14:15]
.Lpost_getpc17761:
	s_add_u32 s14, s14, (.LBB1_14019-.Lpost_getpc17761)&4294967295
	s_addc_u32 s15, s15, (.LBB1_14019-.Lpost_getpc17761)>>32
	s_setpc_b64 s[14:15]
.LBB1_35681:
	s_getpc_b64 s[14:15]
.Lpost_getpc3504:
	s_add_u32 s14, s14, (.LBB1_14020-.Lpost_getpc3504)&4294967295
	s_addc_u32 s15, s15, (.LBB1_14020-.Lpost_getpc3504)>>32
	s_setpc_b64 s[14:15]
.LBB1_28357:
	s_movk_i32 s4, 0x80
	v_cmp_eq_u16_sdwa s[12:13], v4, s4 src0_sel:BYTE_0 src1_sel:DWORD
	s_mov_b64 s[4:5], -1
                                        ; implicit-def: $sgpr10
	s_and_saveexec_b64 s[8:9], s[12:13]
; %bb.28358:
	s_mov_b32 s10, 0x7f800001
	s_xor_b64 s[4:5], exec, -1
; %bb.28359:
	s_or_b64 exec, exec, s[8:9]
	s_and_b64 s[4:5], s[4:5], exec
	s_or_saveexec_b64 s[6:7], s[6:7]
	v_mov_b32_e32 v3, s10
	s_xor_b64 exec, exec, s[6:7]
	s_cbranch_execnz .LBB1_28360
; %bb.64197:
	s_getpc_b64 s[14:15]
.Lpost_getpc17762:
	s_add_u32 s14, s14, (.LBB1_14022-.Lpost_getpc17762)&4294967295
	s_addc_u32 s15, s15, (.LBB1_14022-.Lpost_getpc17762)>>32
	s_setpc_b64 s[14:15]
.LBB1_28360:
	v_mov_b32_e32 v3, 0
	v_cmp_ne_u16_sdwa s[8:9], v4, v3 src0_sel:BYTE_0 src1_sel:DWORD
	s_andn2_b64 s[4:5], s[4:5], exec
	s_and_b64 s[8:9], s[8:9], exec
	s_or_b64 s[4:5], s[4:5], s[8:9]
	s_or_b64 exec, exec, s[6:7]
	s_and_saveexec_b64 s[6:7], s[4:5]
	s_cbranch_execz .LBB1_35683
; %bb.64199:
	s_getpc_b64 s[14:15]
.Lpost_getpc17763:
	s_add_u32 s14, s14, (.LBB1_14023-.Lpost_getpc17763)&4294967295
	s_addc_u32 s15, s15, (.LBB1_14023-.Lpost_getpc17763)>>32
	s_setpc_b64 s[14:15]
.LBB1_35683:
	s_getpc_b64 s[14:15]
.Lpost_getpc3505:
	s_add_u32 s14, s14, (.LBB1_14024-.Lpost_getpc3505)&4294967295
	s_addc_u32 s15, s15, (.LBB1_14024-.Lpost_getpc3505)>>32
	s_setpc_b64 s[14:15]
.LBB1_28361:
	s_movk_i32 s4, 0x80
	v_cmp_eq_u16_sdwa s[12:13], v3, s4 src0_sel:BYTE_0 src1_sel:DWORD
	s_mov_b64 s[4:5], -1
                                        ; implicit-def: $sgpr10
	s_and_saveexec_b64 s[8:9], s[12:13]
; %bb.28362:
	s_mov_b32 s10, 0x7f800001
	s_xor_b64 s[4:5], exec, -1
; %bb.28363:
	s_or_b64 exec, exec, s[8:9]
	s_and_b64 s[4:5], s[4:5], exec
	s_or_saveexec_b64 s[6:7], s[6:7]
	v_mov_b32_e32 v2, s10
	s_xor_b64 exec, exec, s[6:7]
	s_cbranch_execnz .LBB1_28364
; %bb.64201:
	s_getpc_b64 s[14:15]
.Lpost_getpc17764:
	s_add_u32 s14, s14, (.LBB1_14026-.Lpost_getpc17764)&4294967295
	s_addc_u32 s15, s15, (.LBB1_14026-.Lpost_getpc17764)>>32
	s_setpc_b64 s[14:15]
.LBB1_28364:
	v_mov_b32_e32 v2, 0
	v_cmp_ne_u16_sdwa s[8:9], v3, v2 src0_sel:BYTE_0 src1_sel:DWORD
	s_andn2_b64 s[4:5], s[4:5], exec
	s_and_b64 s[8:9], s[8:9], exec
	s_or_b64 s[4:5], s[4:5], s[8:9]
	s_or_b64 exec, exec, s[6:7]
	s_and_saveexec_b64 s[6:7], s[4:5]
	s_cbranch_execz .LBB1_35685
; %bb.64203:
	s_getpc_b64 s[14:15]
.Lpost_getpc17765:
	s_add_u32 s14, s14, (.LBB1_14027-.Lpost_getpc17765)&4294967295
	s_addc_u32 s15, s15, (.LBB1_14027-.Lpost_getpc17765)>>32
	s_setpc_b64 s[14:15]
.LBB1_35685:
	s_getpc_b64 s[14:15]
.Lpost_getpc3506:
	s_add_u32 s14, s14, (.LBB1_14028-.Lpost_getpc3506)&4294967295
	s_addc_u32 s15, s15, (.LBB1_14028-.Lpost_getpc3506)>>32
	s_setpc_b64 s[14:15]
.LBB1_28365:
	s_movk_i32 s4, 0x80
	v_cmp_eq_u16_sdwa s[12:13], v3, s4 src0_sel:BYTE_0 src1_sel:DWORD
	s_mov_b64 s[4:5], -1
                                        ; implicit-def: $sgpr10
	s_and_saveexec_b64 s[8:9], s[12:13]
; %bb.28366:
	s_mov_b32 s10, 0x7f800001
	s_xor_b64 s[4:5], exec, -1
; %bb.28367:
	s_or_b64 exec, exec, s[8:9]
	s_and_b64 s[4:5], s[4:5], exec
	s_or_saveexec_b64 s[6:7], s[6:7]
	v_mov_b32_e32 v6, s10
	s_xor_b64 exec, exec, s[6:7]
	s_cbranch_execnz .LBB1_28368
; %bb.64205:
	s_getpc_b64 s[14:15]
.Lpost_getpc17766:
	s_add_u32 s14, s14, (.LBB1_14030-.Lpost_getpc17766)&4294967295
	s_addc_u32 s15, s15, (.LBB1_14030-.Lpost_getpc17766)>>32
	s_setpc_b64 s[14:15]
.LBB1_28368:
	v_mov_b32_e32 v6, 0
	v_cmp_ne_u16_sdwa s[8:9], v3, v6 src0_sel:BYTE_0 src1_sel:DWORD
	s_andn2_b64 s[4:5], s[4:5], exec
	s_and_b64 s[8:9], s[8:9], exec
	s_or_b64 s[4:5], s[4:5], s[8:9]
	s_or_b64 exec, exec, s[6:7]
	s_and_saveexec_b64 s[6:7], s[4:5]
	s_cbranch_execz .LBB1_35687
; %bb.64207:
	s_getpc_b64 s[14:15]
.Lpost_getpc17767:
	s_add_u32 s14, s14, (.LBB1_14031-.Lpost_getpc17767)&4294967295
	s_addc_u32 s15, s15, (.LBB1_14031-.Lpost_getpc17767)>>32
	s_setpc_b64 s[14:15]
.LBB1_35687:
	s_getpc_b64 s[14:15]
.Lpost_getpc3507:
	s_add_u32 s14, s14, (.LBB1_14032-.Lpost_getpc3507)&4294967295
	s_addc_u32 s15, s15, (.LBB1_14032-.Lpost_getpc3507)>>32
	s_setpc_b64 s[14:15]
.LBB1_28369:
	s_movk_i32 s4, 0x80
	v_cmp_eq_u16_e32 vcc, s4, v3
	s_mov_b64 s[4:5], -1
                                        ; implicit-def: $sgpr10
	s_and_saveexec_b64 s[8:9], vcc
; %bb.28370:
	s_mov_b32 s10, 0x7f800001
	s_xor_b64 s[4:5], exec, -1
; %bb.28371:
	s_or_b64 exec, exec, s[8:9]
	s_and_b64 s[4:5], s[4:5], exec
                                        ; implicit-def: $vgpr3
	s_or_saveexec_b64 s[6:7], s[6:7]
	v_mov_b32_e32 v2, s10
	s_xor_b64 exec, exec, s[6:7]
	s_cbranch_execnz .LBB1_28372
; %bb.64209:
	s_getpc_b64 s[14:15]
.Lpost_getpc17768:
	s_add_u32 s14, s14, (.LBB1_14034-.Lpost_getpc17768)&4294967295
	s_addc_u32 s15, s15, (.LBB1_14034-.Lpost_getpc17768)>>32
	s_setpc_b64 s[14:15]
.LBB1_28372:
	v_cmp_ne_u16_e32 vcc, 0, v3
	s_andn2_b64 s[4:5], s[4:5], exec
	s_and_b64 s[8:9], vcc, exec
	v_mov_b32_e32 v2, 0
	s_or_b64 s[4:5], s[4:5], s[8:9]
	s_or_b64 exec, exec, s[6:7]
	s_and_saveexec_b64 s[6:7], s[4:5]
	s_cbranch_execz .LBB1_35689
; %bb.64211:
	s_getpc_b64 s[14:15]
.Lpost_getpc17769:
	s_add_u32 s14, s14, (.LBB1_14035-.Lpost_getpc17769)&4294967295
	s_addc_u32 s15, s15, (.LBB1_14035-.Lpost_getpc17769)>>32
	s_setpc_b64 s[14:15]
.LBB1_35689:
	s_getpc_b64 s[14:15]
.Lpost_getpc3508:
	s_add_u32 s14, s14, (.LBB1_14036-.Lpost_getpc3508)&4294967295
	s_addc_u32 s15, s15, (.LBB1_14036-.Lpost_getpc3508)>>32
	s_setpc_b64 s[14:15]
.LBB1_28373:
	s_movk_i32 s4, 0x80
	v_cmp_eq_u16_e32 vcc, s4, v3
	s_mov_b64 s[4:5], -1
                                        ; implicit-def: $sgpr10
	s_and_saveexec_b64 s[8:9], vcc
; %bb.28374:
	s_mov_b32 s10, 0x7f800001
	s_xor_b64 s[4:5], exec, -1
; %bb.28375:
	s_or_b64 exec, exec, s[8:9]
	s_and_b64 s[4:5], s[4:5], exec
                                        ; implicit-def: $vgpr3
	s_or_saveexec_b64 s[6:7], s[6:7]
	v_mov_b32_e32 v6, s10
	s_xor_b64 exec, exec, s[6:7]
	s_cbranch_execnz .LBB1_28376
; %bb.64213:
	s_getpc_b64 s[14:15]
.Lpost_getpc17770:
	s_add_u32 s14, s14, (.LBB1_14038-.Lpost_getpc17770)&4294967295
	s_addc_u32 s15, s15, (.LBB1_14038-.Lpost_getpc17770)>>32
	s_setpc_b64 s[14:15]
.LBB1_28376:
	v_cmp_ne_u16_e32 vcc, 0, v3
	s_andn2_b64 s[4:5], s[4:5], exec
	s_and_b64 s[8:9], vcc, exec
	v_mov_b32_e32 v6, 0
	s_or_b64 s[4:5], s[4:5], s[8:9]
	s_or_b64 exec, exec, s[6:7]
	s_and_saveexec_b64 s[6:7], s[4:5]
	s_cbranch_execz .LBB1_35691
; %bb.64215:
	s_getpc_b64 s[14:15]
.Lpost_getpc17771:
	s_add_u32 s14, s14, (.LBB1_14039-.Lpost_getpc17771)&4294967295
	s_addc_u32 s15, s15, (.LBB1_14039-.Lpost_getpc17771)>>32
	s_setpc_b64 s[14:15]
.LBB1_35691:
	s_getpc_b64 s[14:15]
.Lpost_getpc3509:
	s_add_u32 s14, s14, (.LBB1_14040-.Lpost_getpc3509)&4294967295
	s_addc_u32 s15, s15, (.LBB1_14040-.Lpost_getpc3509)>>32
	s_setpc_b64 s[14:15]
.LBB1_28377:
	s_movk_i32 s4, 0x80
	v_cmp_eq_u16_sdwa s[12:13], v8, s4 src0_sel:BYTE_3 src1_sel:DWORD
	s_mov_b64 s[4:5], -1
                                        ; implicit-def: $sgpr10
	s_and_saveexec_b64 s[8:9], s[12:13]
; %bb.28378:
	s_mov_b32 s10, 0x7f800001
	s_xor_b64 s[4:5], exec, -1
; %bb.28379:
	s_or_b64 exec, exec, s[8:9]
	s_and_b64 s[4:5], s[4:5], exec
	s_or_saveexec_b64 s[6:7], s[6:7]
	v_mov_b32_e32 v2, s10
	s_xor_b64 exec, exec, s[6:7]
	s_cbranch_execnz .LBB1_28380
; %bb.64217:
	s_getpc_b64 s[14:15]
.Lpost_getpc17772:
	s_add_u32 s14, s14, (.LBB1_14042-.Lpost_getpc17772)&4294967295
	s_addc_u32 s15, s15, (.LBB1_14042-.Lpost_getpc17772)>>32
	s_setpc_b64 s[14:15]
.LBB1_28380:
	v_mov_b32_e32 v2, 0
	v_cmp_ne_u16_sdwa s[8:9], v8, v2 src0_sel:BYTE_3 src1_sel:DWORD
	s_andn2_b64 s[4:5], s[4:5], exec
	s_and_b64 s[8:9], s[8:9], exec
	s_or_b64 s[4:5], s[4:5], s[8:9]
	s_or_b64 exec, exec, s[6:7]
	s_and_saveexec_b64 s[6:7], s[4:5]
	s_cbranch_execz .LBB1_35693
; %bb.64219:
	s_getpc_b64 s[14:15]
.Lpost_getpc17773:
	s_add_u32 s14, s14, (.LBB1_14043-.Lpost_getpc17773)&4294967295
	s_addc_u32 s15, s15, (.LBB1_14043-.Lpost_getpc17773)>>32
	s_setpc_b64 s[14:15]
.LBB1_35693:
	s_getpc_b64 s[14:15]
.Lpost_getpc3510:
	s_add_u32 s14, s14, (.LBB1_14044-.Lpost_getpc3510)&4294967295
	s_addc_u32 s15, s15, (.LBB1_14044-.Lpost_getpc3510)>>32
	s_setpc_b64 s[14:15]
.LBB1_28381:
	s_movk_i32 s4, 0x80
	v_cmp_eq_u16_sdwa s[12:13], v4, s4 src0_sel:BYTE_3 src1_sel:DWORD
	s_mov_b64 s[4:5], -1
                                        ; implicit-def: $sgpr10
	s_and_saveexec_b64 s[8:9], s[12:13]
; %bb.28382:
	s_mov_b32 s10, 0x7f800001
	s_xor_b64 s[4:5], exec, -1
; %bb.28383:
	s_or_b64 exec, exec, s[8:9]
	s_and_b64 s[4:5], s[4:5], exec
	s_or_saveexec_b64 s[6:7], s[6:7]
	v_mov_b32_e32 v3, s10
	s_xor_b64 exec, exec, s[6:7]
	s_cbranch_execnz .LBB1_28384
; %bb.64221:
	s_getpc_b64 s[14:15]
.Lpost_getpc17774:
	s_add_u32 s14, s14, (.LBB1_14046-.Lpost_getpc17774)&4294967295
	s_addc_u32 s15, s15, (.LBB1_14046-.Lpost_getpc17774)>>32
	s_setpc_b64 s[14:15]
.LBB1_28384:
	v_mov_b32_e32 v3, 0
	v_cmp_ne_u16_sdwa s[8:9], v4, v3 src0_sel:BYTE_3 src1_sel:DWORD
	s_andn2_b64 s[4:5], s[4:5], exec
	s_and_b64 s[8:9], s[8:9], exec
	s_or_b64 s[4:5], s[4:5], s[8:9]
	s_or_b64 exec, exec, s[6:7]
	s_and_saveexec_b64 s[6:7], s[4:5]
	s_cbranch_execz .LBB1_35695
; %bb.64223:
	s_getpc_b64 s[14:15]
.Lpost_getpc17775:
	s_add_u32 s14, s14, (.LBB1_14047-.Lpost_getpc17775)&4294967295
	s_addc_u32 s15, s15, (.LBB1_14047-.Lpost_getpc17775)>>32
	s_setpc_b64 s[14:15]
.LBB1_35695:
	s_getpc_b64 s[14:15]
.Lpost_getpc3511:
	s_add_u32 s14, s14, (.LBB1_14048-.Lpost_getpc3511)&4294967295
	s_addc_u32 s15, s15, (.LBB1_14048-.Lpost_getpc3511)>>32
	s_setpc_b64 s[14:15]
.LBB1_28385:
	s_movk_i32 s4, 0x80
	v_cmp_eq_u16_sdwa s[12:13], v9, s4 src0_sel:BYTE_0 src1_sel:DWORD
	s_mov_b64 s[4:5], -1
                                        ; implicit-def: $sgpr10
	s_and_saveexec_b64 s[8:9], s[12:13]
; %bb.28386:
	s_mov_b32 s10, 0x7f800001
	s_xor_b64 s[4:5], exec, -1
; %bb.28387:
	s_or_b64 exec, exec, s[8:9]
	s_and_b64 s[4:5], s[4:5], exec
	s_or_saveexec_b64 s[6:7], s[6:7]
	v_mov_b32_e32 v2, s10
	s_xor_b64 exec, exec, s[6:7]
	s_cbranch_execnz .LBB1_28388
; %bb.64225:
	s_getpc_b64 s[14:15]
.Lpost_getpc17776:
	s_add_u32 s14, s14, (.LBB1_14050-.Lpost_getpc17776)&4294967295
	s_addc_u32 s15, s15, (.LBB1_14050-.Lpost_getpc17776)>>32
	s_setpc_b64 s[14:15]
.LBB1_28388:
	v_mov_b32_e32 v2, 0
	v_cmp_ne_u16_sdwa s[8:9], v9, v2 src0_sel:BYTE_0 src1_sel:DWORD
	s_andn2_b64 s[4:5], s[4:5], exec
	s_and_b64 s[8:9], s[8:9], exec
	s_or_b64 s[4:5], s[4:5], s[8:9]
	s_or_b64 exec, exec, s[6:7]
	s_and_saveexec_b64 s[6:7], s[4:5]
	s_cbranch_execz .LBB1_35697
; %bb.64227:
	s_getpc_b64 s[14:15]
.Lpost_getpc17777:
	s_add_u32 s14, s14, (.LBB1_14051-.Lpost_getpc17777)&4294967295
	s_addc_u32 s15, s15, (.LBB1_14051-.Lpost_getpc17777)>>32
	s_setpc_b64 s[14:15]
.LBB1_35697:
	s_getpc_b64 s[14:15]
.Lpost_getpc3512:
	s_add_u32 s14, s14, (.LBB1_14052-.Lpost_getpc3512)&4294967295
	s_addc_u32 s15, s15, (.LBB1_14052-.Lpost_getpc3512)>>32
	s_setpc_b64 s[14:15]
.LBB1_28389:
	s_movk_i32 s4, 0x80
	v_cmp_eq_u16_sdwa s[12:13], v5, s4 src0_sel:BYTE_0 src1_sel:DWORD
	s_mov_b64 s[4:5], -1
                                        ; implicit-def: $sgpr10
	s_and_saveexec_b64 s[8:9], s[12:13]
; %bb.28390:
	s_mov_b32 s10, 0x7f800001
	s_xor_b64 s[4:5], exec, -1
; %bb.28391:
	s_or_b64 exec, exec, s[8:9]
	s_and_b64 s[4:5], s[4:5], exec
	s_or_saveexec_b64 s[6:7], s[6:7]
	v_mov_b32_e32 v3, s10
	s_xor_b64 exec, exec, s[6:7]
	s_cbranch_execnz .LBB1_28392
; %bb.64229:
	s_getpc_b64 s[14:15]
.Lpost_getpc17778:
	s_add_u32 s14, s14, (.LBB1_14054-.Lpost_getpc17778)&4294967295
	s_addc_u32 s15, s15, (.LBB1_14054-.Lpost_getpc17778)>>32
	s_setpc_b64 s[14:15]
.LBB1_28392:
	v_mov_b32_e32 v3, 0
	v_cmp_ne_u16_sdwa s[8:9], v5, v3 src0_sel:BYTE_0 src1_sel:DWORD
	s_andn2_b64 s[4:5], s[4:5], exec
	s_and_b64 s[8:9], s[8:9], exec
	s_or_b64 s[4:5], s[4:5], s[8:9]
	s_or_b64 exec, exec, s[6:7]
	s_and_saveexec_b64 s[6:7], s[4:5]
	s_cbranch_execz .LBB1_35699
; %bb.64231:
	s_getpc_b64 s[14:15]
.Lpost_getpc17779:
	s_add_u32 s14, s14, (.LBB1_14055-.Lpost_getpc17779)&4294967295
	s_addc_u32 s15, s15, (.LBB1_14055-.Lpost_getpc17779)>>32
	s_setpc_b64 s[14:15]
.LBB1_35699:
	s_getpc_b64 s[14:15]
.Lpost_getpc3513:
	s_add_u32 s14, s14, (.LBB1_14056-.Lpost_getpc3513)&4294967295
	s_addc_u32 s15, s15, (.LBB1_14056-.Lpost_getpc3513)>>32
	s_setpc_b64 s[14:15]
.LBB1_28393:
	s_movk_i32 s4, 0x80
	v_cmp_eq_u16_sdwa s[12:13], v3, s4 src0_sel:BYTE_0 src1_sel:DWORD
	s_mov_b64 s[4:5], -1
                                        ; implicit-def: $sgpr10
	s_and_saveexec_b64 s[8:9], s[12:13]
; %bb.28394:
	s_mov_b32 s10, 0x7f800001
	s_xor_b64 s[4:5], exec, -1
; %bb.28395:
	s_or_b64 exec, exec, s[8:9]
	s_and_b64 s[4:5], s[4:5], exec
	s_or_saveexec_b64 s[6:7], s[6:7]
	v_mov_b32_e32 v2, s10
	s_xor_b64 exec, exec, s[6:7]
	s_cbranch_execnz .LBB1_28396
; %bb.64233:
	s_getpc_b64 s[14:15]
.Lpost_getpc17780:
	s_add_u32 s14, s14, (.LBB1_14058-.Lpost_getpc17780)&4294967295
	s_addc_u32 s15, s15, (.LBB1_14058-.Lpost_getpc17780)>>32
	s_setpc_b64 s[14:15]
.LBB1_28396:
	v_mov_b32_e32 v2, 0
	v_cmp_ne_u16_sdwa s[8:9], v3, v2 src0_sel:BYTE_0 src1_sel:DWORD
	s_andn2_b64 s[4:5], s[4:5], exec
	s_and_b64 s[8:9], s[8:9], exec
	s_or_b64 s[4:5], s[4:5], s[8:9]
	s_or_b64 exec, exec, s[6:7]
	s_and_saveexec_b64 s[6:7], s[4:5]
	s_cbranch_execz .LBB1_35701
; %bb.64235:
	s_getpc_b64 s[14:15]
.Lpost_getpc17781:
	s_add_u32 s14, s14, (.LBB1_14059-.Lpost_getpc17781)&4294967295
	s_addc_u32 s15, s15, (.LBB1_14059-.Lpost_getpc17781)>>32
	s_setpc_b64 s[14:15]
.LBB1_35701:
	s_getpc_b64 s[14:15]
.Lpost_getpc3514:
	s_add_u32 s14, s14, (.LBB1_14060-.Lpost_getpc3514)&4294967295
	s_addc_u32 s15, s15, (.LBB1_14060-.Lpost_getpc3514)>>32
	s_setpc_b64 s[14:15]
.LBB1_28397:
	s_movk_i32 s4, 0x80
	v_cmp_eq_u16_sdwa s[12:13], v3, s4 src0_sel:BYTE_0 src1_sel:DWORD
	s_mov_b64 s[4:5], -1
                                        ; implicit-def: $sgpr10
	s_and_saveexec_b64 s[8:9], s[12:13]
; %bb.28398:
	s_mov_b32 s10, 0x7f800001
	s_xor_b64 s[4:5], exec, -1
; %bb.28399:
	s_or_b64 exec, exec, s[8:9]
	s_and_b64 s[4:5], s[4:5], exec
	s_or_saveexec_b64 s[6:7], s[6:7]
	v_mov_b32_e32 v4, s10
	s_xor_b64 exec, exec, s[6:7]
	s_cbranch_execnz .LBB1_28400
; %bb.64237:
	s_getpc_b64 s[14:15]
.Lpost_getpc17782:
	s_add_u32 s14, s14, (.LBB1_14062-.Lpost_getpc17782)&4294967295
	s_addc_u32 s15, s15, (.LBB1_14062-.Lpost_getpc17782)>>32
	s_setpc_b64 s[14:15]
.LBB1_28400:
	v_mov_b32_e32 v4, 0
	v_cmp_ne_u16_sdwa s[8:9], v3, v4 src0_sel:BYTE_0 src1_sel:DWORD
	s_andn2_b64 s[4:5], s[4:5], exec
	s_and_b64 s[8:9], s[8:9], exec
	s_or_b64 s[4:5], s[4:5], s[8:9]
	s_or_b64 exec, exec, s[6:7]
	s_and_saveexec_b64 s[6:7], s[4:5]
	s_cbranch_execz .LBB1_35703
; %bb.64239:
	s_getpc_b64 s[14:15]
.Lpost_getpc17783:
	s_add_u32 s14, s14, (.LBB1_14063-.Lpost_getpc17783)&4294967295
	s_addc_u32 s15, s15, (.LBB1_14063-.Lpost_getpc17783)>>32
	s_setpc_b64 s[14:15]
.LBB1_35703:
	s_getpc_b64 s[14:15]
.Lpost_getpc3515:
	s_add_u32 s14, s14, (.LBB1_14064-.Lpost_getpc3515)&4294967295
	s_addc_u32 s15, s15, (.LBB1_14064-.Lpost_getpc3515)>>32
	s_setpc_b64 s[14:15]
.LBB1_28401:
	s_movk_i32 s4, 0x80
	v_cmp_eq_u16_e32 vcc, s4, v3
	s_mov_b64 s[4:5], -1
                                        ; implicit-def: $sgpr10
	s_and_saveexec_b64 s[8:9], vcc
; %bb.28402:
	s_mov_b32 s10, 0x7f800001
	s_xor_b64 s[4:5], exec, -1
; %bb.28403:
	s_or_b64 exec, exec, s[8:9]
	s_and_b64 s[4:5], s[4:5], exec
                                        ; implicit-def: $vgpr3
	s_or_saveexec_b64 s[6:7], s[6:7]
	v_mov_b32_e32 v2, s10
	s_xor_b64 exec, exec, s[6:7]
	s_cbranch_execnz .LBB1_28404
; %bb.64241:
	s_getpc_b64 s[14:15]
.Lpost_getpc17784:
	s_add_u32 s14, s14, (.LBB1_14066-.Lpost_getpc17784)&4294967295
	s_addc_u32 s15, s15, (.LBB1_14066-.Lpost_getpc17784)>>32
	s_setpc_b64 s[14:15]
.LBB1_28404:
	v_cmp_ne_u16_e32 vcc, 0, v3
	s_andn2_b64 s[4:5], s[4:5], exec
	s_and_b64 s[8:9], vcc, exec
	v_mov_b32_e32 v2, 0
	s_or_b64 s[4:5], s[4:5], s[8:9]
	s_or_b64 exec, exec, s[6:7]
	s_and_saveexec_b64 s[6:7], s[4:5]
	s_cbranch_execz .LBB1_35705
; %bb.64243:
	s_getpc_b64 s[14:15]
.Lpost_getpc17785:
	s_add_u32 s14, s14, (.LBB1_14067-.Lpost_getpc17785)&4294967295
	s_addc_u32 s15, s15, (.LBB1_14067-.Lpost_getpc17785)>>32
	s_setpc_b64 s[14:15]
.LBB1_35705:
	s_getpc_b64 s[14:15]
.Lpost_getpc3516:
	s_add_u32 s14, s14, (.LBB1_14068-.Lpost_getpc3516)&4294967295
	s_addc_u32 s15, s15, (.LBB1_14068-.Lpost_getpc3516)>>32
	s_setpc_b64 s[14:15]
.LBB1_28405:
	s_movk_i32 s4, 0x80
	v_cmp_eq_u16_e32 vcc, s4, v3
	s_mov_b64 s[4:5], -1
                                        ; implicit-def: $sgpr10
	s_and_saveexec_b64 s[8:9], vcc
; %bb.28406:
	s_mov_b32 s10, 0x7f800001
	s_xor_b64 s[4:5], exec, -1
; %bb.28407:
	s_or_b64 exec, exec, s[8:9]
	s_and_b64 s[4:5], s[4:5], exec
                                        ; implicit-def: $vgpr3
	s_or_saveexec_b64 s[6:7], s[6:7]
	v_mov_b32_e32 v4, s10
	s_xor_b64 exec, exec, s[6:7]
	s_cbranch_execnz .LBB1_28408
; %bb.64245:
	s_getpc_b64 s[14:15]
.Lpost_getpc17786:
	s_add_u32 s14, s14, (.LBB1_14070-.Lpost_getpc17786)&4294967295
	s_addc_u32 s15, s15, (.LBB1_14070-.Lpost_getpc17786)>>32
	s_setpc_b64 s[14:15]
.LBB1_28408:
	v_cmp_ne_u16_e32 vcc, 0, v3
	s_andn2_b64 s[4:5], s[4:5], exec
	s_and_b64 s[8:9], vcc, exec
	v_mov_b32_e32 v4, 0
	s_or_b64 s[4:5], s[4:5], s[8:9]
	s_or_b64 exec, exec, s[6:7]
	s_and_saveexec_b64 s[6:7], s[4:5]
	s_cbranch_execz .LBB1_35707
; %bb.64247:
	s_getpc_b64 s[14:15]
.Lpost_getpc17787:
	s_add_u32 s14, s14, (.LBB1_14071-.Lpost_getpc17787)&4294967295
	s_addc_u32 s15, s15, (.LBB1_14071-.Lpost_getpc17787)>>32
	s_setpc_b64 s[14:15]
.LBB1_35707:
	s_getpc_b64 s[14:15]
.Lpost_getpc3517:
	s_add_u32 s14, s14, (.LBB1_14072-.Lpost_getpc3517)&4294967295
	s_addc_u32 s15, s15, (.LBB1_14072-.Lpost_getpc3517)>>32
	s_setpc_b64 s[14:15]
.LBB1_28409:
	s_movk_i32 s4, 0x80
	v_cmp_eq_u16_sdwa s[12:13], v9, s4 src0_sel:BYTE_3 src1_sel:DWORD
	s_mov_b64 s[4:5], -1
                                        ; implicit-def: $sgpr10
	s_and_saveexec_b64 s[8:9], s[12:13]
; %bb.28410:
	s_mov_b32 s10, 0x7f800001
	s_xor_b64 s[4:5], exec, -1
; %bb.28411:
	s_or_b64 exec, exec, s[8:9]
	s_and_b64 s[4:5], s[4:5], exec
	s_or_saveexec_b64 s[6:7], s[6:7]
	v_mov_b32_e32 v2, s10
	s_xor_b64 exec, exec, s[6:7]
	s_cbranch_execnz .LBB1_28412
; %bb.64249:
	s_getpc_b64 s[14:15]
.Lpost_getpc17788:
	s_add_u32 s14, s14, (.LBB1_14074-.Lpost_getpc17788)&4294967295
	s_addc_u32 s15, s15, (.LBB1_14074-.Lpost_getpc17788)>>32
	s_setpc_b64 s[14:15]
.LBB1_28412:
	v_mov_b32_e32 v2, 0
	v_cmp_ne_u16_sdwa s[8:9], v9, v2 src0_sel:BYTE_3 src1_sel:DWORD
	s_andn2_b64 s[4:5], s[4:5], exec
	s_and_b64 s[8:9], s[8:9], exec
	s_or_b64 s[4:5], s[4:5], s[8:9]
	s_or_b64 exec, exec, s[6:7]
	s_and_saveexec_b64 s[6:7], s[4:5]
	s_cbranch_execz .LBB1_35709
; %bb.64251:
	s_getpc_b64 s[14:15]
.Lpost_getpc17789:
	s_add_u32 s14, s14, (.LBB1_14075-.Lpost_getpc17789)&4294967295
	s_addc_u32 s15, s15, (.LBB1_14075-.Lpost_getpc17789)>>32
	s_setpc_b64 s[14:15]
.LBB1_35709:
	s_getpc_b64 s[14:15]
.Lpost_getpc3518:
	s_add_u32 s14, s14, (.LBB1_14076-.Lpost_getpc3518)&4294967295
	s_addc_u32 s15, s15, (.LBB1_14076-.Lpost_getpc3518)>>32
	s_setpc_b64 s[14:15]
.LBB1_28413:
	s_movk_i32 s4, 0x80
	v_cmp_eq_u16_sdwa s[12:13], v5, s4 src0_sel:BYTE_3 src1_sel:DWORD
	s_mov_b64 s[4:5], -1
                                        ; implicit-def: $sgpr10
	s_and_saveexec_b64 s[8:9], s[12:13]
; %bb.28414:
	s_mov_b32 s10, 0x7f800001
	s_xor_b64 s[4:5], exec, -1
; %bb.28415:
	s_or_b64 exec, exec, s[8:9]
	s_and_b64 s[4:5], s[4:5], exec
	s_or_saveexec_b64 s[6:7], s[6:7]
	v_mov_b32_e32 v3, s10
	s_xor_b64 exec, exec, s[6:7]
	s_cbranch_execnz .LBB1_28416
; %bb.64253:
	s_getpc_b64 s[14:15]
.Lpost_getpc17790:
	s_add_u32 s14, s14, (.LBB1_14078-.Lpost_getpc17790)&4294967295
	s_addc_u32 s15, s15, (.LBB1_14078-.Lpost_getpc17790)>>32
	s_setpc_b64 s[14:15]
.LBB1_28416:
	v_mov_b32_e32 v3, 0
	v_cmp_ne_u16_sdwa s[8:9], v5, v3 src0_sel:BYTE_3 src1_sel:DWORD
	s_andn2_b64 s[4:5], s[4:5], exec
	s_and_b64 s[8:9], s[8:9], exec
	s_or_b64 s[4:5], s[4:5], s[8:9]
	s_or_b64 exec, exec, s[6:7]
	s_and_saveexec_b64 s[6:7], s[4:5]
	s_cbranch_execz .LBB1_35711
; %bb.64255:
	s_getpc_b64 s[14:15]
.Lpost_getpc17791:
	s_add_u32 s14, s14, (.LBB1_14079-.Lpost_getpc17791)&4294967295
	s_addc_u32 s15, s15, (.LBB1_14079-.Lpost_getpc17791)>>32
	s_setpc_b64 s[14:15]
.LBB1_35711:
	s_getpc_b64 s[14:15]
.Lpost_getpc3519:
	s_add_u32 s14, s14, (.LBB1_14080-.Lpost_getpc3519)&4294967295
	s_addc_u32 s15, s15, (.LBB1_14080-.Lpost_getpc3519)>>32
	s_setpc_b64 s[14:15]
.LBB1_28417:
	s_movk_i32 s4, 0x80
	v_cmp_eq_u16_sdwa s[12:13], v6, s4 src0_sel:BYTE_0 src1_sel:DWORD
	s_mov_b64 s[4:5], -1
                                        ; implicit-def: $sgpr10
	s_and_saveexec_b64 s[8:9], s[12:13]
; %bb.28418:
	s_mov_b32 s10, 0x7f800001
	s_xor_b64 s[4:5], exec, -1
; %bb.28419:
	s_or_b64 exec, exec, s[8:9]
	s_and_b64 s[4:5], s[4:5], exec
	s_or_saveexec_b64 s[6:7], s[6:7]
	v_mov_b32_e32 v12, s10
	s_xor_b64 exec, exec, s[6:7]
	s_cbranch_execnz .LBB1_28420
; %bb.64257:
	s_getpc_b64 s[14:15]
.Lpost_getpc17792:
	s_add_u32 s14, s14, (.LBB1_14082-.Lpost_getpc17792)&4294967295
	s_addc_u32 s15, s15, (.LBB1_14082-.Lpost_getpc17792)>>32
	s_setpc_b64 s[14:15]
.LBB1_28420:
	v_mov_b32_e32 v12, 0
	v_cmp_ne_u16_sdwa s[8:9], v6, v12 src0_sel:BYTE_0 src1_sel:DWORD
	s_andn2_b64 s[4:5], s[4:5], exec
	s_and_b64 s[8:9], s[8:9], exec
	s_or_b64 s[4:5], s[4:5], s[8:9]
	s_or_b64 exec, exec, s[6:7]
	s_and_saveexec_b64 s[6:7], s[4:5]
	s_cbranch_execz .LBB1_35713
; %bb.64259:
	s_getpc_b64 s[14:15]
.Lpost_getpc17793:
	s_add_u32 s14, s14, (.LBB1_14083-.Lpost_getpc17793)&4294967295
	s_addc_u32 s15, s15, (.LBB1_14083-.Lpost_getpc17793)>>32
	s_setpc_b64 s[14:15]
.LBB1_35713:
	s_getpc_b64 s[14:15]
.Lpost_getpc3520:
	s_add_u32 s14, s14, (.LBB1_14084-.Lpost_getpc3520)&4294967295
	s_addc_u32 s15, s15, (.LBB1_14084-.Lpost_getpc3520)>>32
	s_setpc_b64 s[14:15]
.LBB1_28421:
	s_movk_i32 s4, 0x80
	v_cmp_eq_u16_sdwa s[12:13], v2, s4 src0_sel:BYTE_0 src1_sel:DWORD
	s_mov_b64 s[4:5], -1
                                        ; implicit-def: $sgpr10
	s_and_saveexec_b64 s[8:9], s[12:13]
; %bb.28422:
	s_mov_b32 s10, 0x7f800001
	s_xor_b64 s[4:5], exec, -1
; %bb.28423:
	s_or_b64 exec, exec, s[8:9]
	s_and_b64 s[4:5], s[4:5], exec
	s_or_saveexec_b64 s[6:7], s[6:7]
	v_mov_b32_e32 v13, s10
	s_xor_b64 exec, exec, s[6:7]
	s_cbranch_execnz .LBB1_28424
; %bb.64261:
	s_getpc_b64 s[14:15]
.Lpost_getpc17794:
	s_add_u32 s14, s14, (.LBB1_14086-.Lpost_getpc17794)&4294967295
	s_addc_u32 s15, s15, (.LBB1_14086-.Lpost_getpc17794)>>32
	s_setpc_b64 s[14:15]
.LBB1_28424:
	v_mov_b32_e32 v13, 0
	v_cmp_ne_u16_sdwa s[8:9], v2, v13 src0_sel:BYTE_0 src1_sel:DWORD
	s_andn2_b64 s[4:5], s[4:5], exec
	s_and_b64 s[8:9], s[8:9], exec
	s_or_b64 s[4:5], s[4:5], s[8:9]
	s_or_b64 exec, exec, s[6:7]
	s_and_saveexec_b64 s[6:7], s[4:5]
	s_cbranch_execz .LBB1_35715
; %bb.64263:
	s_getpc_b64 s[14:15]
.Lpost_getpc17795:
	s_add_u32 s14, s14, (.LBB1_14087-.Lpost_getpc17795)&4294967295
	s_addc_u32 s15, s15, (.LBB1_14087-.Lpost_getpc17795)>>32
	s_setpc_b64 s[14:15]
.LBB1_35715:
	s_getpc_b64 s[14:15]
.Lpost_getpc3521:
	s_add_u32 s14, s14, (.LBB1_14088-.Lpost_getpc3521)&4294967295
	s_addc_u32 s15, s15, (.LBB1_14088-.Lpost_getpc3521)>>32
	s_setpc_b64 s[14:15]
.LBB1_28425:
	s_movk_i32 s4, 0x80
	v_cmp_eq_u16_sdwa s[12:13], v13, s4 src0_sel:BYTE_0 src1_sel:DWORD
	s_mov_b64 s[4:5], -1
                                        ; implicit-def: $sgpr10
	s_and_saveexec_b64 s[8:9], s[12:13]
; %bb.28426:
	s_mov_b32 s10, 0x7f800001
	s_xor_b64 s[4:5], exec, -1
; %bb.28427:
	s_or_b64 exec, exec, s[8:9]
	s_and_b64 s[4:5], s[4:5], exec
	s_or_saveexec_b64 s[6:7], s[6:7]
	v_mov_b32_e32 v12, s10
	s_xor_b64 exec, exec, s[6:7]
	s_cbranch_execnz .LBB1_28428
; %bb.64265:
	s_getpc_b64 s[14:15]
.Lpost_getpc17796:
	s_add_u32 s14, s14, (.LBB1_14090-.Lpost_getpc17796)&4294967295
	s_addc_u32 s15, s15, (.LBB1_14090-.Lpost_getpc17796)>>32
	s_setpc_b64 s[14:15]
.LBB1_28428:
	v_mov_b32_e32 v12, 0
	v_cmp_ne_u16_sdwa s[8:9], v13, v12 src0_sel:BYTE_0 src1_sel:DWORD
	s_andn2_b64 s[4:5], s[4:5], exec
	s_and_b64 s[8:9], s[8:9], exec
	s_or_b64 s[4:5], s[4:5], s[8:9]
	s_or_b64 exec, exec, s[6:7]
	s_and_saveexec_b64 s[6:7], s[4:5]
	s_cbranch_execz .LBB1_35717
; %bb.64267:
	s_getpc_b64 s[14:15]
.Lpost_getpc17797:
	s_add_u32 s14, s14, (.LBB1_14091-.Lpost_getpc17797)&4294967295
	s_addc_u32 s15, s15, (.LBB1_14091-.Lpost_getpc17797)>>32
	s_setpc_b64 s[14:15]
.LBB1_35717:
	s_getpc_b64 s[14:15]
.Lpost_getpc3522:
	s_add_u32 s14, s14, (.LBB1_14092-.Lpost_getpc3522)&4294967295
	s_addc_u32 s15, s15, (.LBB1_14092-.Lpost_getpc3522)>>32
	s_setpc_b64 s[14:15]
.LBB1_28429:
	s_movk_i32 s4, 0x80
	v_cmp_eq_u16_sdwa s[12:13], v13, s4 src0_sel:BYTE_0 src1_sel:DWORD
	s_mov_b64 s[4:5], -1
                                        ; implicit-def: $sgpr10
	s_and_saveexec_b64 s[8:9], s[12:13]
; %bb.28430:
	s_mov_b32 s10, 0x7f800001
	s_xor_b64 s[4:5], exec, -1
; %bb.28431:
	s_or_b64 exec, exec, s[8:9]
	s_and_b64 s[4:5], s[4:5], exec
	s_or_saveexec_b64 s[6:7], s[6:7]
	v_mov_b32_e32 v14, s10
	s_xor_b64 exec, exec, s[6:7]
	s_cbranch_execnz .LBB1_28432
; %bb.64269:
	s_getpc_b64 s[14:15]
.Lpost_getpc17798:
	s_add_u32 s14, s14, (.LBB1_14094-.Lpost_getpc17798)&4294967295
	s_addc_u32 s15, s15, (.LBB1_14094-.Lpost_getpc17798)>>32
	s_setpc_b64 s[14:15]
.LBB1_28432:
	v_mov_b32_e32 v14, 0
	v_cmp_ne_u16_sdwa s[8:9], v13, v14 src0_sel:BYTE_0 src1_sel:DWORD
	s_andn2_b64 s[4:5], s[4:5], exec
	s_and_b64 s[8:9], s[8:9], exec
	s_or_b64 s[4:5], s[4:5], s[8:9]
	s_or_b64 exec, exec, s[6:7]
	s_and_saveexec_b64 s[6:7], s[4:5]
	s_cbranch_execz .LBB1_35719
; %bb.64271:
	s_getpc_b64 s[14:15]
.Lpost_getpc17799:
	s_add_u32 s14, s14, (.LBB1_14095-.Lpost_getpc17799)&4294967295
	s_addc_u32 s15, s15, (.LBB1_14095-.Lpost_getpc17799)>>32
	s_setpc_b64 s[14:15]
.LBB1_35719:
	s_getpc_b64 s[14:15]
.Lpost_getpc3523:
	s_add_u32 s14, s14, (.LBB1_14096-.Lpost_getpc3523)&4294967295
	s_addc_u32 s15, s15, (.LBB1_14096-.Lpost_getpc3523)>>32
	s_setpc_b64 s[14:15]
.LBB1_28433:
	s_movk_i32 s4, 0x80
	v_cmp_eq_u16_e32 vcc, s4, v13
	s_mov_b64 s[4:5], -1
                                        ; implicit-def: $sgpr10
	s_and_saveexec_b64 s[8:9], vcc
; %bb.28434:
	s_mov_b32 s10, 0x7f800001
	s_xor_b64 s[4:5], exec, -1
; %bb.28435:
	s_or_b64 exec, exec, s[8:9]
	s_and_b64 s[4:5], s[4:5], exec
                                        ; implicit-def: $vgpr13
	s_or_saveexec_b64 s[6:7], s[6:7]
	v_mov_b32_e32 v12, s10
	s_xor_b64 exec, exec, s[6:7]
	s_cbranch_execnz .LBB1_28436
; %bb.64273:
	s_getpc_b64 s[14:15]
.Lpost_getpc17800:
	s_add_u32 s14, s14, (.LBB1_14098-.Lpost_getpc17800)&4294967295
	s_addc_u32 s15, s15, (.LBB1_14098-.Lpost_getpc17800)>>32
	s_setpc_b64 s[14:15]
.LBB1_28436:
	v_cmp_ne_u16_e32 vcc, 0, v13
	s_andn2_b64 s[4:5], s[4:5], exec
	s_and_b64 s[8:9], vcc, exec
	v_mov_b32_e32 v12, 0
	s_or_b64 s[4:5], s[4:5], s[8:9]
	s_or_b64 exec, exec, s[6:7]
	s_and_saveexec_b64 s[6:7], s[4:5]
	s_cbranch_execz .LBB1_35721
; %bb.64275:
	s_getpc_b64 s[14:15]
.Lpost_getpc17801:
	s_add_u32 s14, s14, (.LBB1_14099-.Lpost_getpc17801)&4294967295
	s_addc_u32 s15, s15, (.LBB1_14099-.Lpost_getpc17801)>>32
	s_setpc_b64 s[14:15]
.LBB1_35721:
	s_getpc_b64 s[14:15]
.Lpost_getpc3524:
	s_add_u32 s14, s14, (.LBB1_14100-.Lpost_getpc3524)&4294967295
	s_addc_u32 s15, s15, (.LBB1_14100-.Lpost_getpc3524)>>32
	s_setpc_b64 s[14:15]
.LBB1_28437:
	s_movk_i32 s4, 0x80
	v_cmp_eq_u16_e32 vcc, s4, v13
	s_mov_b64 s[4:5], -1
                                        ; implicit-def: $sgpr10
	s_and_saveexec_b64 s[8:9], vcc
; %bb.28438:
	s_mov_b32 s10, 0x7f800001
	s_xor_b64 s[4:5], exec, -1
; %bb.28439:
	s_or_b64 exec, exec, s[8:9]
	s_and_b64 s[4:5], s[4:5], exec
                                        ; implicit-def: $vgpr13
	s_or_saveexec_b64 s[6:7], s[6:7]
	v_mov_b32_e32 v14, s10
	s_xor_b64 exec, exec, s[6:7]
	s_cbranch_execnz .LBB1_28440
; %bb.64277:
	s_getpc_b64 s[14:15]
.Lpost_getpc17802:
	s_add_u32 s14, s14, (.LBB1_14102-.Lpost_getpc17802)&4294967295
	s_addc_u32 s15, s15, (.LBB1_14102-.Lpost_getpc17802)>>32
	s_setpc_b64 s[14:15]
.LBB1_28440:
	v_cmp_ne_u16_e32 vcc, 0, v13
	s_andn2_b64 s[4:5], s[4:5], exec
	s_and_b64 s[8:9], vcc, exec
	v_mov_b32_e32 v14, 0
	s_or_b64 s[4:5], s[4:5], s[8:9]
	s_or_b64 exec, exec, s[6:7]
	s_and_saveexec_b64 s[6:7], s[4:5]
	s_cbranch_execz .LBB1_35723
; %bb.64279:
	s_getpc_b64 s[14:15]
.Lpost_getpc17803:
	s_add_u32 s14, s14, (.LBB1_14103-.Lpost_getpc17803)&4294967295
	s_addc_u32 s15, s15, (.LBB1_14103-.Lpost_getpc17803)>>32
	s_setpc_b64 s[14:15]
.LBB1_35723:
	s_getpc_b64 s[14:15]
.Lpost_getpc3525:
	s_add_u32 s14, s14, (.LBB1_14104-.Lpost_getpc3525)&4294967295
	s_addc_u32 s15, s15, (.LBB1_14104-.Lpost_getpc3525)>>32
	s_setpc_b64 s[14:15]
.LBB1_28441:
	s_movk_i32 s4, 0x80
	v_cmp_eq_u16_sdwa s[12:13], v6, s4 src0_sel:BYTE_3 src1_sel:DWORD
	s_mov_b64 s[4:5], -1
                                        ; implicit-def: $sgpr10
	s_and_saveexec_b64 s[8:9], s[12:13]
; %bb.28442:
	s_mov_b32 s10, 0x7f800001
	s_xor_b64 s[4:5], exec, -1
; %bb.28443:
	s_or_b64 exec, exec, s[8:9]
	s_and_b64 s[4:5], s[4:5], exec
	s_or_saveexec_b64 s[6:7], s[6:7]
	v_mov_b32_e32 v12, s10
	s_xor_b64 exec, exec, s[6:7]
	s_cbranch_execnz .LBB1_28444
; %bb.64281:
	s_getpc_b64 s[14:15]
.Lpost_getpc17804:
	s_add_u32 s14, s14, (.LBB1_14106-.Lpost_getpc17804)&4294967295
	s_addc_u32 s15, s15, (.LBB1_14106-.Lpost_getpc17804)>>32
	s_setpc_b64 s[14:15]
.LBB1_28444:
	v_mov_b32_e32 v12, 0
	v_cmp_ne_u16_sdwa s[8:9], v6, v12 src0_sel:BYTE_3 src1_sel:DWORD
	s_andn2_b64 s[4:5], s[4:5], exec
	s_and_b64 s[8:9], s[8:9], exec
	s_or_b64 s[4:5], s[4:5], s[8:9]
	s_or_b64 exec, exec, s[6:7]
	s_and_saveexec_b64 s[6:7], s[4:5]
	s_cbranch_execz .LBB1_35725
; %bb.64283:
	s_getpc_b64 s[14:15]
.Lpost_getpc17805:
	s_add_u32 s14, s14, (.LBB1_14107-.Lpost_getpc17805)&4294967295
	s_addc_u32 s15, s15, (.LBB1_14107-.Lpost_getpc17805)>>32
	s_setpc_b64 s[14:15]
.LBB1_35725:
	s_getpc_b64 s[14:15]
.Lpost_getpc3526:
	s_add_u32 s14, s14, (.LBB1_14108-.Lpost_getpc3526)&4294967295
	s_addc_u32 s15, s15, (.LBB1_14108-.Lpost_getpc3526)>>32
	s_setpc_b64 s[14:15]
.LBB1_28445:
	s_movk_i32 s4, 0x80
	v_cmp_eq_u16_sdwa s[12:13], v2, s4 src0_sel:BYTE_3 src1_sel:DWORD
	s_mov_b64 s[4:5], -1
                                        ; implicit-def: $sgpr10
	s_and_saveexec_b64 s[8:9], s[12:13]
; %bb.28446:
	s_mov_b32 s10, 0x7f800001
	s_xor_b64 s[4:5], exec, -1
; %bb.28447:
	s_or_b64 exec, exec, s[8:9]
	s_and_b64 s[4:5], s[4:5], exec
	s_or_saveexec_b64 s[6:7], s[6:7]
	v_mov_b32_e32 v6, s10
	s_xor_b64 exec, exec, s[6:7]
	s_cbranch_execnz .LBB1_28448
; %bb.64285:
	s_getpc_b64 s[14:15]
.Lpost_getpc17806:
	s_add_u32 s14, s14, (.LBB1_14110-.Lpost_getpc17806)&4294967295
	s_addc_u32 s15, s15, (.LBB1_14110-.Lpost_getpc17806)>>32
	s_setpc_b64 s[14:15]
.LBB1_28448:
	v_mov_b32_e32 v6, 0
	v_cmp_ne_u16_sdwa s[8:9], v2, v6 src0_sel:BYTE_3 src1_sel:DWORD
	s_andn2_b64 s[4:5], s[4:5], exec
	s_and_b64 s[8:9], s[8:9], exec
	s_or_b64 s[4:5], s[4:5], s[8:9]
	s_or_b64 exec, exec, s[6:7]
	s_and_saveexec_b64 s[6:7], s[4:5]
	s_cbranch_execz .LBB1_35727
; %bb.64287:
	s_getpc_b64 s[14:15]
.Lpost_getpc17807:
	s_add_u32 s14, s14, (.LBB1_14111-.Lpost_getpc17807)&4294967295
	s_addc_u32 s15, s15, (.LBB1_14111-.Lpost_getpc17807)>>32
	s_setpc_b64 s[14:15]
.LBB1_35727:
	s_getpc_b64 s[14:15]
.Lpost_getpc3527:
	s_add_u32 s14, s14, (.LBB1_14112-.Lpost_getpc3527)&4294967295
	s_addc_u32 s15, s15, (.LBB1_14112-.Lpost_getpc3527)>>32
	s_setpc_b64 s[14:15]
.LBB1_28449:
	s_movk_i32 s4, 0x80
	v_cmp_eq_u16_sdwa s[12:13], v7, s4 src0_sel:BYTE_0 src1_sel:DWORD
	s_mov_b64 s[4:5], -1
                                        ; implicit-def: $sgpr10
	s_and_saveexec_b64 s[8:9], s[12:13]
; %bb.28450:
	s_mov_b32 s10, 0x7f800001
	s_xor_b64 s[4:5], exec, -1
; %bb.28451:
	s_or_b64 exec, exec, s[8:9]
	s_and_b64 s[4:5], s[4:5], exec
	s_or_saveexec_b64 s[6:7], s[6:7]
	v_mov_b32_e32 v2, s10
	s_xor_b64 exec, exec, s[6:7]
	s_cbranch_execnz .LBB1_28452
; %bb.64289:
	s_getpc_b64 s[14:15]
.Lpost_getpc17808:
	s_add_u32 s14, s14, (.LBB1_14114-.Lpost_getpc17808)&4294967295
	s_addc_u32 s15, s15, (.LBB1_14114-.Lpost_getpc17808)>>32
	s_setpc_b64 s[14:15]
.LBB1_28452:
	v_mov_b32_e32 v2, 0
	v_cmp_ne_u16_sdwa s[8:9], v7, v2 src0_sel:BYTE_0 src1_sel:DWORD
	s_andn2_b64 s[4:5], s[4:5], exec
	s_and_b64 s[8:9], s[8:9], exec
	s_or_b64 s[4:5], s[4:5], s[8:9]
	s_or_b64 exec, exec, s[6:7]
	s_and_saveexec_b64 s[6:7], s[4:5]
	s_cbranch_execz .LBB1_35729
; %bb.64291:
	s_getpc_b64 s[14:15]
.Lpost_getpc17809:
	s_add_u32 s14, s14, (.LBB1_14115-.Lpost_getpc17809)&4294967295
	s_addc_u32 s15, s15, (.LBB1_14115-.Lpost_getpc17809)>>32
	s_setpc_b64 s[14:15]
.LBB1_35729:
	s_getpc_b64 s[14:15]
.Lpost_getpc3528:
	s_add_u32 s14, s14, (.LBB1_14116-.Lpost_getpc3528)&4294967295
	s_addc_u32 s15, s15, (.LBB1_14116-.Lpost_getpc3528)>>32
	s_setpc_b64 s[14:15]
.LBB1_28453:
	s_movk_i32 s4, 0x80
	v_cmp_eq_u16_sdwa s[12:13], v3, s4 src0_sel:BYTE_0 src1_sel:DWORD
	s_mov_b64 s[4:5], -1
                                        ; implicit-def: $sgpr10
	s_and_saveexec_b64 s[8:9], s[12:13]
; %bb.28454:
	s_mov_b32 s10, 0x7f800001
	s_xor_b64 s[4:5], exec, -1
; %bb.28455:
	s_or_b64 exec, exec, s[8:9]
	s_and_b64 s[4:5], s[4:5], exec
	s_or_saveexec_b64 s[6:7], s[6:7]
	v_mov_b32_e32 v6, s10
	s_xor_b64 exec, exec, s[6:7]
	s_cbranch_execnz .LBB1_28456
; %bb.64293:
	s_getpc_b64 s[14:15]
.Lpost_getpc17810:
	s_add_u32 s14, s14, (.LBB1_14118-.Lpost_getpc17810)&4294967295
	s_addc_u32 s15, s15, (.LBB1_14118-.Lpost_getpc17810)>>32
	s_setpc_b64 s[14:15]
.LBB1_28456:
	v_mov_b32_e32 v6, 0
	v_cmp_ne_u16_sdwa s[8:9], v3, v6 src0_sel:BYTE_0 src1_sel:DWORD
	s_andn2_b64 s[4:5], s[4:5], exec
	s_and_b64 s[8:9], s[8:9], exec
	s_or_b64 s[4:5], s[4:5], s[8:9]
	s_or_b64 exec, exec, s[6:7]
	s_and_saveexec_b64 s[6:7], s[4:5]
	s_cbranch_execz .LBB1_35731
; %bb.64295:
	s_getpc_b64 s[14:15]
.Lpost_getpc17811:
	s_add_u32 s14, s14, (.LBB1_14119-.Lpost_getpc17811)&4294967295
	s_addc_u32 s15, s15, (.LBB1_14119-.Lpost_getpc17811)>>32
	s_setpc_b64 s[14:15]
.LBB1_35731:
	s_getpc_b64 s[14:15]
.Lpost_getpc3529:
	s_add_u32 s14, s14, (.LBB1_14120-.Lpost_getpc3529)&4294967295
	s_addc_u32 s15, s15, (.LBB1_14120-.Lpost_getpc3529)>>32
	s_setpc_b64 s[14:15]
.LBB1_28457:
	s_movk_i32 s4, 0x80
	v_cmp_eq_u16_sdwa s[12:13], v6, s4 src0_sel:BYTE_0 src1_sel:DWORD
	s_mov_b64 s[4:5], -1
                                        ; implicit-def: $sgpr10
	s_and_saveexec_b64 s[8:9], s[12:13]
; %bb.28458:
	s_mov_b32 s10, 0x7f800001
	s_xor_b64 s[4:5], exec, -1
; %bb.28459:
	s_or_b64 exec, exec, s[8:9]
	s_and_b64 s[4:5], s[4:5], exec
	s_or_saveexec_b64 s[6:7], s[6:7]
	v_mov_b32_e32 v2, s10
	s_xor_b64 exec, exec, s[6:7]
	s_cbranch_execnz .LBB1_28460
; %bb.64297:
	s_getpc_b64 s[14:15]
.Lpost_getpc17812:
	s_add_u32 s14, s14, (.LBB1_14122-.Lpost_getpc17812)&4294967295
	s_addc_u32 s15, s15, (.LBB1_14122-.Lpost_getpc17812)>>32
	s_setpc_b64 s[14:15]
.LBB1_28460:
	v_mov_b32_e32 v2, 0
	v_cmp_ne_u16_sdwa s[8:9], v6, v2 src0_sel:BYTE_0 src1_sel:DWORD
	s_andn2_b64 s[4:5], s[4:5], exec
	s_and_b64 s[8:9], s[8:9], exec
	s_or_b64 s[4:5], s[4:5], s[8:9]
	s_or_b64 exec, exec, s[6:7]
	s_and_saveexec_b64 s[6:7], s[4:5]
	s_cbranch_execz .LBB1_35733
; %bb.64299:
	s_getpc_b64 s[14:15]
.Lpost_getpc17813:
	s_add_u32 s14, s14, (.LBB1_14123-.Lpost_getpc17813)&4294967295
	s_addc_u32 s15, s15, (.LBB1_14123-.Lpost_getpc17813)>>32
	s_setpc_b64 s[14:15]
.LBB1_35733:
	s_getpc_b64 s[14:15]
.Lpost_getpc3530:
	s_add_u32 s14, s14, (.LBB1_14124-.Lpost_getpc3530)&4294967295
	s_addc_u32 s15, s15, (.LBB1_14124-.Lpost_getpc3530)>>32
	s_setpc_b64 s[14:15]
.LBB1_28461:
	s_movk_i32 s4, 0x80
	v_cmp_eq_u16_sdwa s[12:13], v6, s4 src0_sel:BYTE_0 src1_sel:DWORD
	s_mov_b64 s[4:5], -1
                                        ; implicit-def: $sgpr10
	s_and_saveexec_b64 s[8:9], s[12:13]
; %bb.28462:
	s_mov_b32 s10, 0x7f800001
	s_xor_b64 s[4:5], exec, -1
; %bb.28463:
	s_or_b64 exec, exec, s[8:9]
	s_and_b64 s[4:5], s[4:5], exec
	s_or_saveexec_b64 s[6:7], s[6:7]
	v_mov_b32_e32 v12, s10
	s_xor_b64 exec, exec, s[6:7]
	s_cbranch_execnz .LBB1_28464
; %bb.64301:
	s_getpc_b64 s[14:15]
.Lpost_getpc17814:
	s_add_u32 s14, s14, (.LBB1_14126-.Lpost_getpc17814)&4294967295
	s_addc_u32 s15, s15, (.LBB1_14126-.Lpost_getpc17814)>>32
	s_setpc_b64 s[14:15]
.LBB1_28464:
	v_mov_b32_e32 v12, 0
	v_cmp_ne_u16_sdwa s[8:9], v6, v12 src0_sel:BYTE_0 src1_sel:DWORD
	s_andn2_b64 s[4:5], s[4:5], exec
	s_and_b64 s[8:9], s[8:9], exec
	s_or_b64 s[4:5], s[4:5], s[8:9]
	s_or_b64 exec, exec, s[6:7]
	s_and_saveexec_b64 s[6:7], s[4:5]
	s_cbranch_execz .LBB1_35735
; %bb.64303:
	s_getpc_b64 s[14:15]
.Lpost_getpc17815:
	s_add_u32 s14, s14, (.LBB1_14127-.Lpost_getpc17815)&4294967295
	s_addc_u32 s15, s15, (.LBB1_14127-.Lpost_getpc17815)>>32
	s_setpc_b64 s[14:15]
.LBB1_35735:
	s_getpc_b64 s[14:15]
.Lpost_getpc3531:
	s_add_u32 s14, s14, (.LBB1_14128-.Lpost_getpc3531)&4294967295
	s_addc_u32 s15, s15, (.LBB1_14128-.Lpost_getpc3531)>>32
	s_setpc_b64 s[14:15]
.LBB1_28465:
	s_movk_i32 s4, 0x80
	v_cmp_eq_u16_e32 vcc, s4, v6
	s_mov_b64 s[4:5], -1
                                        ; implicit-def: $sgpr10
	s_and_saveexec_b64 s[8:9], vcc
; %bb.28466:
	s_mov_b32 s10, 0x7f800001
	s_xor_b64 s[4:5], exec, -1
; %bb.28467:
	s_or_b64 exec, exec, s[8:9]
	s_and_b64 s[4:5], s[4:5], exec
                                        ; implicit-def: $vgpr6
	s_or_saveexec_b64 s[6:7], s[6:7]
	v_mov_b32_e32 v2, s10
	s_xor_b64 exec, exec, s[6:7]
	s_cbranch_execnz .LBB1_28468
; %bb.64305:
	s_getpc_b64 s[14:15]
.Lpost_getpc17816:
	s_add_u32 s14, s14, (.LBB1_14130-.Lpost_getpc17816)&4294967295
	s_addc_u32 s15, s15, (.LBB1_14130-.Lpost_getpc17816)>>32
	s_setpc_b64 s[14:15]
.LBB1_28468:
	v_cmp_ne_u16_e32 vcc, 0, v6
	s_andn2_b64 s[4:5], s[4:5], exec
	s_and_b64 s[8:9], vcc, exec
	v_mov_b32_e32 v2, 0
	s_or_b64 s[4:5], s[4:5], s[8:9]
	s_or_b64 exec, exec, s[6:7]
	s_and_saveexec_b64 s[6:7], s[4:5]
	s_cbranch_execz .LBB1_35737
; %bb.64307:
	s_getpc_b64 s[14:15]
.Lpost_getpc17817:
	s_add_u32 s14, s14, (.LBB1_14131-.Lpost_getpc17817)&4294967295
	s_addc_u32 s15, s15, (.LBB1_14131-.Lpost_getpc17817)>>32
	s_setpc_b64 s[14:15]
.LBB1_35737:
	s_getpc_b64 s[14:15]
.Lpost_getpc3532:
	s_add_u32 s14, s14, (.LBB1_14132-.Lpost_getpc3532)&4294967295
	s_addc_u32 s15, s15, (.LBB1_14132-.Lpost_getpc3532)>>32
	s_setpc_b64 s[14:15]
.LBB1_28469:
	s_movk_i32 s4, 0x80
	v_cmp_eq_u16_e32 vcc, s4, v6
	s_mov_b64 s[4:5], -1
                                        ; implicit-def: $sgpr10
	s_and_saveexec_b64 s[8:9], vcc
; %bb.28470:
	s_mov_b32 s10, 0x7f800001
	s_xor_b64 s[4:5], exec, -1
; %bb.28471:
	s_or_b64 exec, exec, s[8:9]
	s_and_b64 s[4:5], s[4:5], exec
                                        ; implicit-def: $vgpr6
	s_or_saveexec_b64 s[6:7], s[6:7]
	v_mov_b32_e32 v12, s10
	s_xor_b64 exec, exec, s[6:7]
	s_cbranch_execnz .LBB1_28472
; %bb.64309:
	s_getpc_b64 s[14:15]
.Lpost_getpc17818:
	s_add_u32 s14, s14, (.LBB1_14134-.Lpost_getpc17818)&4294967295
	s_addc_u32 s15, s15, (.LBB1_14134-.Lpost_getpc17818)>>32
	s_setpc_b64 s[14:15]
.LBB1_28472:
	v_cmp_ne_u16_e32 vcc, 0, v6
	s_andn2_b64 s[4:5], s[4:5], exec
	s_and_b64 s[8:9], vcc, exec
	v_mov_b32_e32 v12, 0
	s_or_b64 s[4:5], s[4:5], s[8:9]
	s_or_b64 exec, exec, s[6:7]
	s_and_saveexec_b64 s[6:7], s[4:5]
	s_cbranch_execz .LBB1_35739
; %bb.64311:
	s_getpc_b64 s[14:15]
.Lpost_getpc17819:
	s_add_u32 s14, s14, (.LBB1_14135-.Lpost_getpc17819)&4294967295
	s_addc_u32 s15, s15, (.LBB1_14135-.Lpost_getpc17819)>>32
	s_setpc_b64 s[14:15]
.LBB1_35739:
	s_getpc_b64 s[14:15]
.Lpost_getpc3533:
	s_add_u32 s14, s14, (.LBB1_14136-.Lpost_getpc3533)&4294967295
	s_addc_u32 s15, s15, (.LBB1_14136-.Lpost_getpc3533)>>32
	s_setpc_b64 s[14:15]
.LBB1_28473:
	s_movk_i32 s4, 0x80
	v_cmp_eq_u16_sdwa s[12:13], v7, s4 src0_sel:BYTE_3 src1_sel:DWORD
	s_mov_b64 s[4:5], -1
                                        ; implicit-def: $sgpr10
	s_and_saveexec_b64 s[8:9], s[12:13]
; %bb.28474:
	s_mov_b32 s10, 0x7f800001
	s_xor_b64 s[4:5], exec, -1
; %bb.28475:
	s_or_b64 exec, exec, s[8:9]
	s_and_b64 s[4:5], s[4:5], exec
	s_or_saveexec_b64 s[6:7], s[6:7]
	v_mov_b32_e32 v2, s10
	s_xor_b64 exec, exec, s[6:7]
	s_cbranch_execnz .LBB1_28476
; %bb.64313:
	s_getpc_b64 s[14:15]
.Lpost_getpc17820:
	s_add_u32 s14, s14, (.LBB1_14138-.Lpost_getpc17820)&4294967295
	s_addc_u32 s15, s15, (.LBB1_14138-.Lpost_getpc17820)>>32
	s_setpc_b64 s[14:15]
.LBB1_28476:
	v_mov_b32_e32 v2, 0
	v_cmp_ne_u16_sdwa s[8:9], v7, v2 src0_sel:BYTE_3 src1_sel:DWORD
	s_andn2_b64 s[4:5], s[4:5], exec
	s_and_b64 s[8:9], s[8:9], exec
	s_or_b64 s[4:5], s[4:5], s[8:9]
	s_or_b64 exec, exec, s[6:7]
	s_and_saveexec_b64 s[6:7], s[4:5]
	s_cbranch_execz .LBB1_35741
; %bb.64315:
	s_getpc_b64 s[14:15]
.Lpost_getpc17821:
	s_add_u32 s14, s14, (.LBB1_14139-.Lpost_getpc17821)&4294967295
	s_addc_u32 s15, s15, (.LBB1_14139-.Lpost_getpc17821)>>32
	s_setpc_b64 s[14:15]
.LBB1_35741:
	s_getpc_b64 s[14:15]
.Lpost_getpc3534:
	s_add_u32 s14, s14, (.LBB1_14140-.Lpost_getpc3534)&4294967295
	s_addc_u32 s15, s15, (.LBB1_14140-.Lpost_getpc3534)>>32
	s_setpc_b64 s[14:15]
.LBB1_28477:
	s_movk_i32 s4, 0x80
	v_cmp_eq_u16_sdwa s[12:13], v3, s4 src0_sel:BYTE_3 src1_sel:DWORD
	s_mov_b64 s[4:5], -1
                                        ; implicit-def: $sgpr10
	s_and_saveexec_b64 s[8:9], s[12:13]
; %bb.28478:
	s_mov_b32 s10, 0x7f800001
	s_xor_b64 s[4:5], exec, -1
; %bb.28479:
	s_or_b64 exec, exec, s[8:9]
	s_and_b64 s[4:5], s[4:5], exec
	s_or_saveexec_b64 s[6:7], s[6:7]
	v_mov_b32_e32 v6, s10
	s_xor_b64 exec, exec, s[6:7]
	s_cbranch_execnz .LBB1_28480
; %bb.64317:
	s_getpc_b64 s[14:15]
.Lpost_getpc17822:
	s_add_u32 s14, s14, (.LBB1_14142-.Lpost_getpc17822)&4294967295
	s_addc_u32 s15, s15, (.LBB1_14142-.Lpost_getpc17822)>>32
	s_setpc_b64 s[14:15]
.LBB1_28480:
	v_mov_b32_e32 v6, 0
	v_cmp_ne_u16_sdwa s[8:9], v3, v6 src0_sel:BYTE_3 src1_sel:DWORD
	s_andn2_b64 s[4:5], s[4:5], exec
	s_and_b64 s[8:9], s[8:9], exec
	s_or_b64 s[4:5], s[4:5], s[8:9]
	s_or_b64 exec, exec, s[6:7]
	s_and_saveexec_b64 s[6:7], s[4:5]
	s_cbranch_execz .LBB1_35743
; %bb.64319:
	s_getpc_b64 s[14:15]
.Lpost_getpc17823:
	s_add_u32 s14, s14, (.LBB1_14143-.Lpost_getpc17823)&4294967295
	s_addc_u32 s15, s15, (.LBB1_14143-.Lpost_getpc17823)>>32
	s_setpc_b64 s[14:15]
.LBB1_35743:
	s_getpc_b64 s[14:15]
.Lpost_getpc3535:
	s_add_u32 s14, s14, (.LBB1_14144-.Lpost_getpc3535)&4294967295
	s_addc_u32 s15, s15, (.LBB1_14144-.Lpost_getpc3535)>>32
	s_setpc_b64 s[14:15]
.LBB1_28481:
	s_movk_i32 s4, 0x80
	v_cmp_eq_u16_sdwa s[12:13], v8, s4 src0_sel:BYTE_0 src1_sel:DWORD
	s_mov_b64 s[4:5], -1
                                        ; implicit-def: $sgpr10
	s_and_saveexec_b64 s[8:9], s[12:13]
; %bb.28482:
	s_mov_b32 s10, 0x7f800001
	s_xor_b64 s[4:5], exec, -1
; %bb.28483:
	s_or_b64 exec, exec, s[8:9]
	s_and_b64 s[4:5], s[4:5], exec
	s_or_saveexec_b64 s[6:7], s[6:7]
	v_mov_b32_e32 v2, s10
	s_xor_b64 exec, exec, s[6:7]
	s_cbranch_execnz .LBB1_28484
; %bb.64321:
	s_getpc_b64 s[14:15]
.Lpost_getpc17824:
	s_add_u32 s14, s14, (.LBB1_14146-.Lpost_getpc17824)&4294967295
	s_addc_u32 s15, s15, (.LBB1_14146-.Lpost_getpc17824)>>32
	s_setpc_b64 s[14:15]
.LBB1_28484:
	v_mov_b32_e32 v2, 0
	v_cmp_ne_u16_sdwa s[8:9], v8, v2 src0_sel:BYTE_0 src1_sel:DWORD
	s_andn2_b64 s[4:5], s[4:5], exec
	s_and_b64 s[8:9], s[8:9], exec
	s_or_b64 s[4:5], s[4:5], s[8:9]
	s_or_b64 exec, exec, s[6:7]
	s_and_saveexec_b64 s[6:7], s[4:5]
	s_cbranch_execz .LBB1_35745
; %bb.64323:
	s_getpc_b64 s[14:15]
.Lpost_getpc17825:
	s_add_u32 s14, s14, (.LBB1_14147-.Lpost_getpc17825)&4294967295
	s_addc_u32 s15, s15, (.LBB1_14147-.Lpost_getpc17825)>>32
	s_setpc_b64 s[14:15]
.LBB1_35745:
	s_getpc_b64 s[14:15]
.Lpost_getpc3536:
	s_add_u32 s14, s14, (.LBB1_14148-.Lpost_getpc3536)&4294967295
	s_addc_u32 s15, s15, (.LBB1_14148-.Lpost_getpc3536)>>32
	s_setpc_b64 s[14:15]
.LBB1_28485:
	s_movk_i32 s4, 0x80
	v_cmp_eq_u16_sdwa s[12:13], v4, s4 src0_sel:BYTE_0 src1_sel:DWORD
	s_mov_b64 s[4:5], -1
                                        ; implicit-def: $sgpr10
	s_and_saveexec_b64 s[8:9], s[12:13]
; %bb.28486:
	s_mov_b32 s10, 0x7f800001
	s_xor_b64 s[4:5], exec, -1
; %bb.28487:
	s_or_b64 exec, exec, s[8:9]
	s_and_b64 s[4:5], s[4:5], exec
	s_or_saveexec_b64 s[6:7], s[6:7]
	v_mov_b32_e32 v3, s10
	s_xor_b64 exec, exec, s[6:7]
	s_cbranch_execnz .LBB1_28488
; %bb.64325:
	s_getpc_b64 s[14:15]
.Lpost_getpc17826:
	s_add_u32 s14, s14, (.LBB1_14150-.Lpost_getpc17826)&4294967295
	s_addc_u32 s15, s15, (.LBB1_14150-.Lpost_getpc17826)>>32
	s_setpc_b64 s[14:15]
.LBB1_28488:
	v_mov_b32_e32 v3, 0
	v_cmp_ne_u16_sdwa s[8:9], v4, v3 src0_sel:BYTE_0 src1_sel:DWORD
	s_andn2_b64 s[4:5], s[4:5], exec
	s_and_b64 s[8:9], s[8:9], exec
	s_or_b64 s[4:5], s[4:5], s[8:9]
	s_or_b64 exec, exec, s[6:7]
	s_and_saveexec_b64 s[6:7], s[4:5]
	s_cbranch_execz .LBB1_35747
; %bb.64327:
	s_getpc_b64 s[14:15]
.Lpost_getpc17827:
	s_add_u32 s14, s14, (.LBB1_14151-.Lpost_getpc17827)&4294967295
	s_addc_u32 s15, s15, (.LBB1_14151-.Lpost_getpc17827)>>32
	s_setpc_b64 s[14:15]
.LBB1_35747:
	s_getpc_b64 s[14:15]
.Lpost_getpc3537:
	s_add_u32 s14, s14, (.LBB1_14152-.Lpost_getpc3537)&4294967295
	s_addc_u32 s15, s15, (.LBB1_14152-.Lpost_getpc3537)>>32
	s_setpc_b64 s[14:15]
.LBB1_28489:
	s_movk_i32 s4, 0x80
	v_cmp_eq_u16_sdwa s[12:13], v3, s4 src0_sel:BYTE_0 src1_sel:DWORD
	s_mov_b64 s[4:5], -1
                                        ; implicit-def: $sgpr10
	s_and_saveexec_b64 s[8:9], s[12:13]
; %bb.28490:
	s_mov_b32 s10, 0x7f800001
	s_xor_b64 s[4:5], exec, -1
; %bb.28491:
	s_or_b64 exec, exec, s[8:9]
	s_and_b64 s[4:5], s[4:5], exec
	s_or_saveexec_b64 s[6:7], s[6:7]
	v_mov_b32_e32 v2, s10
	s_xor_b64 exec, exec, s[6:7]
	s_cbranch_execnz .LBB1_28492
; %bb.64329:
	s_getpc_b64 s[14:15]
.Lpost_getpc17828:
	s_add_u32 s14, s14, (.LBB1_14154-.Lpost_getpc17828)&4294967295
	s_addc_u32 s15, s15, (.LBB1_14154-.Lpost_getpc17828)>>32
	s_setpc_b64 s[14:15]
.LBB1_28492:
	v_mov_b32_e32 v2, 0
	v_cmp_ne_u16_sdwa s[8:9], v3, v2 src0_sel:BYTE_0 src1_sel:DWORD
	s_andn2_b64 s[4:5], s[4:5], exec
	s_and_b64 s[8:9], s[8:9], exec
	s_or_b64 s[4:5], s[4:5], s[8:9]
	s_or_b64 exec, exec, s[6:7]
	s_and_saveexec_b64 s[6:7], s[4:5]
	s_cbranch_execz .LBB1_35749
; %bb.64331:
	s_getpc_b64 s[14:15]
.Lpost_getpc17829:
	s_add_u32 s14, s14, (.LBB1_14155-.Lpost_getpc17829)&4294967295
	s_addc_u32 s15, s15, (.LBB1_14155-.Lpost_getpc17829)>>32
	s_setpc_b64 s[14:15]
.LBB1_35749:
	s_getpc_b64 s[14:15]
.Lpost_getpc3538:
	s_add_u32 s14, s14, (.LBB1_14156-.Lpost_getpc3538)&4294967295
	s_addc_u32 s15, s15, (.LBB1_14156-.Lpost_getpc3538)>>32
	s_setpc_b64 s[14:15]
.LBB1_28493:
	s_movk_i32 s4, 0x80
	v_cmp_eq_u16_sdwa s[12:13], v3, s4 src0_sel:BYTE_0 src1_sel:DWORD
	s_mov_b64 s[4:5], -1
                                        ; implicit-def: $sgpr10
	s_and_saveexec_b64 s[8:9], s[12:13]
; %bb.28494:
	s_mov_b32 s10, 0x7f800001
	s_xor_b64 s[4:5], exec, -1
; %bb.28495:
	s_or_b64 exec, exec, s[8:9]
	s_and_b64 s[4:5], s[4:5], exec
	s_or_saveexec_b64 s[6:7], s[6:7]
	v_mov_b32_e32 v6, s10
	s_xor_b64 exec, exec, s[6:7]
	s_cbranch_execnz .LBB1_28496
; %bb.64333:
	s_getpc_b64 s[14:15]
.Lpost_getpc17830:
	s_add_u32 s14, s14, (.LBB1_14158-.Lpost_getpc17830)&4294967295
	s_addc_u32 s15, s15, (.LBB1_14158-.Lpost_getpc17830)>>32
	s_setpc_b64 s[14:15]
.LBB1_28496:
	v_mov_b32_e32 v6, 0
	v_cmp_ne_u16_sdwa s[8:9], v3, v6 src0_sel:BYTE_0 src1_sel:DWORD
	s_andn2_b64 s[4:5], s[4:5], exec
	s_and_b64 s[8:9], s[8:9], exec
	s_or_b64 s[4:5], s[4:5], s[8:9]
	s_or_b64 exec, exec, s[6:7]
	s_and_saveexec_b64 s[6:7], s[4:5]
	s_cbranch_execz .LBB1_35751
; %bb.64335:
	s_getpc_b64 s[14:15]
.Lpost_getpc17831:
	s_add_u32 s14, s14, (.LBB1_14159-.Lpost_getpc17831)&4294967295
	s_addc_u32 s15, s15, (.LBB1_14159-.Lpost_getpc17831)>>32
	s_setpc_b64 s[14:15]
.LBB1_35751:
	s_getpc_b64 s[14:15]
.Lpost_getpc3539:
	s_add_u32 s14, s14, (.LBB1_14160-.Lpost_getpc3539)&4294967295
	s_addc_u32 s15, s15, (.LBB1_14160-.Lpost_getpc3539)>>32
	s_setpc_b64 s[14:15]
.LBB1_28497:
	s_movk_i32 s4, 0x80
	v_cmp_eq_u16_e32 vcc, s4, v3
	s_mov_b64 s[4:5], -1
                                        ; implicit-def: $sgpr10
	s_and_saveexec_b64 s[8:9], vcc
; %bb.28498:
	s_mov_b32 s10, 0x7f800001
	s_xor_b64 s[4:5], exec, -1
; %bb.28499:
	s_or_b64 exec, exec, s[8:9]
	s_and_b64 s[4:5], s[4:5], exec
                                        ; implicit-def: $vgpr3
	s_or_saveexec_b64 s[6:7], s[6:7]
	v_mov_b32_e32 v2, s10
	s_xor_b64 exec, exec, s[6:7]
	s_cbranch_execnz .LBB1_28500
; %bb.64337:
	s_getpc_b64 s[14:15]
.Lpost_getpc17832:
	s_add_u32 s14, s14, (.LBB1_14162-.Lpost_getpc17832)&4294967295
	s_addc_u32 s15, s15, (.LBB1_14162-.Lpost_getpc17832)>>32
	s_setpc_b64 s[14:15]
.LBB1_28500:
	v_cmp_ne_u16_e32 vcc, 0, v3
	s_andn2_b64 s[4:5], s[4:5], exec
	s_and_b64 s[8:9], vcc, exec
	v_mov_b32_e32 v2, 0
	s_or_b64 s[4:5], s[4:5], s[8:9]
	s_or_b64 exec, exec, s[6:7]
	s_and_saveexec_b64 s[6:7], s[4:5]
	s_cbranch_execz .LBB1_35753
; %bb.64339:
	s_getpc_b64 s[14:15]
.Lpost_getpc17833:
	s_add_u32 s14, s14, (.LBB1_14163-.Lpost_getpc17833)&4294967295
	s_addc_u32 s15, s15, (.LBB1_14163-.Lpost_getpc17833)>>32
	s_setpc_b64 s[14:15]
.LBB1_35753:
	s_getpc_b64 s[14:15]
.Lpost_getpc3540:
	s_add_u32 s14, s14, (.LBB1_14164-.Lpost_getpc3540)&4294967295
	s_addc_u32 s15, s15, (.LBB1_14164-.Lpost_getpc3540)>>32
	s_setpc_b64 s[14:15]
.LBB1_28501:
	s_movk_i32 s4, 0x80
	v_cmp_eq_u16_e32 vcc, s4, v3
	s_mov_b64 s[4:5], -1
                                        ; implicit-def: $sgpr10
	s_and_saveexec_b64 s[8:9], vcc
; %bb.28502:
	s_mov_b32 s10, 0x7f800001
	s_xor_b64 s[4:5], exec, -1
; %bb.28503:
	s_or_b64 exec, exec, s[8:9]
	s_and_b64 s[4:5], s[4:5], exec
                                        ; implicit-def: $vgpr3
	s_or_saveexec_b64 s[6:7], s[6:7]
	v_mov_b32_e32 v6, s10
	s_xor_b64 exec, exec, s[6:7]
	s_cbranch_execnz .LBB1_28504
; %bb.64341:
	s_getpc_b64 s[14:15]
.Lpost_getpc17834:
	s_add_u32 s14, s14, (.LBB1_14166-.Lpost_getpc17834)&4294967295
	s_addc_u32 s15, s15, (.LBB1_14166-.Lpost_getpc17834)>>32
	s_setpc_b64 s[14:15]
.LBB1_28504:
	v_cmp_ne_u16_e32 vcc, 0, v3
	s_andn2_b64 s[4:5], s[4:5], exec
	s_and_b64 s[8:9], vcc, exec
	v_mov_b32_e32 v6, 0
	s_or_b64 s[4:5], s[4:5], s[8:9]
	s_or_b64 exec, exec, s[6:7]
	s_and_saveexec_b64 s[6:7], s[4:5]
	s_cbranch_execz .LBB1_35755
; %bb.64343:
	s_getpc_b64 s[14:15]
.Lpost_getpc17835:
	s_add_u32 s14, s14, (.LBB1_14167-.Lpost_getpc17835)&4294967295
	s_addc_u32 s15, s15, (.LBB1_14167-.Lpost_getpc17835)>>32
	s_setpc_b64 s[14:15]
.LBB1_35755:
	s_getpc_b64 s[14:15]
.Lpost_getpc3541:
	s_add_u32 s14, s14, (.LBB1_14168-.Lpost_getpc3541)&4294967295
	s_addc_u32 s15, s15, (.LBB1_14168-.Lpost_getpc3541)>>32
	s_setpc_b64 s[14:15]
.LBB1_28505:
	s_movk_i32 s4, 0x80
	v_cmp_eq_u16_sdwa s[12:13], v8, s4 src0_sel:BYTE_3 src1_sel:DWORD
	s_mov_b64 s[4:5], -1
                                        ; implicit-def: $sgpr10
	s_and_saveexec_b64 s[8:9], s[12:13]
; %bb.28506:
	s_mov_b32 s10, 0x7f800001
	s_xor_b64 s[4:5], exec, -1
; %bb.28507:
	s_or_b64 exec, exec, s[8:9]
	s_and_b64 s[4:5], s[4:5], exec
	s_or_saveexec_b64 s[6:7], s[6:7]
	v_mov_b32_e32 v2, s10
	s_xor_b64 exec, exec, s[6:7]
	s_cbranch_execnz .LBB1_28508
; %bb.64345:
	s_getpc_b64 s[14:15]
.Lpost_getpc17836:
	s_add_u32 s14, s14, (.LBB1_14170-.Lpost_getpc17836)&4294967295
	s_addc_u32 s15, s15, (.LBB1_14170-.Lpost_getpc17836)>>32
	s_setpc_b64 s[14:15]
.LBB1_28508:
	v_mov_b32_e32 v2, 0
	v_cmp_ne_u16_sdwa s[8:9], v8, v2 src0_sel:BYTE_3 src1_sel:DWORD
	s_andn2_b64 s[4:5], s[4:5], exec
	s_and_b64 s[8:9], s[8:9], exec
	s_or_b64 s[4:5], s[4:5], s[8:9]
	s_or_b64 exec, exec, s[6:7]
	s_and_saveexec_b64 s[6:7], s[4:5]
	s_cbranch_execz .LBB1_35757
; %bb.64347:
	s_getpc_b64 s[14:15]
.Lpost_getpc17837:
	s_add_u32 s14, s14, (.LBB1_14171-.Lpost_getpc17837)&4294967295
	s_addc_u32 s15, s15, (.LBB1_14171-.Lpost_getpc17837)>>32
	s_setpc_b64 s[14:15]
.LBB1_35757:
	s_getpc_b64 s[14:15]
.Lpost_getpc3542:
	s_add_u32 s14, s14, (.LBB1_14172-.Lpost_getpc3542)&4294967295
	s_addc_u32 s15, s15, (.LBB1_14172-.Lpost_getpc3542)>>32
	s_setpc_b64 s[14:15]
.LBB1_28509:
	s_movk_i32 s4, 0x80
	v_cmp_eq_u16_sdwa s[12:13], v4, s4 src0_sel:BYTE_3 src1_sel:DWORD
	s_mov_b64 s[4:5], -1
                                        ; implicit-def: $sgpr10
	s_and_saveexec_b64 s[8:9], s[12:13]
; %bb.28510:
	s_mov_b32 s10, 0x7f800001
	s_xor_b64 s[4:5], exec, -1
; %bb.28511:
	s_or_b64 exec, exec, s[8:9]
	s_and_b64 s[4:5], s[4:5], exec
	s_or_saveexec_b64 s[6:7], s[6:7]
	v_mov_b32_e32 v3, s10
	s_xor_b64 exec, exec, s[6:7]
	s_cbranch_execnz .LBB1_28512
; %bb.64349:
	s_getpc_b64 s[14:15]
.Lpost_getpc17838:
	s_add_u32 s14, s14, (.LBB1_14174-.Lpost_getpc17838)&4294967295
	s_addc_u32 s15, s15, (.LBB1_14174-.Lpost_getpc17838)>>32
	s_setpc_b64 s[14:15]
.LBB1_28512:
	v_mov_b32_e32 v3, 0
	v_cmp_ne_u16_sdwa s[8:9], v4, v3 src0_sel:BYTE_3 src1_sel:DWORD
	s_andn2_b64 s[4:5], s[4:5], exec
	s_and_b64 s[8:9], s[8:9], exec
	s_or_b64 s[4:5], s[4:5], s[8:9]
	s_or_b64 exec, exec, s[6:7]
	s_and_saveexec_b64 s[6:7], s[4:5]
	s_cbranch_execz .LBB1_35759
; %bb.64351:
	s_getpc_b64 s[14:15]
.Lpost_getpc17839:
	s_add_u32 s14, s14, (.LBB1_14175-.Lpost_getpc17839)&4294967295
	s_addc_u32 s15, s15, (.LBB1_14175-.Lpost_getpc17839)>>32
	s_setpc_b64 s[14:15]
.LBB1_35759:
	s_getpc_b64 s[14:15]
.Lpost_getpc3543:
	s_add_u32 s14, s14, (.LBB1_14176-.Lpost_getpc3543)&4294967295
	s_addc_u32 s15, s15, (.LBB1_14176-.Lpost_getpc3543)>>32
	s_setpc_b64 s[14:15]
.LBB1_28513:
	s_movk_i32 s4, 0x80
	v_cmp_eq_u16_sdwa s[12:13], v9, s4 src0_sel:BYTE_0 src1_sel:DWORD
	s_mov_b64 s[4:5], -1
                                        ; implicit-def: $sgpr10
	s_and_saveexec_b64 s[8:9], s[12:13]
; %bb.28514:
	s_mov_b32 s10, 0x7f800001
	s_xor_b64 s[4:5], exec, -1
; %bb.28515:
	s_or_b64 exec, exec, s[8:9]
	s_and_b64 s[4:5], s[4:5], exec
	s_or_saveexec_b64 s[6:7], s[6:7]
	v_mov_b32_e32 v2, s10
	s_xor_b64 exec, exec, s[6:7]
	s_cbranch_execnz .LBB1_28516
; %bb.64353:
	s_getpc_b64 s[14:15]
.Lpost_getpc17840:
	s_add_u32 s14, s14, (.LBB1_14178-.Lpost_getpc17840)&4294967295
	s_addc_u32 s15, s15, (.LBB1_14178-.Lpost_getpc17840)>>32
	s_setpc_b64 s[14:15]
.LBB1_28516:
	v_mov_b32_e32 v2, 0
	v_cmp_ne_u16_sdwa s[8:9], v9, v2 src0_sel:BYTE_0 src1_sel:DWORD
	s_andn2_b64 s[4:5], s[4:5], exec
	s_and_b64 s[8:9], s[8:9], exec
	s_or_b64 s[4:5], s[4:5], s[8:9]
	s_or_b64 exec, exec, s[6:7]
	s_and_saveexec_b64 s[6:7], s[4:5]
	s_cbranch_execz .LBB1_35761
; %bb.64355:
	s_getpc_b64 s[14:15]
.Lpost_getpc17841:
	s_add_u32 s14, s14, (.LBB1_14179-.Lpost_getpc17841)&4294967295
	s_addc_u32 s15, s15, (.LBB1_14179-.Lpost_getpc17841)>>32
	s_setpc_b64 s[14:15]
.LBB1_35761:
	s_getpc_b64 s[14:15]
.Lpost_getpc3544:
	s_add_u32 s14, s14, (.LBB1_14180-.Lpost_getpc3544)&4294967295
	s_addc_u32 s15, s15, (.LBB1_14180-.Lpost_getpc3544)>>32
	s_setpc_b64 s[14:15]
.LBB1_28517:
	s_movk_i32 s4, 0x80
	v_cmp_eq_u16_sdwa s[12:13], v5, s4 src0_sel:BYTE_0 src1_sel:DWORD
	s_mov_b64 s[4:5], -1
                                        ; implicit-def: $sgpr10
	s_and_saveexec_b64 s[8:9], s[12:13]
; %bb.28518:
	s_mov_b32 s10, 0x7f800001
	s_xor_b64 s[4:5], exec, -1
; %bb.28519:
	s_or_b64 exec, exec, s[8:9]
	s_and_b64 s[4:5], s[4:5], exec
	s_or_saveexec_b64 s[6:7], s[6:7]
	v_mov_b32_e32 v3, s10
	s_xor_b64 exec, exec, s[6:7]
	s_cbranch_execnz .LBB1_28520
; %bb.64357:
	s_getpc_b64 s[14:15]
.Lpost_getpc17842:
	s_add_u32 s14, s14, (.LBB1_14182-.Lpost_getpc17842)&4294967295
	s_addc_u32 s15, s15, (.LBB1_14182-.Lpost_getpc17842)>>32
	s_setpc_b64 s[14:15]
.LBB1_28520:
	v_mov_b32_e32 v3, 0
	v_cmp_ne_u16_sdwa s[8:9], v5, v3 src0_sel:BYTE_0 src1_sel:DWORD
	s_andn2_b64 s[4:5], s[4:5], exec
	s_and_b64 s[8:9], s[8:9], exec
	s_or_b64 s[4:5], s[4:5], s[8:9]
	s_or_b64 exec, exec, s[6:7]
	s_and_saveexec_b64 s[6:7], s[4:5]
	s_cbranch_execz .LBB1_35763
; %bb.64359:
	s_getpc_b64 s[14:15]
.Lpost_getpc17843:
	s_add_u32 s14, s14, (.LBB1_14183-.Lpost_getpc17843)&4294967295
	s_addc_u32 s15, s15, (.LBB1_14183-.Lpost_getpc17843)>>32
	s_setpc_b64 s[14:15]
.LBB1_35763:
	s_getpc_b64 s[14:15]
.Lpost_getpc3545:
	s_add_u32 s14, s14, (.LBB1_14184-.Lpost_getpc3545)&4294967295
	s_addc_u32 s15, s15, (.LBB1_14184-.Lpost_getpc3545)>>32
	s_setpc_b64 s[14:15]
.LBB1_28521:
	s_movk_i32 s4, 0x80
	v_cmp_eq_u16_sdwa s[12:13], v3, s4 src0_sel:BYTE_0 src1_sel:DWORD
	s_mov_b64 s[4:5], -1
                                        ; implicit-def: $sgpr10
	s_and_saveexec_b64 s[8:9], s[12:13]
; %bb.28522:
	s_mov_b32 s10, 0x7f800001
	s_xor_b64 s[4:5], exec, -1
; %bb.28523:
	s_or_b64 exec, exec, s[8:9]
	s_and_b64 s[4:5], s[4:5], exec
	s_or_saveexec_b64 s[6:7], s[6:7]
	v_mov_b32_e32 v2, s10
	s_xor_b64 exec, exec, s[6:7]
	s_cbranch_execnz .LBB1_28524
; %bb.64361:
	s_getpc_b64 s[14:15]
.Lpost_getpc17844:
	s_add_u32 s14, s14, (.LBB1_14186-.Lpost_getpc17844)&4294967295
	s_addc_u32 s15, s15, (.LBB1_14186-.Lpost_getpc17844)>>32
	s_setpc_b64 s[14:15]
.LBB1_28524:
	v_mov_b32_e32 v2, 0
	v_cmp_ne_u16_sdwa s[8:9], v3, v2 src0_sel:BYTE_0 src1_sel:DWORD
	s_andn2_b64 s[4:5], s[4:5], exec
	s_and_b64 s[8:9], s[8:9], exec
	s_or_b64 s[4:5], s[4:5], s[8:9]
	s_or_b64 exec, exec, s[6:7]
	s_and_saveexec_b64 s[6:7], s[4:5]
	s_cbranch_execz .LBB1_35765
; %bb.64363:
	s_getpc_b64 s[14:15]
.Lpost_getpc17845:
	s_add_u32 s14, s14, (.LBB1_14187-.Lpost_getpc17845)&4294967295
	s_addc_u32 s15, s15, (.LBB1_14187-.Lpost_getpc17845)>>32
	s_setpc_b64 s[14:15]
.LBB1_35765:
	s_getpc_b64 s[14:15]
.Lpost_getpc3546:
	s_add_u32 s14, s14, (.LBB1_14188-.Lpost_getpc3546)&4294967295
	s_addc_u32 s15, s15, (.LBB1_14188-.Lpost_getpc3546)>>32
	s_setpc_b64 s[14:15]
.LBB1_28525:
	s_movk_i32 s4, 0x80
	v_cmp_eq_u16_sdwa s[12:13], v3, s4 src0_sel:BYTE_0 src1_sel:DWORD
	s_mov_b64 s[4:5], -1
                                        ; implicit-def: $sgpr10
	s_and_saveexec_b64 s[8:9], s[12:13]
; %bb.28526:
	s_mov_b32 s10, 0x7f800001
	s_xor_b64 s[4:5], exec, -1
; %bb.28527:
	s_or_b64 exec, exec, s[8:9]
	s_and_b64 s[4:5], s[4:5], exec
	s_or_saveexec_b64 s[6:7], s[6:7]
	v_mov_b32_e32 v4, s10
	s_xor_b64 exec, exec, s[6:7]
	s_cbranch_execnz .LBB1_28528
; %bb.64365:
	s_getpc_b64 s[14:15]
.Lpost_getpc17846:
	s_add_u32 s14, s14, (.LBB1_14190-.Lpost_getpc17846)&4294967295
	s_addc_u32 s15, s15, (.LBB1_14190-.Lpost_getpc17846)>>32
	s_setpc_b64 s[14:15]
.LBB1_28528:
	v_mov_b32_e32 v4, 0
	v_cmp_ne_u16_sdwa s[8:9], v3, v4 src0_sel:BYTE_0 src1_sel:DWORD
	s_andn2_b64 s[4:5], s[4:5], exec
	s_and_b64 s[8:9], s[8:9], exec
	s_or_b64 s[4:5], s[4:5], s[8:9]
	s_or_b64 exec, exec, s[6:7]
	s_and_saveexec_b64 s[6:7], s[4:5]
	s_cbranch_execz .LBB1_35767
; %bb.64367:
	s_getpc_b64 s[14:15]
.Lpost_getpc17847:
	s_add_u32 s14, s14, (.LBB1_14191-.Lpost_getpc17847)&4294967295
	s_addc_u32 s15, s15, (.LBB1_14191-.Lpost_getpc17847)>>32
	s_setpc_b64 s[14:15]
.LBB1_35767:
	s_getpc_b64 s[14:15]
.Lpost_getpc3547:
	s_add_u32 s14, s14, (.LBB1_14192-.Lpost_getpc3547)&4294967295
	s_addc_u32 s15, s15, (.LBB1_14192-.Lpost_getpc3547)>>32
	s_setpc_b64 s[14:15]
.LBB1_28529:
	s_movk_i32 s4, 0x80
	v_cmp_eq_u16_e32 vcc, s4, v3
	s_mov_b64 s[4:5], -1
                                        ; implicit-def: $sgpr10
	s_and_saveexec_b64 s[8:9], vcc
; %bb.28530:
	s_mov_b32 s10, 0x7f800001
	s_xor_b64 s[4:5], exec, -1
; %bb.28531:
	s_or_b64 exec, exec, s[8:9]
	s_and_b64 s[4:5], s[4:5], exec
                                        ; implicit-def: $vgpr3
	s_or_saveexec_b64 s[6:7], s[6:7]
	v_mov_b32_e32 v2, s10
	s_xor_b64 exec, exec, s[6:7]
	s_cbranch_execnz .LBB1_28532
; %bb.64369:
	s_getpc_b64 s[14:15]
.Lpost_getpc17848:
	s_add_u32 s14, s14, (.LBB1_14194-.Lpost_getpc17848)&4294967295
	s_addc_u32 s15, s15, (.LBB1_14194-.Lpost_getpc17848)>>32
	s_setpc_b64 s[14:15]
.LBB1_28532:
	v_cmp_ne_u16_e32 vcc, 0, v3
	s_andn2_b64 s[4:5], s[4:5], exec
	s_and_b64 s[8:9], vcc, exec
	v_mov_b32_e32 v2, 0
	s_or_b64 s[4:5], s[4:5], s[8:9]
	s_or_b64 exec, exec, s[6:7]
	s_and_saveexec_b64 s[6:7], s[4:5]
	s_cbranch_execz .LBB1_35769
; %bb.64371:
	s_getpc_b64 s[14:15]
.Lpost_getpc17849:
	s_add_u32 s14, s14, (.LBB1_14195-.Lpost_getpc17849)&4294967295
	s_addc_u32 s15, s15, (.LBB1_14195-.Lpost_getpc17849)>>32
	s_setpc_b64 s[14:15]
.LBB1_35769:
	s_getpc_b64 s[14:15]
.Lpost_getpc3548:
	s_add_u32 s14, s14, (.LBB1_14196-.Lpost_getpc3548)&4294967295
	s_addc_u32 s15, s15, (.LBB1_14196-.Lpost_getpc3548)>>32
	s_setpc_b64 s[14:15]
.LBB1_28533:
	s_movk_i32 s4, 0x80
	v_cmp_eq_u16_e32 vcc, s4, v3
	s_mov_b64 s[4:5], -1
                                        ; implicit-def: $sgpr10
	s_and_saveexec_b64 s[8:9], vcc
; %bb.28534:
	s_mov_b32 s10, 0x7f800001
	s_xor_b64 s[4:5], exec, -1
; %bb.28535:
	s_or_b64 exec, exec, s[8:9]
	s_and_b64 s[4:5], s[4:5], exec
                                        ; implicit-def: $vgpr3
	s_or_saveexec_b64 s[6:7], s[6:7]
	v_mov_b32_e32 v4, s10
	s_xor_b64 exec, exec, s[6:7]
	s_cbranch_execnz .LBB1_28536
; %bb.64373:
	s_getpc_b64 s[14:15]
.Lpost_getpc17850:
	s_add_u32 s14, s14, (.LBB1_14198-.Lpost_getpc17850)&4294967295
	s_addc_u32 s15, s15, (.LBB1_14198-.Lpost_getpc17850)>>32
	s_setpc_b64 s[14:15]
.LBB1_28536:
	v_cmp_ne_u16_e32 vcc, 0, v3
	s_andn2_b64 s[4:5], s[4:5], exec
	s_and_b64 s[8:9], vcc, exec
	v_mov_b32_e32 v4, 0
	s_or_b64 s[4:5], s[4:5], s[8:9]
	s_or_b64 exec, exec, s[6:7]
	s_and_saveexec_b64 s[6:7], s[4:5]
	s_cbranch_execz .LBB1_35771
; %bb.64375:
	s_getpc_b64 s[14:15]
.Lpost_getpc17851:
	s_add_u32 s14, s14, (.LBB1_14199-.Lpost_getpc17851)&4294967295
	s_addc_u32 s15, s15, (.LBB1_14199-.Lpost_getpc17851)>>32
	s_setpc_b64 s[14:15]
.LBB1_35771:
	s_getpc_b64 s[14:15]
.Lpost_getpc3549:
	s_add_u32 s14, s14, (.LBB1_14200-.Lpost_getpc3549)&4294967295
	s_addc_u32 s15, s15, (.LBB1_14200-.Lpost_getpc3549)>>32
	s_setpc_b64 s[14:15]
.LBB1_28537:
	s_movk_i32 s4, 0x80
	v_cmp_eq_u16_sdwa s[12:13], v9, s4 src0_sel:BYTE_3 src1_sel:DWORD
	s_mov_b64 s[4:5], -1
                                        ; implicit-def: $sgpr10
	s_and_saveexec_b64 s[8:9], s[12:13]
; %bb.28538:
	s_mov_b32 s10, 0x7f800001
	s_xor_b64 s[4:5], exec, -1
; %bb.28539:
	s_or_b64 exec, exec, s[8:9]
	s_and_b64 s[4:5], s[4:5], exec
	s_or_saveexec_b64 s[6:7], s[6:7]
	v_mov_b32_e32 v2, s10
	s_xor_b64 exec, exec, s[6:7]
	s_cbranch_execnz .LBB1_28540
; %bb.64377:
	s_getpc_b64 s[14:15]
.Lpost_getpc17852:
	s_add_u32 s14, s14, (.LBB1_14202-.Lpost_getpc17852)&4294967295
	s_addc_u32 s15, s15, (.LBB1_14202-.Lpost_getpc17852)>>32
	s_setpc_b64 s[14:15]
.LBB1_28540:
	v_mov_b32_e32 v2, 0
	v_cmp_ne_u16_sdwa s[8:9], v9, v2 src0_sel:BYTE_3 src1_sel:DWORD
	s_andn2_b64 s[4:5], s[4:5], exec
	s_and_b64 s[8:9], s[8:9], exec
	s_or_b64 s[4:5], s[4:5], s[8:9]
	s_or_b64 exec, exec, s[6:7]
	s_and_saveexec_b64 s[6:7], s[4:5]
	s_cbranch_execz .LBB1_35773
; %bb.64379:
	s_getpc_b64 s[14:15]
.Lpost_getpc17853:
	s_add_u32 s14, s14, (.LBB1_14203-.Lpost_getpc17853)&4294967295
	s_addc_u32 s15, s15, (.LBB1_14203-.Lpost_getpc17853)>>32
	s_setpc_b64 s[14:15]
.LBB1_35773:
	s_getpc_b64 s[14:15]
.Lpost_getpc3550:
	s_add_u32 s14, s14, (.LBB1_14204-.Lpost_getpc3550)&4294967295
	s_addc_u32 s15, s15, (.LBB1_14204-.Lpost_getpc3550)>>32
	s_setpc_b64 s[14:15]
.LBB1_28541:
	s_movk_i32 s4, 0x80
	v_cmp_eq_u16_sdwa s[12:13], v5, s4 src0_sel:BYTE_3 src1_sel:DWORD
	s_mov_b64 s[4:5], -1
                                        ; implicit-def: $sgpr10
	s_and_saveexec_b64 s[8:9], s[12:13]
; %bb.28542:
	s_mov_b32 s10, 0x7f800001
	s_xor_b64 s[4:5], exec, -1
; %bb.28543:
	s_or_b64 exec, exec, s[8:9]
	s_and_b64 s[4:5], s[4:5], exec
	s_or_saveexec_b64 s[6:7], s[6:7]
	v_mov_b32_e32 v3, s10
	s_xor_b64 exec, exec, s[6:7]
	s_cbranch_execnz .LBB1_28544
; %bb.64381:
	s_getpc_b64 s[14:15]
.Lpost_getpc17854:
	s_add_u32 s14, s14, (.LBB1_14206-.Lpost_getpc17854)&4294967295
	s_addc_u32 s15, s15, (.LBB1_14206-.Lpost_getpc17854)>>32
	s_setpc_b64 s[14:15]
.LBB1_28544:
	v_mov_b32_e32 v3, 0
	v_cmp_ne_u16_sdwa s[8:9], v5, v3 src0_sel:BYTE_3 src1_sel:DWORD
	s_andn2_b64 s[4:5], s[4:5], exec
	s_and_b64 s[8:9], s[8:9], exec
	s_or_b64 s[4:5], s[4:5], s[8:9]
	s_or_b64 exec, exec, s[6:7]
	s_and_saveexec_b64 s[6:7], s[4:5]
	s_cbranch_execz .LBB1_35775
; %bb.64383:
	s_getpc_b64 s[14:15]
.Lpost_getpc17855:
	s_add_u32 s14, s14, (.LBB1_14207-.Lpost_getpc17855)&4294967295
	s_addc_u32 s15, s15, (.LBB1_14207-.Lpost_getpc17855)>>32
	s_setpc_b64 s[14:15]
.LBB1_35775:
	s_getpc_b64 s[14:15]
.Lpost_getpc3551:
	s_add_u32 s14, s14, (.LBB1_14208-.Lpost_getpc3551)&4294967295
	s_addc_u32 s15, s15, (.LBB1_14208-.Lpost_getpc3551)>>32
	s_setpc_b64 s[14:15]
.LBB1_28545:
	s_movk_i32 s4, 0x80
	v_cmp_eq_u16_sdwa s[12:13], v4, s4 src0_sel:BYTE_0 src1_sel:DWORD
	s_mov_b64 s[4:5], -1
                                        ; implicit-def: $sgpr10
	s_and_saveexec_b64 s[8:9], s[12:13]
; %bb.28546:
	s_mov_b32 s10, 0x7f800001
	s_xor_b64 s[4:5], exec, -1
; %bb.28547:
	s_or_b64 exec, exec, s[8:9]
	s_and_b64 s[4:5], s[4:5], exec
	s_or_saveexec_b64 s[6:7], s[6:7]
	v_mov_b32_e32 v10, s10
	s_xor_b64 exec, exec, s[6:7]
	s_cbranch_execnz .LBB1_28548
; %bb.64385:
	s_getpc_b64 s[14:15]
.Lpost_getpc17856:
	s_add_u32 s14, s14, (.LBB1_14210-.Lpost_getpc17856)&4294967295
	s_addc_u32 s15, s15, (.LBB1_14210-.Lpost_getpc17856)>>32
	s_setpc_b64 s[14:15]
.LBB1_28548:
	v_mov_b32_e32 v10, 0
	v_cmp_ne_u16_sdwa s[8:9], v4, v10 src0_sel:BYTE_0 src1_sel:DWORD
	s_andn2_b64 s[4:5], s[4:5], exec
	s_and_b64 s[8:9], s[8:9], exec
	s_or_b64 s[4:5], s[4:5], s[8:9]
	s_or_b64 exec, exec, s[6:7]
	s_and_saveexec_b64 s[6:7], s[4:5]
	s_cbranch_execz .LBB1_35777
; %bb.64387:
	s_getpc_b64 s[14:15]
.Lpost_getpc17857:
	s_add_u32 s14, s14, (.LBB1_14211-.Lpost_getpc17857)&4294967295
	s_addc_u32 s15, s15, (.LBB1_14211-.Lpost_getpc17857)>>32
	s_setpc_b64 s[14:15]
.LBB1_35777:
	s_getpc_b64 s[14:15]
.Lpost_getpc3552:
	s_add_u32 s14, s14, (.LBB1_14212-.Lpost_getpc3552)&4294967295
	s_addc_u32 s15, s15, (.LBB1_14212-.Lpost_getpc3552)>>32
	s_setpc_b64 s[14:15]
.LBB1_28549:
	s_movk_i32 s4, 0x80
	v_cmp_eq_u16_sdwa s[12:13], v0, s4 src0_sel:BYTE_0 src1_sel:DWORD
	s_mov_b64 s[4:5], -1
                                        ; implicit-def: $sgpr10
	s_and_saveexec_b64 s[8:9], s[12:13]
; %bb.28550:
	s_mov_b32 s10, 0x7f800001
	s_xor_b64 s[4:5], exec, -1
; %bb.28551:
	s_or_b64 exec, exec, s[8:9]
	s_and_b64 s[4:5], s[4:5], exec
	s_or_saveexec_b64 s[6:7], s[6:7]
	v_mov_b32_e32 v11, s10
	s_xor_b64 exec, exec, s[6:7]
	s_cbranch_execnz .LBB1_28552
; %bb.64389:
	s_getpc_b64 s[14:15]
.Lpost_getpc17858:
	s_add_u32 s14, s14, (.LBB1_14214-.Lpost_getpc17858)&4294967295
	s_addc_u32 s15, s15, (.LBB1_14214-.Lpost_getpc17858)>>32
	s_setpc_b64 s[14:15]
.LBB1_28552:
	v_mov_b32_e32 v11, 0
	v_cmp_ne_u16_sdwa s[8:9], v0, v11 src0_sel:BYTE_0 src1_sel:DWORD
	s_andn2_b64 s[4:5], s[4:5], exec
	s_and_b64 s[8:9], s[8:9], exec
	s_or_b64 s[4:5], s[4:5], s[8:9]
	s_or_b64 exec, exec, s[6:7]
	s_and_saveexec_b64 s[6:7], s[4:5]
	s_cbranch_execz .LBB1_35779
; %bb.64391:
	s_getpc_b64 s[14:15]
.Lpost_getpc17859:
	s_add_u32 s14, s14, (.LBB1_14215-.Lpost_getpc17859)&4294967295
	s_addc_u32 s15, s15, (.LBB1_14215-.Lpost_getpc17859)>>32
	s_setpc_b64 s[14:15]
.LBB1_35779:
	s_getpc_b64 s[14:15]
.Lpost_getpc3553:
	s_add_u32 s14, s14, (.LBB1_14216-.Lpost_getpc3553)&4294967295
	s_addc_u32 s15, s15, (.LBB1_14216-.Lpost_getpc3553)>>32
	s_setpc_b64 s[14:15]
.LBB1_28553:
	s_movk_i32 s4, 0x80
	v_cmp_eq_u16_sdwa s[12:13], v11, s4 src0_sel:BYTE_0 src1_sel:DWORD
	s_mov_b64 s[4:5], -1
                                        ; implicit-def: $sgpr10
	s_and_saveexec_b64 s[8:9], s[12:13]
; %bb.28554:
	s_mov_b32 s10, 0x7f800001
	s_xor_b64 s[4:5], exec, -1
; %bb.28555:
	s_or_b64 exec, exec, s[8:9]
	s_and_b64 s[4:5], s[4:5], exec
	s_or_saveexec_b64 s[6:7], s[6:7]
	v_mov_b32_e32 v10, s10
	s_xor_b64 exec, exec, s[6:7]
	s_cbranch_execnz .LBB1_28556
; %bb.64393:
	s_getpc_b64 s[14:15]
.Lpost_getpc17860:
	s_add_u32 s14, s14, (.LBB1_14218-.Lpost_getpc17860)&4294967295
	s_addc_u32 s15, s15, (.LBB1_14218-.Lpost_getpc17860)>>32
	s_setpc_b64 s[14:15]
.LBB1_28556:
	v_mov_b32_e32 v10, 0
	v_cmp_ne_u16_sdwa s[8:9], v11, v10 src0_sel:BYTE_0 src1_sel:DWORD
	s_andn2_b64 s[4:5], s[4:5], exec
	s_and_b64 s[8:9], s[8:9], exec
	s_or_b64 s[4:5], s[4:5], s[8:9]
	s_or_b64 exec, exec, s[6:7]
	s_and_saveexec_b64 s[6:7], s[4:5]
	s_cbranch_execz .LBB1_35781
; %bb.64395:
	s_getpc_b64 s[14:15]
.Lpost_getpc17861:
	s_add_u32 s14, s14, (.LBB1_14219-.Lpost_getpc17861)&4294967295
	s_addc_u32 s15, s15, (.LBB1_14219-.Lpost_getpc17861)>>32
	s_setpc_b64 s[14:15]
.LBB1_35781:
	s_getpc_b64 s[14:15]
.Lpost_getpc3554:
	s_add_u32 s14, s14, (.LBB1_14220-.Lpost_getpc3554)&4294967295
	s_addc_u32 s15, s15, (.LBB1_14220-.Lpost_getpc3554)>>32
	s_setpc_b64 s[14:15]
.LBB1_28557:
	s_movk_i32 s4, 0x80
	v_cmp_eq_u16_sdwa s[12:13], v11, s4 src0_sel:BYTE_0 src1_sel:DWORD
	s_mov_b64 s[4:5], -1
                                        ; implicit-def: $sgpr10
	s_and_saveexec_b64 s[8:9], s[12:13]
; %bb.28558:
	s_mov_b32 s10, 0x7f800001
	s_xor_b64 s[4:5], exec, -1
; %bb.28559:
	s_or_b64 exec, exec, s[8:9]
	s_and_b64 s[4:5], s[4:5], exec
	s_or_saveexec_b64 s[6:7], s[6:7]
	v_mov_b32_e32 v12, s10
	s_xor_b64 exec, exec, s[6:7]
	s_cbranch_execnz .LBB1_28560
; %bb.64397:
	s_getpc_b64 s[14:15]
.Lpost_getpc17862:
	s_add_u32 s14, s14, (.LBB1_14222-.Lpost_getpc17862)&4294967295
	s_addc_u32 s15, s15, (.LBB1_14222-.Lpost_getpc17862)>>32
	s_setpc_b64 s[14:15]
.LBB1_28560:
	v_mov_b32_e32 v12, 0
	v_cmp_ne_u16_sdwa s[8:9], v11, v12 src0_sel:BYTE_0 src1_sel:DWORD
	s_andn2_b64 s[4:5], s[4:5], exec
	s_and_b64 s[8:9], s[8:9], exec
	s_or_b64 s[4:5], s[4:5], s[8:9]
	s_or_b64 exec, exec, s[6:7]
	s_and_saveexec_b64 s[6:7], s[4:5]
	s_cbranch_execz .LBB1_35783
; %bb.64399:
	s_getpc_b64 s[14:15]
.Lpost_getpc17863:
	s_add_u32 s14, s14, (.LBB1_14223-.Lpost_getpc17863)&4294967295
	s_addc_u32 s15, s15, (.LBB1_14223-.Lpost_getpc17863)>>32
	s_setpc_b64 s[14:15]
.LBB1_35783:
	s_getpc_b64 s[14:15]
.Lpost_getpc3555:
	s_add_u32 s14, s14, (.LBB1_14224-.Lpost_getpc3555)&4294967295
	s_addc_u32 s15, s15, (.LBB1_14224-.Lpost_getpc3555)>>32
	s_setpc_b64 s[14:15]
.LBB1_28561:
	s_movk_i32 s4, 0x80
	v_cmp_eq_u16_e32 vcc, s4, v11
	s_mov_b64 s[4:5], -1
                                        ; implicit-def: $sgpr10
	s_and_saveexec_b64 s[8:9], vcc
; %bb.28562:
	s_mov_b32 s10, 0x7f800001
	s_xor_b64 s[4:5], exec, -1
; %bb.28563:
	s_or_b64 exec, exec, s[8:9]
	s_and_b64 s[4:5], s[4:5], exec
                                        ; implicit-def: $vgpr11
	s_or_saveexec_b64 s[6:7], s[6:7]
	v_mov_b32_e32 v10, s10
	s_xor_b64 exec, exec, s[6:7]
	s_cbranch_execnz .LBB1_28564
; %bb.64401:
	s_getpc_b64 s[14:15]
.Lpost_getpc17864:
	s_add_u32 s14, s14, (.LBB1_14226-.Lpost_getpc17864)&4294967295
	s_addc_u32 s15, s15, (.LBB1_14226-.Lpost_getpc17864)>>32
	s_setpc_b64 s[14:15]
.LBB1_28564:
	v_cmp_ne_u16_e32 vcc, 0, v11
	s_andn2_b64 s[4:5], s[4:5], exec
	s_and_b64 s[8:9], vcc, exec
	v_mov_b32_e32 v10, 0
	s_or_b64 s[4:5], s[4:5], s[8:9]
	s_or_b64 exec, exec, s[6:7]
	s_and_saveexec_b64 s[6:7], s[4:5]
	s_cbranch_execz .LBB1_35785
; %bb.64403:
	s_getpc_b64 s[14:15]
.Lpost_getpc17865:
	s_add_u32 s14, s14, (.LBB1_14227-.Lpost_getpc17865)&4294967295
	s_addc_u32 s15, s15, (.LBB1_14227-.Lpost_getpc17865)>>32
	s_setpc_b64 s[14:15]
.LBB1_35785:
	s_getpc_b64 s[14:15]
.Lpost_getpc3556:
	s_add_u32 s14, s14, (.LBB1_14228-.Lpost_getpc3556)&4294967295
	s_addc_u32 s15, s15, (.LBB1_14228-.Lpost_getpc3556)>>32
	s_setpc_b64 s[14:15]
.LBB1_28565:
	s_movk_i32 s4, 0x80
	v_cmp_eq_u16_e32 vcc, s4, v11
	s_mov_b64 s[4:5], -1
                                        ; implicit-def: $sgpr10
	s_and_saveexec_b64 s[8:9], vcc
; %bb.28566:
	s_mov_b32 s10, 0x7f800001
	s_xor_b64 s[4:5], exec, -1
; %bb.28567:
	s_or_b64 exec, exec, s[8:9]
	s_and_b64 s[4:5], s[4:5], exec
                                        ; implicit-def: $vgpr11
	s_or_saveexec_b64 s[6:7], s[6:7]
	v_mov_b32_e32 v12, s10
	s_xor_b64 exec, exec, s[6:7]
	s_cbranch_execnz .LBB1_28568
; %bb.64405:
	s_getpc_b64 s[14:15]
.Lpost_getpc17866:
	s_add_u32 s14, s14, (.LBB1_14230-.Lpost_getpc17866)&4294967295
	s_addc_u32 s15, s15, (.LBB1_14230-.Lpost_getpc17866)>>32
	s_setpc_b64 s[14:15]
.LBB1_28568:
	v_cmp_ne_u16_e32 vcc, 0, v11
	s_andn2_b64 s[4:5], s[4:5], exec
	s_and_b64 s[8:9], vcc, exec
	v_mov_b32_e32 v12, 0
	s_or_b64 s[4:5], s[4:5], s[8:9]
	s_or_b64 exec, exec, s[6:7]
	s_and_saveexec_b64 s[6:7], s[4:5]
	s_cbranch_execz .LBB1_35787
; %bb.64407:
	s_getpc_b64 s[14:15]
.Lpost_getpc17867:
	s_add_u32 s14, s14, (.LBB1_14231-.Lpost_getpc17867)&4294967295
	s_addc_u32 s15, s15, (.LBB1_14231-.Lpost_getpc17867)>>32
	s_setpc_b64 s[14:15]
.LBB1_35787:
	s_getpc_b64 s[14:15]
.Lpost_getpc3557:
	s_add_u32 s14, s14, (.LBB1_14232-.Lpost_getpc3557)&4294967295
	s_addc_u32 s15, s15, (.LBB1_14232-.Lpost_getpc3557)>>32
	s_setpc_b64 s[14:15]
.LBB1_28569:
	s_movk_i32 s4, 0x80
	v_cmp_eq_u16_sdwa s[12:13], v4, s4 src0_sel:BYTE_3 src1_sel:DWORD
	s_mov_b64 s[4:5], -1
                                        ; implicit-def: $sgpr10
	s_and_saveexec_b64 s[8:9], s[12:13]
; %bb.28570:
	s_mov_b32 s10, 0x7f800001
	s_xor_b64 s[4:5], exec, -1
; %bb.28571:
	s_or_b64 exec, exec, s[8:9]
	s_and_b64 s[4:5], s[4:5], exec
	s_or_saveexec_b64 s[6:7], s[6:7]
	v_mov_b32_e32 v10, s10
	s_xor_b64 exec, exec, s[6:7]
	s_cbranch_execnz .LBB1_28572
; %bb.64409:
	s_getpc_b64 s[14:15]
.Lpost_getpc17868:
	s_add_u32 s14, s14, (.LBB1_14234-.Lpost_getpc17868)&4294967295
	s_addc_u32 s15, s15, (.LBB1_14234-.Lpost_getpc17868)>>32
	s_setpc_b64 s[14:15]
.LBB1_28572:
	v_mov_b32_e32 v10, 0
	v_cmp_ne_u16_sdwa s[8:9], v4, v10 src0_sel:BYTE_3 src1_sel:DWORD
	s_andn2_b64 s[4:5], s[4:5], exec
	s_and_b64 s[8:9], s[8:9], exec
	s_or_b64 s[4:5], s[4:5], s[8:9]
	s_or_b64 exec, exec, s[6:7]
	s_and_saveexec_b64 s[6:7], s[4:5]
	s_cbranch_execz .LBB1_35789
; %bb.64411:
	s_getpc_b64 s[14:15]
.Lpost_getpc17869:
	s_add_u32 s14, s14, (.LBB1_14235-.Lpost_getpc17869)&4294967295
	s_addc_u32 s15, s15, (.LBB1_14235-.Lpost_getpc17869)>>32
	s_setpc_b64 s[14:15]
.LBB1_35789:
	s_getpc_b64 s[14:15]
.Lpost_getpc3558:
	s_add_u32 s14, s14, (.LBB1_14236-.Lpost_getpc3558)&4294967295
	s_addc_u32 s15, s15, (.LBB1_14236-.Lpost_getpc3558)>>32
	s_setpc_b64 s[14:15]
.LBB1_28573:
	s_movk_i32 s4, 0x80
	v_cmp_eq_u16_sdwa s[12:13], v0, s4 src0_sel:BYTE_3 src1_sel:DWORD
	s_mov_b64 s[4:5], -1
                                        ; implicit-def: $sgpr10
	s_and_saveexec_b64 s[8:9], s[12:13]
; %bb.28574:
	s_mov_b32 s10, 0x7f800001
	s_xor_b64 s[4:5], exec, -1
; %bb.28575:
	s_or_b64 exec, exec, s[8:9]
	s_and_b64 s[4:5], s[4:5], exec
	s_or_saveexec_b64 s[6:7], s[6:7]
	v_mov_b32_e32 v4, s10
	s_xor_b64 exec, exec, s[6:7]
	s_cbranch_execnz .LBB1_28576
; %bb.64413:
	s_getpc_b64 s[14:15]
.Lpost_getpc17870:
	s_add_u32 s14, s14, (.LBB1_14238-.Lpost_getpc17870)&4294967295
	s_addc_u32 s15, s15, (.LBB1_14238-.Lpost_getpc17870)>>32
	s_setpc_b64 s[14:15]
.LBB1_28576:
	v_mov_b32_e32 v4, 0
	v_cmp_ne_u16_sdwa s[8:9], v0, v4 src0_sel:BYTE_3 src1_sel:DWORD
	s_andn2_b64 s[4:5], s[4:5], exec
	s_and_b64 s[8:9], s[8:9], exec
	s_or_b64 s[4:5], s[4:5], s[8:9]
	s_or_b64 exec, exec, s[6:7]
	s_and_saveexec_b64 s[6:7], s[4:5]
	s_cbranch_execz .LBB1_35791
; %bb.64415:
	s_getpc_b64 s[14:15]
.Lpost_getpc17871:
	s_add_u32 s14, s14, (.LBB1_14239-.Lpost_getpc17871)&4294967295
	s_addc_u32 s15, s15, (.LBB1_14239-.Lpost_getpc17871)>>32
	s_setpc_b64 s[14:15]
.LBB1_35791:
	s_getpc_b64 s[14:15]
.Lpost_getpc3559:
	s_add_u32 s14, s14, (.LBB1_14240-.Lpost_getpc3559)&4294967295
	s_addc_u32 s15, s15, (.LBB1_14240-.Lpost_getpc3559)>>32
	s_setpc_b64 s[14:15]
.LBB1_28577:
	s_movk_i32 s4, 0x80
	v_cmp_eq_u16_sdwa s[12:13], v5, s4 src0_sel:BYTE_0 src1_sel:DWORD
	s_mov_b64 s[4:5], -1
                                        ; implicit-def: $sgpr10
	s_and_saveexec_b64 s[8:9], s[12:13]
; %bb.28578:
	s_mov_b32 s10, 0x7f800001
	s_xor_b64 s[4:5], exec, -1
; %bb.28579:
	s_or_b64 exec, exec, s[8:9]
	s_and_b64 s[4:5], s[4:5], exec
	s_or_saveexec_b64 s[6:7], s[6:7]
	v_mov_b32_e32 v0, s10
	s_xor_b64 exec, exec, s[6:7]
	s_cbranch_execnz .LBB1_28580
; %bb.64417:
	s_getpc_b64 s[14:15]
.Lpost_getpc17872:
	s_add_u32 s14, s14, (.LBB1_14242-.Lpost_getpc17872)&4294967295
	s_addc_u32 s15, s15, (.LBB1_14242-.Lpost_getpc17872)>>32
	s_setpc_b64 s[14:15]
.LBB1_28580:
	v_mov_b32_e32 v0, 0
	v_cmp_ne_u16_sdwa s[8:9], v5, v0 src0_sel:BYTE_0 src1_sel:DWORD
	s_andn2_b64 s[4:5], s[4:5], exec
	s_and_b64 s[8:9], s[8:9], exec
	s_or_b64 s[4:5], s[4:5], s[8:9]
	s_or_b64 exec, exec, s[6:7]
	s_and_saveexec_b64 s[6:7], s[4:5]
	s_cbranch_execz .LBB1_35793
; %bb.64419:
	s_getpc_b64 s[14:15]
.Lpost_getpc17873:
	s_add_u32 s14, s14, (.LBB1_14243-.Lpost_getpc17873)&4294967295
	s_addc_u32 s15, s15, (.LBB1_14243-.Lpost_getpc17873)>>32
	s_setpc_b64 s[14:15]
.LBB1_35793:
	s_getpc_b64 s[14:15]
.Lpost_getpc3560:
	s_add_u32 s14, s14, (.LBB1_14244-.Lpost_getpc3560)&4294967295
	s_addc_u32 s15, s15, (.LBB1_14244-.Lpost_getpc3560)>>32
	s_setpc_b64 s[14:15]
.LBB1_28581:
	s_movk_i32 s4, 0x80
	v_cmp_eq_u16_sdwa s[12:13], v1, s4 src0_sel:BYTE_0 src1_sel:DWORD
	s_mov_b64 s[4:5], -1
                                        ; implicit-def: $sgpr10
	s_and_saveexec_b64 s[8:9], s[12:13]
; %bb.28582:
	s_mov_b32 s10, 0x7f800001
	s_xor_b64 s[4:5], exec, -1
; %bb.28583:
	s_or_b64 exec, exec, s[8:9]
	s_and_b64 s[4:5], s[4:5], exec
	s_or_saveexec_b64 s[6:7], s[6:7]
	v_mov_b32_e32 v4, s10
	s_xor_b64 exec, exec, s[6:7]
	s_cbranch_execnz .LBB1_28584
; %bb.64421:
	s_getpc_b64 s[14:15]
.Lpost_getpc17874:
	s_add_u32 s14, s14, (.LBB1_14246-.Lpost_getpc17874)&4294967295
	s_addc_u32 s15, s15, (.LBB1_14246-.Lpost_getpc17874)>>32
	s_setpc_b64 s[14:15]
.LBB1_28584:
	v_mov_b32_e32 v4, 0
	v_cmp_ne_u16_sdwa s[8:9], v1, v4 src0_sel:BYTE_0 src1_sel:DWORD
	s_andn2_b64 s[4:5], s[4:5], exec
	s_and_b64 s[8:9], s[8:9], exec
	s_or_b64 s[4:5], s[4:5], s[8:9]
	s_or_b64 exec, exec, s[6:7]
	s_and_saveexec_b64 s[6:7], s[4:5]
	s_cbranch_execz .LBB1_35795
; %bb.64423:
	s_getpc_b64 s[14:15]
.Lpost_getpc17875:
	s_add_u32 s14, s14, (.LBB1_14247-.Lpost_getpc17875)&4294967295
	s_addc_u32 s15, s15, (.LBB1_14247-.Lpost_getpc17875)>>32
	s_setpc_b64 s[14:15]
.LBB1_35795:
	s_getpc_b64 s[14:15]
.Lpost_getpc3561:
	s_add_u32 s14, s14, (.LBB1_14248-.Lpost_getpc3561)&4294967295
	s_addc_u32 s15, s15, (.LBB1_14248-.Lpost_getpc3561)>>32
	s_setpc_b64 s[14:15]
.LBB1_28585:
	s_movk_i32 s4, 0x80
	v_cmp_eq_u16_sdwa s[12:13], v4, s4 src0_sel:BYTE_0 src1_sel:DWORD
	s_mov_b64 s[4:5], -1
                                        ; implicit-def: $sgpr10
	s_and_saveexec_b64 s[8:9], s[12:13]
; %bb.28586:
	s_mov_b32 s10, 0x7f800001
	s_xor_b64 s[4:5], exec, -1
; %bb.28587:
	s_or_b64 exec, exec, s[8:9]
	s_and_b64 s[4:5], s[4:5], exec
	s_or_saveexec_b64 s[6:7], s[6:7]
	v_mov_b32_e32 v0, s10
	s_xor_b64 exec, exec, s[6:7]
	s_cbranch_execnz .LBB1_28588
; %bb.64425:
	s_getpc_b64 s[14:15]
.Lpost_getpc17876:
	s_add_u32 s14, s14, (.LBB1_14250-.Lpost_getpc17876)&4294967295
	s_addc_u32 s15, s15, (.LBB1_14250-.Lpost_getpc17876)>>32
	s_setpc_b64 s[14:15]
.LBB1_28588:
	v_mov_b32_e32 v0, 0
	v_cmp_ne_u16_sdwa s[8:9], v4, v0 src0_sel:BYTE_0 src1_sel:DWORD
	s_andn2_b64 s[4:5], s[4:5], exec
	s_and_b64 s[8:9], s[8:9], exec
	s_or_b64 s[4:5], s[4:5], s[8:9]
	s_or_b64 exec, exec, s[6:7]
	s_and_saveexec_b64 s[6:7], s[4:5]
	s_cbranch_execz .LBB1_35797
; %bb.64427:
	s_getpc_b64 s[14:15]
.Lpost_getpc17877:
	s_add_u32 s14, s14, (.LBB1_14251-.Lpost_getpc17877)&4294967295
	s_addc_u32 s15, s15, (.LBB1_14251-.Lpost_getpc17877)>>32
	s_setpc_b64 s[14:15]
.LBB1_35797:
	s_getpc_b64 s[14:15]
.Lpost_getpc3562:
	s_add_u32 s14, s14, (.LBB1_14252-.Lpost_getpc3562)&4294967295
	s_addc_u32 s15, s15, (.LBB1_14252-.Lpost_getpc3562)>>32
	s_setpc_b64 s[14:15]
.LBB1_28589:
	s_movk_i32 s4, 0x80
	v_cmp_eq_u16_sdwa s[12:13], v4, s4 src0_sel:BYTE_0 src1_sel:DWORD
	s_mov_b64 s[4:5], -1
                                        ; implicit-def: $sgpr10
	s_and_saveexec_b64 s[8:9], s[12:13]
; %bb.28590:
	s_mov_b32 s10, 0x7f800001
	s_xor_b64 s[4:5], exec, -1
; %bb.28591:
	s_or_b64 exec, exec, s[8:9]
	s_and_b64 s[4:5], s[4:5], exec
	s_or_saveexec_b64 s[6:7], s[6:7]
	v_mov_b32_e32 v10, s10
	s_xor_b64 exec, exec, s[6:7]
	s_cbranch_execnz .LBB1_28592
; %bb.64429:
	s_getpc_b64 s[14:15]
.Lpost_getpc17878:
	s_add_u32 s14, s14, (.LBB1_14254-.Lpost_getpc17878)&4294967295
	s_addc_u32 s15, s15, (.LBB1_14254-.Lpost_getpc17878)>>32
	s_setpc_b64 s[14:15]
.LBB1_28592:
	v_mov_b32_e32 v10, 0
	v_cmp_ne_u16_sdwa s[8:9], v4, v10 src0_sel:BYTE_0 src1_sel:DWORD
	s_andn2_b64 s[4:5], s[4:5], exec
	s_and_b64 s[8:9], s[8:9], exec
	s_or_b64 s[4:5], s[4:5], s[8:9]
	s_or_b64 exec, exec, s[6:7]
	s_and_saveexec_b64 s[6:7], s[4:5]
	s_cbranch_execz .LBB1_35799
; %bb.64431:
	s_getpc_b64 s[14:15]
.Lpost_getpc17879:
	s_add_u32 s14, s14, (.LBB1_14255-.Lpost_getpc17879)&4294967295
	s_addc_u32 s15, s15, (.LBB1_14255-.Lpost_getpc17879)>>32
	s_setpc_b64 s[14:15]
.LBB1_35799:
	s_getpc_b64 s[14:15]
.Lpost_getpc3563:
	s_add_u32 s14, s14, (.LBB1_14256-.Lpost_getpc3563)&4294967295
	s_addc_u32 s15, s15, (.LBB1_14256-.Lpost_getpc3563)>>32
	s_setpc_b64 s[14:15]
.LBB1_28593:
	s_movk_i32 s4, 0x80
	v_cmp_eq_u16_e32 vcc, s4, v4
	s_mov_b64 s[4:5], -1
                                        ; implicit-def: $sgpr10
	s_and_saveexec_b64 s[8:9], vcc
; %bb.28594:
	s_mov_b32 s10, 0x7f800001
	s_xor_b64 s[4:5], exec, -1
; %bb.28595:
	s_or_b64 exec, exec, s[8:9]
	s_and_b64 s[4:5], s[4:5], exec
                                        ; implicit-def: $vgpr4
	s_or_saveexec_b64 s[6:7], s[6:7]
	v_mov_b32_e32 v0, s10
	s_xor_b64 exec, exec, s[6:7]
	s_cbranch_execnz .LBB1_28596
; %bb.64433:
	s_getpc_b64 s[14:15]
.Lpost_getpc17880:
	s_add_u32 s14, s14, (.LBB1_14258-.Lpost_getpc17880)&4294967295
	s_addc_u32 s15, s15, (.LBB1_14258-.Lpost_getpc17880)>>32
	s_setpc_b64 s[14:15]
.LBB1_28596:
	v_cmp_ne_u16_e32 vcc, 0, v4
	s_andn2_b64 s[4:5], s[4:5], exec
	s_and_b64 s[8:9], vcc, exec
	v_mov_b32_e32 v0, 0
	s_or_b64 s[4:5], s[4:5], s[8:9]
	s_or_b64 exec, exec, s[6:7]
	s_and_saveexec_b64 s[6:7], s[4:5]
	s_cbranch_execz .LBB1_35801
; %bb.64435:
	s_getpc_b64 s[14:15]
.Lpost_getpc17881:
	s_add_u32 s14, s14, (.LBB1_14259-.Lpost_getpc17881)&4294967295
	s_addc_u32 s15, s15, (.LBB1_14259-.Lpost_getpc17881)>>32
	s_setpc_b64 s[14:15]
.LBB1_35801:
	s_getpc_b64 s[14:15]
.Lpost_getpc3564:
	s_add_u32 s14, s14, (.LBB1_14260-.Lpost_getpc3564)&4294967295
	s_addc_u32 s15, s15, (.LBB1_14260-.Lpost_getpc3564)>>32
	s_setpc_b64 s[14:15]
.LBB1_28597:
	s_movk_i32 s4, 0x80
	v_cmp_eq_u16_e32 vcc, s4, v4
	s_mov_b64 s[4:5], -1
                                        ; implicit-def: $sgpr10
	s_and_saveexec_b64 s[8:9], vcc
; %bb.28598:
	s_mov_b32 s10, 0x7f800001
	s_xor_b64 s[4:5], exec, -1
; %bb.28599:
	s_or_b64 exec, exec, s[8:9]
	s_and_b64 s[4:5], s[4:5], exec
                                        ; implicit-def: $vgpr4
	s_or_saveexec_b64 s[6:7], s[6:7]
	v_mov_b32_e32 v10, s10
	s_xor_b64 exec, exec, s[6:7]
	s_cbranch_execnz .LBB1_28600
; %bb.64437:
	s_getpc_b64 s[14:15]
.Lpost_getpc17882:
	s_add_u32 s14, s14, (.LBB1_14262-.Lpost_getpc17882)&4294967295
	s_addc_u32 s15, s15, (.LBB1_14262-.Lpost_getpc17882)>>32
	s_setpc_b64 s[14:15]
.LBB1_28600:
	v_cmp_ne_u16_e32 vcc, 0, v4
	s_andn2_b64 s[4:5], s[4:5], exec
	s_and_b64 s[8:9], vcc, exec
	v_mov_b32_e32 v10, 0
	s_or_b64 s[4:5], s[4:5], s[8:9]
	s_or_b64 exec, exec, s[6:7]
	s_and_saveexec_b64 s[6:7], s[4:5]
	s_cbranch_execz .LBB1_35803
; %bb.64439:
	s_getpc_b64 s[14:15]
.Lpost_getpc17883:
	s_add_u32 s14, s14, (.LBB1_14263-.Lpost_getpc17883)&4294967295
	s_addc_u32 s15, s15, (.LBB1_14263-.Lpost_getpc17883)>>32
	s_setpc_b64 s[14:15]
.LBB1_35803:
	s_getpc_b64 s[14:15]
.Lpost_getpc3565:
	s_add_u32 s14, s14, (.LBB1_14264-.Lpost_getpc3565)&4294967295
	s_addc_u32 s15, s15, (.LBB1_14264-.Lpost_getpc3565)>>32
	s_setpc_b64 s[14:15]
.LBB1_28601:
	s_movk_i32 s4, 0x80
	v_cmp_eq_u16_sdwa s[12:13], v5, s4 src0_sel:BYTE_3 src1_sel:DWORD
	s_mov_b64 s[4:5], -1
                                        ; implicit-def: $sgpr10
	s_and_saveexec_b64 s[8:9], s[12:13]
; %bb.28602:
	s_mov_b32 s10, 0x7f800001
	s_xor_b64 s[4:5], exec, -1
; %bb.28603:
	s_or_b64 exec, exec, s[8:9]
	s_and_b64 s[4:5], s[4:5], exec
	s_or_saveexec_b64 s[6:7], s[6:7]
	v_mov_b32_e32 v0, s10
	s_xor_b64 exec, exec, s[6:7]
	s_cbranch_execnz .LBB1_28604
; %bb.64441:
	s_getpc_b64 s[14:15]
.Lpost_getpc17884:
	s_add_u32 s14, s14, (.LBB1_14266-.Lpost_getpc17884)&4294967295
	s_addc_u32 s15, s15, (.LBB1_14266-.Lpost_getpc17884)>>32
	s_setpc_b64 s[14:15]
.LBB1_28604:
	v_mov_b32_e32 v0, 0
	v_cmp_ne_u16_sdwa s[8:9], v5, v0 src0_sel:BYTE_3 src1_sel:DWORD
	s_andn2_b64 s[4:5], s[4:5], exec
	s_and_b64 s[8:9], s[8:9], exec
	s_or_b64 s[4:5], s[4:5], s[8:9]
	s_or_b64 exec, exec, s[6:7]
	s_and_saveexec_b64 s[6:7], s[4:5]
	s_cbranch_execz .LBB1_35805
; %bb.64443:
	s_getpc_b64 s[14:15]
.Lpost_getpc17885:
	s_add_u32 s14, s14, (.LBB1_14267-.Lpost_getpc17885)&4294967295
	s_addc_u32 s15, s15, (.LBB1_14267-.Lpost_getpc17885)>>32
	s_setpc_b64 s[14:15]
.LBB1_35805:
	s_getpc_b64 s[14:15]
.Lpost_getpc3566:
	s_add_u32 s14, s14, (.LBB1_14268-.Lpost_getpc3566)&4294967295
	s_addc_u32 s15, s15, (.LBB1_14268-.Lpost_getpc3566)>>32
	s_setpc_b64 s[14:15]
.LBB1_28605:
	s_movk_i32 s4, 0x80
	v_cmp_eq_u16_sdwa s[12:13], v1, s4 src0_sel:BYTE_3 src1_sel:DWORD
	s_mov_b64 s[4:5], -1
                                        ; implicit-def: $sgpr10
	s_and_saveexec_b64 s[8:9], s[12:13]
; %bb.28606:
	s_mov_b32 s10, 0x7f800001
	s_xor_b64 s[4:5], exec, -1
; %bb.28607:
	s_or_b64 exec, exec, s[8:9]
	s_and_b64 s[4:5], s[4:5], exec
	s_or_saveexec_b64 s[6:7], s[6:7]
	v_mov_b32_e32 v4, s10
	s_xor_b64 exec, exec, s[6:7]
	s_cbranch_execnz .LBB1_28608
; %bb.64445:
	s_getpc_b64 s[14:15]
.Lpost_getpc17886:
	s_add_u32 s14, s14, (.LBB1_14270-.Lpost_getpc17886)&4294967295
	s_addc_u32 s15, s15, (.LBB1_14270-.Lpost_getpc17886)>>32
	s_setpc_b64 s[14:15]
.LBB1_28608:
	v_mov_b32_e32 v4, 0
	v_cmp_ne_u16_sdwa s[8:9], v1, v4 src0_sel:BYTE_3 src1_sel:DWORD
	s_andn2_b64 s[4:5], s[4:5], exec
	s_and_b64 s[8:9], s[8:9], exec
	s_or_b64 s[4:5], s[4:5], s[8:9]
	s_or_b64 exec, exec, s[6:7]
	s_and_saveexec_b64 s[6:7], s[4:5]
	s_cbranch_execz .LBB1_35807
; %bb.64447:
	s_getpc_b64 s[14:15]
.Lpost_getpc17887:
	s_add_u32 s14, s14, (.LBB1_14271-.Lpost_getpc17887)&4294967295
	s_addc_u32 s15, s15, (.LBB1_14271-.Lpost_getpc17887)>>32
	s_setpc_b64 s[14:15]
.LBB1_35807:
	s_getpc_b64 s[14:15]
.Lpost_getpc3567:
	s_add_u32 s14, s14, (.LBB1_14272-.Lpost_getpc3567)&4294967295
	s_addc_u32 s15, s15, (.LBB1_14272-.Lpost_getpc3567)>>32
	s_setpc_b64 s[14:15]
.LBB1_28609:
	s_movk_i32 s4, 0x80
	v_cmp_eq_u16_sdwa s[12:13], v6, s4 src0_sel:BYTE_0 src1_sel:DWORD
	s_mov_b64 s[4:5], -1
                                        ; implicit-def: $sgpr10
	s_and_saveexec_b64 s[8:9], s[12:13]
; %bb.28610:
	s_mov_b32 s10, 0x7f800001
	s_xor_b64 s[4:5], exec, -1
; %bb.28611:
	s_or_b64 exec, exec, s[8:9]
	s_and_b64 s[4:5], s[4:5], exec
	s_or_saveexec_b64 s[6:7], s[6:7]
	v_mov_b32_e32 v0, s10
	s_xor_b64 exec, exec, s[6:7]
	s_cbranch_execnz .LBB1_28612
; %bb.64449:
	s_getpc_b64 s[14:15]
.Lpost_getpc17888:
	s_add_u32 s14, s14, (.LBB1_14274-.Lpost_getpc17888)&4294967295
	s_addc_u32 s15, s15, (.LBB1_14274-.Lpost_getpc17888)>>32
	s_setpc_b64 s[14:15]
.LBB1_28612:
	v_mov_b32_e32 v0, 0
	v_cmp_ne_u16_sdwa s[8:9], v6, v0 src0_sel:BYTE_0 src1_sel:DWORD
	s_andn2_b64 s[4:5], s[4:5], exec
	s_and_b64 s[8:9], s[8:9], exec
	s_or_b64 s[4:5], s[4:5], s[8:9]
	s_or_b64 exec, exec, s[6:7]
	s_and_saveexec_b64 s[6:7], s[4:5]
	s_cbranch_execz .LBB1_35809
; %bb.64451:
	s_getpc_b64 s[14:15]
.Lpost_getpc17889:
	s_add_u32 s14, s14, (.LBB1_14275-.Lpost_getpc17889)&4294967295
	s_addc_u32 s15, s15, (.LBB1_14275-.Lpost_getpc17889)>>32
	s_setpc_b64 s[14:15]
.LBB1_35809:
	s_getpc_b64 s[14:15]
.Lpost_getpc3568:
	s_add_u32 s14, s14, (.LBB1_14276-.Lpost_getpc3568)&4294967295
	s_addc_u32 s15, s15, (.LBB1_14276-.Lpost_getpc3568)>>32
	s_setpc_b64 s[14:15]
.LBB1_28613:
	s_movk_i32 s4, 0x80
	v_cmp_eq_u16_sdwa s[12:13], v2, s4 src0_sel:BYTE_0 src1_sel:DWORD
	s_mov_b64 s[4:5], -1
                                        ; implicit-def: $sgpr10
	s_and_saveexec_b64 s[8:9], s[12:13]
; %bb.28614:
	s_mov_b32 s10, 0x7f800001
	s_xor_b64 s[4:5], exec, -1
; %bb.28615:
	s_or_b64 exec, exec, s[8:9]
	s_and_b64 s[4:5], s[4:5], exec
	s_or_saveexec_b64 s[6:7], s[6:7]
	v_mov_b32_e32 v1, s10
	s_xor_b64 exec, exec, s[6:7]
	s_cbranch_execnz .LBB1_28616
; %bb.64453:
	s_getpc_b64 s[14:15]
.Lpost_getpc17890:
	s_add_u32 s14, s14, (.LBB1_14278-.Lpost_getpc17890)&4294967295
	s_addc_u32 s15, s15, (.LBB1_14278-.Lpost_getpc17890)>>32
	s_setpc_b64 s[14:15]
.LBB1_28616:
	v_mov_b32_e32 v1, 0
	v_cmp_ne_u16_sdwa s[8:9], v2, v1 src0_sel:BYTE_0 src1_sel:DWORD
	s_andn2_b64 s[4:5], s[4:5], exec
	s_and_b64 s[8:9], s[8:9], exec
	s_or_b64 s[4:5], s[4:5], s[8:9]
	s_or_b64 exec, exec, s[6:7]
	s_and_saveexec_b64 s[6:7], s[4:5]
	s_cbranch_execz .LBB1_35811
; %bb.64455:
	s_getpc_b64 s[14:15]
.Lpost_getpc17891:
	s_add_u32 s14, s14, (.LBB1_14279-.Lpost_getpc17891)&4294967295
	s_addc_u32 s15, s15, (.LBB1_14279-.Lpost_getpc17891)>>32
	s_setpc_b64 s[14:15]
.LBB1_35811:
	s_getpc_b64 s[14:15]
.Lpost_getpc3569:
	s_add_u32 s14, s14, (.LBB1_14280-.Lpost_getpc3569)&4294967295
	s_addc_u32 s15, s15, (.LBB1_14280-.Lpost_getpc3569)>>32
	s_setpc_b64 s[14:15]
.LBB1_28617:
	s_movk_i32 s4, 0x80
	v_cmp_eq_u16_sdwa s[12:13], v1, s4 src0_sel:BYTE_0 src1_sel:DWORD
	s_mov_b64 s[4:5], -1
                                        ; implicit-def: $sgpr10
	s_and_saveexec_b64 s[8:9], s[12:13]
; %bb.28618:
	s_mov_b32 s10, 0x7f800001
	s_xor_b64 s[4:5], exec, -1
; %bb.28619:
	s_or_b64 exec, exec, s[8:9]
	s_and_b64 s[4:5], s[4:5], exec
	s_or_saveexec_b64 s[6:7], s[6:7]
	v_mov_b32_e32 v0, s10
	s_xor_b64 exec, exec, s[6:7]
	s_cbranch_execnz .LBB1_28620
; %bb.64457:
	s_getpc_b64 s[14:15]
.Lpost_getpc17892:
	s_add_u32 s14, s14, (.LBB1_14282-.Lpost_getpc17892)&4294967295
	s_addc_u32 s15, s15, (.LBB1_14282-.Lpost_getpc17892)>>32
	s_setpc_b64 s[14:15]
.LBB1_28620:
	v_mov_b32_e32 v0, 0
	v_cmp_ne_u16_sdwa s[8:9], v1, v0 src0_sel:BYTE_0 src1_sel:DWORD
	s_andn2_b64 s[4:5], s[4:5], exec
	s_and_b64 s[8:9], s[8:9], exec
	s_or_b64 s[4:5], s[4:5], s[8:9]
	s_or_b64 exec, exec, s[6:7]
	s_and_saveexec_b64 s[6:7], s[4:5]
	s_cbranch_execz .LBB1_35813
; %bb.64459:
	s_getpc_b64 s[14:15]
.Lpost_getpc17893:
	s_add_u32 s14, s14, (.LBB1_14283-.Lpost_getpc17893)&4294967295
	s_addc_u32 s15, s15, (.LBB1_14283-.Lpost_getpc17893)>>32
	s_setpc_b64 s[14:15]
.LBB1_35813:
	s_getpc_b64 s[14:15]
.Lpost_getpc3570:
	s_add_u32 s14, s14, (.LBB1_14284-.Lpost_getpc3570)&4294967295
	s_addc_u32 s15, s15, (.LBB1_14284-.Lpost_getpc3570)>>32
	s_setpc_b64 s[14:15]
.LBB1_28621:
	s_movk_i32 s4, 0x80
	v_cmp_eq_u16_sdwa s[12:13], v1, s4 src0_sel:BYTE_0 src1_sel:DWORD
	s_mov_b64 s[4:5], -1
                                        ; implicit-def: $sgpr10
	s_and_saveexec_b64 s[8:9], s[12:13]
; %bb.28622:
	s_mov_b32 s10, 0x7f800001
	s_xor_b64 s[4:5], exec, -1
; %bb.28623:
	s_or_b64 exec, exec, s[8:9]
	s_and_b64 s[4:5], s[4:5], exec
	s_or_saveexec_b64 s[6:7], s[6:7]
	v_mov_b32_e32 v4, s10
	s_xor_b64 exec, exec, s[6:7]
	s_cbranch_execnz .LBB1_28624
; %bb.64461:
	s_getpc_b64 s[14:15]
.Lpost_getpc17894:
	s_add_u32 s14, s14, (.LBB1_14286-.Lpost_getpc17894)&4294967295
	s_addc_u32 s15, s15, (.LBB1_14286-.Lpost_getpc17894)>>32
	s_setpc_b64 s[14:15]
.LBB1_28624:
	v_mov_b32_e32 v4, 0
	v_cmp_ne_u16_sdwa s[8:9], v1, v4 src0_sel:BYTE_0 src1_sel:DWORD
	s_andn2_b64 s[4:5], s[4:5], exec
	s_and_b64 s[8:9], s[8:9], exec
	s_or_b64 s[4:5], s[4:5], s[8:9]
	s_or_b64 exec, exec, s[6:7]
	s_and_saveexec_b64 s[6:7], s[4:5]
	s_cbranch_execz .LBB1_35815
; %bb.64463:
	s_getpc_b64 s[14:15]
.Lpost_getpc17895:
	s_add_u32 s14, s14, (.LBB1_14287-.Lpost_getpc17895)&4294967295
	s_addc_u32 s15, s15, (.LBB1_14287-.Lpost_getpc17895)>>32
	s_setpc_b64 s[14:15]
.LBB1_35815:
	s_getpc_b64 s[14:15]
.Lpost_getpc3571:
	s_add_u32 s14, s14, (.LBB1_14288-.Lpost_getpc3571)&4294967295
	s_addc_u32 s15, s15, (.LBB1_14288-.Lpost_getpc3571)>>32
	s_setpc_b64 s[14:15]
.LBB1_28625:
	s_movk_i32 s4, 0x80
	v_cmp_eq_u16_e32 vcc, s4, v1
	s_mov_b64 s[4:5], -1
                                        ; implicit-def: $sgpr10
	s_and_saveexec_b64 s[8:9], vcc
; %bb.28626:
	s_mov_b32 s10, 0x7f800001
	s_xor_b64 s[4:5], exec, -1
; %bb.28627:
	s_or_b64 exec, exec, s[8:9]
	s_and_b64 s[4:5], s[4:5], exec
                                        ; implicit-def: $vgpr1
	s_or_saveexec_b64 s[6:7], s[6:7]
	v_mov_b32_e32 v0, s10
	s_xor_b64 exec, exec, s[6:7]
	s_cbranch_execnz .LBB1_28628
; %bb.64465:
	s_getpc_b64 s[14:15]
.Lpost_getpc17896:
	s_add_u32 s14, s14, (.LBB1_14290-.Lpost_getpc17896)&4294967295
	s_addc_u32 s15, s15, (.LBB1_14290-.Lpost_getpc17896)>>32
	s_setpc_b64 s[14:15]
.LBB1_28628:
	v_cmp_ne_u16_e32 vcc, 0, v1
	s_andn2_b64 s[4:5], s[4:5], exec
	s_and_b64 s[8:9], vcc, exec
	v_mov_b32_e32 v0, 0
	s_or_b64 s[4:5], s[4:5], s[8:9]
	s_or_b64 exec, exec, s[6:7]
	s_and_saveexec_b64 s[6:7], s[4:5]
	s_cbranch_execz .LBB1_35817
; %bb.64467:
	s_getpc_b64 s[14:15]
.Lpost_getpc17897:
	s_add_u32 s14, s14, (.LBB1_14291-.Lpost_getpc17897)&4294967295
	s_addc_u32 s15, s15, (.LBB1_14291-.Lpost_getpc17897)>>32
	s_setpc_b64 s[14:15]
.LBB1_35817:
	s_getpc_b64 s[14:15]
.Lpost_getpc3572:
	s_add_u32 s14, s14, (.LBB1_14292-.Lpost_getpc3572)&4294967295
	s_addc_u32 s15, s15, (.LBB1_14292-.Lpost_getpc3572)>>32
	s_setpc_b64 s[14:15]
.LBB1_28629:
	s_movk_i32 s4, 0x80
	v_cmp_eq_u16_e32 vcc, s4, v1
	s_mov_b64 s[4:5], -1
                                        ; implicit-def: $sgpr10
	s_and_saveexec_b64 s[8:9], vcc
; %bb.28630:
	s_mov_b32 s10, 0x7f800001
	s_xor_b64 s[4:5], exec, -1
; %bb.28631:
	s_or_b64 exec, exec, s[8:9]
	s_and_b64 s[4:5], s[4:5], exec
                                        ; implicit-def: $vgpr1
	s_or_saveexec_b64 s[6:7], s[6:7]
	v_mov_b32_e32 v4, s10
	s_xor_b64 exec, exec, s[6:7]
	s_cbranch_execnz .LBB1_28632
; %bb.64469:
	s_getpc_b64 s[14:15]
.Lpost_getpc17898:
	s_add_u32 s14, s14, (.LBB1_14294-.Lpost_getpc17898)&4294967295
	s_addc_u32 s15, s15, (.LBB1_14294-.Lpost_getpc17898)>>32
	s_setpc_b64 s[14:15]
.LBB1_28632:
	v_cmp_ne_u16_e32 vcc, 0, v1
	s_andn2_b64 s[4:5], s[4:5], exec
	s_and_b64 s[8:9], vcc, exec
	v_mov_b32_e32 v4, 0
	s_or_b64 s[4:5], s[4:5], s[8:9]
	s_or_b64 exec, exec, s[6:7]
	s_and_saveexec_b64 s[6:7], s[4:5]
	s_cbranch_execz .LBB1_35819
; %bb.64471:
	s_getpc_b64 s[14:15]
.Lpost_getpc17899:
	s_add_u32 s14, s14, (.LBB1_14295-.Lpost_getpc17899)&4294967295
	s_addc_u32 s15, s15, (.LBB1_14295-.Lpost_getpc17899)>>32
	s_setpc_b64 s[14:15]
.LBB1_35819:
	s_getpc_b64 s[14:15]
.Lpost_getpc3573:
	s_add_u32 s14, s14, (.LBB1_14296-.Lpost_getpc3573)&4294967295
	s_addc_u32 s15, s15, (.LBB1_14296-.Lpost_getpc3573)>>32
	s_setpc_b64 s[14:15]
.LBB1_28633:
	s_movk_i32 s4, 0x80
	v_cmp_eq_u16_sdwa s[12:13], v6, s4 src0_sel:BYTE_3 src1_sel:DWORD
	s_mov_b64 s[4:5], -1
                                        ; implicit-def: $sgpr10
	s_and_saveexec_b64 s[8:9], s[12:13]
; %bb.28634:
	s_mov_b32 s10, 0x7f800001
	s_xor_b64 s[4:5], exec, -1
; %bb.28635:
	s_or_b64 exec, exec, s[8:9]
	s_and_b64 s[4:5], s[4:5], exec
	s_or_saveexec_b64 s[6:7], s[6:7]
	v_mov_b32_e32 v0, s10
	s_xor_b64 exec, exec, s[6:7]
	s_cbranch_execnz .LBB1_28636
; %bb.64473:
	s_getpc_b64 s[14:15]
.Lpost_getpc17900:
	s_add_u32 s14, s14, (.LBB1_14298-.Lpost_getpc17900)&4294967295
	s_addc_u32 s15, s15, (.LBB1_14298-.Lpost_getpc17900)>>32
	s_setpc_b64 s[14:15]
.LBB1_28636:
	v_mov_b32_e32 v0, 0
	v_cmp_ne_u16_sdwa s[8:9], v6, v0 src0_sel:BYTE_3 src1_sel:DWORD
	s_andn2_b64 s[4:5], s[4:5], exec
	s_and_b64 s[8:9], s[8:9], exec
	s_or_b64 s[4:5], s[4:5], s[8:9]
	s_or_b64 exec, exec, s[6:7]
	s_and_saveexec_b64 s[6:7], s[4:5]
	s_cbranch_execz .LBB1_35821
; %bb.64475:
	s_getpc_b64 s[14:15]
.Lpost_getpc17901:
	s_add_u32 s14, s14, (.LBB1_14299-.Lpost_getpc17901)&4294967295
	s_addc_u32 s15, s15, (.LBB1_14299-.Lpost_getpc17901)>>32
	s_setpc_b64 s[14:15]
.LBB1_35821:
	s_getpc_b64 s[14:15]
.Lpost_getpc3574:
	s_add_u32 s14, s14, (.LBB1_14300-.Lpost_getpc3574)&4294967295
	s_addc_u32 s15, s15, (.LBB1_14300-.Lpost_getpc3574)>>32
	s_setpc_b64 s[14:15]
.LBB1_28637:
	s_movk_i32 s4, 0x80
	v_cmp_eq_u16_sdwa s[12:13], v2, s4 src0_sel:BYTE_3 src1_sel:DWORD
	s_mov_b64 s[4:5], -1
                                        ; implicit-def: $sgpr10
	s_and_saveexec_b64 s[8:9], s[12:13]
; %bb.28638:
	s_mov_b32 s10, 0x7f800001
	s_xor_b64 s[4:5], exec, -1
; %bb.28639:
	s_or_b64 exec, exec, s[8:9]
	s_and_b64 s[4:5], s[4:5], exec
	s_or_saveexec_b64 s[6:7], s[6:7]
	v_mov_b32_e32 v1, s10
	s_xor_b64 exec, exec, s[6:7]
	s_cbranch_execnz .LBB1_28640
; %bb.64477:
	s_getpc_b64 s[14:15]
.Lpost_getpc17902:
	s_add_u32 s14, s14, (.LBB1_14302-.Lpost_getpc17902)&4294967295
	s_addc_u32 s15, s15, (.LBB1_14302-.Lpost_getpc17902)>>32
	s_setpc_b64 s[14:15]
.LBB1_28640:
	v_mov_b32_e32 v1, 0
	v_cmp_ne_u16_sdwa s[8:9], v2, v1 src0_sel:BYTE_3 src1_sel:DWORD
	s_andn2_b64 s[4:5], s[4:5], exec
	s_and_b64 s[8:9], s[8:9], exec
	s_or_b64 s[4:5], s[4:5], s[8:9]
	s_or_b64 exec, exec, s[6:7]
	s_and_saveexec_b64 s[6:7], s[4:5]
	s_cbranch_execz .LBB1_35823
; %bb.64479:
	s_getpc_b64 s[14:15]
.Lpost_getpc17903:
	s_add_u32 s14, s14, (.LBB1_14303-.Lpost_getpc17903)&4294967295
	s_addc_u32 s15, s15, (.LBB1_14303-.Lpost_getpc17903)>>32
	s_setpc_b64 s[14:15]
.LBB1_35823:
	s_getpc_b64 s[14:15]
.Lpost_getpc3575:
	s_add_u32 s14, s14, (.LBB1_14304-.Lpost_getpc3575)&4294967295
	s_addc_u32 s15, s15, (.LBB1_14304-.Lpost_getpc3575)>>32
	s_setpc_b64 s[14:15]
.LBB1_28641:
	s_movk_i32 s4, 0x80
	v_cmp_eq_u16_sdwa s[12:13], v7, s4 src0_sel:BYTE_0 src1_sel:DWORD
	s_mov_b64 s[4:5], -1
                                        ; implicit-def: $sgpr10
	s_and_saveexec_b64 s[8:9], s[12:13]
; %bb.28642:
	s_mov_b32 s10, 0x7f800001
	s_xor_b64 s[4:5], exec, -1
; %bb.28643:
	s_or_b64 exec, exec, s[8:9]
	s_and_b64 s[4:5], s[4:5], exec
	s_or_saveexec_b64 s[6:7], s[6:7]
	v_mov_b32_e32 v0, s10
	s_xor_b64 exec, exec, s[6:7]
	s_cbranch_execnz .LBB1_28644
; %bb.64481:
	s_getpc_b64 s[14:15]
.Lpost_getpc17904:
	s_add_u32 s14, s14, (.LBB1_14306-.Lpost_getpc17904)&4294967295
	s_addc_u32 s15, s15, (.LBB1_14306-.Lpost_getpc17904)>>32
	s_setpc_b64 s[14:15]
.LBB1_28644:
	v_mov_b32_e32 v0, 0
	v_cmp_ne_u16_sdwa s[8:9], v7, v0 src0_sel:BYTE_0 src1_sel:DWORD
	s_andn2_b64 s[4:5], s[4:5], exec
	s_and_b64 s[8:9], s[8:9], exec
	s_or_b64 s[4:5], s[4:5], s[8:9]
	s_or_b64 exec, exec, s[6:7]
	s_and_saveexec_b64 s[6:7], s[4:5]
	s_cbranch_execz .LBB1_35825
; %bb.64483:
	s_getpc_b64 s[14:15]
.Lpost_getpc17905:
	s_add_u32 s14, s14, (.LBB1_14307-.Lpost_getpc17905)&4294967295
	s_addc_u32 s15, s15, (.LBB1_14307-.Lpost_getpc17905)>>32
	s_setpc_b64 s[14:15]
.LBB1_35825:
	s_getpc_b64 s[14:15]
.Lpost_getpc3576:
	s_add_u32 s14, s14, (.LBB1_14308-.Lpost_getpc3576)&4294967295
	s_addc_u32 s15, s15, (.LBB1_14308-.Lpost_getpc3576)>>32
	s_setpc_b64 s[14:15]
.LBB1_28645:
	s_movk_i32 s4, 0x80
	v_cmp_eq_u16_sdwa s[12:13], v3, s4 src0_sel:BYTE_0 src1_sel:DWORD
	s_mov_b64 s[4:5], -1
                                        ; implicit-def: $sgpr10
	s_and_saveexec_b64 s[8:9], s[12:13]
; %bb.28646:
	s_mov_b32 s10, 0x7f800001
	s_xor_b64 s[4:5], exec, -1
; %bb.28647:
	s_or_b64 exec, exec, s[8:9]
	s_and_b64 s[4:5], s[4:5], exec
	s_or_saveexec_b64 s[6:7], s[6:7]
	v_mov_b32_e32 v1, s10
	s_xor_b64 exec, exec, s[6:7]
	s_cbranch_execnz .LBB1_28648
; %bb.64485:
	s_getpc_b64 s[14:15]
.Lpost_getpc17906:
	s_add_u32 s14, s14, (.LBB1_14310-.Lpost_getpc17906)&4294967295
	s_addc_u32 s15, s15, (.LBB1_14310-.Lpost_getpc17906)>>32
	s_setpc_b64 s[14:15]
.LBB1_28648:
	v_mov_b32_e32 v1, 0
	v_cmp_ne_u16_sdwa s[8:9], v3, v1 src0_sel:BYTE_0 src1_sel:DWORD
	s_andn2_b64 s[4:5], s[4:5], exec
	s_and_b64 s[8:9], s[8:9], exec
	s_or_b64 s[4:5], s[4:5], s[8:9]
	s_or_b64 exec, exec, s[6:7]
	s_and_saveexec_b64 s[6:7], s[4:5]
	s_cbranch_execz .LBB1_35827
; %bb.64487:
	s_getpc_b64 s[14:15]
.Lpost_getpc17907:
	s_add_u32 s14, s14, (.LBB1_14311-.Lpost_getpc17907)&4294967295
	s_addc_u32 s15, s15, (.LBB1_14311-.Lpost_getpc17907)>>32
	s_setpc_b64 s[14:15]
.LBB1_35827:
	s_getpc_b64 s[14:15]
.Lpost_getpc3577:
	s_add_u32 s14, s14, (.LBB1_14312-.Lpost_getpc3577)&4294967295
	s_addc_u32 s15, s15, (.LBB1_14312-.Lpost_getpc3577)>>32
	s_setpc_b64 s[14:15]
.LBB1_28649:
	s_movk_i32 s4, 0x80
	v_cmp_eq_u16_sdwa s[12:13], v1, s4 src0_sel:BYTE_0 src1_sel:DWORD
	s_mov_b64 s[4:5], -1
                                        ; implicit-def: $sgpr10
	s_and_saveexec_b64 s[8:9], s[12:13]
; %bb.28650:
	s_mov_b32 s10, 0x7f800001
	s_xor_b64 s[4:5], exec, -1
; %bb.28651:
	s_or_b64 exec, exec, s[8:9]
	s_and_b64 s[4:5], s[4:5], exec
	s_or_saveexec_b64 s[6:7], s[6:7]
	v_mov_b32_e32 v0, s10
	s_xor_b64 exec, exec, s[6:7]
	s_cbranch_execnz .LBB1_28652
; %bb.64489:
	s_getpc_b64 s[14:15]
.Lpost_getpc17908:
	s_add_u32 s14, s14, (.LBB1_14314-.Lpost_getpc17908)&4294967295
	s_addc_u32 s15, s15, (.LBB1_14314-.Lpost_getpc17908)>>32
	s_setpc_b64 s[14:15]
.LBB1_28652:
	v_mov_b32_e32 v0, 0
	v_cmp_ne_u16_sdwa s[8:9], v1, v0 src0_sel:BYTE_0 src1_sel:DWORD
	s_andn2_b64 s[4:5], s[4:5], exec
	s_and_b64 s[8:9], s[8:9], exec
	s_or_b64 s[4:5], s[4:5], s[8:9]
	s_or_b64 exec, exec, s[6:7]
	s_and_saveexec_b64 s[6:7], s[4:5]
	s_cbranch_execz .LBB1_35829
; %bb.64491:
	s_getpc_b64 s[14:15]
.Lpost_getpc17909:
	s_add_u32 s14, s14, (.LBB1_14315-.Lpost_getpc17909)&4294967295
	s_addc_u32 s15, s15, (.LBB1_14315-.Lpost_getpc17909)>>32
	s_setpc_b64 s[14:15]
.LBB1_35829:
	s_getpc_b64 s[14:15]
.Lpost_getpc3578:
	s_add_u32 s14, s14, (.LBB1_14316-.Lpost_getpc3578)&4294967295
	s_addc_u32 s15, s15, (.LBB1_14316-.Lpost_getpc3578)>>32
	s_setpc_b64 s[14:15]
.LBB1_28653:
	s_movk_i32 s4, 0x80
	v_cmp_eq_u16_sdwa s[12:13], v1, s4 src0_sel:BYTE_0 src1_sel:DWORD
	s_mov_b64 s[4:5], -1
                                        ; implicit-def: $sgpr10
	s_and_saveexec_b64 s[8:9], s[12:13]
; %bb.28654:
	s_mov_b32 s10, 0x7f800001
	s_xor_b64 s[4:5], exec, -1
; %bb.28655:
	s_or_b64 exec, exec, s[8:9]
	s_and_b64 s[4:5], s[4:5], exec
	s_or_saveexec_b64 s[6:7], s[6:7]
	v_mov_b32_e32 v2, s10
	s_xor_b64 exec, exec, s[6:7]
	s_cbranch_execnz .LBB1_28656
; %bb.64493:
	s_getpc_b64 s[14:15]
.Lpost_getpc17910:
	s_add_u32 s14, s14, (.LBB1_14318-.Lpost_getpc17910)&4294967295
	s_addc_u32 s15, s15, (.LBB1_14318-.Lpost_getpc17910)>>32
	s_setpc_b64 s[14:15]
.LBB1_28656:
	v_mov_b32_e32 v2, 0
	v_cmp_ne_u16_sdwa s[8:9], v1, v2 src0_sel:BYTE_0 src1_sel:DWORD
	s_andn2_b64 s[4:5], s[4:5], exec
	s_and_b64 s[8:9], s[8:9], exec
	s_or_b64 s[4:5], s[4:5], s[8:9]
	s_or_b64 exec, exec, s[6:7]
	s_and_saveexec_b64 s[6:7], s[4:5]
	s_cbranch_execz .LBB1_35831
; %bb.64495:
	s_getpc_b64 s[14:15]
.Lpost_getpc17911:
	s_add_u32 s14, s14, (.LBB1_14319-.Lpost_getpc17911)&4294967295
	s_addc_u32 s15, s15, (.LBB1_14319-.Lpost_getpc17911)>>32
	s_setpc_b64 s[14:15]
.LBB1_35831:
	s_getpc_b64 s[14:15]
.Lpost_getpc3579:
	s_add_u32 s14, s14, (.LBB1_14320-.Lpost_getpc3579)&4294967295
	s_addc_u32 s15, s15, (.LBB1_14320-.Lpost_getpc3579)>>32
	s_setpc_b64 s[14:15]
.LBB1_28657:
	s_movk_i32 s4, 0x80
	v_cmp_eq_u16_e32 vcc, s4, v1
	s_mov_b64 s[4:5], -1
                                        ; implicit-def: $sgpr10
	s_and_saveexec_b64 s[8:9], vcc
; %bb.28658:
	s_mov_b32 s10, 0x7f800001
	s_xor_b64 s[4:5], exec, -1
; %bb.28659:
	s_or_b64 exec, exec, s[8:9]
	s_and_b64 s[4:5], s[4:5], exec
                                        ; implicit-def: $vgpr1
	s_or_saveexec_b64 s[6:7], s[6:7]
	v_mov_b32_e32 v0, s10
	s_xor_b64 exec, exec, s[6:7]
	s_cbranch_execnz .LBB1_28660
; %bb.64497:
	s_getpc_b64 s[14:15]
.Lpost_getpc17912:
	s_add_u32 s14, s14, (.LBB1_14322-.Lpost_getpc17912)&4294967295
	s_addc_u32 s15, s15, (.LBB1_14322-.Lpost_getpc17912)>>32
	s_setpc_b64 s[14:15]
.LBB1_28660:
	v_cmp_ne_u16_e32 vcc, 0, v1
	s_andn2_b64 s[4:5], s[4:5], exec
	s_and_b64 s[8:9], vcc, exec
	v_mov_b32_e32 v0, 0
	s_or_b64 s[4:5], s[4:5], s[8:9]
	s_or_b64 exec, exec, s[6:7]
	s_and_saveexec_b64 s[6:7], s[4:5]
	s_cbranch_execz .LBB1_35833
; %bb.64499:
	s_getpc_b64 s[14:15]
.Lpost_getpc17913:
	s_add_u32 s14, s14, (.LBB1_14323-.Lpost_getpc17913)&4294967295
	s_addc_u32 s15, s15, (.LBB1_14323-.Lpost_getpc17913)>>32
	s_setpc_b64 s[14:15]
.LBB1_35833:
	s_getpc_b64 s[14:15]
.Lpost_getpc3580:
	s_add_u32 s14, s14, (.LBB1_14324-.Lpost_getpc3580)&4294967295
	s_addc_u32 s15, s15, (.LBB1_14324-.Lpost_getpc3580)>>32
	s_setpc_b64 s[14:15]
.LBB1_28661:
	s_movk_i32 s4, 0x80
	v_cmp_eq_u16_e32 vcc, s4, v1
	s_mov_b64 s[4:5], -1
                                        ; implicit-def: $sgpr10
	s_and_saveexec_b64 s[8:9], vcc
; %bb.28662:
	s_mov_b32 s10, 0x7f800001
	s_xor_b64 s[4:5], exec, -1
; %bb.28663:
	s_or_b64 exec, exec, s[8:9]
	s_and_b64 s[4:5], s[4:5], exec
                                        ; implicit-def: $vgpr1
	s_or_saveexec_b64 s[6:7], s[6:7]
	v_mov_b32_e32 v2, s10
	s_xor_b64 exec, exec, s[6:7]
	s_cbranch_execnz .LBB1_28664
; %bb.64501:
	s_getpc_b64 s[14:15]
.Lpost_getpc17914:
	s_add_u32 s14, s14, (.LBB1_14326-.Lpost_getpc17914)&4294967295
	s_addc_u32 s15, s15, (.LBB1_14326-.Lpost_getpc17914)>>32
	s_setpc_b64 s[14:15]
.LBB1_28664:
	v_cmp_ne_u16_e32 vcc, 0, v1
	s_andn2_b64 s[4:5], s[4:5], exec
	s_and_b64 s[8:9], vcc, exec
	v_mov_b32_e32 v2, 0
	s_or_b64 s[4:5], s[4:5], s[8:9]
	s_or_b64 exec, exec, s[6:7]
	s_and_saveexec_b64 s[6:7], s[4:5]
	s_cbranch_execz .LBB1_35835
; %bb.64503:
	s_getpc_b64 s[14:15]
.Lpost_getpc17915:
	s_add_u32 s14, s14, (.LBB1_14327-.Lpost_getpc17915)&4294967295
	s_addc_u32 s15, s15, (.LBB1_14327-.Lpost_getpc17915)>>32
	s_setpc_b64 s[14:15]
.LBB1_35835:
	s_getpc_b64 s[14:15]
.Lpost_getpc3581:
	s_add_u32 s14, s14, (.LBB1_14328-.Lpost_getpc3581)&4294967295
	s_addc_u32 s15, s15, (.LBB1_14328-.Lpost_getpc3581)>>32
	s_setpc_b64 s[14:15]
.LBB1_28665:
	s_movk_i32 s4, 0x80
	v_cmp_eq_u16_sdwa s[12:13], v7, s4 src0_sel:BYTE_3 src1_sel:DWORD
	s_mov_b64 s[4:5], -1
                                        ; implicit-def: $sgpr10
	s_and_saveexec_b64 s[8:9], s[12:13]
; %bb.28666:
	s_mov_b32 s10, 0x7f800001
	s_xor_b64 s[4:5], exec, -1
; %bb.28667:
	s_or_b64 exec, exec, s[8:9]
	s_and_b64 s[4:5], s[4:5], exec
	s_or_saveexec_b64 s[6:7], s[6:7]
	v_mov_b32_e32 v0, s10
	s_xor_b64 exec, exec, s[6:7]
	s_cbranch_execnz .LBB1_28668
; %bb.64505:
	s_getpc_b64 s[14:15]
.Lpost_getpc17916:
	s_add_u32 s14, s14, (.LBB1_14330-.Lpost_getpc17916)&4294967295
	s_addc_u32 s15, s15, (.LBB1_14330-.Lpost_getpc17916)>>32
	s_setpc_b64 s[14:15]
.LBB1_28668:
	v_mov_b32_e32 v0, 0
	v_cmp_ne_u16_sdwa s[8:9], v7, v0 src0_sel:BYTE_3 src1_sel:DWORD
	s_andn2_b64 s[4:5], s[4:5], exec
	s_and_b64 s[8:9], s[8:9], exec
	s_or_b64 s[4:5], s[4:5], s[8:9]
	s_or_b64 exec, exec, s[6:7]
	s_and_saveexec_b64 s[6:7], s[4:5]
	s_cbranch_execz .LBB1_35837
; %bb.64507:
	s_getpc_b64 s[14:15]
.Lpost_getpc17917:
	s_add_u32 s14, s14, (.LBB1_14331-.Lpost_getpc17917)&4294967295
	s_addc_u32 s15, s15, (.LBB1_14331-.Lpost_getpc17917)>>32
	s_setpc_b64 s[14:15]
.LBB1_35837:
	s_getpc_b64 s[14:15]
.Lpost_getpc3582:
	s_add_u32 s14, s14, (.LBB1_14332-.Lpost_getpc3582)&4294967295
	s_addc_u32 s15, s15, (.LBB1_14332-.Lpost_getpc3582)>>32
	s_setpc_b64 s[14:15]
.LBB1_28669:
	s_movk_i32 s4, 0x80
	v_cmp_eq_u16_sdwa s[12:13], v3, s4 src0_sel:BYTE_3 src1_sel:DWORD
	s_mov_b64 s[4:5], -1
                                        ; implicit-def: $sgpr10
	s_and_saveexec_b64 s[8:9], s[12:13]
; %bb.28670:
	s_mov_b32 s10, 0x7f800001
	s_xor_b64 s[4:5], exec, -1
; %bb.28671:
	s_or_b64 exec, exec, s[8:9]
	s_and_b64 s[4:5], s[4:5], exec
	s_or_saveexec_b64 s[6:7], s[6:7]
	v_mov_b32_e32 v1, s10
	s_xor_b64 exec, exec, s[6:7]
	s_cbranch_execnz .LBB1_28672
; %bb.64509:
	s_getpc_b64 s[14:15]
.Lpost_getpc17918:
	s_add_u32 s14, s14, (.LBB1_14334-.Lpost_getpc17918)&4294967295
	s_addc_u32 s15, s15, (.LBB1_14334-.Lpost_getpc17918)>>32
	s_setpc_b64 s[14:15]
.LBB1_28672:
	v_mov_b32_e32 v1, 0
	v_cmp_ne_u16_sdwa s[8:9], v3, v1 src0_sel:BYTE_3 src1_sel:DWORD
	s_andn2_b64 s[4:5], s[4:5], exec
	s_and_b64 s[8:9], s[8:9], exec
	s_or_b64 s[4:5], s[4:5], s[8:9]
	s_or_b64 exec, exec, s[6:7]
	s_and_saveexec_b64 s[6:7], s[4:5]
	s_cbranch_execz .LBB1_35839
; %bb.64511:
	s_getpc_b64 s[14:15]
.Lpost_getpc17919:
	s_add_u32 s14, s14, (.LBB1_14335-.Lpost_getpc17919)&4294967295
	s_addc_u32 s15, s15, (.LBB1_14335-.Lpost_getpc17919)>>32
	s_setpc_b64 s[14:15]
.LBB1_35839:
	s_getpc_b64 s[14:15]
.Lpost_getpc3583:
	s_add_u32 s14, s14, (.LBB1_14336-.Lpost_getpc3583)&4294967295
	s_addc_u32 s15, s15, (.LBB1_14336-.Lpost_getpc3583)>>32
	s_setpc_b64 s[14:15]
.Lfunc_end1:
	.size	_ZNK2ck6detail7applierIiJLi0ELi1ELi2ELi3ELi4ELi5ELi6ELi7ELi8ELi9ELi10ELi11ELi12ELi13ELi14ELi15ELi16ELi17ELi18ELi19ELi20ELi21ELi22ELi23ELi24ELi25ELi26ELi27ELi28ELi29ELi30ELi31ELi32ELi33ELi34ELi35ELi36ELi37ELi38ELi39ELi40ELi41ELi42ELi43ELi44ELi45ELi46ELi47ELi48ELi49ELi50ELi51ELi52ELi53ELi54ELi55ELi56ELi57ELi58ELi59ELi60ELi61ELi62ELi63ELi64ELi65ELi66ELi67ELi68ELi69ELi70ELi71ELi72ELi73ELi74ELi75ELi76ELi77ELi78ELi79ELi80ELi81ELi82ELi83ELi84ELi85ELi86ELi87ELi88ELi89ELi90ELi91ELi92ELi93ELi94ELi95ELi96ELi97ELi98ELi99ELi100ELi101ELi102ELi103ELi104ELi105ELi106ELi107ELi108ELi109ELi110ELi111EEEclIZNKS_11static_fordINS_8SequenceIJLi2ELi7ELi8EEEENS5_IJLi0ELi1ELi2EEEEEclIZNKS_31BlockwiseGemmXdlops_pipeline_v3ILNS_26BlockGemmPipelineSchedulerE0ELi256ENS_9f8_fnuz_tESC_SC_fNS_16TensorDescriptorINS_5TupleIJNS_5EmbedINSE_IJNS_17integral_constantIiLi8EEENSG_IiLi224EEENSG_IiLi16EEEEEENSE_IJSJ_NSG_IiLi128EEENSG_IiLi1EEEEEELb0EEENS_3XorINSE_IJSI_SH_EEELb1EEENS_11PassThroughISJ_EENS_7UnMergeINSE_IJSH_SM_EEELb0EEENSS_ISI_EEST_NSS_ISH_EENS_21Merge_v3_division_modINSE_IJSI_SM_EEEEEST_EEENSE_IJNS5_IJLi0EEEENS5_IJLi2ELi1EEEENS5_IJLi3EEEENS5_IJLi5EEEENS5_IJLi4EEEENS5_IJLi6EEEENS5_IJLi7EEEENS5_IJLi9ELi8EEEENS5_IJLi10EEEEEEENSE_IJNS5_IJLi1ELi2ELi3EEEENS5_IJLi4ELi5EEEES18_NS5_IJLi7ELi8EEEENS5_IJLi9EEEES1B_NS5_IJLi11EEEENS5_IJLi12EEEENS5_IJLi13EEEEEEENS5_IJLi11ELi12ELi13EEEENSG_IlLl28672EEEEENSD_INSE_IJNSF_INSE_IJSH_NSG_IiLi256EEESJ_EEESN_Lb0EEENSP_INSE_IJS1O_SH_EEELb1EEEST_SW_NSS_IS1O_EEST_SY_NSZ_INSE_IJS1O_SM_EEEEEST_EEES1C_S1K_S1L_NSG_IlLl32768EEEEENSD_INSE_IJSO_SR_ST_SW_SX_ST_SY_S11_ST_NSZ_INSE_IJSH_SJ_EEEEENSU_INSE_IJNSG_IiLi7EEENSG_IiLi2EEESJ_EEELb0EEEEEENSE_IJS13_S14_S15_S16_S17_S18_S19_S1A_S1B_NS5_IJLi11ELi13EEEES1I_EEENSE_IJS1D_S1E_S18_S1F_S1G_S1B_S1H_S1I_S1J_NS5_IJLi14EEEENS5_IJLi15ELi16ELi17EEEEEEENS5_IJLi15ELi16ELi17ELi14EEEES1M_EENSD_INSE_IJS1Q_S1S_ST_SW_S1T_ST_SY_S1V_ST_S20_NSU_INSE_IJSH_S22_SJ_EEELb0EEEEEES27_S2A_S2B_S1X_EELi16ELi16ELi224ELi256ELi128ELi16ELi16ELi7ELi8ELi16ELb0ELb0EE3RunILb1ELNS_10TailNumberE10ENSD_INSE_IJNSF_INSE_IJiiEEENSE_IJiSM_EEELb0EEENSU_IS2K_Lb0EEENSS_IiEEEEENSE_IJS13_NS5_IJLi2EEEENS5_IJLi1EEEEEEENSE_IJNS5_IJLi1ELi2EEEENS5_IJLi3ELi4EEEES16_EEENS5_IJLi3ELi5ELi4EEEElEES1N_NS_35ThreadGroupTensorSliceTransfer_v4r1INS_15ThisThreadBlockILi256EEENS_16tensor_operation12element_wise11PassThroughES33_LNS_25InMemoryDataOperationEnumE0ENS5_IJLi8ELi224ELi16EEEENS5_IJLi8ELi32ELi1EEEENS5_IJLi1ELi0ELi2EEEESC_SC_RKS2X_KS1N_S37_S7_Li2ELi2ELi16ELi16ELi1ELi1ELb0ELb1ELi1EiEENS_13DynamicBufferILNS_16AddressSpaceEnumE1EKSC_lLb1ELNS_22AmdBufferCoherenceEnumE0EiEENS3C_ILS3D_2ESC_S1M_Lb1ELS3F_0EiEENSE_IJiiiEEES2X_S1Y_NS2Y_IS30_S33_S33_LS34_0ENS5_IJLi8ELi256ELi16EEEES36_S37_SC_SC_S39_KS1Y_S37_S7_Li2ELi2ELi16ELi16ELi1ELi1ELb0ELb1ELi1EiEES3G_NS3C_ILS3D_2ESC_S1X_Lb1ELS3F_0EiEES3I_NS_25StaticBufferTupleOfVectorILS3D_4EfLi56ELi4ELb1ELb0EEEEEvRKT1_RKT2_RT3_RKT4_RT5_RKT6_RKT7_RKT8_RT9_RKT10_RT11_RKT12_RT13_iEUlT_E0_EEvS4N_EUlS4N_E_EEvS4N_, .Lfunc_end1-_ZNK2ck6detail7applierIiJLi0ELi1ELi2ELi3ELi4ELi5ELi6ELi7ELi8ELi9ELi10ELi11ELi12ELi13ELi14ELi15ELi16ELi17ELi18ELi19ELi20ELi21ELi22ELi23ELi24ELi25ELi26ELi27ELi28ELi29ELi30ELi31ELi32ELi33ELi34ELi35ELi36ELi37ELi38ELi39ELi40ELi41ELi42ELi43ELi44ELi45ELi46ELi47ELi48ELi49ELi50ELi51ELi52ELi53ELi54ELi55ELi56ELi57ELi58ELi59ELi60ELi61ELi62ELi63ELi64ELi65ELi66ELi67ELi68ELi69ELi70ELi71ELi72ELi73ELi74ELi75ELi76ELi77ELi78ELi79ELi80ELi81ELi82ELi83ELi84ELi85ELi86ELi87ELi88ELi89ELi90ELi91ELi92ELi93ELi94ELi95ELi96ELi97ELi98ELi99ELi100ELi101ELi102ELi103ELi104ELi105ELi106ELi107ELi108ELi109ELi110ELi111EEEclIZNKS_11static_fordINS_8SequenceIJLi2ELi7ELi8EEEENS5_IJLi0ELi1ELi2EEEEEclIZNKS_31BlockwiseGemmXdlops_pipeline_v3ILNS_26BlockGemmPipelineSchedulerE0ELi256ENS_9f8_fnuz_tESC_SC_fNS_16TensorDescriptorINS_5TupleIJNS_5EmbedINSE_IJNS_17integral_constantIiLi8EEENSG_IiLi224EEENSG_IiLi16EEEEEENSE_IJSJ_NSG_IiLi128EEENSG_IiLi1EEEEEELb0EEENS_3XorINSE_IJSI_SH_EEELb1EEENS_11PassThroughISJ_EENS_7UnMergeINSE_IJSH_SM_EEELb0EEENSS_ISI_EEST_NSS_ISH_EENS_21Merge_v3_division_modINSE_IJSI_SM_EEEEEST_EEENSE_IJNS5_IJLi0EEEENS5_IJLi2ELi1EEEENS5_IJLi3EEEENS5_IJLi5EEEENS5_IJLi4EEEENS5_IJLi6EEEENS5_IJLi7EEEENS5_IJLi9ELi8EEEENS5_IJLi10EEEEEEENSE_IJNS5_IJLi1ELi2ELi3EEEENS5_IJLi4ELi5EEEES18_NS5_IJLi7ELi8EEEENS5_IJLi9EEEES1B_NS5_IJLi11EEEENS5_IJLi12EEEENS5_IJLi13EEEEEEENS5_IJLi11ELi12ELi13EEEENSG_IlLl28672EEEEENSD_INSE_IJNSF_INSE_IJSH_NSG_IiLi256EEESJ_EEESN_Lb0EEENSP_INSE_IJS1O_SH_EEELb1EEEST_SW_NSS_IS1O_EEST_SY_NSZ_INSE_IJS1O_SM_EEEEEST_EEES1C_S1K_S1L_NSG_IlLl32768EEEEENSD_INSE_IJSO_SR_ST_SW_SX_ST_SY_S11_ST_NSZ_INSE_IJSH_SJ_EEEEENSU_INSE_IJNSG_IiLi7EEENSG_IiLi2EEESJ_EEELb0EEEEEENSE_IJS13_S14_S15_S16_S17_S18_S19_S1A_S1B_NS5_IJLi11ELi13EEEES1I_EEENSE_IJS1D_S1E_S18_S1F_S1G_S1B_S1H_S1I_S1J_NS5_IJLi14EEEENS5_IJLi15ELi16ELi17EEEEEEENS5_IJLi15ELi16ELi17ELi14EEEES1M_EENSD_INSE_IJS1Q_S1S_ST_SW_S1T_ST_SY_S1V_ST_S20_NSU_INSE_IJSH_S22_SJ_EEELb0EEEEEES27_S2A_S2B_S1X_EELi16ELi16ELi224ELi256ELi128ELi16ELi16ELi7ELi8ELi16ELb0ELb0EE3RunILb1ELNS_10TailNumberE10ENSD_INSE_IJNSF_INSE_IJiiEEENSE_IJiSM_EEELb0EEENSU_IS2K_Lb0EEENSS_IiEEEEENSE_IJS13_NS5_IJLi2EEEENS5_IJLi1EEEEEEENSE_IJNS5_IJLi1ELi2EEEENS5_IJLi3ELi4EEEES16_EEENS5_IJLi3ELi5ELi4EEEElEES1N_NS_35ThreadGroupTensorSliceTransfer_v4r1INS_15ThisThreadBlockILi256EEENS_16tensor_operation12element_wise11PassThroughES33_LNS_25InMemoryDataOperationEnumE0ENS5_IJLi8ELi224ELi16EEEENS5_IJLi8ELi32ELi1EEEENS5_IJLi1ELi0ELi2EEEESC_SC_RKS2X_KS1N_S37_S7_Li2ELi2ELi16ELi16ELi1ELi1ELb0ELb1ELi1EiEENS_13DynamicBufferILNS_16AddressSpaceEnumE1EKSC_lLb1ELNS_22AmdBufferCoherenceEnumE0EiEENS3C_ILS3D_2ESC_S1M_Lb1ELS3F_0EiEENSE_IJiiiEEES2X_S1Y_NS2Y_IS30_S33_S33_LS34_0ENS5_IJLi8ELi256ELi16EEEES36_S37_SC_SC_S39_KS1Y_S37_S7_Li2ELi2ELi16ELi16ELi1ELi1ELb0ELb1ELi1EiEES3G_NS3C_ILS3D_2ESC_S1X_Lb1ELS3F_0EiEES3I_NS_25StaticBufferTupleOfVectorILS3D_4EfLi56ELi4ELb1ELb0EEEEEvRKT1_RKT2_RT3_RKT4_RT5_RKT6_RKT7_RKT8_RT9_RKT10_RT11_RKT12_RT13_iEUlT_E0_EEvS4N_EUlS4N_E_EEvS4N_
                                        ; -- End function
	.section	.AMDGPU.csdata,"",@progbits
; Function info:
; codeLenInByte = 1356104
; NumSgprs: 36
; NumVgprs: 18
; NumAgprs: 4
; TotalNumVgprs: 24
; ScratchSize: 0
; MemoryBound: 1
	.text
	.p2align	2                               ; -- Begin function _ZNK2ck6detail7applierIiJLi0ELi1ELi2ELi3ELi4ELi5ELi6ELi7ELi8ELi9ELi10ELi11ELi12ELi13ELi14ELi15ELi16ELi17ELi18ELi19ELi20ELi21ELi22ELi23ELi24ELi25ELi26ELi27ELi28ELi29ELi30ELi31ELi32ELi33ELi34ELi35ELi36ELi37ELi38ELi39ELi40ELi41ELi42ELi43ELi44ELi45ELi46ELi47ELi48ELi49ELi50ELi51ELi52ELi53ELi54ELi55ELi56ELi57ELi58ELi59ELi60ELi61ELi62ELi63ELi64ELi65ELi66ELi67ELi68ELi69ELi70ELi71ELi72ELi73ELi74ELi75ELi76ELi77ELi78ELi79ELi80ELi81ELi82ELi83ELi84ELi85ELi86ELi87ELi88ELi89ELi90ELi91ELi92ELi93ELi94ELi95ELi96ELi97ELi98ELi99ELi100ELi101ELi102ELi103ELi104ELi105ELi106ELi107ELi108ELi109ELi110ELi111EEEclIZNKS_11static_fordINS_8SequenceIJLi2ELi7ELi8EEEENS5_IJLi0ELi1ELi2EEEEEclIZNKS_31BlockwiseGemmXdlops_pipeline_v3ILNS_26BlockGemmPipelineSchedulerE0ELi256ENS_9f8_fnuz_tESC_SC_fNS_16TensorDescriptorINS_5TupleIJNS_5EmbedINSE_IJNS_17integral_constantIiLi8EEENSG_IiLi224EEENSG_IiLi16EEEEEENSE_IJSJ_NSG_IiLi128EEENSG_IiLi1EEEEEELb0EEENS_3XorINSE_IJSI_SH_EEELb1EEENS_11PassThroughISJ_EENS_7UnMergeINSE_IJSH_SM_EEELb0EEENSS_ISI_EEST_NSS_ISH_EENS_21Merge_v3_division_modINSE_IJSI_SM_EEEEEST_EEENSE_IJNS5_IJLi0EEEENS5_IJLi2ELi1EEEENS5_IJLi3EEEENS5_IJLi5EEEENS5_IJLi4EEEENS5_IJLi6EEEENS5_IJLi7EEEENS5_IJLi9ELi8EEEENS5_IJLi10EEEEEEENSE_IJNS5_IJLi1ELi2ELi3EEEENS5_IJLi4ELi5EEEES18_NS5_IJLi7ELi8EEEENS5_IJLi9EEEES1B_NS5_IJLi11EEEENS5_IJLi12EEEENS5_IJLi13EEEEEEENS5_IJLi11ELi12ELi13EEEENSG_IlLl28672EEEEENSD_INSE_IJNSF_INSE_IJSH_NSG_IiLi256EEESJ_EEESN_Lb0EEENSP_INSE_IJS1O_SH_EEELb1EEEST_SW_NSS_IS1O_EEST_SY_NSZ_INSE_IJS1O_SM_EEEEEST_EEES1C_S1K_S1L_NSG_IlLl32768EEEEENSD_INSE_IJSO_SR_ST_SW_SX_ST_SY_S11_ST_NSZ_INSE_IJSH_SJ_EEEEENSU_INSE_IJNSG_IiLi7EEENSG_IiLi2EEESJ_EEELb0EEEEEENSE_IJS13_S14_S15_S16_S17_S18_S19_S1A_S1B_NS5_IJLi11ELi13EEEES1I_EEENSE_IJS1D_S1E_S18_S1F_S1G_S1B_S1H_S1I_S1J_NS5_IJLi14EEEENS5_IJLi15ELi16ELi17EEEEEEENS5_IJLi15ELi16ELi17ELi14EEEES1M_EENSD_INSE_IJS1Q_S1S_ST_SW_S1T_ST_SY_S1V_ST_S20_NSU_INSE_IJSH_S22_SJ_EEELb0EEEEEES27_S2A_S2B_S1X_EELi16ELi16ELi224ELi256ELi128ELi16ELi16ELi7ELi8ELi16ELb0ELb0EE3RunILb1ELNS_10TailNumberE10ENSD_INSE_IJNSF_INSE_IJiiEEENSE_IJiSM_EEELb0EEENSU_IS2K_Lb0EEENSS_IiEEEEENSE_IJS13_NS5_IJLi2EEEENS5_IJLi1EEEEEEENSE_IJNS5_IJLi1ELi2EEEENS5_IJLi3ELi4EEEES16_EEENS5_IJLi3ELi5ELi4EEEElEES1N_NS_35ThreadGroupTensorSliceTransfer_v4r1INS_15ThisThreadBlockILi256EEENS_16tensor_operation12element_wise11PassThroughES33_LNS_25InMemoryDataOperationEnumE0ENS5_IJLi8ELi224ELi16EEEENS5_IJLi8ELi32ELi1EEEENS5_IJLi1ELi0ELi2EEEESC_SC_RKS2X_KS1N_S37_S7_Li2ELi2ELi16ELi16ELi1ELi1ELb0ELb1ELi1EiEENS_13DynamicBufferILNS_16AddressSpaceEnumE1EKSC_lLb1ELNS_22AmdBufferCoherenceEnumE0EiEENS3C_ILS3D_2ESC_S1M_Lb1ELS3F_0EiEENSE_IJiiiEEES2X_S1Y_NS2Y_IS30_S33_S33_LS34_0ENS5_IJLi8ELi256ELi16EEEES36_S37_SC_SC_S39_KS1Y_S37_S7_Li2ELi2ELi16ELi16ELi1ELi1ELb0ELb1ELi1EiEES3G_NS3C_ILS3D_2ESC_S1X_Lb1ELS3F_0EiEES3I_NS_25StaticBufferTupleOfVectorILS3D_4EfLi56ELi4ELb1ELb0EEEEEvRKT1_RKT2_RT3_RKT4_RT5_RKT6_RKT7_RKT8_RT9_RKT10_RT11_RKT12_RT13_iEUlT_E2_EEvS4N_EUlS4N_E_EEvS4N_
	.type	_ZNK2ck6detail7applierIiJLi0ELi1ELi2ELi3ELi4ELi5ELi6ELi7ELi8ELi9ELi10ELi11ELi12ELi13ELi14ELi15ELi16ELi17ELi18ELi19ELi20ELi21ELi22ELi23ELi24ELi25ELi26ELi27ELi28ELi29ELi30ELi31ELi32ELi33ELi34ELi35ELi36ELi37ELi38ELi39ELi40ELi41ELi42ELi43ELi44ELi45ELi46ELi47ELi48ELi49ELi50ELi51ELi52ELi53ELi54ELi55ELi56ELi57ELi58ELi59ELi60ELi61ELi62ELi63ELi64ELi65ELi66ELi67ELi68ELi69ELi70ELi71ELi72ELi73ELi74ELi75ELi76ELi77ELi78ELi79ELi80ELi81ELi82ELi83ELi84ELi85ELi86ELi87ELi88ELi89ELi90ELi91ELi92ELi93ELi94ELi95ELi96ELi97ELi98ELi99ELi100ELi101ELi102ELi103ELi104ELi105ELi106ELi107ELi108ELi109ELi110ELi111EEEclIZNKS_11static_fordINS_8SequenceIJLi2ELi7ELi8EEEENS5_IJLi0ELi1ELi2EEEEEclIZNKS_31BlockwiseGemmXdlops_pipeline_v3ILNS_26BlockGemmPipelineSchedulerE0ELi256ENS_9f8_fnuz_tESC_SC_fNS_16TensorDescriptorINS_5TupleIJNS_5EmbedINSE_IJNS_17integral_constantIiLi8EEENSG_IiLi224EEENSG_IiLi16EEEEEENSE_IJSJ_NSG_IiLi128EEENSG_IiLi1EEEEEELb0EEENS_3XorINSE_IJSI_SH_EEELb1EEENS_11PassThroughISJ_EENS_7UnMergeINSE_IJSH_SM_EEELb0EEENSS_ISI_EEST_NSS_ISH_EENS_21Merge_v3_division_modINSE_IJSI_SM_EEEEEST_EEENSE_IJNS5_IJLi0EEEENS5_IJLi2ELi1EEEENS5_IJLi3EEEENS5_IJLi5EEEENS5_IJLi4EEEENS5_IJLi6EEEENS5_IJLi7EEEENS5_IJLi9ELi8EEEENS5_IJLi10EEEEEEENSE_IJNS5_IJLi1ELi2ELi3EEEENS5_IJLi4ELi5EEEES18_NS5_IJLi7ELi8EEEENS5_IJLi9EEEES1B_NS5_IJLi11EEEENS5_IJLi12EEEENS5_IJLi13EEEEEEENS5_IJLi11ELi12ELi13EEEENSG_IlLl28672EEEEENSD_INSE_IJNSF_INSE_IJSH_NSG_IiLi256EEESJ_EEESN_Lb0EEENSP_INSE_IJS1O_SH_EEELb1EEEST_SW_NSS_IS1O_EEST_SY_NSZ_INSE_IJS1O_SM_EEEEEST_EEES1C_S1K_S1L_NSG_IlLl32768EEEEENSD_INSE_IJSO_SR_ST_SW_SX_ST_SY_S11_ST_NSZ_INSE_IJSH_SJ_EEEEENSU_INSE_IJNSG_IiLi7EEENSG_IiLi2EEESJ_EEELb0EEEEEENSE_IJS13_S14_S15_S16_S17_S18_S19_S1A_S1B_NS5_IJLi11ELi13EEEES1I_EEENSE_IJS1D_S1E_S18_S1F_S1G_S1B_S1H_S1I_S1J_NS5_IJLi14EEEENS5_IJLi15ELi16ELi17EEEEEEENS5_IJLi15ELi16ELi17ELi14EEEES1M_EENSD_INSE_IJS1Q_S1S_ST_SW_S1T_ST_SY_S1V_ST_S20_NSU_INSE_IJSH_S22_SJ_EEELb0EEEEEES27_S2A_S2B_S1X_EELi16ELi16ELi224ELi256ELi128ELi16ELi16ELi7ELi8ELi16ELb0ELb0EE3RunILb1ELNS_10TailNumberE10ENSD_INSE_IJNSF_INSE_IJiiEEENSE_IJiSM_EEELb0EEENSU_IS2K_Lb0EEENSS_IiEEEEENSE_IJS13_NS5_IJLi2EEEENS5_IJLi1EEEEEEENSE_IJNS5_IJLi1ELi2EEEENS5_IJLi3ELi4EEEES16_EEENS5_IJLi3ELi5ELi4EEEElEES1N_NS_35ThreadGroupTensorSliceTransfer_v4r1INS_15ThisThreadBlockILi256EEENS_16tensor_operation12element_wise11PassThroughES33_LNS_25InMemoryDataOperationEnumE0ENS5_IJLi8ELi224ELi16EEEENS5_IJLi8ELi32ELi1EEEENS5_IJLi1ELi0ELi2EEEESC_SC_RKS2X_KS1N_S37_S7_Li2ELi2ELi16ELi16ELi1ELi1ELb0ELb1ELi1EiEENS_13DynamicBufferILNS_16AddressSpaceEnumE1EKSC_lLb1ELNS_22AmdBufferCoherenceEnumE0EiEENS3C_ILS3D_2ESC_S1M_Lb1ELS3F_0EiEENSE_IJiiiEEES2X_S1Y_NS2Y_IS30_S33_S33_LS34_0ENS5_IJLi8ELi256ELi16EEEES36_S37_SC_SC_S39_KS1Y_S37_S7_Li2ELi2ELi16ELi16ELi1ELi1ELb0ELb1ELi1EiEES3G_NS3C_ILS3D_2ESC_S1X_Lb1ELS3F_0EiEES3I_NS_25StaticBufferTupleOfVectorILS3D_4EfLi56ELi4ELb1ELb0EEEEEvRKT1_RKT2_RT3_RKT4_RT5_RKT6_RKT7_RKT8_RT9_RKT10_RT11_RKT12_RT13_iEUlT_E2_EEvS4N_EUlS4N_E_EEvS4N_,@function
_ZNK2ck6detail7applierIiJLi0ELi1ELi2ELi3ELi4ELi5ELi6ELi7ELi8ELi9ELi10ELi11ELi12ELi13ELi14ELi15ELi16ELi17ELi18ELi19ELi20ELi21ELi22ELi23ELi24ELi25ELi26ELi27ELi28ELi29ELi30ELi31ELi32ELi33ELi34ELi35ELi36ELi37ELi38ELi39ELi40ELi41ELi42ELi43ELi44ELi45ELi46ELi47ELi48ELi49ELi50ELi51ELi52ELi53ELi54ELi55ELi56ELi57ELi58ELi59ELi60ELi61ELi62ELi63ELi64ELi65ELi66ELi67ELi68ELi69ELi70ELi71ELi72ELi73ELi74ELi75ELi76ELi77ELi78ELi79ELi80ELi81ELi82ELi83ELi84ELi85ELi86ELi87ELi88ELi89ELi90ELi91ELi92ELi93ELi94ELi95ELi96ELi97ELi98ELi99ELi100ELi101ELi102ELi103ELi104ELi105ELi106ELi107ELi108ELi109ELi110ELi111EEEclIZNKS_11static_fordINS_8SequenceIJLi2ELi7ELi8EEEENS5_IJLi0ELi1ELi2EEEEEclIZNKS_31BlockwiseGemmXdlops_pipeline_v3ILNS_26BlockGemmPipelineSchedulerE0ELi256ENS_9f8_fnuz_tESC_SC_fNS_16TensorDescriptorINS_5TupleIJNS_5EmbedINSE_IJNS_17integral_constantIiLi8EEENSG_IiLi224EEENSG_IiLi16EEEEEENSE_IJSJ_NSG_IiLi128EEENSG_IiLi1EEEEEELb0EEENS_3XorINSE_IJSI_SH_EEELb1EEENS_11PassThroughISJ_EENS_7UnMergeINSE_IJSH_SM_EEELb0EEENSS_ISI_EEST_NSS_ISH_EENS_21Merge_v3_division_modINSE_IJSI_SM_EEEEEST_EEENSE_IJNS5_IJLi0EEEENS5_IJLi2ELi1EEEENS5_IJLi3EEEENS5_IJLi5EEEENS5_IJLi4EEEENS5_IJLi6EEEENS5_IJLi7EEEENS5_IJLi9ELi8EEEENS5_IJLi10EEEEEEENSE_IJNS5_IJLi1ELi2ELi3EEEENS5_IJLi4ELi5EEEES18_NS5_IJLi7ELi8EEEENS5_IJLi9EEEES1B_NS5_IJLi11EEEENS5_IJLi12EEEENS5_IJLi13EEEEEEENS5_IJLi11ELi12ELi13EEEENSG_IlLl28672EEEEENSD_INSE_IJNSF_INSE_IJSH_NSG_IiLi256EEESJ_EEESN_Lb0EEENSP_INSE_IJS1O_SH_EEELb1EEEST_SW_NSS_IS1O_EEST_SY_NSZ_INSE_IJS1O_SM_EEEEEST_EEES1C_S1K_S1L_NSG_IlLl32768EEEEENSD_INSE_IJSO_SR_ST_SW_SX_ST_SY_S11_ST_NSZ_INSE_IJSH_SJ_EEEEENSU_INSE_IJNSG_IiLi7EEENSG_IiLi2EEESJ_EEELb0EEEEEENSE_IJS13_S14_S15_S16_S17_S18_S19_S1A_S1B_NS5_IJLi11ELi13EEEES1I_EEENSE_IJS1D_S1E_S18_S1F_S1G_S1B_S1H_S1I_S1J_NS5_IJLi14EEEENS5_IJLi15ELi16ELi17EEEEEEENS5_IJLi15ELi16ELi17ELi14EEEES1M_EENSD_INSE_IJS1Q_S1S_ST_SW_S1T_ST_SY_S1V_ST_S20_NSU_INSE_IJSH_S22_SJ_EEELb0EEEEEES27_S2A_S2B_S1X_EELi16ELi16ELi224ELi256ELi128ELi16ELi16ELi7ELi8ELi16ELb0ELb0EE3RunILb1ELNS_10TailNumberE10ENSD_INSE_IJNSF_INSE_IJiiEEENSE_IJiSM_EEELb0EEENSU_IS2K_Lb0EEENSS_IiEEEEENSE_IJS13_NS5_IJLi2EEEENS5_IJLi1EEEEEEENSE_IJNS5_IJLi1ELi2EEEENS5_IJLi3ELi4EEEES16_EEENS5_IJLi3ELi5ELi4EEEElEES1N_NS_35ThreadGroupTensorSliceTransfer_v4r1INS_15ThisThreadBlockILi256EEENS_16tensor_operation12element_wise11PassThroughES33_LNS_25InMemoryDataOperationEnumE0ENS5_IJLi8ELi224ELi16EEEENS5_IJLi8ELi32ELi1EEEENS5_IJLi1ELi0ELi2EEEESC_SC_RKS2X_KS1N_S37_S7_Li2ELi2ELi16ELi16ELi1ELi1ELb0ELb1ELi1EiEENS_13DynamicBufferILNS_16AddressSpaceEnumE1EKSC_lLb1ELNS_22AmdBufferCoherenceEnumE0EiEENS3C_ILS3D_2ESC_S1M_Lb1ELS3F_0EiEENSE_IJiiiEEES2X_S1Y_NS2Y_IS30_S33_S33_LS34_0ENS5_IJLi8ELi256ELi16EEEES36_S37_SC_SC_S39_KS1Y_S37_S7_Li2ELi2ELi16ELi16ELi1ELi1ELb0ELb1ELi1EiEES3G_NS3C_ILS3D_2ESC_S1X_Lb1ELS3F_0EiEES3I_NS_25StaticBufferTupleOfVectorILS3D_4EfLi56ELi4ELb1ELb0EEEEEvRKT1_RKT2_RT3_RKT4_RT5_RKT6_RKT7_RKT8_RT9_RKT10_RT11_RKT12_RT13_iEUlT_E2_EEvS4N_EUlS4N_E_EEvS4N_: ; @_ZNK2ck6detail7applierIiJLi0ELi1ELi2ELi3ELi4ELi5ELi6ELi7ELi8ELi9ELi10ELi11ELi12ELi13ELi14ELi15ELi16ELi17ELi18ELi19ELi20ELi21ELi22ELi23ELi24ELi25ELi26ELi27ELi28ELi29ELi30ELi31ELi32ELi33ELi34ELi35ELi36ELi37ELi38ELi39ELi40ELi41ELi42ELi43ELi44ELi45ELi46ELi47ELi48ELi49ELi50ELi51ELi52ELi53ELi54ELi55ELi56ELi57ELi58ELi59ELi60ELi61ELi62ELi63ELi64ELi65ELi66ELi67ELi68ELi69ELi70ELi71ELi72ELi73ELi74ELi75ELi76ELi77ELi78ELi79ELi80ELi81ELi82ELi83ELi84ELi85ELi86ELi87ELi88ELi89ELi90ELi91ELi92ELi93ELi94ELi95ELi96ELi97ELi98ELi99ELi100ELi101ELi102ELi103ELi104ELi105ELi106ELi107ELi108ELi109ELi110ELi111EEEclIZNKS_11static_fordINS_8SequenceIJLi2ELi7ELi8EEEENS5_IJLi0ELi1ELi2EEEEEclIZNKS_31BlockwiseGemmXdlops_pipeline_v3ILNS_26BlockGemmPipelineSchedulerE0ELi256ENS_9f8_fnuz_tESC_SC_fNS_16TensorDescriptorINS_5TupleIJNS_5EmbedINSE_IJNS_17integral_constantIiLi8EEENSG_IiLi224EEENSG_IiLi16EEEEEENSE_IJSJ_NSG_IiLi128EEENSG_IiLi1EEEEEELb0EEENS_3XorINSE_IJSI_SH_EEELb1EEENS_11PassThroughISJ_EENS_7UnMergeINSE_IJSH_SM_EEELb0EEENSS_ISI_EEST_NSS_ISH_EENS_21Merge_v3_division_modINSE_IJSI_SM_EEEEEST_EEENSE_IJNS5_IJLi0EEEENS5_IJLi2ELi1EEEENS5_IJLi3EEEENS5_IJLi5EEEENS5_IJLi4EEEENS5_IJLi6EEEENS5_IJLi7EEEENS5_IJLi9ELi8EEEENS5_IJLi10EEEEEEENSE_IJNS5_IJLi1ELi2ELi3EEEENS5_IJLi4ELi5EEEES18_NS5_IJLi7ELi8EEEENS5_IJLi9EEEES1B_NS5_IJLi11EEEENS5_IJLi12EEEENS5_IJLi13EEEEEEENS5_IJLi11ELi12ELi13EEEENSG_IlLl28672EEEEENSD_INSE_IJNSF_INSE_IJSH_NSG_IiLi256EEESJ_EEESN_Lb0EEENSP_INSE_IJS1O_SH_EEELb1EEEST_SW_NSS_IS1O_EEST_SY_NSZ_INSE_IJS1O_SM_EEEEEST_EEES1C_S1K_S1L_NSG_IlLl32768EEEEENSD_INSE_IJSO_SR_ST_SW_SX_ST_SY_S11_ST_NSZ_INSE_IJSH_SJ_EEEEENSU_INSE_IJNSG_IiLi7EEENSG_IiLi2EEESJ_EEELb0EEEEEENSE_IJS13_S14_S15_S16_S17_S18_S19_S1A_S1B_NS5_IJLi11ELi13EEEES1I_EEENSE_IJS1D_S1E_S18_S1F_S1G_S1B_S1H_S1I_S1J_NS5_IJLi14EEEENS5_IJLi15ELi16ELi17EEEEEEENS5_IJLi15ELi16ELi17ELi14EEEES1M_EENSD_INSE_IJS1Q_S1S_ST_SW_S1T_ST_SY_S1V_ST_S20_NSU_INSE_IJSH_S22_SJ_EEELb0EEEEEES27_S2A_S2B_S1X_EELi16ELi16ELi224ELi256ELi128ELi16ELi16ELi7ELi8ELi16ELb0ELb0EE3RunILb1ELNS_10TailNumberE10ENSD_INSE_IJNSF_INSE_IJiiEEENSE_IJiSM_EEELb0EEENSU_IS2K_Lb0EEENSS_IiEEEEENSE_IJS13_NS5_IJLi2EEEENS5_IJLi1EEEEEEENSE_IJNS5_IJLi1ELi2EEEENS5_IJLi3ELi4EEEES16_EEENS5_IJLi3ELi5ELi4EEEElEES1N_NS_35ThreadGroupTensorSliceTransfer_v4r1INS_15ThisThreadBlockILi256EEENS_16tensor_operation12element_wise11PassThroughES33_LNS_25InMemoryDataOperationEnumE0ENS5_IJLi8ELi224ELi16EEEENS5_IJLi8ELi32ELi1EEEENS5_IJLi1ELi0ELi2EEEESC_SC_RKS2X_KS1N_S37_S7_Li2ELi2ELi16ELi16ELi1ELi1ELb0ELb1ELi1EiEENS_13DynamicBufferILNS_16AddressSpaceEnumE1EKSC_lLb1ELNS_22AmdBufferCoherenceEnumE0EiEENS3C_ILS3D_2ESC_S1M_Lb1ELS3F_0EiEENSE_IJiiiEEES2X_S1Y_NS2Y_IS30_S33_S33_LS34_0ENS5_IJLi8ELi256ELi16EEEES36_S37_SC_SC_S39_KS1Y_S37_S7_Li2ELi2ELi16ELi16ELi1ELi1ELb0ELb1ELi1EiEES3G_NS3C_ILS3D_2ESC_S1X_Lb1ELS3F_0EiEES3I_NS_25StaticBufferTupleOfVectorILS3D_4EfLi56ELi4ELb1ELb0EEEEEvRKT1_RKT2_RT3_RKT4_RT5_RKT6_RKT7_RKT8_RT9_RKT10_RT11_RKT12_RT13_iEUlT_E2_EEvS4N_EUlS4N_E_EEvS4N_
; %bb.0:
	s_waitcnt vmcnt(0) expcnt(0) lgkmcnt(0)
	flat_load_dwordx4 v[12:15], v[0:1]
	flat_load_dwordx2 v[10:11], v[0:1] offset:16
	s_movk_i32 s4, 0x7f
                                        ; implicit-def: $sgpr10
	s_waitcnt vmcnt(0) lgkmcnt(0)
	flat_load_dwordx4 v[6:9], v[12:13]
	flat_load_dwordx4 v[2:5], v[14:15]
	s_waitcnt vmcnt(0) lgkmcnt(0)
	v_cmp_gt_i16_sdwa s[6:7], v6, s4 src0_sel:BYTE_0 src1_sel:DWORD
	s_mov_b64 s[4:5], 0
	s_and_saveexec_b64 s[8:9], s[6:7]
	s_xor_b64 s[6:7], exec, s[8:9]
	s_cbranch_execz .LBB2_1
; %bb.35841:
	s_getpc_b64 s[14:15]
.Lpost_getpc21504:
	s_add_u32 s14, s14, (.LBB2_14337-.Lpost_getpc21504)&4294967295
	s_addc_u32 s15, s15, (.LBB2_14337-.Lpost_getpc21504)>>32
	s_setpc_b64 s[14:15]
.LBB2_1:
	s_or_saveexec_b64 s[6:7], s[6:7]
	v_mov_b32_e32 v12, s10
	s_xor_b64 exec, exec, s[6:7]
	s_cbranch_execz .LBB2_2
; %bb.35843:
	s_getpc_b64 s[14:15]
.Lpost_getpc21505:
	s_add_u32 s14, s14, (.LBB2_14340-.Lpost_getpc21505)&4294967295
	s_addc_u32 s15, s15, (.LBB2_14340-.Lpost_getpc21505)>>32
	s_setpc_b64 s[14:15]
.LBB2_2:
	s_or_b64 exec, exec, s[6:7]
	s_and_saveexec_b64 s[6:7], s[4:5]
	s_cbranch_execz .LBB2_4
.LBB2_3:
	v_and_b32_e32 v12, 7, v6
	v_ffbh_u32_e32 v14, v12
	v_min_u32_e32 v14, 32, v14
	v_lshrrev_b16_e32 v13, 3, v6
	v_subrev_u32_e32 v15, 28, v14
	v_and_b32_e32 v13, 15, v13
	v_lshlrev_b32_e32 v15, v15, v6
	v_sub_u32_e32 v14, 29, v14
	v_and_b32_e32 v15, 7, v15
	v_cmp_eq_u16_e32 vcc, 0, v13
	v_cndmask_b32_e32 v12, v12, v15, vcc
	v_cndmask_b32_e32 v13, v13, v14, vcc
	v_lshlrev_b32_e32 v14, 24, v6
	v_mov_b32_e32 v15, 0x3b800000
	v_lshlrev_b32_e32 v12, 20, v12
	v_and_b32_e32 v14, 0x80000000, v14
	v_lshl_add_u32 v13, v13, 23, v15
	v_or3_b32 v12, v14, v13, v12
.LBB2_4:
	s_or_b64 exec, exec, s[6:7]
	s_movk_i32 s4, 0x7f
	v_cmp_gt_i16_sdwa s[6:7], v2, s4 src0_sel:BYTE_0 src1_sel:DWORD
	s_mov_b64 s[4:5], 0
                                        ; implicit-def: $sgpr10
	s_and_saveexec_b64 s[8:9], s[6:7]
	s_xor_b64 s[6:7], exec, s[8:9]
	s_cbranch_execz .LBB2_5
; %bb.35845:
	s_getpc_b64 s[14:15]
.Lpost_getpc21506:
	s_add_u32 s14, s14, (.LBB2_14341-.Lpost_getpc21506)&4294967295
	s_addc_u32 s15, s15, (.LBB2_14341-.Lpost_getpc21506)>>32
	s_setpc_b64 s[14:15]
.LBB2_5:
	s_or_saveexec_b64 s[6:7], s[6:7]
	v_mov_b32_e32 v13, s10
	s_xor_b64 exec, exec, s[6:7]
	s_cbranch_execz .LBB2_6
; %bb.35847:
	s_getpc_b64 s[14:15]
.Lpost_getpc21507:
	s_add_u32 s14, s14, (.LBB2_14344-.Lpost_getpc21507)&4294967295
	s_addc_u32 s15, s15, (.LBB2_14344-.Lpost_getpc21507)>>32
	s_setpc_b64 s[14:15]
.LBB2_6:
	s_or_b64 exec, exec, s[6:7]
	s_and_saveexec_b64 s[6:7], s[4:5]
	s_cbranch_execz .LBB2_8
.LBB2_7:
	v_and_b32_e32 v13, 7, v2
	v_ffbh_u32_e32 v15, v13
	v_min_u32_e32 v15, 32, v15
	v_lshrrev_b16_e32 v14, 3, v2
	v_subrev_u32_e32 v16, 28, v15
	v_and_b32_e32 v14, 15, v14
	v_lshlrev_b32_e32 v16, v16, v2
	v_sub_u32_e32 v15, 29, v15
	v_and_b32_e32 v16, 7, v16
	v_cmp_eq_u16_e32 vcc, 0, v14
	v_cndmask_b32_e32 v13, v13, v16, vcc
	v_cndmask_b32_e32 v14, v14, v15, vcc
	v_lshlrev_b32_e32 v15, 24, v2
	v_mov_b32_e32 v16, 0x3b800000
	v_lshlrev_b32_e32 v13, 20, v13
	v_and_b32_e32 v15, 0x80000000, v15
	v_lshl_add_u32 v14, v14, 23, v16
	v_or3_b32 v13, v15, v14, v13
.LBB2_8:
	s_or_b64 exec, exec, s[6:7]
	flat_load_dwordx4 a[0:3], v[10:11]
	s_movk_i32 s4, 0x7f
                                        ; implicit-def: $sgpr10
	s_waitcnt vmcnt(0) lgkmcnt(0)
	v_mfma_f32_16x16x4f32 a[0:3], v12, v13, a[0:3]
	v_lshrrev_b32_e32 v13, 8, v6
	v_cmp_gt_i16_sdwa s[6:7], v13, s4 src0_sel:BYTE_0 src1_sel:DWORD
	s_mov_b64 s[4:5], 0
	s_and_saveexec_b64 s[8:9], s[6:7]
	s_xor_b64 s[6:7], exec, s[8:9]
	s_cbranch_execz .LBB2_9
; %bb.35849:
	s_getpc_b64 s[14:15]
.Lpost_getpc21508:
	s_add_u32 s14, s14, (.LBB2_14345-.Lpost_getpc21508)&4294967295
	s_addc_u32 s15, s15, (.LBB2_14345-.Lpost_getpc21508)>>32
	s_setpc_b64 s[14:15]
.LBB2_9:
	s_or_saveexec_b64 s[6:7], s[6:7]
	v_mov_b32_e32 v12, s10
	s_xor_b64 exec, exec, s[6:7]
	s_cbranch_execz .LBB2_10
; %bb.35851:
	s_getpc_b64 s[14:15]
.Lpost_getpc21509:
	s_add_u32 s14, s14, (.LBB2_14348-.Lpost_getpc21509)&4294967295
	s_addc_u32 s15, s15, (.LBB2_14348-.Lpost_getpc21509)>>32
	s_setpc_b64 s[14:15]
.LBB2_10:
	s_or_b64 exec, exec, s[6:7]
	s_and_saveexec_b64 s[6:7], s[4:5]
	s_cbranch_execz .LBB2_12
.LBB2_11:
	v_bfe_u32 v12, v6, 8, 3
	v_ffbh_u32_e32 v15, v12
	v_min_u32_e32 v15, 32, v15
	v_lshrrev_b16_e32 v14, 3, v13
	v_subrev_u32_e32 v16, 28, v15
	v_and_b32_e32 v14, 15, v14
	v_lshlrev_b32_e32 v13, v16, v13
	v_sub_u32_e32 v15, 29, v15
	v_and_b32_e32 v13, 7, v13
	v_cmp_eq_u16_e32 vcc, 0, v14
	v_cndmask_b32_e32 v12, v12, v13, vcc
	v_cndmask_b32_e32 v13, v14, v15, vcc
	v_lshlrev_b32_e32 v14, 16, v6
	v_mov_b32_e32 v15, 0x3b800000
	v_lshlrev_b32_e32 v12, 20, v12
	v_and_b32_e32 v14, 0x80000000, v14
	v_lshl_add_u32 v13, v13, 23, v15
	v_or3_b32 v12, v14, v13, v12
.LBB2_12:
	s_or_b64 exec, exec, s[6:7]
	v_lshrrev_b32_e32 v13, 8, v2
	s_movk_i32 s4, 0x7f
	v_cmp_gt_i16_sdwa s[6:7], v13, s4 src0_sel:BYTE_0 src1_sel:DWORD
	s_mov_b64 s[4:5], 0
                                        ; implicit-def: $sgpr10
	s_and_saveexec_b64 s[8:9], s[6:7]
	s_xor_b64 s[6:7], exec, s[8:9]
	s_cbranch_execz .LBB2_13
; %bb.35853:
	s_getpc_b64 s[14:15]
.Lpost_getpc21510:
	s_add_u32 s14, s14, (.LBB2_14349-.Lpost_getpc21510)&4294967295
	s_addc_u32 s15, s15, (.LBB2_14349-.Lpost_getpc21510)>>32
	s_setpc_b64 s[14:15]
.LBB2_13:
	s_or_saveexec_b64 s[6:7], s[6:7]
	v_mov_b32_e32 v14, s10
	s_xor_b64 exec, exec, s[6:7]
	s_cbranch_execz .LBB2_14
; %bb.35855:
	s_getpc_b64 s[14:15]
.Lpost_getpc21511:
	s_add_u32 s14, s14, (.LBB2_14352-.Lpost_getpc21511)&4294967295
	s_addc_u32 s15, s15, (.LBB2_14352-.Lpost_getpc21511)>>32
	s_setpc_b64 s[14:15]
.LBB2_14:
	s_or_b64 exec, exec, s[6:7]
	s_and_saveexec_b64 s[6:7], s[4:5]
	s_cbranch_execz .LBB2_16
.LBB2_15:
	v_bfe_u32 v14, v2, 8, 3
	v_ffbh_u32_e32 v16, v14
	v_min_u32_e32 v16, 32, v16
	v_lshrrev_b16_e32 v15, 3, v13
	v_subrev_u32_e32 v17, 28, v16
	v_and_b32_e32 v15, 15, v15
	v_lshlrev_b32_e32 v13, v17, v13
	v_sub_u32_e32 v16, 29, v16
	v_and_b32_e32 v13, 7, v13
	v_cmp_eq_u16_e32 vcc, 0, v15
	v_cndmask_b32_e32 v13, v14, v13, vcc
	v_cndmask_b32_e32 v14, v15, v16, vcc
	v_lshlrev_b32_e32 v15, 16, v2
	v_mov_b32_e32 v16, 0x3b800000
	v_lshlrev_b32_e32 v13, 20, v13
	v_and_b32_e32 v15, 0x80000000, v15
	v_lshl_add_u32 v14, v14, 23, v16
	v_or3_b32 v14, v15, v14, v13
.LBB2_16:
	s_or_b64 exec, exec, s[6:7]
	s_nop 0
	v_mfma_f32_16x16x4f32 a[0:3], v12, v14, a[0:3]
	s_movk_i32 s4, 0xff
	v_and_b32_sdwa v13, v6, s4 dst_sel:DWORD dst_unused:UNUSED_PAD src0_sel:WORD_1 src1_sel:DWORD
	s_movk_i32 s4, 0x7f
	v_cmp_lt_i16_e32 vcc, s4, v13
	s_mov_b64 s[4:5], 0
                                        ; implicit-def: $sgpr10
	s_and_saveexec_b64 s[6:7], vcc
	s_xor_b64 s[6:7], exec, s[6:7]
	s_cbranch_execz .LBB2_17
; %bb.35857:
	s_getpc_b64 s[14:15]
.Lpost_getpc21512:
	s_add_u32 s14, s14, (.LBB2_14353-.Lpost_getpc21512)&4294967295
	s_addc_u32 s15, s15, (.LBB2_14353-.Lpost_getpc21512)>>32
	s_setpc_b64 s[14:15]
.LBB2_17:
	s_or_saveexec_b64 s[6:7], s[6:7]
	v_mov_b32_e32 v12, s10
	s_xor_b64 exec, exec, s[6:7]
	s_cbranch_execz .LBB2_18
; %bb.35859:
	s_getpc_b64 s[14:15]
.Lpost_getpc21513:
	s_add_u32 s14, s14, (.LBB2_14356-.Lpost_getpc21513)&4294967295
	s_addc_u32 s15, s15, (.LBB2_14356-.Lpost_getpc21513)>>32
	s_setpc_b64 s[14:15]
.LBB2_18:
	s_or_b64 exec, exec, s[6:7]
	s_and_saveexec_b64 s[6:7], s[4:5]
	s_cbranch_execz .LBB2_20
.LBB2_19:
	v_bfe_u32 v12, v6, 16, 3
	v_ffbh_u32_e32 v15, v12
	v_min_u32_e32 v15, 32, v15
	v_lshrrev_b32_e32 v13, 19, v6
	v_subrev_u32_e32 v16, 28, v15
	v_and_b32_e32 v13, 15, v13
	v_lshlrev_b32_sdwa v16, v16, v6 dst_sel:DWORD dst_unused:UNUSED_PAD src0_sel:DWORD src1_sel:WORD_1
	v_bfe_u32 v14, v6, 19, 4
	v_sub_u32_e32 v15, 29, v15
	v_and_b32_e32 v16, 7, v16
	v_cmp_eq_u16_e32 vcc, 0, v13
	v_cndmask_b32_e32 v12, v12, v16, vcc
	v_cndmask_b32_e32 v13, v14, v15, vcc
	v_lshlrev_b32_e32 v14, 8, v6
	v_mov_b32_e32 v15, 0x3b800000
	v_lshlrev_b32_e32 v12, 20, v12
	v_and_b32_e32 v14, 0x80000000, v14
	v_lshl_add_u32 v13, v13, 23, v15
	v_or3_b32 v12, v14, v13, v12
.LBB2_20:
	s_or_b64 exec, exec, s[6:7]
	s_movk_i32 s4, 0xff
	v_and_b32_sdwa v13, v2, s4 dst_sel:DWORD dst_unused:UNUSED_PAD src0_sel:WORD_1 src1_sel:DWORD
	s_movk_i32 s4, 0x7f
	v_cmp_lt_i16_e32 vcc, s4, v13
	s_mov_b64 s[4:5], 0
                                        ; implicit-def: $sgpr10
	s_and_saveexec_b64 s[6:7], vcc
	s_xor_b64 s[6:7], exec, s[6:7]
	s_cbranch_execz .LBB2_21
; %bb.35861:
	s_getpc_b64 s[14:15]
.Lpost_getpc21514:
	s_add_u32 s14, s14, (.LBB2_14357-.Lpost_getpc21514)&4294967295
	s_addc_u32 s15, s15, (.LBB2_14357-.Lpost_getpc21514)>>32
	s_setpc_b64 s[14:15]
.LBB2_21:
	s_or_saveexec_b64 s[6:7], s[6:7]
	v_mov_b32_e32 v14, s10
	s_xor_b64 exec, exec, s[6:7]
	s_cbranch_execz .LBB2_22
; %bb.35863:
	s_getpc_b64 s[14:15]
.Lpost_getpc21515:
	s_add_u32 s14, s14, (.LBB2_14360-.Lpost_getpc21515)&4294967295
	s_addc_u32 s15, s15, (.LBB2_14360-.Lpost_getpc21515)>>32
	s_setpc_b64 s[14:15]
.LBB2_22:
	s_or_b64 exec, exec, s[6:7]
	s_and_saveexec_b64 s[6:7], s[4:5]
	s_cbranch_execz .LBB2_24
.LBB2_23:
	v_bfe_u32 v13, v2, 16, 3
	v_ffbh_u32_e32 v16, v13
	v_min_u32_e32 v16, 32, v16
	v_lshrrev_b32_e32 v14, 19, v2
	v_subrev_u32_e32 v17, 28, v16
	v_and_b32_e32 v14, 15, v14
	v_lshlrev_b32_sdwa v17, v17, v2 dst_sel:DWORD dst_unused:UNUSED_PAD src0_sel:DWORD src1_sel:WORD_1
	v_bfe_u32 v15, v2, 19, 4
	v_sub_u32_e32 v16, 29, v16
	v_and_b32_e32 v17, 7, v17
	v_cmp_eq_u16_e32 vcc, 0, v14
	v_cndmask_b32_e32 v13, v13, v17, vcc
	v_cndmask_b32_e32 v14, v15, v16, vcc
	v_lshlrev_b32_e32 v15, 8, v2
	v_mov_b32_e32 v16, 0x3b800000
	v_lshlrev_b32_e32 v13, 20, v13
	v_and_b32_e32 v15, 0x80000000, v15
	v_lshl_add_u32 v14, v14, 23, v16
	v_or3_b32 v14, v15, v14, v13
.LBB2_24:
	s_or_b64 exec, exec, s[6:7]
	s_nop 0
	v_mfma_f32_16x16x4f32 a[0:3], v12, v14, a[0:3]
	s_movk_i32 s4, 0x7f
	v_cmp_gt_i16_sdwa s[6:7], v6, s4 src0_sel:BYTE_3 src1_sel:DWORD
	s_mov_b64 s[4:5], 0
                                        ; implicit-def: $sgpr10
	s_and_saveexec_b64 s[8:9], s[6:7]
	s_xor_b64 s[6:7], exec, s[8:9]
	s_cbranch_execz .LBB2_25
; %bb.35865:
	s_getpc_b64 s[14:15]
.Lpost_getpc21516:
	s_add_u32 s14, s14, (.LBB2_14361-.Lpost_getpc21516)&4294967295
	s_addc_u32 s15, s15, (.LBB2_14361-.Lpost_getpc21516)>>32
	s_setpc_b64 s[14:15]
.LBB2_25:
	s_or_saveexec_b64 s[6:7], s[6:7]
	v_mov_b32_e32 v12, s10
	s_xor_b64 exec, exec, s[6:7]
	s_cbranch_execz .LBB2_26
; %bb.35867:
	s_getpc_b64 s[14:15]
.Lpost_getpc21517:
	s_add_u32 s14, s14, (.LBB2_14364-.Lpost_getpc21517)&4294967295
	s_addc_u32 s15, s15, (.LBB2_14364-.Lpost_getpc21517)>>32
	s_setpc_b64 s[14:15]
.LBB2_26:
	s_or_b64 exec, exec, s[6:7]
	s_and_saveexec_b64 s[6:7], s[4:5]
	s_cbranch_execz .LBB2_28
.LBB2_27:
	v_bfe_u32 v12, v6, 24, 3
	v_ffbh_u32_e32 v16, v12
	v_min_u32_e32 v16, 32, v16
	v_lshrrev_b32_e32 v14, 27, v6
	v_subrev_u32_e32 v17, 28, v16
	v_and_b32_e32 v13, 0x80000000, v6
	v_and_b32_e32 v14, 15, v14
	v_bfe_u32 v15, v6, 27, 4
	v_lshlrev_b32_sdwa v6, v17, v6 dst_sel:DWORD dst_unused:UNUSED_PAD src0_sel:DWORD src1_sel:BYTE_3
	v_sub_u32_e32 v16, 29, v16
	v_and_b32_e32 v6, 7, v6
	v_cmp_eq_u16_e32 vcc, 0, v14
	v_cndmask_b32_e32 v6, v12, v6, vcc
	v_cndmask_b32_e32 v12, v15, v16, vcc
	v_mov_b32_e32 v14, 0x3b800000
	v_lshlrev_b32_e32 v6, 20, v6
	v_lshl_add_u32 v12, v12, 23, v14
	v_or3_b32 v12, v13, v12, v6
.LBB2_28:
	s_or_b64 exec, exec, s[6:7]
	s_movk_i32 s4, 0x7f
	v_cmp_gt_i16_sdwa s[6:7], v2, s4 src0_sel:BYTE_3 src1_sel:DWORD
	s_mov_b64 s[4:5], 0
                                        ; implicit-def: $sgpr10
	s_and_saveexec_b64 s[8:9], s[6:7]
	s_xor_b64 s[6:7], exec, s[8:9]
	s_cbranch_execz .LBB2_29
; %bb.35869:
	s_getpc_b64 s[14:15]
.Lpost_getpc21518:
	s_add_u32 s14, s14, (.LBB2_14365-.Lpost_getpc21518)&4294967295
	s_addc_u32 s15, s15, (.LBB2_14365-.Lpost_getpc21518)>>32
	s_setpc_b64 s[14:15]
.LBB2_29:
	s_or_saveexec_b64 s[6:7], s[6:7]
	v_mov_b32_e32 v6, s10
	s_xor_b64 exec, exec, s[6:7]
	s_cbranch_execz .LBB2_30
; %bb.35871:
	s_getpc_b64 s[14:15]
.Lpost_getpc21519:
	s_add_u32 s14, s14, (.LBB2_14368-.Lpost_getpc21519)&4294967295
	s_addc_u32 s15, s15, (.LBB2_14368-.Lpost_getpc21519)>>32
	s_setpc_b64 s[14:15]
.LBB2_30:
	s_or_b64 exec, exec, s[6:7]
	s_and_saveexec_b64 s[6:7], s[4:5]
	s_cbranch_execz .LBB2_32
.LBB2_31:
	v_bfe_u32 v6, v2, 24, 3
	v_ffbh_u32_e32 v16, v6
	v_min_u32_e32 v16, 32, v16
	v_lshrrev_b32_e32 v14, 27, v2
	v_subrev_u32_e32 v17, 28, v16
	v_and_b32_e32 v13, 0x80000000, v2
	v_and_b32_e32 v14, 15, v14
	v_bfe_u32 v15, v2, 27, 4
	v_lshlrev_b32_sdwa v2, v17, v2 dst_sel:DWORD dst_unused:UNUSED_PAD src0_sel:DWORD src1_sel:BYTE_3
	v_sub_u32_e32 v16, 29, v16
	v_and_b32_e32 v2, 7, v2
	v_cmp_eq_u16_e32 vcc, 0, v14
	v_cndmask_b32_e32 v2, v6, v2, vcc
	v_cndmask_b32_e32 v6, v15, v16, vcc
	v_mov_b32_e32 v14, 0x3b800000
	v_lshlrev_b32_e32 v2, 20, v2
	v_lshl_add_u32 v6, v6, 23, v14
	v_or3_b32 v6, v13, v6, v2
.LBB2_32:
	s_or_b64 exec, exec, s[6:7]
	s_nop 0
	v_mfma_f32_16x16x4f32 a[0:3], v12, v6, a[0:3]
	s_movk_i32 s4, 0x7f
	v_cmp_gt_i16_sdwa s[6:7], v7, s4 src0_sel:BYTE_0 src1_sel:DWORD
	s_mov_b64 s[4:5], 0
                                        ; implicit-def: $sgpr10
	s_and_saveexec_b64 s[8:9], s[6:7]
	s_xor_b64 s[6:7], exec, s[8:9]
	s_cbranch_execz .LBB2_33
; %bb.35873:
	s_getpc_b64 s[14:15]
.Lpost_getpc21520:
	s_add_u32 s14, s14, (.LBB2_14369-.Lpost_getpc21520)&4294967295
	s_addc_u32 s15, s15, (.LBB2_14369-.Lpost_getpc21520)>>32
	s_setpc_b64 s[14:15]
.LBB2_33:
	s_or_saveexec_b64 s[6:7], s[6:7]
	v_mov_b32_e32 v2, s10
	s_xor_b64 exec, exec, s[6:7]
	s_cbranch_execz .LBB2_34
; %bb.35875:
	s_getpc_b64 s[14:15]
.Lpost_getpc21521:
	s_add_u32 s14, s14, (.LBB2_14372-.Lpost_getpc21521)&4294967295
	s_addc_u32 s15, s15, (.LBB2_14372-.Lpost_getpc21521)>>32
	s_setpc_b64 s[14:15]
.LBB2_34:
	s_or_b64 exec, exec, s[6:7]
	s_and_saveexec_b64 s[6:7], s[4:5]
	s_cbranch_execz .LBB2_36
.LBB2_35:
	v_and_b32_e32 v2, 7, v7
	v_ffbh_u32_e32 v12, v2
	v_min_u32_e32 v12, 32, v12
	v_lshrrev_b16_e32 v6, 3, v7
	v_subrev_u32_e32 v13, 28, v12
	v_and_b32_e32 v6, 15, v6
	v_lshlrev_b32_e32 v13, v13, v7
	v_sub_u32_e32 v12, 29, v12
	v_and_b32_e32 v13, 7, v13
	v_cmp_eq_u16_e32 vcc, 0, v6
	v_cndmask_b32_e32 v2, v2, v13, vcc
	v_cndmask_b32_e32 v6, v6, v12, vcc
	v_lshlrev_b32_e32 v12, 24, v7
	v_mov_b32_e32 v13, 0x3b800000
	v_lshlrev_b32_e32 v2, 20, v2
	v_and_b32_e32 v12, 0x80000000, v12
	v_lshl_add_u32 v6, v6, 23, v13
	v_or3_b32 v2, v12, v6, v2
.LBB2_36:
	s_or_b64 exec, exec, s[6:7]
	s_movk_i32 s4, 0x7f
	v_cmp_gt_i16_sdwa s[6:7], v3, s4 src0_sel:BYTE_0 src1_sel:DWORD
	s_mov_b64 s[4:5], 0
                                        ; implicit-def: $sgpr10
	s_and_saveexec_b64 s[8:9], s[6:7]
	s_xor_b64 s[6:7], exec, s[8:9]
	s_cbranch_execz .LBB2_37
; %bb.35877:
	s_getpc_b64 s[14:15]
.Lpost_getpc21522:
	s_add_u32 s14, s14, (.LBB2_14373-.Lpost_getpc21522)&4294967295
	s_addc_u32 s15, s15, (.LBB2_14373-.Lpost_getpc21522)>>32
	s_setpc_b64 s[14:15]
.LBB2_37:
	s_or_saveexec_b64 s[6:7], s[6:7]
	v_mov_b32_e32 v6, s10
	s_xor_b64 exec, exec, s[6:7]
	s_cbranch_execz .LBB2_38
; %bb.35879:
	s_getpc_b64 s[14:15]
.Lpost_getpc21523:
	s_add_u32 s14, s14, (.LBB2_14376-.Lpost_getpc21523)&4294967295
	s_addc_u32 s15, s15, (.LBB2_14376-.Lpost_getpc21523)>>32
	s_setpc_b64 s[14:15]
.LBB2_38:
	s_or_b64 exec, exec, s[6:7]
	s_and_saveexec_b64 s[6:7], s[4:5]
	s_cbranch_execz .LBB2_40
.LBB2_39:
	v_and_b32_e32 v6, 7, v3
	v_ffbh_u32_e32 v13, v6
	v_min_u32_e32 v13, 32, v13
	v_lshrrev_b16_e32 v12, 3, v3
	v_subrev_u32_e32 v14, 28, v13
	v_and_b32_e32 v12, 15, v12
	v_lshlrev_b32_e32 v14, v14, v3
	v_sub_u32_e32 v13, 29, v13
	v_and_b32_e32 v14, 7, v14
	v_cmp_eq_u16_e32 vcc, 0, v12
	v_cndmask_b32_e32 v6, v6, v14, vcc
	v_cndmask_b32_e32 v12, v12, v13, vcc
	v_lshlrev_b32_e32 v13, 24, v3
	v_mov_b32_e32 v14, 0x3b800000
	v_lshlrev_b32_e32 v6, 20, v6
	v_and_b32_e32 v13, 0x80000000, v13
	v_lshl_add_u32 v12, v12, 23, v14
	v_or3_b32 v6, v13, v12, v6
.LBB2_40:
	s_or_b64 exec, exec, s[6:7]
	s_nop 0
	v_mfma_f32_16x16x4f32 a[0:3], v2, v6, a[0:3]
	v_lshrrev_b32_e32 v6, 8, v7
	s_movk_i32 s4, 0x7f
	v_cmp_gt_i16_sdwa s[6:7], v6, s4 src0_sel:BYTE_0 src1_sel:DWORD
	s_mov_b64 s[4:5], 0
                                        ; implicit-def: $sgpr10
	s_and_saveexec_b64 s[8:9], s[6:7]
	s_xor_b64 s[6:7], exec, s[8:9]
	s_cbranch_execz .LBB2_41
; %bb.35881:
	s_getpc_b64 s[14:15]
.Lpost_getpc21524:
	s_add_u32 s14, s14, (.LBB2_14377-.Lpost_getpc21524)&4294967295
	s_addc_u32 s15, s15, (.LBB2_14377-.Lpost_getpc21524)>>32
	s_setpc_b64 s[14:15]
.LBB2_41:
	s_or_saveexec_b64 s[6:7], s[6:7]
	v_mov_b32_e32 v2, s10
	s_xor_b64 exec, exec, s[6:7]
	s_cbranch_execz .LBB2_42
; %bb.35883:
	s_getpc_b64 s[14:15]
.Lpost_getpc21525:
	s_add_u32 s14, s14, (.LBB2_14380-.Lpost_getpc21525)&4294967295
	s_addc_u32 s15, s15, (.LBB2_14380-.Lpost_getpc21525)>>32
	s_setpc_b64 s[14:15]
.LBB2_42:
	s_or_b64 exec, exec, s[6:7]
	s_and_saveexec_b64 s[6:7], s[4:5]
	s_cbranch_execz .LBB2_44
.LBB2_43:
	v_bfe_u32 v2, v7, 8, 3
	v_ffbh_u32_e32 v13, v2
	v_min_u32_e32 v13, 32, v13
	v_lshrrev_b16_e32 v12, 3, v6
	v_subrev_u32_e32 v14, 28, v13
	v_and_b32_e32 v12, 15, v12
	v_lshlrev_b32_e32 v6, v14, v6
	v_sub_u32_e32 v13, 29, v13
	v_and_b32_e32 v6, 7, v6
	v_cmp_eq_u16_e32 vcc, 0, v12
	v_cndmask_b32_e32 v2, v2, v6, vcc
	v_cndmask_b32_e32 v6, v12, v13, vcc
	v_lshlrev_b32_e32 v12, 16, v7
	v_mov_b32_e32 v13, 0x3b800000
	v_lshlrev_b32_e32 v2, 20, v2
	v_and_b32_e32 v12, 0x80000000, v12
	v_lshl_add_u32 v6, v6, 23, v13
	v_or3_b32 v2, v12, v6, v2
.LBB2_44:
	s_or_b64 exec, exec, s[6:7]
	v_lshrrev_b32_e32 v6, 8, v3
	s_movk_i32 s4, 0x7f
	v_cmp_gt_i16_sdwa s[6:7], v6, s4 src0_sel:BYTE_0 src1_sel:DWORD
	s_mov_b64 s[4:5], 0
                                        ; implicit-def: $sgpr10
	s_and_saveexec_b64 s[8:9], s[6:7]
	s_xor_b64 s[6:7], exec, s[8:9]
	s_cbranch_execz .LBB2_45
; %bb.35885:
	s_getpc_b64 s[14:15]
.Lpost_getpc21526:
	s_add_u32 s14, s14, (.LBB2_14381-.Lpost_getpc21526)&4294967295
	s_addc_u32 s15, s15, (.LBB2_14381-.Lpost_getpc21526)>>32
	s_setpc_b64 s[14:15]
.LBB2_45:
	s_or_saveexec_b64 s[6:7], s[6:7]
	v_mov_b32_e32 v12, s10
	s_xor_b64 exec, exec, s[6:7]
	s_cbranch_execz .LBB2_46
; %bb.35887:
	s_getpc_b64 s[14:15]
.Lpost_getpc21527:
	s_add_u32 s14, s14, (.LBB2_14384-.Lpost_getpc21527)&4294967295
	s_addc_u32 s15, s15, (.LBB2_14384-.Lpost_getpc21527)>>32
	s_setpc_b64 s[14:15]
.LBB2_46:
	s_or_b64 exec, exec, s[6:7]
	s_and_saveexec_b64 s[6:7], s[4:5]
	s_cbranch_execz .LBB2_48
.LBB2_47:
	v_bfe_u32 v12, v3, 8, 3
	v_ffbh_u32_e32 v14, v12
	v_min_u32_e32 v14, 32, v14
	v_lshrrev_b16_e32 v13, 3, v6
	v_subrev_u32_e32 v15, 28, v14
	v_and_b32_e32 v13, 15, v13
	v_lshlrev_b32_e32 v6, v15, v6
	v_sub_u32_e32 v14, 29, v14
	v_and_b32_e32 v6, 7, v6
	v_cmp_eq_u16_e32 vcc, 0, v13
	v_cndmask_b32_e32 v6, v12, v6, vcc
	v_cndmask_b32_e32 v12, v13, v14, vcc
	v_lshlrev_b32_e32 v13, 16, v3
	v_mov_b32_e32 v14, 0x3b800000
	v_lshlrev_b32_e32 v6, 20, v6
	v_and_b32_e32 v13, 0x80000000, v13
	v_lshl_add_u32 v12, v12, 23, v14
	v_or3_b32 v12, v13, v12, v6
.LBB2_48:
	s_or_b64 exec, exec, s[6:7]
	s_nop 0
	v_mfma_f32_16x16x4f32 a[0:3], v2, v12, a[0:3]
	s_movk_i32 s4, 0xff
	v_and_b32_sdwa v6, v7, s4 dst_sel:DWORD dst_unused:UNUSED_PAD src0_sel:WORD_1 src1_sel:DWORD
	s_movk_i32 s4, 0x7f
	v_cmp_lt_i16_e32 vcc, s4, v6
	s_mov_b64 s[4:5], 0
                                        ; implicit-def: $sgpr10
	s_and_saveexec_b64 s[6:7], vcc
	s_xor_b64 s[6:7], exec, s[6:7]
	s_cbranch_execz .LBB2_49
; %bb.35889:
	s_getpc_b64 s[14:15]
.Lpost_getpc21528:
	s_add_u32 s14, s14, (.LBB2_14385-.Lpost_getpc21528)&4294967295
	s_addc_u32 s15, s15, (.LBB2_14385-.Lpost_getpc21528)>>32
	s_setpc_b64 s[14:15]
.LBB2_49:
	s_or_saveexec_b64 s[6:7], s[6:7]
	v_mov_b32_e32 v2, s10
	s_xor_b64 exec, exec, s[6:7]
	s_cbranch_execz .LBB2_50
; %bb.35891:
	s_getpc_b64 s[14:15]
.Lpost_getpc21529:
	s_add_u32 s14, s14, (.LBB2_14388-.Lpost_getpc21529)&4294967295
	s_addc_u32 s15, s15, (.LBB2_14388-.Lpost_getpc21529)>>32
	s_setpc_b64 s[14:15]
.LBB2_50:
	s_or_b64 exec, exec, s[6:7]
	s_and_saveexec_b64 s[6:7], s[4:5]
	s_cbranch_execz .LBB2_52
.LBB2_51:
	v_bfe_u32 v2, v7, 16, 3
	v_ffbh_u32_e32 v13, v2
	v_min_u32_e32 v13, 32, v13
	v_lshrrev_b32_e32 v6, 19, v7
	v_subrev_u32_e32 v14, 28, v13
	v_and_b32_e32 v6, 15, v6
	v_lshlrev_b32_sdwa v14, v14, v7 dst_sel:DWORD dst_unused:UNUSED_PAD src0_sel:DWORD src1_sel:WORD_1
	v_bfe_u32 v12, v7, 19, 4
	v_sub_u32_e32 v13, 29, v13
	v_and_b32_e32 v14, 7, v14
	v_cmp_eq_u16_e32 vcc, 0, v6
	v_cndmask_b32_e32 v2, v2, v14, vcc
	v_cndmask_b32_e32 v6, v12, v13, vcc
	v_lshlrev_b32_e32 v12, 8, v7
	v_mov_b32_e32 v13, 0x3b800000
	v_lshlrev_b32_e32 v2, 20, v2
	v_and_b32_e32 v12, 0x80000000, v12
	v_lshl_add_u32 v6, v6, 23, v13
	v_or3_b32 v2, v12, v6, v2
.LBB2_52:
	s_or_b64 exec, exec, s[6:7]
	s_movk_i32 s4, 0xff
	v_and_b32_sdwa v6, v3, s4 dst_sel:DWORD dst_unused:UNUSED_PAD src0_sel:WORD_1 src1_sel:DWORD
	s_movk_i32 s4, 0x7f
	v_cmp_lt_i16_e32 vcc, s4, v6
	s_mov_b64 s[4:5], 0
                                        ; implicit-def: $sgpr10
	s_and_saveexec_b64 s[6:7], vcc
	s_xor_b64 s[6:7], exec, s[6:7]
	s_cbranch_execz .LBB2_53
; %bb.35893:
	s_getpc_b64 s[14:15]
.Lpost_getpc21530:
	s_add_u32 s14, s14, (.LBB2_14389-.Lpost_getpc21530)&4294967295
	s_addc_u32 s15, s15, (.LBB2_14389-.Lpost_getpc21530)>>32
	s_setpc_b64 s[14:15]
.LBB2_53:
	s_or_saveexec_b64 s[6:7], s[6:7]
	v_mov_b32_e32 v12, s10
	s_xor_b64 exec, exec, s[6:7]
	s_cbranch_execz .LBB2_54
; %bb.35895:
	s_getpc_b64 s[14:15]
.Lpost_getpc21531:
	s_add_u32 s14, s14, (.LBB2_14392-.Lpost_getpc21531)&4294967295
	s_addc_u32 s15, s15, (.LBB2_14392-.Lpost_getpc21531)>>32
	s_setpc_b64 s[14:15]
.LBB2_54:
	s_or_b64 exec, exec, s[6:7]
	s_and_saveexec_b64 s[6:7], s[4:5]
	s_cbranch_execz .LBB2_56
.LBB2_55:
	v_bfe_u32 v6, v3, 16, 3
	v_ffbh_u32_e32 v14, v6
	v_min_u32_e32 v14, 32, v14
	v_lshrrev_b32_e32 v12, 19, v3
	v_subrev_u32_e32 v15, 28, v14
	v_and_b32_e32 v12, 15, v12
	v_lshlrev_b32_sdwa v15, v15, v3 dst_sel:DWORD dst_unused:UNUSED_PAD src0_sel:DWORD src1_sel:WORD_1
	v_bfe_u32 v13, v3, 19, 4
	v_sub_u32_e32 v14, 29, v14
	v_and_b32_e32 v15, 7, v15
	v_cmp_eq_u16_e32 vcc, 0, v12
	v_cndmask_b32_e32 v6, v6, v15, vcc
	v_cndmask_b32_e32 v12, v13, v14, vcc
	v_lshlrev_b32_e32 v13, 8, v3
	v_mov_b32_e32 v14, 0x3b800000
	v_lshlrev_b32_e32 v6, 20, v6
	v_and_b32_e32 v13, 0x80000000, v13
	v_lshl_add_u32 v12, v12, 23, v14
	v_or3_b32 v12, v13, v12, v6
.LBB2_56:
	s_or_b64 exec, exec, s[6:7]
	s_nop 0
	v_mfma_f32_16x16x4f32 a[0:3], v2, v12, a[0:3]
	s_movk_i32 s4, 0x7f
	v_cmp_gt_i16_sdwa s[6:7], v7, s4 src0_sel:BYTE_3 src1_sel:DWORD
	s_mov_b64 s[4:5], 0
                                        ; implicit-def: $sgpr10
	s_and_saveexec_b64 s[8:9], s[6:7]
	s_xor_b64 s[6:7], exec, s[8:9]
	s_cbranch_execz .LBB2_57
; %bb.35897:
	s_getpc_b64 s[14:15]
.Lpost_getpc21532:
	s_add_u32 s14, s14, (.LBB2_14393-.Lpost_getpc21532)&4294967295
	s_addc_u32 s15, s15, (.LBB2_14393-.Lpost_getpc21532)>>32
	s_setpc_b64 s[14:15]
.LBB2_57:
	s_or_saveexec_b64 s[6:7], s[6:7]
	v_mov_b32_e32 v2, s10
	s_xor_b64 exec, exec, s[6:7]
	s_cbranch_execz .LBB2_58
; %bb.35899:
	s_getpc_b64 s[14:15]
.Lpost_getpc21533:
	s_add_u32 s14, s14, (.LBB2_14396-.Lpost_getpc21533)&4294967295
	s_addc_u32 s15, s15, (.LBB2_14396-.Lpost_getpc21533)>>32
	s_setpc_b64 s[14:15]
.LBB2_58:
	s_or_b64 exec, exec, s[6:7]
	s_and_saveexec_b64 s[6:7], s[4:5]
	s_cbranch_execz .LBB2_60
.LBB2_59:
	v_bfe_u32 v2, v7, 24, 3
	v_ffbh_u32_e32 v14, v2
	v_min_u32_e32 v14, 32, v14
	v_lshrrev_b32_e32 v12, 27, v7
	v_subrev_u32_e32 v15, 28, v14
	v_and_b32_e32 v6, 0x80000000, v7
	v_and_b32_e32 v12, 15, v12
	v_bfe_u32 v13, v7, 27, 4
	v_lshlrev_b32_sdwa v7, v15, v7 dst_sel:DWORD dst_unused:UNUSED_PAD src0_sel:DWORD src1_sel:BYTE_3
	v_sub_u32_e32 v14, 29, v14
	v_and_b32_e32 v7, 7, v7
	v_cmp_eq_u16_e32 vcc, 0, v12
	v_cndmask_b32_e32 v2, v2, v7, vcc
	v_cndmask_b32_e32 v7, v13, v14, vcc
	v_mov_b32_e32 v12, 0x3b800000
	v_lshlrev_b32_e32 v2, 20, v2
	v_lshl_add_u32 v7, v7, 23, v12
	v_or3_b32 v2, v6, v7, v2
.LBB2_60:
	s_or_b64 exec, exec, s[6:7]
	s_movk_i32 s4, 0x7f
	v_cmp_gt_i16_sdwa s[6:7], v3, s4 src0_sel:BYTE_3 src1_sel:DWORD
	s_mov_b64 s[4:5], 0
                                        ; implicit-def: $sgpr10
	s_and_saveexec_b64 s[8:9], s[6:7]
	s_xor_b64 s[6:7], exec, s[8:9]
	s_cbranch_execz .LBB2_61
; %bb.35901:
	s_getpc_b64 s[14:15]
.Lpost_getpc21534:
	s_add_u32 s14, s14, (.LBB2_14397-.Lpost_getpc21534)&4294967295
	s_addc_u32 s15, s15, (.LBB2_14397-.Lpost_getpc21534)>>32
	s_setpc_b64 s[14:15]
.LBB2_61:
	s_or_saveexec_b64 s[6:7], s[6:7]
	v_mov_b32_e32 v6, s10
	s_xor_b64 exec, exec, s[6:7]
	s_cbranch_execz .LBB2_62
; %bb.35903:
	s_getpc_b64 s[14:15]
.Lpost_getpc21535:
	s_add_u32 s14, s14, (.LBB2_14400-.Lpost_getpc21535)&4294967295
	s_addc_u32 s15, s15, (.LBB2_14400-.Lpost_getpc21535)>>32
	s_setpc_b64 s[14:15]
.LBB2_62:
	s_or_b64 exec, exec, s[6:7]
	s_and_saveexec_b64 s[6:7], s[4:5]
	s_cbranch_execz .LBB2_64
.LBB2_63:
	v_bfe_u32 v6, v3, 24, 3
	v_ffbh_u32_e32 v14, v6
	v_min_u32_e32 v14, 32, v14
	v_lshrrev_b32_e32 v12, 27, v3
	v_subrev_u32_e32 v15, 28, v14
	v_and_b32_e32 v7, 0x80000000, v3
	v_and_b32_e32 v12, 15, v12
	v_bfe_u32 v13, v3, 27, 4
	v_lshlrev_b32_sdwa v3, v15, v3 dst_sel:DWORD dst_unused:UNUSED_PAD src0_sel:DWORD src1_sel:BYTE_3
	v_sub_u32_e32 v14, 29, v14
	v_and_b32_e32 v3, 7, v3
	v_cmp_eq_u16_e32 vcc, 0, v12
	v_cndmask_b32_e32 v3, v6, v3, vcc
	v_cndmask_b32_e32 v6, v13, v14, vcc
	v_mov_b32_e32 v12, 0x3b800000
	v_lshlrev_b32_e32 v3, 20, v3
	v_lshl_add_u32 v6, v6, 23, v12
	v_or3_b32 v6, v7, v6, v3
.LBB2_64:
	s_or_b64 exec, exec, s[6:7]
	s_nop 0
	v_mfma_f32_16x16x4f32 a[0:3], v2, v6, a[0:3]
	s_movk_i32 s4, 0x7f
	v_cmp_gt_i16_sdwa s[6:7], v8, s4 src0_sel:BYTE_0 src1_sel:DWORD
	s_mov_b64 s[4:5], 0
                                        ; implicit-def: $sgpr10
	s_and_saveexec_b64 s[8:9], s[6:7]
	s_xor_b64 s[6:7], exec, s[8:9]
	s_cbranch_execz .LBB2_65
; %bb.35905:
	s_getpc_b64 s[14:15]
.Lpost_getpc21536:
	s_add_u32 s14, s14, (.LBB2_14401-.Lpost_getpc21536)&4294967295
	s_addc_u32 s15, s15, (.LBB2_14401-.Lpost_getpc21536)>>32
	s_setpc_b64 s[14:15]
.LBB2_65:
	s_or_saveexec_b64 s[6:7], s[6:7]
	v_mov_b32_e32 v2, s10
	s_xor_b64 exec, exec, s[6:7]
	s_cbranch_execz .LBB2_66
; %bb.35907:
	s_getpc_b64 s[14:15]
.Lpost_getpc21537:
	s_add_u32 s14, s14, (.LBB2_14404-.Lpost_getpc21537)&4294967295
	s_addc_u32 s15, s15, (.LBB2_14404-.Lpost_getpc21537)>>32
	s_setpc_b64 s[14:15]
.LBB2_66:
	s_or_b64 exec, exec, s[6:7]
	s_and_saveexec_b64 s[6:7], s[4:5]
	s_cbranch_execz .LBB2_68
.LBB2_67:
	v_and_b32_e32 v2, 7, v8
	v_ffbh_u32_e32 v6, v2
	v_min_u32_e32 v6, 32, v6
	v_lshrrev_b16_e32 v3, 3, v8
	v_subrev_u32_e32 v7, 28, v6
	v_and_b32_e32 v3, 15, v3
	v_lshlrev_b32_e32 v7, v7, v8
	v_sub_u32_e32 v6, 29, v6
	v_and_b32_e32 v7, 7, v7
	v_cmp_eq_u16_e32 vcc, 0, v3
	v_cndmask_b32_e32 v2, v2, v7, vcc
	v_cndmask_b32_e32 v3, v3, v6, vcc
	v_lshlrev_b32_e32 v6, 24, v8
	v_mov_b32_e32 v7, 0x3b800000
	v_lshlrev_b32_e32 v2, 20, v2
	v_and_b32_e32 v6, 0x80000000, v6
	v_lshl_add_u32 v3, v3, 23, v7
	v_or3_b32 v2, v6, v3, v2
.LBB2_68:
	s_or_b64 exec, exec, s[6:7]
	s_movk_i32 s4, 0x7f
	v_cmp_gt_i16_sdwa s[6:7], v4, s4 src0_sel:BYTE_0 src1_sel:DWORD
	s_mov_b64 s[4:5], 0
                                        ; implicit-def: $sgpr10
	s_and_saveexec_b64 s[8:9], s[6:7]
	s_xor_b64 s[6:7], exec, s[8:9]
	s_cbranch_execz .LBB2_69
; %bb.35909:
	s_getpc_b64 s[14:15]
.Lpost_getpc21538:
	s_add_u32 s14, s14, (.LBB2_14405-.Lpost_getpc21538)&4294967295
	s_addc_u32 s15, s15, (.LBB2_14405-.Lpost_getpc21538)>>32
	s_setpc_b64 s[14:15]
.LBB2_69:
	s_or_saveexec_b64 s[6:7], s[6:7]
	v_mov_b32_e32 v3, s10
	s_xor_b64 exec, exec, s[6:7]
	s_cbranch_execz .LBB2_70
; %bb.35911:
	s_getpc_b64 s[14:15]
.Lpost_getpc21539:
	s_add_u32 s14, s14, (.LBB2_14408-.Lpost_getpc21539)&4294967295
	s_addc_u32 s15, s15, (.LBB2_14408-.Lpost_getpc21539)>>32
	s_setpc_b64 s[14:15]
.LBB2_70:
	s_or_b64 exec, exec, s[6:7]
	s_and_saveexec_b64 s[6:7], s[4:5]
	s_cbranch_execz .LBB2_72
.LBB2_71:
	v_and_b32_e32 v3, 7, v4
	v_ffbh_u32_e32 v7, v3
	v_min_u32_e32 v7, 32, v7
	v_lshrrev_b16_e32 v6, 3, v4
	v_subrev_u32_e32 v12, 28, v7
	v_and_b32_e32 v6, 15, v6
	v_lshlrev_b32_e32 v12, v12, v4
	v_sub_u32_e32 v7, 29, v7
	v_and_b32_e32 v12, 7, v12
	v_cmp_eq_u16_e32 vcc, 0, v6
	v_cndmask_b32_e32 v3, v3, v12, vcc
	v_cndmask_b32_e32 v6, v6, v7, vcc
	v_lshlrev_b32_e32 v7, 24, v4
	v_mov_b32_e32 v12, 0x3b800000
	v_lshlrev_b32_e32 v3, 20, v3
	v_and_b32_e32 v7, 0x80000000, v7
	v_lshl_add_u32 v6, v6, 23, v12
	v_or3_b32 v3, v7, v6, v3
.LBB2_72:
	s_or_b64 exec, exec, s[6:7]
	s_nop 0
	v_mfma_f32_16x16x4f32 a[0:3], v2, v3, a[0:3]
	v_lshrrev_b32_e32 v3, 8, v8
	s_movk_i32 s4, 0x7f
	v_cmp_gt_i16_sdwa s[6:7], v3, s4 src0_sel:BYTE_0 src1_sel:DWORD
	s_mov_b64 s[4:5], 0
                                        ; implicit-def: $sgpr10
	s_and_saveexec_b64 s[8:9], s[6:7]
	s_xor_b64 s[6:7], exec, s[8:9]
	s_cbranch_execz .LBB2_73
; %bb.35913:
	s_getpc_b64 s[14:15]
.Lpost_getpc21540:
	s_add_u32 s14, s14, (.LBB2_14409-.Lpost_getpc21540)&4294967295
	s_addc_u32 s15, s15, (.LBB2_14409-.Lpost_getpc21540)>>32
	s_setpc_b64 s[14:15]
.LBB2_73:
	s_or_saveexec_b64 s[6:7], s[6:7]
	v_mov_b32_e32 v2, s10
	s_xor_b64 exec, exec, s[6:7]
	s_cbranch_execz .LBB2_74
; %bb.35915:
	s_getpc_b64 s[14:15]
.Lpost_getpc21541:
	s_add_u32 s14, s14, (.LBB2_14412-.Lpost_getpc21541)&4294967295
	s_addc_u32 s15, s15, (.LBB2_14412-.Lpost_getpc21541)>>32
	s_setpc_b64 s[14:15]
.LBB2_74:
	s_or_b64 exec, exec, s[6:7]
	s_and_saveexec_b64 s[6:7], s[4:5]
	s_cbranch_execz .LBB2_76
.LBB2_75:
	v_bfe_u32 v2, v8, 8, 3
	v_ffbh_u32_e32 v7, v2
	v_min_u32_e32 v7, 32, v7
	v_lshrrev_b16_e32 v6, 3, v3
	v_subrev_u32_e32 v12, 28, v7
	v_and_b32_e32 v6, 15, v6
	v_lshlrev_b32_e32 v3, v12, v3
	v_sub_u32_e32 v7, 29, v7
	v_and_b32_e32 v3, 7, v3
	v_cmp_eq_u16_e32 vcc, 0, v6
	v_cndmask_b32_e32 v2, v2, v3, vcc
	v_cndmask_b32_e32 v3, v6, v7, vcc
	v_lshlrev_b32_e32 v6, 16, v8
	v_mov_b32_e32 v7, 0x3b800000
	v_lshlrev_b32_e32 v2, 20, v2
	v_and_b32_e32 v6, 0x80000000, v6
	v_lshl_add_u32 v3, v3, 23, v7
	v_or3_b32 v2, v6, v3, v2
.LBB2_76:
	s_or_b64 exec, exec, s[6:7]
	v_lshrrev_b32_e32 v3, 8, v4
	s_movk_i32 s4, 0x7f
	v_cmp_gt_i16_sdwa s[6:7], v3, s4 src0_sel:BYTE_0 src1_sel:DWORD
	s_mov_b64 s[4:5], 0
                                        ; implicit-def: $sgpr10
	s_and_saveexec_b64 s[8:9], s[6:7]
	s_xor_b64 s[6:7], exec, s[8:9]
	s_cbranch_execz .LBB2_77
; %bb.35917:
	s_getpc_b64 s[14:15]
.Lpost_getpc21542:
	s_add_u32 s14, s14, (.LBB2_14413-.Lpost_getpc21542)&4294967295
	s_addc_u32 s15, s15, (.LBB2_14413-.Lpost_getpc21542)>>32
	s_setpc_b64 s[14:15]
.LBB2_77:
	s_or_saveexec_b64 s[6:7], s[6:7]
	v_mov_b32_e32 v6, s10
	s_xor_b64 exec, exec, s[6:7]
	s_cbranch_execz .LBB2_78
; %bb.35919:
	s_getpc_b64 s[14:15]
.Lpost_getpc21543:
	s_add_u32 s14, s14, (.LBB2_14416-.Lpost_getpc21543)&4294967295
	s_addc_u32 s15, s15, (.LBB2_14416-.Lpost_getpc21543)>>32
	s_setpc_b64 s[14:15]
.LBB2_78:
	s_or_b64 exec, exec, s[6:7]
	s_and_saveexec_b64 s[6:7], s[4:5]
	s_cbranch_execz .LBB2_80
.LBB2_79:
	v_bfe_u32 v6, v4, 8, 3
	v_ffbh_u32_e32 v12, v6
	v_min_u32_e32 v12, 32, v12
	v_lshrrev_b16_e32 v7, 3, v3
	v_subrev_u32_e32 v13, 28, v12
	v_and_b32_e32 v7, 15, v7
	v_lshlrev_b32_e32 v3, v13, v3
	v_sub_u32_e32 v12, 29, v12
	v_and_b32_e32 v3, 7, v3
	v_cmp_eq_u16_e32 vcc, 0, v7
	v_cndmask_b32_e32 v3, v6, v3, vcc
	v_cndmask_b32_e32 v6, v7, v12, vcc
	v_lshlrev_b32_e32 v7, 16, v4
	v_mov_b32_e32 v12, 0x3b800000
	v_lshlrev_b32_e32 v3, 20, v3
	v_and_b32_e32 v7, 0x80000000, v7
	v_lshl_add_u32 v6, v6, 23, v12
	v_or3_b32 v6, v7, v6, v3
.LBB2_80:
	s_or_b64 exec, exec, s[6:7]
	s_nop 0
	v_mfma_f32_16x16x4f32 a[0:3], v2, v6, a[0:3]
	s_movk_i32 s4, 0xff
	v_and_b32_sdwa v3, v8, s4 dst_sel:DWORD dst_unused:UNUSED_PAD src0_sel:WORD_1 src1_sel:DWORD
	s_movk_i32 s4, 0x7f
	v_cmp_lt_i16_e32 vcc, s4, v3
	s_mov_b64 s[4:5], 0
                                        ; implicit-def: $sgpr10
	s_and_saveexec_b64 s[6:7], vcc
	s_xor_b64 s[6:7], exec, s[6:7]
	s_cbranch_execz .LBB2_81
; %bb.35921:
	s_getpc_b64 s[14:15]
.Lpost_getpc21544:
	s_add_u32 s14, s14, (.LBB2_14417-.Lpost_getpc21544)&4294967295
	s_addc_u32 s15, s15, (.LBB2_14417-.Lpost_getpc21544)>>32
	s_setpc_b64 s[14:15]
.LBB2_81:
	s_or_saveexec_b64 s[6:7], s[6:7]
	v_mov_b32_e32 v2, s10
	s_xor_b64 exec, exec, s[6:7]
	s_cbranch_execz .LBB2_82
; %bb.35923:
	s_getpc_b64 s[14:15]
.Lpost_getpc21545:
	s_add_u32 s14, s14, (.LBB2_14420-.Lpost_getpc21545)&4294967295
	s_addc_u32 s15, s15, (.LBB2_14420-.Lpost_getpc21545)>>32
	s_setpc_b64 s[14:15]
.LBB2_82:
	s_or_b64 exec, exec, s[6:7]
	s_and_saveexec_b64 s[6:7], s[4:5]
	s_cbranch_execz .LBB2_84
.LBB2_83:
	v_bfe_u32 v2, v8, 16, 3
	v_ffbh_u32_e32 v7, v2
	v_min_u32_e32 v7, 32, v7
	v_lshrrev_b32_e32 v3, 19, v8
	v_subrev_u32_e32 v12, 28, v7
	v_and_b32_e32 v3, 15, v3
	v_lshlrev_b32_sdwa v12, v12, v8 dst_sel:DWORD dst_unused:UNUSED_PAD src0_sel:DWORD src1_sel:WORD_1
	v_bfe_u32 v6, v8, 19, 4
	v_sub_u32_e32 v7, 29, v7
	v_and_b32_e32 v12, 7, v12
	v_cmp_eq_u16_e32 vcc, 0, v3
	v_cndmask_b32_e32 v2, v2, v12, vcc
	v_cndmask_b32_e32 v3, v6, v7, vcc
	v_lshlrev_b32_e32 v6, 8, v8
	v_mov_b32_e32 v7, 0x3b800000
	v_lshlrev_b32_e32 v2, 20, v2
	v_and_b32_e32 v6, 0x80000000, v6
	v_lshl_add_u32 v3, v3, 23, v7
	v_or3_b32 v2, v6, v3, v2
.LBB2_84:
	s_or_b64 exec, exec, s[6:7]
	s_movk_i32 s4, 0xff
	v_and_b32_sdwa v3, v4, s4 dst_sel:DWORD dst_unused:UNUSED_PAD src0_sel:WORD_1 src1_sel:DWORD
	s_movk_i32 s4, 0x7f
	v_cmp_lt_i16_e32 vcc, s4, v3
	s_mov_b64 s[4:5], 0
                                        ; implicit-def: $sgpr10
	s_and_saveexec_b64 s[6:7], vcc
	s_xor_b64 s[6:7], exec, s[6:7]
	s_cbranch_execz .LBB2_85
; %bb.35925:
	s_getpc_b64 s[14:15]
.Lpost_getpc21546:
	s_add_u32 s14, s14, (.LBB2_14421-.Lpost_getpc21546)&4294967295
	s_addc_u32 s15, s15, (.LBB2_14421-.Lpost_getpc21546)>>32
	s_setpc_b64 s[14:15]
.LBB2_85:
	s_or_saveexec_b64 s[6:7], s[6:7]
	v_mov_b32_e32 v6, s10
	s_xor_b64 exec, exec, s[6:7]
	s_cbranch_execz .LBB2_86
; %bb.35927:
	s_getpc_b64 s[14:15]
.Lpost_getpc21547:
	s_add_u32 s14, s14, (.LBB2_14424-.Lpost_getpc21547)&4294967295
	s_addc_u32 s15, s15, (.LBB2_14424-.Lpost_getpc21547)>>32
	s_setpc_b64 s[14:15]
.LBB2_86:
	s_or_b64 exec, exec, s[6:7]
	s_and_saveexec_b64 s[6:7], s[4:5]
	s_cbranch_execz .LBB2_88
.LBB2_87:
	v_bfe_u32 v3, v4, 16, 3
	v_ffbh_u32_e32 v12, v3
	v_min_u32_e32 v12, 32, v12
	v_lshrrev_b32_e32 v6, 19, v4
	v_subrev_u32_e32 v13, 28, v12
	v_and_b32_e32 v6, 15, v6
	v_lshlrev_b32_sdwa v13, v13, v4 dst_sel:DWORD dst_unused:UNUSED_PAD src0_sel:DWORD src1_sel:WORD_1
	v_bfe_u32 v7, v4, 19, 4
	v_sub_u32_e32 v12, 29, v12
	v_and_b32_e32 v13, 7, v13
	v_cmp_eq_u16_e32 vcc, 0, v6
	v_cndmask_b32_e32 v3, v3, v13, vcc
	v_cndmask_b32_e32 v6, v7, v12, vcc
	v_lshlrev_b32_e32 v7, 8, v4
	v_mov_b32_e32 v12, 0x3b800000
	v_lshlrev_b32_e32 v3, 20, v3
	v_and_b32_e32 v7, 0x80000000, v7
	v_lshl_add_u32 v6, v6, 23, v12
	v_or3_b32 v6, v7, v6, v3
.LBB2_88:
	s_or_b64 exec, exec, s[6:7]
	s_nop 0
	v_mfma_f32_16x16x4f32 a[0:3], v2, v6, a[0:3]
	s_movk_i32 s4, 0x7f
	v_cmp_gt_i16_sdwa s[6:7], v8, s4 src0_sel:BYTE_3 src1_sel:DWORD
	s_mov_b64 s[4:5], 0
                                        ; implicit-def: $sgpr10
	s_and_saveexec_b64 s[8:9], s[6:7]
	s_xor_b64 s[6:7], exec, s[8:9]
	s_cbranch_execz .LBB2_89
; %bb.35929:
	s_getpc_b64 s[14:15]
.Lpost_getpc21548:
	s_add_u32 s14, s14, (.LBB2_14425-.Lpost_getpc21548)&4294967295
	s_addc_u32 s15, s15, (.LBB2_14425-.Lpost_getpc21548)>>32
	s_setpc_b64 s[14:15]
.LBB2_89:
	s_or_saveexec_b64 s[6:7], s[6:7]
	v_mov_b32_e32 v2, s10
	s_xor_b64 exec, exec, s[6:7]
	s_cbranch_execz .LBB2_90
; %bb.35931:
	s_getpc_b64 s[14:15]
.Lpost_getpc21549:
	s_add_u32 s14, s14, (.LBB2_14428-.Lpost_getpc21549)&4294967295
	s_addc_u32 s15, s15, (.LBB2_14428-.Lpost_getpc21549)>>32
	s_setpc_b64 s[14:15]
.LBB2_90:
	s_or_b64 exec, exec, s[6:7]
	s_and_saveexec_b64 s[6:7], s[4:5]
	s_cbranch_execz .LBB2_92
.LBB2_91:
	v_bfe_u32 v2, v8, 24, 3
	v_ffbh_u32_e32 v12, v2
	v_min_u32_e32 v12, 32, v12
	v_lshrrev_b32_e32 v6, 27, v8
	v_subrev_u32_e32 v13, 28, v12
	v_and_b32_e32 v3, 0x80000000, v8
	v_and_b32_e32 v6, 15, v6
	v_bfe_u32 v7, v8, 27, 4
	v_lshlrev_b32_sdwa v8, v13, v8 dst_sel:DWORD dst_unused:UNUSED_PAD src0_sel:DWORD src1_sel:BYTE_3
	v_sub_u32_e32 v12, 29, v12
	v_and_b32_e32 v8, 7, v8
	v_cmp_eq_u16_e32 vcc, 0, v6
	v_cndmask_b32_e32 v2, v2, v8, vcc
	v_cndmask_b32_e32 v6, v7, v12, vcc
	v_mov_b32_e32 v7, 0x3b800000
	v_lshlrev_b32_e32 v2, 20, v2
	v_lshl_add_u32 v6, v6, 23, v7
	v_or3_b32 v2, v3, v6, v2
.LBB2_92:
	s_or_b64 exec, exec, s[6:7]
	s_movk_i32 s4, 0x7f
	v_cmp_gt_i16_sdwa s[6:7], v4, s4 src0_sel:BYTE_3 src1_sel:DWORD
	s_mov_b64 s[4:5], 0
                                        ; implicit-def: $sgpr10
	s_and_saveexec_b64 s[8:9], s[6:7]
	s_xor_b64 s[6:7], exec, s[8:9]
	s_cbranch_execz .LBB2_93
; %bb.35933:
	s_getpc_b64 s[14:15]
.Lpost_getpc21550:
	s_add_u32 s14, s14, (.LBB2_14429-.Lpost_getpc21550)&4294967295
	s_addc_u32 s15, s15, (.LBB2_14429-.Lpost_getpc21550)>>32
	s_setpc_b64 s[14:15]
.LBB2_93:
	s_or_saveexec_b64 s[6:7], s[6:7]
	v_mov_b32_e32 v3, s10
	s_xor_b64 exec, exec, s[6:7]
	s_cbranch_execz .LBB2_94
; %bb.35935:
	s_getpc_b64 s[14:15]
.Lpost_getpc21551:
	s_add_u32 s14, s14, (.LBB2_14432-.Lpost_getpc21551)&4294967295
	s_addc_u32 s15, s15, (.LBB2_14432-.Lpost_getpc21551)>>32
	s_setpc_b64 s[14:15]
.LBB2_94:
	s_or_b64 exec, exec, s[6:7]
	s_and_saveexec_b64 s[6:7], s[4:5]
	s_cbranch_execz .LBB2_96
.LBB2_95:
	v_bfe_u32 v3, v4, 24, 3
	v_ffbh_u32_e32 v12, v3
	v_min_u32_e32 v12, 32, v12
	v_lshrrev_b32_e32 v7, 27, v4
	v_subrev_u32_e32 v13, 28, v12
	v_and_b32_e32 v6, 0x80000000, v4
	v_and_b32_e32 v7, 15, v7
	v_bfe_u32 v8, v4, 27, 4
	v_lshlrev_b32_sdwa v4, v13, v4 dst_sel:DWORD dst_unused:UNUSED_PAD src0_sel:DWORD src1_sel:BYTE_3
	v_sub_u32_e32 v12, 29, v12
	v_and_b32_e32 v4, 7, v4
	v_cmp_eq_u16_e32 vcc, 0, v7
	v_cndmask_b32_e32 v3, v3, v4, vcc
	v_cndmask_b32_e32 v4, v8, v12, vcc
	v_mov_b32_e32 v7, 0x3b800000
	v_lshlrev_b32_e32 v3, 20, v3
	v_lshl_add_u32 v4, v4, 23, v7
	v_or3_b32 v3, v6, v4, v3
.LBB2_96:
	s_or_b64 exec, exec, s[6:7]
	s_nop 0
	v_mfma_f32_16x16x4f32 a[0:3], v2, v3, a[0:3]
	s_movk_i32 s4, 0x7f
	v_cmp_gt_i16_sdwa s[6:7], v9, s4 src0_sel:BYTE_0 src1_sel:DWORD
	s_mov_b64 s[4:5], 0
                                        ; implicit-def: $sgpr10
	s_and_saveexec_b64 s[8:9], s[6:7]
	s_xor_b64 s[6:7], exec, s[8:9]
	s_cbranch_execz .LBB2_97
; %bb.35937:
	s_getpc_b64 s[14:15]
.Lpost_getpc21552:
	s_add_u32 s14, s14, (.LBB2_14433-.Lpost_getpc21552)&4294967295
	s_addc_u32 s15, s15, (.LBB2_14433-.Lpost_getpc21552)>>32
	s_setpc_b64 s[14:15]
.LBB2_97:
	s_or_saveexec_b64 s[6:7], s[6:7]
	v_mov_b32_e32 v2, s10
	s_xor_b64 exec, exec, s[6:7]
	s_cbranch_execz .LBB2_98
; %bb.35939:
	s_getpc_b64 s[14:15]
.Lpost_getpc21553:
	s_add_u32 s14, s14, (.LBB2_14436-.Lpost_getpc21553)&4294967295
	s_addc_u32 s15, s15, (.LBB2_14436-.Lpost_getpc21553)>>32
	s_setpc_b64 s[14:15]
.LBB2_98:
	s_or_b64 exec, exec, s[6:7]
	s_and_saveexec_b64 s[6:7], s[4:5]
	s_cbranch_execz .LBB2_100
.LBB2_99:
	v_mov_b32_e32 v2, 8
	v_and_b32_e32 v3, 7, v9
	v_lshrrev_b32_sdwa v2, v2, v9 dst_sel:BYTE_1 dst_unused:UNUSED_PAD src0_sel:DWORD src1_sel:DWORD
	v_ffbh_u32_e32 v4, v3
	v_or_b32_sdwa v2, v9, v2 dst_sel:DWORD dst_unused:UNUSED_PAD src0_sel:BYTE_0 src1_sel:DWORD
	v_min_u32_e32 v4, 32, v4
	v_lshrrev_b16_e32 v2, 3, v2
	v_subrev_u32_e32 v6, 28, v4
	v_and_b32_e32 v2, 15, v2
	v_lshlrev_b32_e32 v6, v6, v9
	v_sub_u32_e32 v4, 29, v4
	v_and_b32_e32 v6, 7, v6
	v_cmp_eq_u16_e32 vcc, 0, v2
	v_cndmask_b32_e32 v3, v3, v6, vcc
	v_cndmask_b32_e32 v2, v2, v4, vcc
	v_lshlrev_b32_e32 v4, 24, v9
	v_mov_b32_e32 v6, 0x3b800000
	v_lshlrev_b32_e32 v3, 20, v3
	v_and_b32_e32 v4, 0x80000000, v4
	v_lshl_add_u32 v2, v2, 23, v6
	v_or3_b32 v2, v4, v2, v3
.LBB2_100:
	s_or_b64 exec, exec, s[6:7]
	s_movk_i32 s4, 0x7f
	v_cmp_gt_i16_sdwa s[6:7], v5, s4 src0_sel:BYTE_0 src1_sel:DWORD
	s_mov_b64 s[4:5], 0
                                        ; implicit-def: $sgpr10
	s_and_saveexec_b64 s[8:9], s[6:7]
	s_xor_b64 s[6:7], exec, s[8:9]
	s_cbranch_execz .LBB2_101
; %bb.35941:
	s_getpc_b64 s[14:15]
.Lpost_getpc21554:
	s_add_u32 s14, s14, (.LBB2_14437-.Lpost_getpc21554)&4294967295
	s_addc_u32 s15, s15, (.LBB2_14437-.Lpost_getpc21554)>>32
	s_setpc_b64 s[14:15]
.LBB2_101:
	s_or_saveexec_b64 s[6:7], s[6:7]
	v_mov_b32_e32 v3, s10
	s_xor_b64 exec, exec, s[6:7]
	s_cbranch_execz .LBB2_102
; %bb.35943:
	s_getpc_b64 s[14:15]
.Lpost_getpc21555:
	s_add_u32 s14, s14, (.LBB2_14440-.Lpost_getpc21555)&4294967295
	s_addc_u32 s15, s15, (.LBB2_14440-.Lpost_getpc21555)>>32
	s_setpc_b64 s[14:15]
.LBB2_102:
	s_or_b64 exec, exec, s[6:7]
	s_and_saveexec_b64 s[6:7], s[4:5]
	s_cbranch_execz .LBB2_104
.LBB2_103:
	v_mov_b32_e32 v3, 8
	v_and_b32_e32 v4, 7, v5
	v_lshrrev_b32_sdwa v3, v3, v5 dst_sel:BYTE_1 dst_unused:UNUSED_PAD src0_sel:DWORD src1_sel:DWORD
	v_ffbh_u32_e32 v6, v4
	v_or_b32_sdwa v3, v5, v3 dst_sel:DWORD dst_unused:UNUSED_PAD src0_sel:BYTE_0 src1_sel:DWORD
	v_min_u32_e32 v6, 32, v6
	v_lshrrev_b16_e32 v3, 3, v3
	v_subrev_u32_e32 v7, 28, v6
	v_and_b32_e32 v3, 15, v3
	v_lshlrev_b32_e32 v7, v7, v5
	v_sub_u32_e32 v6, 29, v6
	v_and_b32_e32 v7, 7, v7
	v_cmp_eq_u16_e32 vcc, 0, v3
	v_cndmask_b32_e32 v4, v4, v7, vcc
	v_cndmask_b32_e32 v3, v3, v6, vcc
	v_lshlrev_b32_e32 v6, 24, v5
	v_mov_b32_e32 v7, 0x3b800000
	v_lshlrev_b32_e32 v4, 20, v4
	v_and_b32_e32 v6, 0x80000000, v6
	v_lshl_add_u32 v3, v3, 23, v7
	v_or3_b32 v3, v6, v3, v4
.LBB2_104:
	s_or_b64 exec, exec, s[6:7]
	s_nop 0
	v_mfma_f32_16x16x4f32 a[0:3], v2, v3, a[0:3]
	v_lshrrev_b32_e32 v3, 8, v9
	s_movk_i32 s4, 0x7f
	v_cmp_gt_i16_sdwa s[6:7], v3, s4 src0_sel:BYTE_0 src1_sel:DWORD
	s_mov_b64 s[4:5], 0
                                        ; implicit-def: $sgpr10
	s_and_saveexec_b64 s[8:9], s[6:7]
	s_xor_b64 s[6:7], exec, s[8:9]
	s_cbranch_execz .LBB2_105
; %bb.35945:
	s_getpc_b64 s[14:15]
.Lpost_getpc21556:
	s_add_u32 s14, s14, (.LBB2_14441-.Lpost_getpc21556)&4294967295
	s_addc_u32 s15, s15, (.LBB2_14441-.Lpost_getpc21556)>>32
	s_setpc_b64 s[14:15]
.LBB2_105:
	s_or_saveexec_b64 s[6:7], s[6:7]
	v_mov_b32_e32 v2, s10
	s_xor_b64 exec, exec, s[6:7]
	s_cbranch_execz .LBB2_106
; %bb.35947:
	s_getpc_b64 s[14:15]
.Lpost_getpc21557:
	s_add_u32 s14, s14, (.LBB2_14444-.Lpost_getpc21557)&4294967295
	s_addc_u32 s15, s15, (.LBB2_14444-.Lpost_getpc21557)>>32
	s_setpc_b64 s[14:15]
.LBB2_106:
	s_or_b64 exec, exec, s[6:7]
	s_and_saveexec_b64 s[6:7], s[4:5]
	s_cbranch_execz .LBB2_108
.LBB2_107:
	v_bfe_u32 v2, v9, 8, 3
	v_ffbh_u32_e32 v6, v2
	v_min_u32_e32 v6, 32, v6
	v_lshrrev_b16_e32 v4, 3, v3
	v_subrev_u32_e32 v7, 28, v6
	v_and_b32_e32 v4, 15, v4
	v_lshlrev_b32_e32 v3, v7, v3
	v_sub_u32_e32 v6, 29, v6
	v_and_b32_e32 v3, 7, v3
	v_cmp_eq_u16_e32 vcc, 0, v4
	v_cndmask_b32_e32 v2, v2, v3, vcc
	v_cndmask_b32_e32 v3, v4, v6, vcc
	v_lshlrev_b32_e32 v4, 16, v9
	v_mov_b32_e32 v6, 0x3b800000
	v_lshlrev_b32_e32 v2, 20, v2
	v_and_b32_e32 v4, 0x80000000, v4
	v_lshl_add_u32 v3, v3, 23, v6
	v_or3_b32 v2, v4, v3, v2
.LBB2_108:
	s_or_b64 exec, exec, s[6:7]
	v_lshrrev_b32_e32 v3, 8, v5
	s_movk_i32 s4, 0x7f
	v_cmp_gt_i16_sdwa s[6:7], v3, s4 src0_sel:BYTE_0 src1_sel:DWORD
	s_mov_b64 s[4:5], 0
                                        ; implicit-def: $sgpr10
	s_and_saveexec_b64 s[8:9], s[6:7]
	s_xor_b64 s[6:7], exec, s[8:9]
	s_cbranch_execz .LBB2_109
; %bb.35949:
	s_getpc_b64 s[14:15]
.Lpost_getpc21558:
	s_add_u32 s14, s14, (.LBB2_14445-.Lpost_getpc21558)&4294967295
	s_addc_u32 s15, s15, (.LBB2_14445-.Lpost_getpc21558)>>32
	s_setpc_b64 s[14:15]
.LBB2_109:
	s_or_saveexec_b64 s[6:7], s[6:7]
	v_mov_b32_e32 v4, s10
	s_xor_b64 exec, exec, s[6:7]
	s_cbranch_execz .LBB2_110
; %bb.35951:
	s_getpc_b64 s[14:15]
.Lpost_getpc21559:
	s_add_u32 s14, s14, (.LBB2_14448-.Lpost_getpc21559)&4294967295
	s_addc_u32 s15, s15, (.LBB2_14448-.Lpost_getpc21559)>>32
	s_setpc_b64 s[14:15]
.LBB2_110:
	s_or_b64 exec, exec, s[6:7]
	s_and_saveexec_b64 s[6:7], s[4:5]
	s_cbranch_execz .LBB2_112
.LBB2_111:
	v_bfe_u32 v4, v5, 8, 3
	v_ffbh_u32_e32 v7, v4
	v_min_u32_e32 v7, 32, v7
	v_lshrrev_b16_e32 v6, 3, v3
	v_subrev_u32_e32 v8, 28, v7
	v_and_b32_e32 v6, 15, v6
	v_lshlrev_b32_e32 v3, v8, v3
	v_sub_u32_e32 v7, 29, v7
	v_and_b32_e32 v3, 7, v3
	v_cmp_eq_u16_e32 vcc, 0, v6
	v_cndmask_b32_e32 v3, v4, v3, vcc
	v_cndmask_b32_e32 v4, v6, v7, vcc
	v_lshlrev_b32_e32 v6, 16, v5
	v_mov_b32_e32 v7, 0x3b800000
	v_lshlrev_b32_e32 v3, 20, v3
	v_and_b32_e32 v6, 0x80000000, v6
	v_lshl_add_u32 v4, v4, 23, v7
	v_or3_b32 v4, v6, v4, v3
.LBB2_112:
	s_or_b64 exec, exec, s[6:7]
	s_nop 0
	v_mfma_f32_16x16x4f32 a[0:3], v2, v4, a[0:3]
	s_movk_i32 s4, 0xff
	v_and_b32_sdwa v3, v9, s4 dst_sel:DWORD dst_unused:UNUSED_PAD src0_sel:WORD_1 src1_sel:DWORD
	s_movk_i32 s4, 0x7f
	v_cmp_lt_i16_e32 vcc, s4, v3
	s_mov_b64 s[4:5], 0
                                        ; implicit-def: $sgpr10
	s_and_saveexec_b64 s[6:7], vcc
	s_xor_b64 s[6:7], exec, s[6:7]
	s_cbranch_execz .LBB2_113
; %bb.35953:
	s_getpc_b64 s[14:15]
.Lpost_getpc21560:
	s_add_u32 s14, s14, (.LBB2_14449-.Lpost_getpc21560)&4294967295
	s_addc_u32 s15, s15, (.LBB2_14449-.Lpost_getpc21560)>>32
	s_setpc_b64 s[14:15]
.LBB2_113:
	s_or_saveexec_b64 s[6:7], s[6:7]
	v_mov_b32_e32 v2, s10
	s_xor_b64 exec, exec, s[6:7]
	s_cbranch_execz .LBB2_114
; %bb.35955:
	s_getpc_b64 s[14:15]
.Lpost_getpc21561:
	s_add_u32 s14, s14, (.LBB2_14452-.Lpost_getpc21561)&4294967295
	s_addc_u32 s15, s15, (.LBB2_14452-.Lpost_getpc21561)>>32
	s_setpc_b64 s[14:15]
.LBB2_114:
	s_or_b64 exec, exec, s[6:7]
	s_and_saveexec_b64 s[6:7], s[4:5]
	s_cbranch_execz .LBB2_116
.LBB2_115:
	v_bfe_u32 v2, v9, 16, 3
	v_ffbh_u32_e32 v6, v2
	v_min_u32_e32 v6, 32, v6
	v_lshrrev_b32_e32 v3, 19, v9
	v_subrev_u32_e32 v7, 28, v6
	v_and_b32_e32 v3, 15, v3
	v_lshlrev_b32_sdwa v7, v7, v9 dst_sel:DWORD dst_unused:UNUSED_PAD src0_sel:DWORD src1_sel:WORD_1
	v_bfe_u32 v4, v9, 19, 4
	v_sub_u32_e32 v6, 29, v6
	v_and_b32_e32 v7, 7, v7
	v_cmp_eq_u16_e32 vcc, 0, v3
	v_cndmask_b32_e32 v2, v2, v7, vcc
	v_cndmask_b32_e32 v3, v4, v6, vcc
	v_lshlrev_b32_e32 v4, 8, v9
	v_mov_b32_e32 v6, 0x3b800000
	v_lshlrev_b32_e32 v2, 20, v2
	v_and_b32_e32 v4, 0x80000000, v4
	v_lshl_add_u32 v3, v3, 23, v6
	v_or3_b32 v2, v4, v3, v2
.LBB2_116:
	s_or_b64 exec, exec, s[6:7]
	s_movk_i32 s4, 0xff
	v_and_b32_sdwa v3, v5, s4 dst_sel:DWORD dst_unused:UNUSED_PAD src0_sel:WORD_1 src1_sel:DWORD
	s_movk_i32 s4, 0x7f
	v_cmp_lt_i16_e32 vcc, s4, v3
	s_mov_b64 s[4:5], 0
                                        ; implicit-def: $sgpr10
	s_and_saveexec_b64 s[6:7], vcc
	s_xor_b64 s[6:7], exec, s[6:7]
	s_cbranch_execz .LBB2_117
; %bb.35957:
	s_getpc_b64 s[14:15]
.Lpost_getpc21562:
	s_add_u32 s14, s14, (.LBB2_14453-.Lpost_getpc21562)&4294967295
	s_addc_u32 s15, s15, (.LBB2_14453-.Lpost_getpc21562)>>32
	s_setpc_b64 s[14:15]
.LBB2_117:
	s_or_saveexec_b64 s[6:7], s[6:7]
	v_mov_b32_e32 v4, s10
	s_xor_b64 exec, exec, s[6:7]
	s_cbranch_execz .LBB2_118
; %bb.35959:
	s_getpc_b64 s[14:15]
.Lpost_getpc21563:
	s_add_u32 s14, s14, (.LBB2_14456-.Lpost_getpc21563)&4294967295
	s_addc_u32 s15, s15, (.LBB2_14456-.Lpost_getpc21563)>>32
	s_setpc_b64 s[14:15]
.LBB2_118:
	s_or_b64 exec, exec, s[6:7]
	s_and_saveexec_b64 s[6:7], s[4:5]
	s_cbranch_execz .LBB2_120
.LBB2_119:
	v_bfe_u32 v3, v5, 16, 3
	v_ffbh_u32_e32 v7, v3
	v_min_u32_e32 v7, 32, v7
	v_lshrrev_b32_e32 v4, 19, v5
	v_subrev_u32_e32 v8, 28, v7
	v_and_b32_e32 v4, 15, v4
	v_lshlrev_b32_sdwa v8, v8, v5 dst_sel:DWORD dst_unused:UNUSED_PAD src0_sel:DWORD src1_sel:WORD_1
	v_bfe_u32 v6, v5, 19, 4
	v_sub_u32_e32 v7, 29, v7
	v_and_b32_e32 v8, 7, v8
	v_cmp_eq_u16_e32 vcc, 0, v4
	v_cndmask_b32_e32 v3, v3, v8, vcc
	v_cndmask_b32_e32 v4, v6, v7, vcc
	v_lshlrev_b32_e32 v6, 8, v5
	v_mov_b32_e32 v7, 0x3b800000
	v_lshlrev_b32_e32 v3, 20, v3
	v_and_b32_e32 v6, 0x80000000, v6
	v_lshl_add_u32 v4, v4, 23, v7
	v_or3_b32 v4, v6, v4, v3
.LBB2_120:
	s_or_b64 exec, exec, s[6:7]
	s_nop 0
	v_mfma_f32_16x16x4f32 a[0:3], v2, v4, a[0:3]
	s_movk_i32 s4, 0x7f
	v_cmp_gt_i16_sdwa s[6:7], v9, s4 src0_sel:BYTE_3 src1_sel:DWORD
	s_mov_b64 s[4:5], 0
                                        ; implicit-def: $sgpr10
	s_and_saveexec_b64 s[8:9], s[6:7]
	s_xor_b64 s[6:7], exec, s[8:9]
	s_cbranch_execz .LBB2_121
; %bb.35961:
	s_getpc_b64 s[14:15]
.Lpost_getpc21564:
	s_add_u32 s14, s14, (.LBB2_14457-.Lpost_getpc21564)&4294967295
	s_addc_u32 s15, s15, (.LBB2_14457-.Lpost_getpc21564)>>32
	s_setpc_b64 s[14:15]
.LBB2_121:
	s_or_saveexec_b64 s[6:7], s[6:7]
	v_mov_b32_e32 v2, s10
	s_xor_b64 exec, exec, s[6:7]
	s_cbranch_execz .LBB2_122
; %bb.35963:
	s_getpc_b64 s[14:15]
.Lpost_getpc21565:
	s_add_u32 s14, s14, (.LBB2_14460-.Lpost_getpc21565)&4294967295
	s_addc_u32 s15, s15, (.LBB2_14460-.Lpost_getpc21565)>>32
	s_setpc_b64 s[14:15]
.LBB2_122:
	s_or_b64 exec, exec, s[6:7]
	s_and_saveexec_b64 s[6:7], s[4:5]
	s_cbranch_execz .LBB2_124
.LBB2_123:
	v_bfe_u32 v2, v9, 24, 3
	v_ffbh_u32_e32 v7, v2
	v_min_u32_e32 v7, 32, v7
	v_lshrrev_b32_e32 v4, 27, v9
	v_subrev_u32_e32 v8, 28, v7
	v_and_b32_e32 v4, 15, v4
	v_lshlrev_b32_sdwa v8, v8, v9 dst_sel:DWORD dst_unused:UNUSED_PAD src0_sel:DWORD src1_sel:BYTE_3
	v_bfe_u32 v6, v9, 27, 4
	v_sub_u32_e32 v7, 29, v7
	v_and_b32_e32 v8, 7, v8
	v_cmp_eq_u16_e32 vcc, 0, v4
	v_cndmask_b32_e32 v2, v2, v8, vcc
	v_cndmask_b32_e32 v4, v6, v7, vcc
	v_mov_b32_e32 v6, 0x3b800000
	v_and_b32_e32 v3, 0x80000000, v9
	v_lshlrev_b32_e32 v2, 20, v2
	v_lshl_add_u32 v4, v4, 23, v6
	v_or3_b32 v2, v3, v4, v2
.LBB2_124:
	s_or_b64 exec, exec, s[6:7]
	s_movk_i32 s4, 0x7f
	v_cmp_gt_i16_sdwa s[6:7], v5, s4 src0_sel:BYTE_3 src1_sel:DWORD
	s_mov_b64 s[4:5], 0
                                        ; implicit-def: $sgpr10
	s_and_saveexec_b64 s[8:9], s[6:7]
	s_xor_b64 s[6:7], exec, s[8:9]
	s_cbranch_execz .LBB2_125
; %bb.35965:
	s_getpc_b64 s[14:15]
.Lpost_getpc21566:
	s_add_u32 s14, s14, (.LBB2_14461-.Lpost_getpc21566)&4294967295
	s_addc_u32 s15, s15, (.LBB2_14461-.Lpost_getpc21566)>>32
	s_setpc_b64 s[14:15]
.LBB2_125:
	s_or_saveexec_b64 s[6:7], s[6:7]
	v_mov_b32_e32 v3, s10
	s_xor_b64 exec, exec, s[6:7]
	s_cbranch_execz .LBB2_126
; %bb.35967:
	s_getpc_b64 s[14:15]
.Lpost_getpc21567:
	s_add_u32 s14, s14, (.LBB2_14464-.Lpost_getpc21567)&4294967295
	s_addc_u32 s15, s15, (.LBB2_14464-.Lpost_getpc21567)>>32
	s_setpc_b64 s[14:15]
.LBB2_126:
	s_or_b64 exec, exec, s[6:7]
	s_and_saveexec_b64 s[6:7], s[4:5]
	s_cbranch_execz .LBB2_128
.LBB2_127:
	v_bfe_u32 v3, v5, 24, 3
	v_ffbh_u32_e32 v8, v3
	v_min_u32_e32 v8, 32, v8
	v_lshrrev_b32_e32 v6, 27, v5
	v_subrev_u32_e32 v9, 28, v8
	v_and_b32_e32 v4, 0x80000000, v5
	v_and_b32_e32 v6, 15, v6
	v_bfe_u32 v7, v5, 27, 4
	v_lshlrev_b32_sdwa v5, v9, v5 dst_sel:DWORD dst_unused:UNUSED_PAD src0_sel:DWORD src1_sel:BYTE_3
	v_sub_u32_e32 v8, 29, v8
	v_and_b32_e32 v5, 7, v5
	v_cmp_eq_u16_e32 vcc, 0, v6
	v_cndmask_b32_e32 v3, v3, v5, vcc
	v_cndmask_b32_e32 v5, v7, v8, vcc
	v_mov_b32_e32 v6, 0x3b800000
	v_lshlrev_b32_e32 v3, 20, v3
	v_lshl_add_u32 v5, v5, 23, v6
	v_or3_b32 v3, v4, v5, v3
.LBB2_128:
	s_or_b64 exec, exec, s[6:7]
	s_nop 0
	v_mfma_f32_16x16x4f32 a[0:3], v2, v3, a[0:3]
	s_movk_i32 s4, 0x7f
                                        ; implicit-def: $sgpr10
	s_nop 7
	s_nop 1
	flat_store_dwordx4 v[10:11], a[0:3]
	flat_load_dwordx4 v[12:15], v[0:1]
	s_nop 0
	flat_load_dwordx2 v[10:11], v[0:1] offset:16
	s_waitcnt vmcnt(0) lgkmcnt(0)
	flat_load_dwordx4 v[6:9], v[12:13]
	flat_load_dwordx4 v[2:5], v[14:15] offset:16
	s_waitcnt vmcnt(0) lgkmcnt(0)
	v_cmp_gt_i16_sdwa s[6:7], v6, s4 src0_sel:BYTE_0 src1_sel:DWORD
	s_mov_b64 s[4:5], 0
	s_and_saveexec_b64 s[8:9], s[6:7]
	s_xor_b64 s[6:7], exec, s[8:9]
	s_cbranch_execz .LBB2_129
; %bb.35969:
	s_getpc_b64 s[14:15]
.Lpost_getpc21568:
	s_add_u32 s14, s14, (.LBB2_14465-.Lpost_getpc21568)&4294967295
	s_addc_u32 s15, s15, (.LBB2_14465-.Lpost_getpc21568)>>32
	s_setpc_b64 s[14:15]
.LBB2_129:
	s_or_saveexec_b64 s[6:7], s[6:7]
	v_mov_b32_e32 v12, s10
	s_xor_b64 exec, exec, s[6:7]
	s_cbranch_execz .LBB2_130
; %bb.35971:
	s_getpc_b64 s[14:15]
.Lpost_getpc21569:
	s_add_u32 s14, s14, (.LBB2_14468-.Lpost_getpc21569)&4294967295
	s_addc_u32 s15, s15, (.LBB2_14468-.Lpost_getpc21569)>>32
	s_setpc_b64 s[14:15]
.LBB2_130:
	s_or_b64 exec, exec, s[6:7]
	s_and_saveexec_b64 s[6:7], s[4:5]
	s_cbranch_execz .LBB2_132
.LBB2_131:
	v_and_b32_e32 v12, 7, v6
	v_ffbh_u32_e32 v14, v12
	v_min_u32_e32 v14, 32, v14
	v_lshrrev_b16_e32 v13, 3, v6
	v_subrev_u32_e32 v15, 28, v14
	v_and_b32_e32 v13, 15, v13
	v_lshlrev_b32_e32 v15, v15, v6
	v_sub_u32_e32 v14, 29, v14
	v_and_b32_e32 v15, 7, v15
	v_cmp_eq_u16_e32 vcc, 0, v13
	v_cndmask_b32_e32 v12, v12, v15, vcc
	v_cndmask_b32_e32 v13, v13, v14, vcc
	v_lshlrev_b32_e32 v14, 24, v6
	v_mov_b32_e32 v15, 0x3b800000
	v_lshlrev_b32_e32 v12, 20, v12
	v_and_b32_e32 v14, 0x80000000, v14
	v_lshl_add_u32 v13, v13, 23, v15
	v_or3_b32 v12, v14, v13, v12
.LBB2_132:
	s_or_b64 exec, exec, s[6:7]
	s_movk_i32 s4, 0x7f
	v_cmp_gt_i16_sdwa s[6:7], v2, s4 src0_sel:BYTE_0 src1_sel:DWORD
	s_mov_b64 s[4:5], 0
                                        ; implicit-def: $sgpr10
	s_and_saveexec_b64 s[8:9], s[6:7]
	s_xor_b64 s[6:7], exec, s[8:9]
	s_cbranch_execz .LBB2_133
; %bb.35973:
	s_getpc_b64 s[14:15]
.Lpost_getpc21570:
	s_add_u32 s14, s14, (.LBB2_14469-.Lpost_getpc21570)&4294967295
	s_addc_u32 s15, s15, (.LBB2_14469-.Lpost_getpc21570)>>32
	s_setpc_b64 s[14:15]
.LBB2_133:
	s_or_saveexec_b64 s[6:7], s[6:7]
	v_mov_b32_e32 v13, s10
	s_xor_b64 exec, exec, s[6:7]
	s_cbranch_execz .LBB2_134
; %bb.35975:
	s_getpc_b64 s[14:15]
.Lpost_getpc21571:
	s_add_u32 s14, s14, (.LBB2_14472-.Lpost_getpc21571)&4294967295
	s_addc_u32 s15, s15, (.LBB2_14472-.Lpost_getpc21571)>>32
	s_setpc_b64 s[14:15]
.LBB2_134:
	s_or_b64 exec, exec, s[6:7]
	s_and_saveexec_b64 s[6:7], s[4:5]
	s_cbranch_execz .LBB2_136
.LBB2_135:
	v_and_b32_e32 v13, 7, v2
	v_ffbh_u32_e32 v15, v13
	v_min_u32_e32 v15, 32, v15
	v_lshrrev_b16_e32 v14, 3, v2
	v_subrev_u32_e32 v16, 28, v15
	v_and_b32_e32 v14, 15, v14
	v_lshlrev_b32_e32 v16, v16, v2
	v_sub_u32_e32 v15, 29, v15
	v_and_b32_e32 v16, 7, v16
	v_cmp_eq_u16_e32 vcc, 0, v14
	v_cndmask_b32_e32 v13, v13, v16, vcc
	v_cndmask_b32_e32 v14, v14, v15, vcc
	v_lshlrev_b32_e32 v15, 24, v2
	v_mov_b32_e32 v16, 0x3b800000
	v_lshlrev_b32_e32 v13, 20, v13
	v_and_b32_e32 v15, 0x80000000, v15
	v_lshl_add_u32 v14, v14, 23, v16
	v_or3_b32 v13, v15, v14, v13
.LBB2_136:
	s_or_b64 exec, exec, s[6:7]
	flat_load_dwordx4 a[0:3], v[10:11] offset:16
	s_movk_i32 s4, 0x7f
                                        ; implicit-def: $sgpr10
	s_waitcnt vmcnt(0) lgkmcnt(0)
	v_mfma_f32_16x16x4f32 a[0:3], v12, v13, a[0:3]
	v_lshrrev_b32_e32 v13, 8, v6
	v_cmp_gt_i16_sdwa s[6:7], v13, s4 src0_sel:BYTE_0 src1_sel:DWORD
	s_mov_b64 s[4:5], 0
	s_and_saveexec_b64 s[8:9], s[6:7]
	s_xor_b64 s[6:7], exec, s[8:9]
	s_cbranch_execz .LBB2_137
; %bb.35977:
	s_getpc_b64 s[14:15]
.Lpost_getpc21572:
	s_add_u32 s14, s14, (.LBB2_14473-.Lpost_getpc21572)&4294967295
	s_addc_u32 s15, s15, (.LBB2_14473-.Lpost_getpc21572)>>32
	s_setpc_b64 s[14:15]
.LBB2_137:
	s_or_saveexec_b64 s[6:7], s[6:7]
	v_mov_b32_e32 v12, s10
	s_xor_b64 exec, exec, s[6:7]
	s_cbranch_execz .LBB2_138
; %bb.35979:
	s_getpc_b64 s[14:15]
.Lpost_getpc21573:
	s_add_u32 s14, s14, (.LBB2_14476-.Lpost_getpc21573)&4294967295
	s_addc_u32 s15, s15, (.LBB2_14476-.Lpost_getpc21573)>>32
	s_setpc_b64 s[14:15]
.LBB2_138:
	s_or_b64 exec, exec, s[6:7]
	s_and_saveexec_b64 s[6:7], s[4:5]
	s_cbranch_execz .LBB2_140
.LBB2_139:
	v_bfe_u32 v12, v6, 8, 3
	v_ffbh_u32_e32 v15, v12
	v_min_u32_e32 v15, 32, v15
	v_lshrrev_b16_e32 v14, 3, v13
	v_subrev_u32_e32 v16, 28, v15
	v_and_b32_e32 v14, 15, v14
	v_lshlrev_b32_e32 v13, v16, v13
	v_sub_u32_e32 v15, 29, v15
	v_and_b32_e32 v13, 7, v13
	v_cmp_eq_u16_e32 vcc, 0, v14
	v_cndmask_b32_e32 v12, v12, v13, vcc
	v_cndmask_b32_e32 v13, v14, v15, vcc
	v_lshlrev_b32_e32 v14, 16, v6
	v_mov_b32_e32 v15, 0x3b800000
	v_lshlrev_b32_e32 v12, 20, v12
	v_and_b32_e32 v14, 0x80000000, v14
	v_lshl_add_u32 v13, v13, 23, v15
	v_or3_b32 v12, v14, v13, v12
.LBB2_140:
	s_or_b64 exec, exec, s[6:7]
	v_lshrrev_b32_e32 v13, 8, v2
	s_movk_i32 s4, 0x7f
	v_cmp_gt_i16_sdwa s[6:7], v13, s4 src0_sel:BYTE_0 src1_sel:DWORD
	s_mov_b64 s[4:5], 0
                                        ; implicit-def: $sgpr10
	s_and_saveexec_b64 s[8:9], s[6:7]
	s_xor_b64 s[6:7], exec, s[8:9]
	s_cbranch_execz .LBB2_141
; %bb.35981:
	s_getpc_b64 s[14:15]
.Lpost_getpc21574:
	s_add_u32 s14, s14, (.LBB2_14477-.Lpost_getpc21574)&4294967295
	s_addc_u32 s15, s15, (.LBB2_14477-.Lpost_getpc21574)>>32
	s_setpc_b64 s[14:15]
.LBB2_141:
	s_or_saveexec_b64 s[6:7], s[6:7]
	v_mov_b32_e32 v14, s10
	s_xor_b64 exec, exec, s[6:7]
	s_cbranch_execz .LBB2_142
; %bb.35983:
	s_getpc_b64 s[14:15]
.Lpost_getpc21575:
	s_add_u32 s14, s14, (.LBB2_14480-.Lpost_getpc21575)&4294967295
	s_addc_u32 s15, s15, (.LBB2_14480-.Lpost_getpc21575)>>32
	s_setpc_b64 s[14:15]
.LBB2_142:
	s_or_b64 exec, exec, s[6:7]
	s_and_saveexec_b64 s[6:7], s[4:5]
	s_cbranch_execz .LBB2_144
.LBB2_143:
	v_bfe_u32 v14, v2, 8, 3
	v_ffbh_u32_e32 v16, v14
	v_min_u32_e32 v16, 32, v16
	v_lshrrev_b16_e32 v15, 3, v13
	v_subrev_u32_e32 v17, 28, v16
	v_and_b32_e32 v15, 15, v15
	v_lshlrev_b32_e32 v13, v17, v13
	v_sub_u32_e32 v16, 29, v16
	v_and_b32_e32 v13, 7, v13
	v_cmp_eq_u16_e32 vcc, 0, v15
	v_cndmask_b32_e32 v13, v14, v13, vcc
	v_cndmask_b32_e32 v14, v15, v16, vcc
	v_lshlrev_b32_e32 v15, 16, v2
	v_mov_b32_e32 v16, 0x3b800000
	v_lshlrev_b32_e32 v13, 20, v13
	v_and_b32_e32 v15, 0x80000000, v15
	v_lshl_add_u32 v14, v14, 23, v16
	v_or3_b32 v14, v15, v14, v13
.LBB2_144:
	s_or_b64 exec, exec, s[6:7]
	s_nop 0
	v_mfma_f32_16x16x4f32 a[0:3], v12, v14, a[0:3]
	s_movk_i32 s4, 0xff
	v_and_b32_sdwa v13, v6, s4 dst_sel:DWORD dst_unused:UNUSED_PAD src0_sel:WORD_1 src1_sel:DWORD
	s_movk_i32 s4, 0x7f
	v_cmp_lt_i16_e32 vcc, s4, v13
	s_mov_b64 s[4:5], 0
                                        ; implicit-def: $sgpr10
	s_and_saveexec_b64 s[6:7], vcc
	s_xor_b64 s[6:7], exec, s[6:7]
	s_cbranch_execz .LBB2_145
; %bb.35985:
	s_getpc_b64 s[14:15]
.Lpost_getpc21576:
	s_add_u32 s14, s14, (.LBB2_14481-.Lpost_getpc21576)&4294967295
	s_addc_u32 s15, s15, (.LBB2_14481-.Lpost_getpc21576)>>32
	s_setpc_b64 s[14:15]
.LBB2_145:
	s_or_saveexec_b64 s[6:7], s[6:7]
	v_mov_b32_e32 v12, s10
	s_xor_b64 exec, exec, s[6:7]
	s_cbranch_execz .LBB2_146
; %bb.35987:
	s_getpc_b64 s[14:15]
.Lpost_getpc21577:
	s_add_u32 s14, s14, (.LBB2_14484-.Lpost_getpc21577)&4294967295
	s_addc_u32 s15, s15, (.LBB2_14484-.Lpost_getpc21577)>>32
	s_setpc_b64 s[14:15]
.LBB2_146:
	s_or_b64 exec, exec, s[6:7]
	s_and_saveexec_b64 s[6:7], s[4:5]
	s_cbranch_execz .LBB2_148
.LBB2_147:
	v_bfe_u32 v12, v6, 16, 3
	v_ffbh_u32_e32 v15, v12
	v_min_u32_e32 v15, 32, v15
	v_lshrrev_b32_e32 v13, 19, v6
	v_subrev_u32_e32 v16, 28, v15
	v_and_b32_e32 v13, 15, v13
	v_lshlrev_b32_sdwa v16, v16, v6 dst_sel:DWORD dst_unused:UNUSED_PAD src0_sel:DWORD src1_sel:WORD_1
	v_bfe_u32 v14, v6, 19, 4
	v_sub_u32_e32 v15, 29, v15
	v_and_b32_e32 v16, 7, v16
	v_cmp_eq_u16_e32 vcc, 0, v13
	v_cndmask_b32_e32 v12, v12, v16, vcc
	v_cndmask_b32_e32 v13, v14, v15, vcc
	v_lshlrev_b32_e32 v14, 8, v6
	v_mov_b32_e32 v15, 0x3b800000
	v_lshlrev_b32_e32 v12, 20, v12
	v_and_b32_e32 v14, 0x80000000, v14
	v_lshl_add_u32 v13, v13, 23, v15
	v_or3_b32 v12, v14, v13, v12
.LBB2_148:
	s_or_b64 exec, exec, s[6:7]
	s_movk_i32 s4, 0xff
	v_and_b32_sdwa v13, v2, s4 dst_sel:DWORD dst_unused:UNUSED_PAD src0_sel:WORD_1 src1_sel:DWORD
	s_movk_i32 s4, 0x7f
	v_cmp_lt_i16_e32 vcc, s4, v13
	s_mov_b64 s[4:5], 0
                                        ; implicit-def: $sgpr10
	s_and_saveexec_b64 s[6:7], vcc
	s_xor_b64 s[6:7], exec, s[6:7]
	s_cbranch_execz .LBB2_149
; %bb.35989:
	s_getpc_b64 s[14:15]
.Lpost_getpc21578:
	s_add_u32 s14, s14, (.LBB2_14485-.Lpost_getpc21578)&4294967295
	s_addc_u32 s15, s15, (.LBB2_14485-.Lpost_getpc21578)>>32
	s_setpc_b64 s[14:15]
.LBB2_149:
	s_or_saveexec_b64 s[6:7], s[6:7]
	v_mov_b32_e32 v14, s10
	s_xor_b64 exec, exec, s[6:7]
	s_cbranch_execz .LBB2_150
; %bb.35991:
	s_getpc_b64 s[14:15]
.Lpost_getpc21579:
	s_add_u32 s14, s14, (.LBB2_14488-.Lpost_getpc21579)&4294967295
	s_addc_u32 s15, s15, (.LBB2_14488-.Lpost_getpc21579)>>32
	s_setpc_b64 s[14:15]
.LBB2_150:
	s_or_b64 exec, exec, s[6:7]
	s_and_saveexec_b64 s[6:7], s[4:5]
	s_cbranch_execz .LBB2_152
.LBB2_151:
	v_bfe_u32 v13, v2, 16, 3
	v_ffbh_u32_e32 v16, v13
	v_min_u32_e32 v16, 32, v16
	v_lshrrev_b32_e32 v14, 19, v2
	v_subrev_u32_e32 v17, 28, v16
	v_and_b32_e32 v14, 15, v14
	v_lshlrev_b32_sdwa v17, v17, v2 dst_sel:DWORD dst_unused:UNUSED_PAD src0_sel:DWORD src1_sel:WORD_1
	v_bfe_u32 v15, v2, 19, 4
	v_sub_u32_e32 v16, 29, v16
	v_and_b32_e32 v17, 7, v17
	v_cmp_eq_u16_e32 vcc, 0, v14
	v_cndmask_b32_e32 v13, v13, v17, vcc
	v_cndmask_b32_e32 v14, v15, v16, vcc
	v_lshlrev_b32_e32 v15, 8, v2
	v_mov_b32_e32 v16, 0x3b800000
	v_lshlrev_b32_e32 v13, 20, v13
	v_and_b32_e32 v15, 0x80000000, v15
	v_lshl_add_u32 v14, v14, 23, v16
	v_or3_b32 v14, v15, v14, v13
.LBB2_152:
	s_or_b64 exec, exec, s[6:7]
	s_nop 0
	v_mfma_f32_16x16x4f32 a[0:3], v12, v14, a[0:3]
	s_movk_i32 s4, 0x7f
	v_cmp_gt_i16_sdwa s[6:7], v6, s4 src0_sel:BYTE_3 src1_sel:DWORD
	s_mov_b64 s[4:5], 0
                                        ; implicit-def: $sgpr10
	s_and_saveexec_b64 s[8:9], s[6:7]
	s_xor_b64 s[6:7], exec, s[8:9]
	s_cbranch_execz .LBB2_153
; %bb.35993:
	s_getpc_b64 s[14:15]
.Lpost_getpc21580:
	s_add_u32 s14, s14, (.LBB2_14489-.Lpost_getpc21580)&4294967295
	s_addc_u32 s15, s15, (.LBB2_14489-.Lpost_getpc21580)>>32
	s_setpc_b64 s[14:15]
.LBB2_153:
	s_or_saveexec_b64 s[6:7], s[6:7]
	v_mov_b32_e32 v12, s10
	s_xor_b64 exec, exec, s[6:7]
	s_cbranch_execz .LBB2_154
; %bb.35995:
	s_getpc_b64 s[14:15]
.Lpost_getpc21581:
	s_add_u32 s14, s14, (.LBB2_14492-.Lpost_getpc21581)&4294967295
	s_addc_u32 s15, s15, (.LBB2_14492-.Lpost_getpc21581)>>32
	s_setpc_b64 s[14:15]
.LBB2_154:
	s_or_b64 exec, exec, s[6:7]
	s_and_saveexec_b64 s[6:7], s[4:5]
	s_cbranch_execz .LBB2_156
.LBB2_155:
	v_bfe_u32 v12, v6, 24, 3
	v_ffbh_u32_e32 v16, v12
	v_min_u32_e32 v16, 32, v16
	v_lshrrev_b32_e32 v14, 27, v6
	v_subrev_u32_e32 v17, 28, v16
	v_and_b32_e32 v13, 0x80000000, v6
	v_and_b32_e32 v14, 15, v14
	v_bfe_u32 v15, v6, 27, 4
	v_lshlrev_b32_sdwa v6, v17, v6 dst_sel:DWORD dst_unused:UNUSED_PAD src0_sel:DWORD src1_sel:BYTE_3
	v_sub_u32_e32 v16, 29, v16
	v_and_b32_e32 v6, 7, v6
	v_cmp_eq_u16_e32 vcc, 0, v14
	v_cndmask_b32_e32 v6, v12, v6, vcc
	v_cndmask_b32_e32 v12, v15, v16, vcc
	v_mov_b32_e32 v14, 0x3b800000
	v_lshlrev_b32_e32 v6, 20, v6
	v_lshl_add_u32 v12, v12, 23, v14
	v_or3_b32 v12, v13, v12, v6
.LBB2_156:
	s_or_b64 exec, exec, s[6:7]
	s_movk_i32 s4, 0x7f
	v_cmp_gt_i16_sdwa s[6:7], v2, s4 src0_sel:BYTE_3 src1_sel:DWORD
	s_mov_b64 s[4:5], 0
                                        ; implicit-def: $sgpr10
	s_and_saveexec_b64 s[8:9], s[6:7]
	s_xor_b64 s[6:7], exec, s[8:9]
	s_cbranch_execz .LBB2_157
; %bb.35997:
	s_getpc_b64 s[14:15]
.Lpost_getpc21582:
	s_add_u32 s14, s14, (.LBB2_14493-.Lpost_getpc21582)&4294967295
	s_addc_u32 s15, s15, (.LBB2_14493-.Lpost_getpc21582)>>32
	s_setpc_b64 s[14:15]
.LBB2_157:
	s_or_saveexec_b64 s[6:7], s[6:7]
	v_mov_b32_e32 v6, s10
	s_xor_b64 exec, exec, s[6:7]
	s_cbranch_execz .LBB2_158
; %bb.35999:
	s_getpc_b64 s[14:15]
.Lpost_getpc21583:
	s_add_u32 s14, s14, (.LBB2_14496-.Lpost_getpc21583)&4294967295
	s_addc_u32 s15, s15, (.LBB2_14496-.Lpost_getpc21583)>>32
	s_setpc_b64 s[14:15]
.LBB2_158:
	s_or_b64 exec, exec, s[6:7]
	s_and_saveexec_b64 s[6:7], s[4:5]
	s_cbranch_execz .LBB2_160
.LBB2_159:
	v_bfe_u32 v6, v2, 24, 3
	v_ffbh_u32_e32 v16, v6
	v_min_u32_e32 v16, 32, v16
	v_lshrrev_b32_e32 v14, 27, v2
	v_subrev_u32_e32 v17, 28, v16
	v_and_b32_e32 v13, 0x80000000, v2
	v_and_b32_e32 v14, 15, v14
	v_bfe_u32 v15, v2, 27, 4
	v_lshlrev_b32_sdwa v2, v17, v2 dst_sel:DWORD dst_unused:UNUSED_PAD src0_sel:DWORD src1_sel:BYTE_3
	v_sub_u32_e32 v16, 29, v16
	v_and_b32_e32 v2, 7, v2
	v_cmp_eq_u16_e32 vcc, 0, v14
	v_cndmask_b32_e32 v2, v6, v2, vcc
	v_cndmask_b32_e32 v6, v15, v16, vcc
	v_mov_b32_e32 v14, 0x3b800000
	v_lshlrev_b32_e32 v2, 20, v2
	v_lshl_add_u32 v6, v6, 23, v14
	v_or3_b32 v6, v13, v6, v2
.LBB2_160:
	s_or_b64 exec, exec, s[6:7]
	s_nop 0
	v_mfma_f32_16x16x4f32 a[0:3], v12, v6, a[0:3]
	s_movk_i32 s4, 0x7f
	v_cmp_gt_i16_sdwa s[6:7], v7, s4 src0_sel:BYTE_0 src1_sel:DWORD
	s_mov_b64 s[4:5], 0
                                        ; implicit-def: $sgpr10
	s_and_saveexec_b64 s[8:9], s[6:7]
	s_xor_b64 s[6:7], exec, s[8:9]
	s_cbranch_execz .LBB2_161
; %bb.36001:
	s_getpc_b64 s[14:15]
.Lpost_getpc21584:
	s_add_u32 s14, s14, (.LBB2_14497-.Lpost_getpc21584)&4294967295
	s_addc_u32 s15, s15, (.LBB2_14497-.Lpost_getpc21584)>>32
	s_setpc_b64 s[14:15]
.LBB2_161:
	s_or_saveexec_b64 s[6:7], s[6:7]
	v_mov_b32_e32 v2, s10
	s_xor_b64 exec, exec, s[6:7]
	s_cbranch_execz .LBB2_162
; %bb.36003:
	s_getpc_b64 s[14:15]
.Lpost_getpc21585:
	s_add_u32 s14, s14, (.LBB2_14500-.Lpost_getpc21585)&4294967295
	s_addc_u32 s15, s15, (.LBB2_14500-.Lpost_getpc21585)>>32
	s_setpc_b64 s[14:15]
.LBB2_162:
	s_or_b64 exec, exec, s[6:7]
	s_and_saveexec_b64 s[6:7], s[4:5]
	s_cbranch_execz .LBB2_164
.LBB2_163:
	v_and_b32_e32 v2, 7, v7
	v_ffbh_u32_e32 v12, v2
	v_min_u32_e32 v12, 32, v12
	v_lshrrev_b16_e32 v6, 3, v7
	v_subrev_u32_e32 v13, 28, v12
	v_and_b32_e32 v6, 15, v6
	v_lshlrev_b32_e32 v13, v13, v7
	v_sub_u32_e32 v12, 29, v12
	v_and_b32_e32 v13, 7, v13
	v_cmp_eq_u16_e32 vcc, 0, v6
	v_cndmask_b32_e32 v2, v2, v13, vcc
	v_cndmask_b32_e32 v6, v6, v12, vcc
	v_lshlrev_b32_e32 v12, 24, v7
	v_mov_b32_e32 v13, 0x3b800000
	v_lshlrev_b32_e32 v2, 20, v2
	v_and_b32_e32 v12, 0x80000000, v12
	v_lshl_add_u32 v6, v6, 23, v13
	v_or3_b32 v2, v12, v6, v2
.LBB2_164:
	s_or_b64 exec, exec, s[6:7]
	s_movk_i32 s4, 0x7f
	v_cmp_gt_i16_sdwa s[6:7], v3, s4 src0_sel:BYTE_0 src1_sel:DWORD
	s_mov_b64 s[4:5], 0
                                        ; implicit-def: $sgpr10
	s_and_saveexec_b64 s[8:9], s[6:7]
	s_xor_b64 s[6:7], exec, s[8:9]
	s_cbranch_execz .LBB2_165
; %bb.36005:
	s_getpc_b64 s[14:15]
.Lpost_getpc21586:
	s_add_u32 s14, s14, (.LBB2_14501-.Lpost_getpc21586)&4294967295
	s_addc_u32 s15, s15, (.LBB2_14501-.Lpost_getpc21586)>>32
	s_setpc_b64 s[14:15]
.LBB2_165:
	s_or_saveexec_b64 s[6:7], s[6:7]
	v_mov_b32_e32 v6, s10
	s_xor_b64 exec, exec, s[6:7]
	s_cbranch_execz .LBB2_166
; %bb.36007:
	s_getpc_b64 s[14:15]
.Lpost_getpc21587:
	s_add_u32 s14, s14, (.LBB2_14504-.Lpost_getpc21587)&4294967295
	s_addc_u32 s15, s15, (.LBB2_14504-.Lpost_getpc21587)>>32
	s_setpc_b64 s[14:15]
.LBB2_166:
	s_or_b64 exec, exec, s[6:7]
	s_and_saveexec_b64 s[6:7], s[4:5]
	s_cbranch_execz .LBB2_168
.LBB2_167:
	v_and_b32_e32 v6, 7, v3
	v_ffbh_u32_e32 v13, v6
	v_min_u32_e32 v13, 32, v13
	v_lshrrev_b16_e32 v12, 3, v3
	v_subrev_u32_e32 v14, 28, v13
	v_and_b32_e32 v12, 15, v12
	v_lshlrev_b32_e32 v14, v14, v3
	v_sub_u32_e32 v13, 29, v13
	v_and_b32_e32 v14, 7, v14
	v_cmp_eq_u16_e32 vcc, 0, v12
	v_cndmask_b32_e32 v6, v6, v14, vcc
	v_cndmask_b32_e32 v12, v12, v13, vcc
	v_lshlrev_b32_e32 v13, 24, v3
	v_mov_b32_e32 v14, 0x3b800000
	v_lshlrev_b32_e32 v6, 20, v6
	v_and_b32_e32 v13, 0x80000000, v13
	v_lshl_add_u32 v12, v12, 23, v14
	v_or3_b32 v6, v13, v12, v6
.LBB2_168:
	s_or_b64 exec, exec, s[6:7]
	s_nop 0
	v_mfma_f32_16x16x4f32 a[0:3], v2, v6, a[0:3]
	v_lshrrev_b32_e32 v6, 8, v7
	s_movk_i32 s4, 0x7f
	v_cmp_gt_i16_sdwa s[6:7], v6, s4 src0_sel:BYTE_0 src1_sel:DWORD
	s_mov_b64 s[4:5], 0
                                        ; implicit-def: $sgpr10
	s_and_saveexec_b64 s[8:9], s[6:7]
	s_xor_b64 s[6:7], exec, s[8:9]
	s_cbranch_execz .LBB2_169
; %bb.36009:
	s_getpc_b64 s[14:15]
.Lpost_getpc21588:
	s_add_u32 s14, s14, (.LBB2_14505-.Lpost_getpc21588)&4294967295
	s_addc_u32 s15, s15, (.LBB2_14505-.Lpost_getpc21588)>>32
	s_setpc_b64 s[14:15]
.LBB2_169:
	s_or_saveexec_b64 s[6:7], s[6:7]
	v_mov_b32_e32 v2, s10
	s_xor_b64 exec, exec, s[6:7]
	s_cbranch_execz .LBB2_170
; %bb.36011:
	s_getpc_b64 s[14:15]
.Lpost_getpc21589:
	s_add_u32 s14, s14, (.LBB2_14508-.Lpost_getpc21589)&4294967295
	s_addc_u32 s15, s15, (.LBB2_14508-.Lpost_getpc21589)>>32
	s_setpc_b64 s[14:15]
.LBB2_170:
	s_or_b64 exec, exec, s[6:7]
	s_and_saveexec_b64 s[6:7], s[4:5]
	s_cbranch_execz .LBB2_172
.LBB2_171:
	v_bfe_u32 v2, v7, 8, 3
	v_ffbh_u32_e32 v13, v2
	v_min_u32_e32 v13, 32, v13
	v_lshrrev_b16_e32 v12, 3, v6
	v_subrev_u32_e32 v14, 28, v13
	v_and_b32_e32 v12, 15, v12
	v_lshlrev_b32_e32 v6, v14, v6
	v_sub_u32_e32 v13, 29, v13
	v_and_b32_e32 v6, 7, v6
	v_cmp_eq_u16_e32 vcc, 0, v12
	v_cndmask_b32_e32 v2, v2, v6, vcc
	v_cndmask_b32_e32 v6, v12, v13, vcc
	v_lshlrev_b32_e32 v12, 16, v7
	v_mov_b32_e32 v13, 0x3b800000
	v_lshlrev_b32_e32 v2, 20, v2
	v_and_b32_e32 v12, 0x80000000, v12
	v_lshl_add_u32 v6, v6, 23, v13
	v_or3_b32 v2, v12, v6, v2
.LBB2_172:
	s_or_b64 exec, exec, s[6:7]
	v_lshrrev_b32_e32 v6, 8, v3
	s_movk_i32 s4, 0x7f
	v_cmp_gt_i16_sdwa s[6:7], v6, s4 src0_sel:BYTE_0 src1_sel:DWORD
	s_mov_b64 s[4:5], 0
                                        ; implicit-def: $sgpr10
	s_and_saveexec_b64 s[8:9], s[6:7]
	s_xor_b64 s[6:7], exec, s[8:9]
	s_cbranch_execz .LBB2_173
; %bb.36013:
	s_getpc_b64 s[14:15]
.Lpost_getpc21590:
	s_add_u32 s14, s14, (.LBB2_14509-.Lpost_getpc21590)&4294967295
	s_addc_u32 s15, s15, (.LBB2_14509-.Lpost_getpc21590)>>32
	s_setpc_b64 s[14:15]
.LBB2_173:
	s_or_saveexec_b64 s[6:7], s[6:7]
	v_mov_b32_e32 v12, s10
	s_xor_b64 exec, exec, s[6:7]
	s_cbranch_execz .LBB2_174
; %bb.36015:
	s_getpc_b64 s[14:15]
.Lpost_getpc21591:
	s_add_u32 s14, s14, (.LBB2_14512-.Lpost_getpc21591)&4294967295
	s_addc_u32 s15, s15, (.LBB2_14512-.Lpost_getpc21591)>>32
	s_setpc_b64 s[14:15]
.LBB2_174:
	s_or_b64 exec, exec, s[6:7]
	s_and_saveexec_b64 s[6:7], s[4:5]
	s_cbranch_execz .LBB2_176
.LBB2_175:
	v_bfe_u32 v12, v3, 8, 3
	v_ffbh_u32_e32 v14, v12
	v_min_u32_e32 v14, 32, v14
	v_lshrrev_b16_e32 v13, 3, v6
	v_subrev_u32_e32 v15, 28, v14
	v_and_b32_e32 v13, 15, v13
	v_lshlrev_b32_e32 v6, v15, v6
	v_sub_u32_e32 v14, 29, v14
	v_and_b32_e32 v6, 7, v6
	v_cmp_eq_u16_e32 vcc, 0, v13
	v_cndmask_b32_e32 v6, v12, v6, vcc
	v_cndmask_b32_e32 v12, v13, v14, vcc
	v_lshlrev_b32_e32 v13, 16, v3
	v_mov_b32_e32 v14, 0x3b800000
	v_lshlrev_b32_e32 v6, 20, v6
	v_and_b32_e32 v13, 0x80000000, v13
	v_lshl_add_u32 v12, v12, 23, v14
	v_or3_b32 v12, v13, v12, v6
.LBB2_176:
	s_or_b64 exec, exec, s[6:7]
	s_nop 0
	v_mfma_f32_16x16x4f32 a[0:3], v2, v12, a[0:3]
	s_movk_i32 s4, 0xff
	v_and_b32_sdwa v6, v7, s4 dst_sel:DWORD dst_unused:UNUSED_PAD src0_sel:WORD_1 src1_sel:DWORD
	s_movk_i32 s4, 0x7f
	v_cmp_lt_i16_e32 vcc, s4, v6
	s_mov_b64 s[4:5], 0
                                        ; implicit-def: $sgpr10
	s_and_saveexec_b64 s[6:7], vcc
	s_xor_b64 s[6:7], exec, s[6:7]
	s_cbranch_execz .LBB2_177
; %bb.36017:
	s_getpc_b64 s[14:15]
.Lpost_getpc21592:
	s_add_u32 s14, s14, (.LBB2_14513-.Lpost_getpc21592)&4294967295
	s_addc_u32 s15, s15, (.LBB2_14513-.Lpost_getpc21592)>>32
	s_setpc_b64 s[14:15]
.LBB2_177:
	s_or_saveexec_b64 s[6:7], s[6:7]
	v_mov_b32_e32 v2, s10
	s_xor_b64 exec, exec, s[6:7]
	s_cbranch_execz .LBB2_178
; %bb.36019:
	s_getpc_b64 s[14:15]
.Lpost_getpc21593:
	s_add_u32 s14, s14, (.LBB2_14516-.Lpost_getpc21593)&4294967295
	s_addc_u32 s15, s15, (.LBB2_14516-.Lpost_getpc21593)>>32
	s_setpc_b64 s[14:15]
.LBB2_178:
	s_or_b64 exec, exec, s[6:7]
	s_and_saveexec_b64 s[6:7], s[4:5]
	s_cbranch_execz .LBB2_180
.LBB2_179:
	v_bfe_u32 v2, v7, 16, 3
	v_ffbh_u32_e32 v13, v2
	v_min_u32_e32 v13, 32, v13
	v_lshrrev_b32_e32 v6, 19, v7
	v_subrev_u32_e32 v14, 28, v13
	v_and_b32_e32 v6, 15, v6
	v_lshlrev_b32_sdwa v14, v14, v7 dst_sel:DWORD dst_unused:UNUSED_PAD src0_sel:DWORD src1_sel:WORD_1
	v_bfe_u32 v12, v7, 19, 4
	v_sub_u32_e32 v13, 29, v13
	v_and_b32_e32 v14, 7, v14
	v_cmp_eq_u16_e32 vcc, 0, v6
	v_cndmask_b32_e32 v2, v2, v14, vcc
	v_cndmask_b32_e32 v6, v12, v13, vcc
	v_lshlrev_b32_e32 v12, 8, v7
	v_mov_b32_e32 v13, 0x3b800000
	v_lshlrev_b32_e32 v2, 20, v2
	v_and_b32_e32 v12, 0x80000000, v12
	v_lshl_add_u32 v6, v6, 23, v13
	v_or3_b32 v2, v12, v6, v2
.LBB2_180:
	s_or_b64 exec, exec, s[6:7]
	s_movk_i32 s4, 0xff
	v_and_b32_sdwa v6, v3, s4 dst_sel:DWORD dst_unused:UNUSED_PAD src0_sel:WORD_1 src1_sel:DWORD
	s_movk_i32 s4, 0x7f
	v_cmp_lt_i16_e32 vcc, s4, v6
	s_mov_b64 s[4:5], 0
                                        ; implicit-def: $sgpr10
	s_and_saveexec_b64 s[6:7], vcc
	s_xor_b64 s[6:7], exec, s[6:7]
	s_cbranch_execz .LBB2_181
; %bb.36021:
	s_getpc_b64 s[14:15]
.Lpost_getpc21594:
	s_add_u32 s14, s14, (.LBB2_14517-.Lpost_getpc21594)&4294967295
	s_addc_u32 s15, s15, (.LBB2_14517-.Lpost_getpc21594)>>32
	s_setpc_b64 s[14:15]
.LBB2_181:
	s_or_saveexec_b64 s[6:7], s[6:7]
	v_mov_b32_e32 v12, s10
	s_xor_b64 exec, exec, s[6:7]
	s_cbranch_execz .LBB2_182
; %bb.36023:
	s_getpc_b64 s[14:15]
.Lpost_getpc21595:
	s_add_u32 s14, s14, (.LBB2_14520-.Lpost_getpc21595)&4294967295
	s_addc_u32 s15, s15, (.LBB2_14520-.Lpost_getpc21595)>>32
	s_setpc_b64 s[14:15]
.LBB2_182:
	s_or_b64 exec, exec, s[6:7]
	s_and_saveexec_b64 s[6:7], s[4:5]
	s_cbranch_execz .LBB2_184
.LBB2_183:
	v_bfe_u32 v6, v3, 16, 3
	v_ffbh_u32_e32 v14, v6
	v_min_u32_e32 v14, 32, v14
	v_lshrrev_b32_e32 v12, 19, v3
	v_subrev_u32_e32 v15, 28, v14
	v_and_b32_e32 v12, 15, v12
	v_lshlrev_b32_sdwa v15, v15, v3 dst_sel:DWORD dst_unused:UNUSED_PAD src0_sel:DWORD src1_sel:WORD_1
	v_bfe_u32 v13, v3, 19, 4
	v_sub_u32_e32 v14, 29, v14
	v_and_b32_e32 v15, 7, v15
	v_cmp_eq_u16_e32 vcc, 0, v12
	v_cndmask_b32_e32 v6, v6, v15, vcc
	v_cndmask_b32_e32 v12, v13, v14, vcc
	v_lshlrev_b32_e32 v13, 8, v3
	v_mov_b32_e32 v14, 0x3b800000
	v_lshlrev_b32_e32 v6, 20, v6
	v_and_b32_e32 v13, 0x80000000, v13
	v_lshl_add_u32 v12, v12, 23, v14
	v_or3_b32 v12, v13, v12, v6
.LBB2_184:
	s_or_b64 exec, exec, s[6:7]
	s_nop 0
	v_mfma_f32_16x16x4f32 a[0:3], v2, v12, a[0:3]
	s_movk_i32 s4, 0x7f
	v_cmp_gt_i16_sdwa s[6:7], v7, s4 src0_sel:BYTE_3 src1_sel:DWORD
	s_mov_b64 s[4:5], 0
                                        ; implicit-def: $sgpr10
	s_and_saveexec_b64 s[8:9], s[6:7]
	s_xor_b64 s[6:7], exec, s[8:9]
	s_cbranch_execz .LBB2_185
; %bb.36025:
	s_getpc_b64 s[14:15]
.Lpost_getpc21596:
	s_add_u32 s14, s14, (.LBB2_14521-.Lpost_getpc21596)&4294967295
	s_addc_u32 s15, s15, (.LBB2_14521-.Lpost_getpc21596)>>32
	s_setpc_b64 s[14:15]
.LBB2_185:
	s_or_saveexec_b64 s[6:7], s[6:7]
	v_mov_b32_e32 v2, s10
	s_xor_b64 exec, exec, s[6:7]
	s_cbranch_execz .LBB2_186
; %bb.36027:
	s_getpc_b64 s[14:15]
.Lpost_getpc21597:
	s_add_u32 s14, s14, (.LBB2_14524-.Lpost_getpc21597)&4294967295
	s_addc_u32 s15, s15, (.LBB2_14524-.Lpost_getpc21597)>>32
	s_setpc_b64 s[14:15]
.LBB2_186:
	s_or_b64 exec, exec, s[6:7]
	s_and_saveexec_b64 s[6:7], s[4:5]
	s_cbranch_execz .LBB2_188
.LBB2_187:
	v_bfe_u32 v2, v7, 24, 3
	v_ffbh_u32_e32 v14, v2
	v_min_u32_e32 v14, 32, v14
	v_lshrrev_b32_e32 v12, 27, v7
	v_subrev_u32_e32 v15, 28, v14
	v_and_b32_e32 v6, 0x80000000, v7
	v_and_b32_e32 v12, 15, v12
	v_bfe_u32 v13, v7, 27, 4
	v_lshlrev_b32_sdwa v7, v15, v7 dst_sel:DWORD dst_unused:UNUSED_PAD src0_sel:DWORD src1_sel:BYTE_3
	v_sub_u32_e32 v14, 29, v14
	v_and_b32_e32 v7, 7, v7
	v_cmp_eq_u16_e32 vcc, 0, v12
	v_cndmask_b32_e32 v2, v2, v7, vcc
	v_cndmask_b32_e32 v7, v13, v14, vcc
	v_mov_b32_e32 v12, 0x3b800000
	v_lshlrev_b32_e32 v2, 20, v2
	v_lshl_add_u32 v7, v7, 23, v12
	v_or3_b32 v2, v6, v7, v2
.LBB2_188:
	s_or_b64 exec, exec, s[6:7]
	s_movk_i32 s4, 0x7f
	v_cmp_gt_i16_sdwa s[6:7], v3, s4 src0_sel:BYTE_3 src1_sel:DWORD
	s_mov_b64 s[4:5], 0
                                        ; implicit-def: $sgpr10
	s_and_saveexec_b64 s[8:9], s[6:7]
	s_xor_b64 s[6:7], exec, s[8:9]
	s_cbranch_execz .LBB2_189
; %bb.36029:
	s_getpc_b64 s[14:15]
.Lpost_getpc21598:
	s_add_u32 s14, s14, (.LBB2_14525-.Lpost_getpc21598)&4294967295
	s_addc_u32 s15, s15, (.LBB2_14525-.Lpost_getpc21598)>>32
	s_setpc_b64 s[14:15]
.LBB2_189:
	s_or_saveexec_b64 s[6:7], s[6:7]
	v_mov_b32_e32 v6, s10
	s_xor_b64 exec, exec, s[6:7]
	s_cbranch_execz .LBB2_190
; %bb.36031:
	s_getpc_b64 s[14:15]
.Lpost_getpc21599:
	s_add_u32 s14, s14, (.LBB2_14528-.Lpost_getpc21599)&4294967295
	s_addc_u32 s15, s15, (.LBB2_14528-.Lpost_getpc21599)>>32
	s_setpc_b64 s[14:15]
.LBB2_190:
	s_or_b64 exec, exec, s[6:7]
	s_and_saveexec_b64 s[6:7], s[4:5]
	s_cbranch_execz .LBB2_192
.LBB2_191:
	v_bfe_u32 v6, v3, 24, 3
	v_ffbh_u32_e32 v14, v6
	v_min_u32_e32 v14, 32, v14
	v_lshrrev_b32_e32 v12, 27, v3
	v_subrev_u32_e32 v15, 28, v14
	v_and_b32_e32 v7, 0x80000000, v3
	v_and_b32_e32 v12, 15, v12
	v_bfe_u32 v13, v3, 27, 4
	v_lshlrev_b32_sdwa v3, v15, v3 dst_sel:DWORD dst_unused:UNUSED_PAD src0_sel:DWORD src1_sel:BYTE_3
	v_sub_u32_e32 v14, 29, v14
	v_and_b32_e32 v3, 7, v3
	v_cmp_eq_u16_e32 vcc, 0, v12
	v_cndmask_b32_e32 v3, v6, v3, vcc
	v_cndmask_b32_e32 v6, v13, v14, vcc
	v_mov_b32_e32 v12, 0x3b800000
	v_lshlrev_b32_e32 v3, 20, v3
	v_lshl_add_u32 v6, v6, 23, v12
	v_or3_b32 v6, v7, v6, v3
.LBB2_192:
	s_or_b64 exec, exec, s[6:7]
	s_nop 0
	v_mfma_f32_16x16x4f32 a[0:3], v2, v6, a[0:3]
	s_movk_i32 s4, 0x7f
	v_cmp_gt_i16_sdwa s[6:7], v8, s4 src0_sel:BYTE_0 src1_sel:DWORD
	s_mov_b64 s[4:5], 0
                                        ; implicit-def: $sgpr10
	s_and_saveexec_b64 s[8:9], s[6:7]
	s_xor_b64 s[6:7], exec, s[8:9]
	s_cbranch_execz .LBB2_193
; %bb.36033:
	s_getpc_b64 s[14:15]
.Lpost_getpc21600:
	s_add_u32 s14, s14, (.LBB2_14529-.Lpost_getpc21600)&4294967295
	s_addc_u32 s15, s15, (.LBB2_14529-.Lpost_getpc21600)>>32
	s_setpc_b64 s[14:15]
.LBB2_193:
	s_or_saveexec_b64 s[6:7], s[6:7]
	v_mov_b32_e32 v2, s10
	s_xor_b64 exec, exec, s[6:7]
	s_cbranch_execz .LBB2_194
; %bb.36035:
	s_getpc_b64 s[14:15]
.Lpost_getpc21601:
	s_add_u32 s14, s14, (.LBB2_14532-.Lpost_getpc21601)&4294967295
	s_addc_u32 s15, s15, (.LBB2_14532-.Lpost_getpc21601)>>32
	s_setpc_b64 s[14:15]
.LBB2_194:
	s_or_b64 exec, exec, s[6:7]
	s_and_saveexec_b64 s[6:7], s[4:5]
	s_cbranch_execz .LBB2_196
.LBB2_195:
	v_and_b32_e32 v2, 7, v8
	v_ffbh_u32_e32 v6, v2
	v_min_u32_e32 v6, 32, v6
	v_lshrrev_b16_e32 v3, 3, v8
	v_subrev_u32_e32 v7, 28, v6
	v_and_b32_e32 v3, 15, v3
	v_lshlrev_b32_e32 v7, v7, v8
	v_sub_u32_e32 v6, 29, v6
	v_and_b32_e32 v7, 7, v7
	v_cmp_eq_u16_e32 vcc, 0, v3
	v_cndmask_b32_e32 v2, v2, v7, vcc
	v_cndmask_b32_e32 v3, v3, v6, vcc
	v_lshlrev_b32_e32 v6, 24, v8
	v_mov_b32_e32 v7, 0x3b800000
	v_lshlrev_b32_e32 v2, 20, v2
	v_and_b32_e32 v6, 0x80000000, v6
	v_lshl_add_u32 v3, v3, 23, v7
	v_or3_b32 v2, v6, v3, v2
.LBB2_196:
	s_or_b64 exec, exec, s[6:7]
	s_movk_i32 s4, 0x7f
	v_cmp_gt_i16_sdwa s[6:7], v4, s4 src0_sel:BYTE_0 src1_sel:DWORD
	s_mov_b64 s[4:5], 0
                                        ; implicit-def: $sgpr10
	s_and_saveexec_b64 s[8:9], s[6:7]
	s_xor_b64 s[6:7], exec, s[8:9]
	s_cbranch_execz .LBB2_197
; %bb.36037:
	s_getpc_b64 s[14:15]
.Lpost_getpc21602:
	s_add_u32 s14, s14, (.LBB2_14533-.Lpost_getpc21602)&4294967295
	s_addc_u32 s15, s15, (.LBB2_14533-.Lpost_getpc21602)>>32
	s_setpc_b64 s[14:15]
.LBB2_197:
	s_or_saveexec_b64 s[6:7], s[6:7]
	v_mov_b32_e32 v3, s10
	s_xor_b64 exec, exec, s[6:7]
	s_cbranch_execz .LBB2_198
; %bb.36039:
	s_getpc_b64 s[14:15]
.Lpost_getpc21603:
	s_add_u32 s14, s14, (.LBB2_14536-.Lpost_getpc21603)&4294967295
	s_addc_u32 s15, s15, (.LBB2_14536-.Lpost_getpc21603)>>32
	s_setpc_b64 s[14:15]
.LBB2_198:
	s_or_b64 exec, exec, s[6:7]
	s_and_saveexec_b64 s[6:7], s[4:5]
	s_cbranch_execz .LBB2_200
.LBB2_199:
	v_and_b32_e32 v3, 7, v4
	v_ffbh_u32_e32 v7, v3
	v_min_u32_e32 v7, 32, v7
	v_lshrrev_b16_e32 v6, 3, v4
	v_subrev_u32_e32 v12, 28, v7
	v_and_b32_e32 v6, 15, v6
	v_lshlrev_b32_e32 v12, v12, v4
	v_sub_u32_e32 v7, 29, v7
	v_and_b32_e32 v12, 7, v12
	v_cmp_eq_u16_e32 vcc, 0, v6
	v_cndmask_b32_e32 v3, v3, v12, vcc
	v_cndmask_b32_e32 v6, v6, v7, vcc
	v_lshlrev_b32_e32 v7, 24, v4
	v_mov_b32_e32 v12, 0x3b800000
	v_lshlrev_b32_e32 v3, 20, v3
	v_and_b32_e32 v7, 0x80000000, v7
	v_lshl_add_u32 v6, v6, 23, v12
	v_or3_b32 v3, v7, v6, v3
.LBB2_200:
	s_or_b64 exec, exec, s[6:7]
	s_nop 0
	v_mfma_f32_16x16x4f32 a[0:3], v2, v3, a[0:3]
	v_lshrrev_b32_e32 v3, 8, v8
	s_movk_i32 s4, 0x7f
	v_cmp_gt_i16_sdwa s[6:7], v3, s4 src0_sel:BYTE_0 src1_sel:DWORD
	s_mov_b64 s[4:5], 0
                                        ; implicit-def: $sgpr10
	s_and_saveexec_b64 s[8:9], s[6:7]
	s_xor_b64 s[6:7], exec, s[8:9]
	s_cbranch_execz .LBB2_201
; %bb.36041:
	s_getpc_b64 s[14:15]
.Lpost_getpc21604:
	s_add_u32 s14, s14, (.LBB2_14537-.Lpost_getpc21604)&4294967295
	s_addc_u32 s15, s15, (.LBB2_14537-.Lpost_getpc21604)>>32
	s_setpc_b64 s[14:15]
.LBB2_201:
	s_or_saveexec_b64 s[6:7], s[6:7]
	v_mov_b32_e32 v2, s10
	s_xor_b64 exec, exec, s[6:7]
	s_cbranch_execz .LBB2_202
; %bb.36043:
	s_getpc_b64 s[14:15]
.Lpost_getpc21605:
	s_add_u32 s14, s14, (.LBB2_14540-.Lpost_getpc21605)&4294967295
	s_addc_u32 s15, s15, (.LBB2_14540-.Lpost_getpc21605)>>32
	s_setpc_b64 s[14:15]
.LBB2_202:
	s_or_b64 exec, exec, s[6:7]
	s_and_saveexec_b64 s[6:7], s[4:5]
	s_cbranch_execz .LBB2_204
.LBB2_203:
	v_bfe_u32 v2, v8, 8, 3
	v_ffbh_u32_e32 v7, v2
	v_min_u32_e32 v7, 32, v7
	v_lshrrev_b16_e32 v6, 3, v3
	v_subrev_u32_e32 v12, 28, v7
	v_and_b32_e32 v6, 15, v6
	v_lshlrev_b32_e32 v3, v12, v3
	v_sub_u32_e32 v7, 29, v7
	v_and_b32_e32 v3, 7, v3
	v_cmp_eq_u16_e32 vcc, 0, v6
	v_cndmask_b32_e32 v2, v2, v3, vcc
	v_cndmask_b32_e32 v3, v6, v7, vcc
	v_lshlrev_b32_e32 v6, 16, v8
	v_mov_b32_e32 v7, 0x3b800000
	v_lshlrev_b32_e32 v2, 20, v2
	v_and_b32_e32 v6, 0x80000000, v6
	v_lshl_add_u32 v3, v3, 23, v7
	v_or3_b32 v2, v6, v3, v2
.LBB2_204:
	s_or_b64 exec, exec, s[6:7]
	v_lshrrev_b32_e32 v3, 8, v4
	s_movk_i32 s4, 0x7f
	v_cmp_gt_i16_sdwa s[6:7], v3, s4 src0_sel:BYTE_0 src1_sel:DWORD
	s_mov_b64 s[4:5], 0
                                        ; implicit-def: $sgpr10
	s_and_saveexec_b64 s[8:9], s[6:7]
	s_xor_b64 s[6:7], exec, s[8:9]
	s_cbranch_execz .LBB2_205
; %bb.36045:
	s_getpc_b64 s[14:15]
.Lpost_getpc21606:
	s_add_u32 s14, s14, (.LBB2_14541-.Lpost_getpc21606)&4294967295
	s_addc_u32 s15, s15, (.LBB2_14541-.Lpost_getpc21606)>>32
	s_setpc_b64 s[14:15]
.LBB2_205:
	s_or_saveexec_b64 s[6:7], s[6:7]
	v_mov_b32_e32 v6, s10
	s_xor_b64 exec, exec, s[6:7]
	s_cbranch_execz .LBB2_206
; %bb.36047:
	s_getpc_b64 s[14:15]
.Lpost_getpc21607:
	s_add_u32 s14, s14, (.LBB2_14544-.Lpost_getpc21607)&4294967295
	s_addc_u32 s15, s15, (.LBB2_14544-.Lpost_getpc21607)>>32
	s_setpc_b64 s[14:15]
.LBB2_206:
	s_or_b64 exec, exec, s[6:7]
	s_and_saveexec_b64 s[6:7], s[4:5]
	s_cbranch_execz .LBB2_208
.LBB2_207:
	v_bfe_u32 v6, v4, 8, 3
	v_ffbh_u32_e32 v12, v6
	v_min_u32_e32 v12, 32, v12
	v_lshrrev_b16_e32 v7, 3, v3
	v_subrev_u32_e32 v13, 28, v12
	v_and_b32_e32 v7, 15, v7
	v_lshlrev_b32_e32 v3, v13, v3
	v_sub_u32_e32 v12, 29, v12
	v_and_b32_e32 v3, 7, v3
	v_cmp_eq_u16_e32 vcc, 0, v7
	v_cndmask_b32_e32 v3, v6, v3, vcc
	v_cndmask_b32_e32 v6, v7, v12, vcc
	v_lshlrev_b32_e32 v7, 16, v4
	v_mov_b32_e32 v12, 0x3b800000
	v_lshlrev_b32_e32 v3, 20, v3
	v_and_b32_e32 v7, 0x80000000, v7
	v_lshl_add_u32 v6, v6, 23, v12
	v_or3_b32 v6, v7, v6, v3
.LBB2_208:
	s_or_b64 exec, exec, s[6:7]
	s_nop 0
	v_mfma_f32_16x16x4f32 a[0:3], v2, v6, a[0:3]
	s_movk_i32 s4, 0xff
	v_and_b32_sdwa v3, v8, s4 dst_sel:DWORD dst_unused:UNUSED_PAD src0_sel:WORD_1 src1_sel:DWORD
	s_movk_i32 s4, 0x7f
	v_cmp_lt_i16_e32 vcc, s4, v3
	s_mov_b64 s[4:5], 0
                                        ; implicit-def: $sgpr10
	s_and_saveexec_b64 s[6:7], vcc
	s_xor_b64 s[6:7], exec, s[6:7]
	s_cbranch_execz .LBB2_209
; %bb.36049:
	s_getpc_b64 s[14:15]
.Lpost_getpc21608:
	s_add_u32 s14, s14, (.LBB2_14545-.Lpost_getpc21608)&4294967295
	s_addc_u32 s15, s15, (.LBB2_14545-.Lpost_getpc21608)>>32
	s_setpc_b64 s[14:15]
.LBB2_209:
	s_or_saveexec_b64 s[6:7], s[6:7]
	v_mov_b32_e32 v2, s10
	s_xor_b64 exec, exec, s[6:7]
	s_cbranch_execz .LBB2_210
; %bb.36051:
	s_getpc_b64 s[14:15]
.Lpost_getpc21609:
	s_add_u32 s14, s14, (.LBB2_14548-.Lpost_getpc21609)&4294967295
	s_addc_u32 s15, s15, (.LBB2_14548-.Lpost_getpc21609)>>32
	s_setpc_b64 s[14:15]
.LBB2_210:
	s_or_b64 exec, exec, s[6:7]
	s_and_saveexec_b64 s[6:7], s[4:5]
	s_cbranch_execz .LBB2_212
.LBB2_211:
	v_bfe_u32 v2, v8, 16, 3
	v_ffbh_u32_e32 v7, v2
	v_min_u32_e32 v7, 32, v7
	v_lshrrev_b32_e32 v3, 19, v8
	v_subrev_u32_e32 v12, 28, v7
	v_and_b32_e32 v3, 15, v3
	v_lshlrev_b32_sdwa v12, v12, v8 dst_sel:DWORD dst_unused:UNUSED_PAD src0_sel:DWORD src1_sel:WORD_1
	v_bfe_u32 v6, v8, 19, 4
	v_sub_u32_e32 v7, 29, v7
	v_and_b32_e32 v12, 7, v12
	v_cmp_eq_u16_e32 vcc, 0, v3
	v_cndmask_b32_e32 v2, v2, v12, vcc
	v_cndmask_b32_e32 v3, v6, v7, vcc
	v_lshlrev_b32_e32 v6, 8, v8
	v_mov_b32_e32 v7, 0x3b800000
	v_lshlrev_b32_e32 v2, 20, v2
	v_and_b32_e32 v6, 0x80000000, v6
	v_lshl_add_u32 v3, v3, 23, v7
	v_or3_b32 v2, v6, v3, v2
.LBB2_212:
	s_or_b64 exec, exec, s[6:7]
	s_movk_i32 s4, 0xff
	v_and_b32_sdwa v3, v4, s4 dst_sel:DWORD dst_unused:UNUSED_PAD src0_sel:WORD_1 src1_sel:DWORD
	s_movk_i32 s4, 0x7f
	v_cmp_lt_i16_e32 vcc, s4, v3
	s_mov_b64 s[4:5], 0
                                        ; implicit-def: $sgpr10
	s_and_saveexec_b64 s[6:7], vcc
	s_xor_b64 s[6:7], exec, s[6:7]
	s_cbranch_execz .LBB2_213
; %bb.36053:
	s_getpc_b64 s[14:15]
.Lpost_getpc21610:
	s_add_u32 s14, s14, (.LBB2_14549-.Lpost_getpc21610)&4294967295
	s_addc_u32 s15, s15, (.LBB2_14549-.Lpost_getpc21610)>>32
	s_setpc_b64 s[14:15]
.LBB2_213:
	s_or_saveexec_b64 s[6:7], s[6:7]
	v_mov_b32_e32 v6, s10
	s_xor_b64 exec, exec, s[6:7]
	s_cbranch_execz .LBB2_214
; %bb.36055:
	s_getpc_b64 s[14:15]
.Lpost_getpc21611:
	s_add_u32 s14, s14, (.LBB2_14552-.Lpost_getpc21611)&4294967295
	s_addc_u32 s15, s15, (.LBB2_14552-.Lpost_getpc21611)>>32
	s_setpc_b64 s[14:15]
.LBB2_214:
	s_or_b64 exec, exec, s[6:7]
	s_and_saveexec_b64 s[6:7], s[4:5]
	s_cbranch_execz .LBB2_216
.LBB2_215:
	v_bfe_u32 v3, v4, 16, 3
	v_ffbh_u32_e32 v12, v3
	v_min_u32_e32 v12, 32, v12
	v_lshrrev_b32_e32 v6, 19, v4
	v_subrev_u32_e32 v13, 28, v12
	v_and_b32_e32 v6, 15, v6
	v_lshlrev_b32_sdwa v13, v13, v4 dst_sel:DWORD dst_unused:UNUSED_PAD src0_sel:DWORD src1_sel:WORD_1
	v_bfe_u32 v7, v4, 19, 4
	v_sub_u32_e32 v12, 29, v12
	v_and_b32_e32 v13, 7, v13
	v_cmp_eq_u16_e32 vcc, 0, v6
	v_cndmask_b32_e32 v3, v3, v13, vcc
	v_cndmask_b32_e32 v6, v7, v12, vcc
	v_lshlrev_b32_e32 v7, 8, v4
	v_mov_b32_e32 v12, 0x3b800000
	v_lshlrev_b32_e32 v3, 20, v3
	v_and_b32_e32 v7, 0x80000000, v7
	v_lshl_add_u32 v6, v6, 23, v12
	v_or3_b32 v6, v7, v6, v3
.LBB2_216:
	s_or_b64 exec, exec, s[6:7]
	s_nop 0
	v_mfma_f32_16x16x4f32 a[0:3], v2, v6, a[0:3]
	s_movk_i32 s4, 0x7f
	v_cmp_gt_i16_sdwa s[6:7], v8, s4 src0_sel:BYTE_3 src1_sel:DWORD
	s_mov_b64 s[4:5], 0
                                        ; implicit-def: $sgpr10
	s_and_saveexec_b64 s[8:9], s[6:7]
	s_xor_b64 s[6:7], exec, s[8:9]
	s_cbranch_execz .LBB2_217
; %bb.36057:
	s_getpc_b64 s[14:15]
.Lpost_getpc21612:
	s_add_u32 s14, s14, (.LBB2_14553-.Lpost_getpc21612)&4294967295
	s_addc_u32 s15, s15, (.LBB2_14553-.Lpost_getpc21612)>>32
	s_setpc_b64 s[14:15]
.LBB2_217:
	s_or_saveexec_b64 s[6:7], s[6:7]
	v_mov_b32_e32 v2, s10
	s_xor_b64 exec, exec, s[6:7]
	s_cbranch_execz .LBB2_218
; %bb.36059:
	s_getpc_b64 s[14:15]
.Lpost_getpc21613:
	s_add_u32 s14, s14, (.LBB2_14556-.Lpost_getpc21613)&4294967295
	s_addc_u32 s15, s15, (.LBB2_14556-.Lpost_getpc21613)>>32
	s_setpc_b64 s[14:15]
.LBB2_218:
	s_or_b64 exec, exec, s[6:7]
	s_and_saveexec_b64 s[6:7], s[4:5]
	s_cbranch_execz .LBB2_220
.LBB2_219:
	v_bfe_u32 v2, v8, 24, 3
	v_ffbh_u32_e32 v12, v2
	v_min_u32_e32 v12, 32, v12
	v_lshrrev_b32_e32 v6, 27, v8
	v_subrev_u32_e32 v13, 28, v12
	v_and_b32_e32 v3, 0x80000000, v8
	v_and_b32_e32 v6, 15, v6
	v_bfe_u32 v7, v8, 27, 4
	v_lshlrev_b32_sdwa v8, v13, v8 dst_sel:DWORD dst_unused:UNUSED_PAD src0_sel:DWORD src1_sel:BYTE_3
	v_sub_u32_e32 v12, 29, v12
	v_and_b32_e32 v8, 7, v8
	v_cmp_eq_u16_e32 vcc, 0, v6
	v_cndmask_b32_e32 v2, v2, v8, vcc
	v_cndmask_b32_e32 v6, v7, v12, vcc
	v_mov_b32_e32 v7, 0x3b800000
	v_lshlrev_b32_e32 v2, 20, v2
	v_lshl_add_u32 v6, v6, 23, v7
	v_or3_b32 v2, v3, v6, v2
.LBB2_220:
	s_or_b64 exec, exec, s[6:7]
	s_movk_i32 s4, 0x7f
	v_cmp_gt_i16_sdwa s[6:7], v4, s4 src0_sel:BYTE_3 src1_sel:DWORD
	s_mov_b64 s[4:5], 0
                                        ; implicit-def: $sgpr10
	s_and_saveexec_b64 s[8:9], s[6:7]
	s_xor_b64 s[6:7], exec, s[8:9]
	s_cbranch_execz .LBB2_221
; %bb.36061:
	s_getpc_b64 s[14:15]
.Lpost_getpc21614:
	s_add_u32 s14, s14, (.LBB2_14557-.Lpost_getpc21614)&4294967295
	s_addc_u32 s15, s15, (.LBB2_14557-.Lpost_getpc21614)>>32
	s_setpc_b64 s[14:15]
.LBB2_221:
	s_or_saveexec_b64 s[6:7], s[6:7]
	v_mov_b32_e32 v3, s10
	s_xor_b64 exec, exec, s[6:7]
	s_cbranch_execz .LBB2_222
; %bb.36063:
	s_getpc_b64 s[14:15]
.Lpost_getpc21615:
	s_add_u32 s14, s14, (.LBB2_14560-.Lpost_getpc21615)&4294967295
	s_addc_u32 s15, s15, (.LBB2_14560-.Lpost_getpc21615)>>32
	s_setpc_b64 s[14:15]
.LBB2_222:
	s_or_b64 exec, exec, s[6:7]
	s_and_saveexec_b64 s[6:7], s[4:5]
	s_cbranch_execz .LBB2_224
.LBB2_223:
	v_bfe_u32 v3, v4, 24, 3
	v_ffbh_u32_e32 v12, v3
	v_min_u32_e32 v12, 32, v12
	v_lshrrev_b32_e32 v7, 27, v4
	v_subrev_u32_e32 v13, 28, v12
	v_and_b32_e32 v6, 0x80000000, v4
	v_and_b32_e32 v7, 15, v7
	v_bfe_u32 v8, v4, 27, 4
	v_lshlrev_b32_sdwa v4, v13, v4 dst_sel:DWORD dst_unused:UNUSED_PAD src0_sel:DWORD src1_sel:BYTE_3
	v_sub_u32_e32 v12, 29, v12
	v_and_b32_e32 v4, 7, v4
	v_cmp_eq_u16_e32 vcc, 0, v7
	v_cndmask_b32_e32 v3, v3, v4, vcc
	v_cndmask_b32_e32 v4, v8, v12, vcc
	v_mov_b32_e32 v7, 0x3b800000
	v_lshlrev_b32_e32 v3, 20, v3
	v_lshl_add_u32 v4, v4, 23, v7
	v_or3_b32 v3, v6, v4, v3
.LBB2_224:
	s_or_b64 exec, exec, s[6:7]
	s_nop 0
	v_mfma_f32_16x16x4f32 a[0:3], v2, v3, a[0:3]
	s_movk_i32 s4, 0x7f
	v_cmp_gt_i16_sdwa s[6:7], v9, s4 src0_sel:BYTE_0 src1_sel:DWORD
	s_mov_b64 s[4:5], 0
                                        ; implicit-def: $sgpr10
	s_and_saveexec_b64 s[8:9], s[6:7]
	s_xor_b64 s[6:7], exec, s[8:9]
	s_cbranch_execz .LBB2_225
; %bb.36065:
	s_getpc_b64 s[14:15]
.Lpost_getpc21616:
	s_add_u32 s14, s14, (.LBB2_14561-.Lpost_getpc21616)&4294967295
	s_addc_u32 s15, s15, (.LBB2_14561-.Lpost_getpc21616)>>32
	s_setpc_b64 s[14:15]
.LBB2_225:
	s_or_saveexec_b64 s[6:7], s[6:7]
	v_mov_b32_e32 v2, s10
	s_xor_b64 exec, exec, s[6:7]
	s_cbranch_execz .LBB2_226
; %bb.36067:
	s_getpc_b64 s[14:15]
.Lpost_getpc21617:
	s_add_u32 s14, s14, (.LBB2_14564-.Lpost_getpc21617)&4294967295
	s_addc_u32 s15, s15, (.LBB2_14564-.Lpost_getpc21617)>>32
	s_setpc_b64 s[14:15]
.LBB2_226:
	s_or_b64 exec, exec, s[6:7]
	s_and_saveexec_b64 s[6:7], s[4:5]
	s_cbranch_execz .LBB2_228
.LBB2_227:
	v_mov_b32_e32 v2, 8
	v_and_b32_e32 v3, 7, v9
	v_lshrrev_b32_sdwa v2, v2, v9 dst_sel:BYTE_1 dst_unused:UNUSED_PAD src0_sel:DWORD src1_sel:DWORD
	v_ffbh_u32_e32 v4, v3
	v_or_b32_sdwa v2, v9, v2 dst_sel:DWORD dst_unused:UNUSED_PAD src0_sel:BYTE_0 src1_sel:DWORD
	v_min_u32_e32 v4, 32, v4
	v_lshrrev_b16_e32 v2, 3, v2
	v_subrev_u32_e32 v6, 28, v4
	v_and_b32_e32 v2, 15, v2
	v_lshlrev_b32_e32 v6, v6, v9
	v_sub_u32_e32 v4, 29, v4
	v_and_b32_e32 v6, 7, v6
	v_cmp_eq_u16_e32 vcc, 0, v2
	v_cndmask_b32_e32 v3, v3, v6, vcc
	v_cndmask_b32_e32 v2, v2, v4, vcc
	v_lshlrev_b32_e32 v4, 24, v9
	v_mov_b32_e32 v6, 0x3b800000
	v_lshlrev_b32_e32 v3, 20, v3
	v_and_b32_e32 v4, 0x80000000, v4
	v_lshl_add_u32 v2, v2, 23, v6
	v_or3_b32 v2, v4, v2, v3
.LBB2_228:
	s_or_b64 exec, exec, s[6:7]
	s_movk_i32 s4, 0x7f
	v_cmp_gt_i16_sdwa s[6:7], v5, s4 src0_sel:BYTE_0 src1_sel:DWORD
	s_mov_b64 s[4:5], 0
                                        ; implicit-def: $sgpr10
	s_and_saveexec_b64 s[8:9], s[6:7]
	s_xor_b64 s[6:7], exec, s[8:9]
	s_cbranch_execz .LBB2_229
; %bb.36069:
	s_getpc_b64 s[14:15]
.Lpost_getpc21618:
	s_add_u32 s14, s14, (.LBB2_14565-.Lpost_getpc21618)&4294967295
	s_addc_u32 s15, s15, (.LBB2_14565-.Lpost_getpc21618)>>32
	s_setpc_b64 s[14:15]
.LBB2_229:
	s_or_saveexec_b64 s[6:7], s[6:7]
	v_mov_b32_e32 v3, s10
	s_xor_b64 exec, exec, s[6:7]
	s_cbranch_execz .LBB2_230
; %bb.36071:
	s_getpc_b64 s[14:15]
.Lpost_getpc21619:
	s_add_u32 s14, s14, (.LBB2_14568-.Lpost_getpc21619)&4294967295
	s_addc_u32 s15, s15, (.LBB2_14568-.Lpost_getpc21619)>>32
	s_setpc_b64 s[14:15]
.LBB2_230:
	s_or_b64 exec, exec, s[6:7]
	s_and_saveexec_b64 s[6:7], s[4:5]
	s_cbranch_execz .LBB2_232
.LBB2_231:
	v_mov_b32_e32 v3, 8
	v_and_b32_e32 v4, 7, v5
	v_lshrrev_b32_sdwa v3, v3, v5 dst_sel:BYTE_1 dst_unused:UNUSED_PAD src0_sel:DWORD src1_sel:DWORD
	v_ffbh_u32_e32 v6, v4
	v_or_b32_sdwa v3, v5, v3 dst_sel:DWORD dst_unused:UNUSED_PAD src0_sel:BYTE_0 src1_sel:DWORD
	v_min_u32_e32 v6, 32, v6
	v_lshrrev_b16_e32 v3, 3, v3
	v_subrev_u32_e32 v7, 28, v6
	v_and_b32_e32 v3, 15, v3
	v_lshlrev_b32_e32 v7, v7, v5
	v_sub_u32_e32 v6, 29, v6
	v_and_b32_e32 v7, 7, v7
	v_cmp_eq_u16_e32 vcc, 0, v3
	v_cndmask_b32_e32 v4, v4, v7, vcc
	v_cndmask_b32_e32 v3, v3, v6, vcc
	v_lshlrev_b32_e32 v6, 24, v5
	v_mov_b32_e32 v7, 0x3b800000
	v_lshlrev_b32_e32 v4, 20, v4
	v_and_b32_e32 v6, 0x80000000, v6
	v_lshl_add_u32 v3, v3, 23, v7
	v_or3_b32 v3, v6, v3, v4
.LBB2_232:
	s_or_b64 exec, exec, s[6:7]
	s_nop 0
	v_mfma_f32_16x16x4f32 a[0:3], v2, v3, a[0:3]
	v_lshrrev_b32_e32 v3, 8, v9
	s_movk_i32 s4, 0x7f
	v_cmp_gt_i16_sdwa s[6:7], v3, s4 src0_sel:BYTE_0 src1_sel:DWORD
	s_mov_b64 s[4:5], 0
                                        ; implicit-def: $sgpr10
	s_and_saveexec_b64 s[8:9], s[6:7]
	s_xor_b64 s[6:7], exec, s[8:9]
	s_cbranch_execz .LBB2_233
; %bb.36073:
	s_getpc_b64 s[14:15]
.Lpost_getpc21620:
	s_add_u32 s14, s14, (.LBB2_14569-.Lpost_getpc21620)&4294967295
	s_addc_u32 s15, s15, (.LBB2_14569-.Lpost_getpc21620)>>32
	s_setpc_b64 s[14:15]
.LBB2_233:
	s_or_saveexec_b64 s[6:7], s[6:7]
	v_mov_b32_e32 v2, s10
	s_xor_b64 exec, exec, s[6:7]
	s_cbranch_execz .LBB2_234
; %bb.36075:
	s_getpc_b64 s[14:15]
.Lpost_getpc21621:
	s_add_u32 s14, s14, (.LBB2_14572-.Lpost_getpc21621)&4294967295
	s_addc_u32 s15, s15, (.LBB2_14572-.Lpost_getpc21621)>>32
	s_setpc_b64 s[14:15]
.LBB2_234:
	s_or_b64 exec, exec, s[6:7]
	s_and_saveexec_b64 s[6:7], s[4:5]
	s_cbranch_execz .LBB2_236
.LBB2_235:
	v_bfe_u32 v2, v9, 8, 3
	v_ffbh_u32_e32 v6, v2
	v_min_u32_e32 v6, 32, v6
	v_lshrrev_b16_e32 v4, 3, v3
	v_subrev_u32_e32 v7, 28, v6
	v_and_b32_e32 v4, 15, v4
	v_lshlrev_b32_e32 v3, v7, v3
	v_sub_u32_e32 v6, 29, v6
	v_and_b32_e32 v3, 7, v3
	v_cmp_eq_u16_e32 vcc, 0, v4
	v_cndmask_b32_e32 v2, v2, v3, vcc
	v_cndmask_b32_e32 v3, v4, v6, vcc
	v_lshlrev_b32_e32 v4, 16, v9
	v_mov_b32_e32 v6, 0x3b800000
	v_lshlrev_b32_e32 v2, 20, v2
	v_and_b32_e32 v4, 0x80000000, v4
	v_lshl_add_u32 v3, v3, 23, v6
	v_or3_b32 v2, v4, v3, v2
.LBB2_236:
	s_or_b64 exec, exec, s[6:7]
	v_lshrrev_b32_e32 v3, 8, v5
	s_movk_i32 s4, 0x7f
	v_cmp_gt_i16_sdwa s[6:7], v3, s4 src0_sel:BYTE_0 src1_sel:DWORD
	s_mov_b64 s[4:5], 0
                                        ; implicit-def: $sgpr10
	s_and_saveexec_b64 s[8:9], s[6:7]
	s_xor_b64 s[6:7], exec, s[8:9]
	s_cbranch_execz .LBB2_237
; %bb.36077:
	s_getpc_b64 s[14:15]
.Lpost_getpc21622:
	s_add_u32 s14, s14, (.LBB2_14573-.Lpost_getpc21622)&4294967295
	s_addc_u32 s15, s15, (.LBB2_14573-.Lpost_getpc21622)>>32
	s_setpc_b64 s[14:15]
.LBB2_237:
	s_or_saveexec_b64 s[6:7], s[6:7]
	v_mov_b32_e32 v4, s10
	s_xor_b64 exec, exec, s[6:7]
	s_cbranch_execz .LBB2_238
; %bb.36079:
	s_getpc_b64 s[14:15]
.Lpost_getpc21623:
	s_add_u32 s14, s14, (.LBB2_14576-.Lpost_getpc21623)&4294967295
	s_addc_u32 s15, s15, (.LBB2_14576-.Lpost_getpc21623)>>32
	s_setpc_b64 s[14:15]
.LBB2_238:
	s_or_b64 exec, exec, s[6:7]
	s_and_saveexec_b64 s[6:7], s[4:5]
	s_cbranch_execz .LBB2_240
.LBB2_239:
	v_bfe_u32 v4, v5, 8, 3
	v_ffbh_u32_e32 v7, v4
	v_min_u32_e32 v7, 32, v7
	v_lshrrev_b16_e32 v6, 3, v3
	v_subrev_u32_e32 v8, 28, v7
	v_and_b32_e32 v6, 15, v6
	v_lshlrev_b32_e32 v3, v8, v3
	v_sub_u32_e32 v7, 29, v7
	v_and_b32_e32 v3, 7, v3
	v_cmp_eq_u16_e32 vcc, 0, v6
	v_cndmask_b32_e32 v3, v4, v3, vcc
	v_cndmask_b32_e32 v4, v6, v7, vcc
	v_lshlrev_b32_e32 v6, 16, v5
	v_mov_b32_e32 v7, 0x3b800000
	v_lshlrev_b32_e32 v3, 20, v3
	v_and_b32_e32 v6, 0x80000000, v6
	v_lshl_add_u32 v4, v4, 23, v7
	v_or3_b32 v4, v6, v4, v3
.LBB2_240:
	s_or_b64 exec, exec, s[6:7]
	s_nop 0
	v_mfma_f32_16x16x4f32 a[0:3], v2, v4, a[0:3]
	s_movk_i32 s4, 0xff
	v_and_b32_sdwa v3, v9, s4 dst_sel:DWORD dst_unused:UNUSED_PAD src0_sel:WORD_1 src1_sel:DWORD
	s_movk_i32 s4, 0x7f
	v_cmp_lt_i16_e32 vcc, s4, v3
	s_mov_b64 s[4:5], 0
                                        ; implicit-def: $sgpr10
	s_and_saveexec_b64 s[6:7], vcc
	s_xor_b64 s[6:7], exec, s[6:7]
	s_cbranch_execz .LBB2_241
; %bb.36081:
	s_getpc_b64 s[14:15]
.Lpost_getpc21624:
	s_add_u32 s14, s14, (.LBB2_14577-.Lpost_getpc21624)&4294967295
	s_addc_u32 s15, s15, (.LBB2_14577-.Lpost_getpc21624)>>32
	s_setpc_b64 s[14:15]
.LBB2_241:
	s_or_saveexec_b64 s[6:7], s[6:7]
	v_mov_b32_e32 v2, s10
	s_xor_b64 exec, exec, s[6:7]
	s_cbranch_execz .LBB2_242
; %bb.36083:
	s_getpc_b64 s[14:15]
.Lpost_getpc21625:
	s_add_u32 s14, s14, (.LBB2_14580-.Lpost_getpc21625)&4294967295
	s_addc_u32 s15, s15, (.LBB2_14580-.Lpost_getpc21625)>>32
	s_setpc_b64 s[14:15]
.LBB2_242:
	s_or_b64 exec, exec, s[6:7]
	s_and_saveexec_b64 s[6:7], s[4:5]
	s_cbranch_execz .LBB2_244
.LBB2_243:
	v_bfe_u32 v2, v9, 16, 3
	v_ffbh_u32_e32 v6, v2
	v_min_u32_e32 v6, 32, v6
	v_lshrrev_b32_e32 v3, 19, v9
	v_subrev_u32_e32 v7, 28, v6
	v_and_b32_e32 v3, 15, v3
	v_lshlrev_b32_sdwa v7, v7, v9 dst_sel:DWORD dst_unused:UNUSED_PAD src0_sel:DWORD src1_sel:WORD_1
	v_bfe_u32 v4, v9, 19, 4
	v_sub_u32_e32 v6, 29, v6
	v_and_b32_e32 v7, 7, v7
	v_cmp_eq_u16_e32 vcc, 0, v3
	v_cndmask_b32_e32 v2, v2, v7, vcc
	v_cndmask_b32_e32 v3, v4, v6, vcc
	v_lshlrev_b32_e32 v4, 8, v9
	v_mov_b32_e32 v6, 0x3b800000
	v_lshlrev_b32_e32 v2, 20, v2
	v_and_b32_e32 v4, 0x80000000, v4
	v_lshl_add_u32 v3, v3, 23, v6
	v_or3_b32 v2, v4, v3, v2
.LBB2_244:
	s_or_b64 exec, exec, s[6:7]
	s_movk_i32 s4, 0xff
	v_and_b32_sdwa v3, v5, s4 dst_sel:DWORD dst_unused:UNUSED_PAD src0_sel:WORD_1 src1_sel:DWORD
	s_movk_i32 s4, 0x7f
	v_cmp_lt_i16_e32 vcc, s4, v3
	s_mov_b64 s[4:5], 0
                                        ; implicit-def: $sgpr10
	s_and_saveexec_b64 s[6:7], vcc
	s_xor_b64 s[6:7], exec, s[6:7]
	s_cbranch_execz .LBB2_245
; %bb.36085:
	s_getpc_b64 s[14:15]
.Lpost_getpc21626:
	s_add_u32 s14, s14, (.LBB2_14581-.Lpost_getpc21626)&4294967295
	s_addc_u32 s15, s15, (.LBB2_14581-.Lpost_getpc21626)>>32
	s_setpc_b64 s[14:15]
.LBB2_245:
	s_or_saveexec_b64 s[6:7], s[6:7]
	v_mov_b32_e32 v4, s10
	s_xor_b64 exec, exec, s[6:7]
	s_cbranch_execz .LBB2_246
; %bb.36087:
	s_getpc_b64 s[14:15]
.Lpost_getpc21627:
	s_add_u32 s14, s14, (.LBB2_14584-.Lpost_getpc21627)&4294967295
	s_addc_u32 s15, s15, (.LBB2_14584-.Lpost_getpc21627)>>32
	s_setpc_b64 s[14:15]
.LBB2_246:
	s_or_b64 exec, exec, s[6:7]
	s_and_saveexec_b64 s[6:7], s[4:5]
	s_cbranch_execz .LBB2_248
.LBB2_247:
	v_bfe_u32 v3, v5, 16, 3
	v_ffbh_u32_e32 v7, v3
	v_min_u32_e32 v7, 32, v7
	v_lshrrev_b32_e32 v4, 19, v5
	v_subrev_u32_e32 v8, 28, v7
	v_and_b32_e32 v4, 15, v4
	v_lshlrev_b32_sdwa v8, v8, v5 dst_sel:DWORD dst_unused:UNUSED_PAD src0_sel:DWORD src1_sel:WORD_1
	v_bfe_u32 v6, v5, 19, 4
	v_sub_u32_e32 v7, 29, v7
	v_and_b32_e32 v8, 7, v8
	v_cmp_eq_u16_e32 vcc, 0, v4
	v_cndmask_b32_e32 v3, v3, v8, vcc
	v_cndmask_b32_e32 v4, v6, v7, vcc
	v_lshlrev_b32_e32 v6, 8, v5
	v_mov_b32_e32 v7, 0x3b800000
	v_lshlrev_b32_e32 v3, 20, v3
	v_and_b32_e32 v6, 0x80000000, v6
	v_lshl_add_u32 v4, v4, 23, v7
	v_or3_b32 v4, v6, v4, v3
.LBB2_248:
	s_or_b64 exec, exec, s[6:7]
	s_nop 0
	v_mfma_f32_16x16x4f32 a[0:3], v2, v4, a[0:3]
	s_movk_i32 s4, 0x7f
	v_cmp_gt_i16_sdwa s[6:7], v9, s4 src0_sel:BYTE_3 src1_sel:DWORD
	s_mov_b64 s[4:5], 0
                                        ; implicit-def: $sgpr10
	s_and_saveexec_b64 s[8:9], s[6:7]
	s_xor_b64 s[6:7], exec, s[8:9]
	s_cbranch_execz .LBB2_249
; %bb.36089:
	s_getpc_b64 s[14:15]
.Lpost_getpc21628:
	s_add_u32 s14, s14, (.LBB2_14585-.Lpost_getpc21628)&4294967295
	s_addc_u32 s15, s15, (.LBB2_14585-.Lpost_getpc21628)>>32
	s_setpc_b64 s[14:15]
.LBB2_249:
	s_or_saveexec_b64 s[6:7], s[6:7]
	v_mov_b32_e32 v2, s10
	s_xor_b64 exec, exec, s[6:7]
	s_cbranch_execz .LBB2_250
; %bb.36091:
	s_getpc_b64 s[14:15]
.Lpost_getpc21629:
	s_add_u32 s14, s14, (.LBB2_14588-.Lpost_getpc21629)&4294967295
	s_addc_u32 s15, s15, (.LBB2_14588-.Lpost_getpc21629)>>32
	s_setpc_b64 s[14:15]
.LBB2_250:
	s_or_b64 exec, exec, s[6:7]
	s_and_saveexec_b64 s[6:7], s[4:5]
	s_cbranch_execz .LBB2_252
.LBB2_251:
	v_bfe_u32 v2, v9, 24, 3
	v_ffbh_u32_e32 v7, v2
	v_min_u32_e32 v7, 32, v7
	v_lshrrev_b32_e32 v4, 27, v9
	v_subrev_u32_e32 v8, 28, v7
	v_and_b32_e32 v4, 15, v4
	v_lshlrev_b32_sdwa v8, v8, v9 dst_sel:DWORD dst_unused:UNUSED_PAD src0_sel:DWORD src1_sel:BYTE_3
	v_bfe_u32 v6, v9, 27, 4
	v_sub_u32_e32 v7, 29, v7
	v_and_b32_e32 v8, 7, v8
	v_cmp_eq_u16_e32 vcc, 0, v4
	v_cndmask_b32_e32 v2, v2, v8, vcc
	v_cndmask_b32_e32 v4, v6, v7, vcc
	v_mov_b32_e32 v6, 0x3b800000
	v_and_b32_e32 v3, 0x80000000, v9
	v_lshlrev_b32_e32 v2, 20, v2
	v_lshl_add_u32 v4, v4, 23, v6
	v_or3_b32 v2, v3, v4, v2
.LBB2_252:
	s_or_b64 exec, exec, s[6:7]
	s_movk_i32 s4, 0x7f
	v_cmp_gt_i16_sdwa s[6:7], v5, s4 src0_sel:BYTE_3 src1_sel:DWORD
	s_mov_b64 s[4:5], 0
                                        ; implicit-def: $sgpr10
	s_and_saveexec_b64 s[8:9], s[6:7]
	s_xor_b64 s[6:7], exec, s[8:9]
	s_cbranch_execz .LBB2_253
; %bb.36093:
	s_getpc_b64 s[14:15]
.Lpost_getpc21630:
	s_add_u32 s14, s14, (.LBB2_14589-.Lpost_getpc21630)&4294967295
	s_addc_u32 s15, s15, (.LBB2_14589-.Lpost_getpc21630)>>32
	s_setpc_b64 s[14:15]
.LBB2_253:
	s_or_saveexec_b64 s[6:7], s[6:7]
	v_mov_b32_e32 v3, s10
	s_xor_b64 exec, exec, s[6:7]
	s_cbranch_execz .LBB2_254
; %bb.36095:
	s_getpc_b64 s[14:15]
.Lpost_getpc21631:
	s_add_u32 s14, s14, (.LBB2_14592-.Lpost_getpc21631)&4294967295
	s_addc_u32 s15, s15, (.LBB2_14592-.Lpost_getpc21631)>>32
	s_setpc_b64 s[14:15]
.LBB2_254:
	s_or_b64 exec, exec, s[6:7]
	s_and_saveexec_b64 s[6:7], s[4:5]
	s_cbranch_execz .LBB2_256
.LBB2_255:
	v_bfe_u32 v3, v5, 24, 3
	v_ffbh_u32_e32 v8, v3
	v_min_u32_e32 v8, 32, v8
	v_lshrrev_b32_e32 v6, 27, v5
	v_subrev_u32_e32 v9, 28, v8
	v_and_b32_e32 v4, 0x80000000, v5
	v_and_b32_e32 v6, 15, v6
	v_bfe_u32 v7, v5, 27, 4
	v_lshlrev_b32_sdwa v5, v9, v5 dst_sel:DWORD dst_unused:UNUSED_PAD src0_sel:DWORD src1_sel:BYTE_3
	v_sub_u32_e32 v8, 29, v8
	v_and_b32_e32 v5, 7, v5
	v_cmp_eq_u16_e32 vcc, 0, v6
	v_cndmask_b32_e32 v3, v3, v5, vcc
	v_cndmask_b32_e32 v5, v7, v8, vcc
	v_mov_b32_e32 v6, 0x3b800000
	v_lshlrev_b32_e32 v3, 20, v3
	v_lshl_add_u32 v5, v5, 23, v6
	v_or3_b32 v3, v4, v5, v3
.LBB2_256:
	s_or_b64 exec, exec, s[6:7]
	s_nop 0
	v_mfma_f32_16x16x4f32 a[0:3], v2, v3, a[0:3]
	s_movk_i32 s4, 0x7f
                                        ; implicit-def: $sgpr10
	s_nop 7
	s_nop 1
	flat_store_dwordx4 v[10:11], a[0:3] offset:16
	flat_load_dwordx4 v[12:15], v[0:1]
	s_nop 0
	flat_load_dwordx2 v[10:11], v[0:1] offset:16
	s_waitcnt vmcnt(0) lgkmcnt(0)
	flat_load_dwordx4 v[6:9], v[12:13]
	flat_load_dwordx4 v[2:5], v[14:15] offset:32
	s_waitcnt vmcnt(0) lgkmcnt(0)
	v_cmp_gt_i16_sdwa s[6:7], v6, s4 src0_sel:BYTE_0 src1_sel:DWORD
	s_mov_b64 s[4:5], 0
	s_and_saveexec_b64 s[8:9], s[6:7]
	s_xor_b64 s[6:7], exec, s[8:9]
	s_cbranch_execz .LBB2_257
; %bb.36097:
	s_getpc_b64 s[14:15]
.Lpost_getpc21632:
	s_add_u32 s14, s14, (.LBB2_14593-.Lpost_getpc21632)&4294967295
	s_addc_u32 s15, s15, (.LBB2_14593-.Lpost_getpc21632)>>32
	s_setpc_b64 s[14:15]
.LBB2_257:
	s_or_saveexec_b64 s[6:7], s[6:7]
	v_mov_b32_e32 v12, s10
	s_xor_b64 exec, exec, s[6:7]
	s_cbranch_execz .LBB2_258
; %bb.36099:
	s_getpc_b64 s[14:15]
.Lpost_getpc21633:
	s_add_u32 s14, s14, (.LBB2_14596-.Lpost_getpc21633)&4294967295
	s_addc_u32 s15, s15, (.LBB2_14596-.Lpost_getpc21633)>>32
	s_setpc_b64 s[14:15]
.LBB2_258:
	s_or_b64 exec, exec, s[6:7]
	s_and_saveexec_b64 s[6:7], s[4:5]
	s_cbranch_execz .LBB2_260
.LBB2_259:
	v_and_b32_e32 v12, 7, v6
	v_ffbh_u32_e32 v14, v12
	v_min_u32_e32 v14, 32, v14
	v_lshrrev_b16_e32 v13, 3, v6
	v_subrev_u32_e32 v15, 28, v14
	v_and_b32_e32 v13, 15, v13
	v_lshlrev_b32_e32 v15, v15, v6
	v_sub_u32_e32 v14, 29, v14
	v_and_b32_e32 v15, 7, v15
	v_cmp_eq_u16_e32 vcc, 0, v13
	v_cndmask_b32_e32 v12, v12, v15, vcc
	v_cndmask_b32_e32 v13, v13, v14, vcc
	v_lshlrev_b32_e32 v14, 24, v6
	v_mov_b32_e32 v15, 0x3b800000
	v_lshlrev_b32_e32 v12, 20, v12
	v_and_b32_e32 v14, 0x80000000, v14
	v_lshl_add_u32 v13, v13, 23, v15
	v_or3_b32 v12, v14, v13, v12
.LBB2_260:
	s_or_b64 exec, exec, s[6:7]
	s_movk_i32 s4, 0x7f
	v_cmp_gt_i16_sdwa s[6:7], v2, s4 src0_sel:BYTE_0 src1_sel:DWORD
	s_mov_b64 s[4:5], 0
                                        ; implicit-def: $sgpr10
	s_and_saveexec_b64 s[8:9], s[6:7]
	s_xor_b64 s[6:7], exec, s[8:9]
	s_cbranch_execz .LBB2_261
; %bb.36101:
	s_getpc_b64 s[14:15]
.Lpost_getpc21634:
	s_add_u32 s14, s14, (.LBB2_14597-.Lpost_getpc21634)&4294967295
	s_addc_u32 s15, s15, (.LBB2_14597-.Lpost_getpc21634)>>32
	s_setpc_b64 s[14:15]
.LBB2_261:
	s_or_saveexec_b64 s[6:7], s[6:7]
	v_mov_b32_e32 v13, s10
	s_xor_b64 exec, exec, s[6:7]
	s_cbranch_execz .LBB2_262
; %bb.36103:
	s_getpc_b64 s[14:15]
.Lpost_getpc21635:
	s_add_u32 s14, s14, (.LBB2_14600-.Lpost_getpc21635)&4294967295
	s_addc_u32 s15, s15, (.LBB2_14600-.Lpost_getpc21635)>>32
	s_setpc_b64 s[14:15]
.LBB2_262:
	s_or_b64 exec, exec, s[6:7]
	s_and_saveexec_b64 s[6:7], s[4:5]
	s_cbranch_execz .LBB2_264
.LBB2_263:
	v_and_b32_e32 v13, 7, v2
	v_ffbh_u32_e32 v15, v13
	v_min_u32_e32 v15, 32, v15
	v_lshrrev_b16_e32 v14, 3, v2
	v_subrev_u32_e32 v16, 28, v15
	v_and_b32_e32 v14, 15, v14
	v_lshlrev_b32_e32 v16, v16, v2
	v_sub_u32_e32 v15, 29, v15
	v_and_b32_e32 v16, 7, v16
	v_cmp_eq_u16_e32 vcc, 0, v14
	v_cndmask_b32_e32 v13, v13, v16, vcc
	v_cndmask_b32_e32 v14, v14, v15, vcc
	v_lshlrev_b32_e32 v15, 24, v2
	v_mov_b32_e32 v16, 0x3b800000
	v_lshlrev_b32_e32 v13, 20, v13
	v_and_b32_e32 v15, 0x80000000, v15
	v_lshl_add_u32 v14, v14, 23, v16
	v_or3_b32 v13, v15, v14, v13
.LBB2_264:
	s_or_b64 exec, exec, s[6:7]
	flat_load_dwordx4 a[0:3], v[10:11] offset:32
	s_movk_i32 s4, 0x7f
                                        ; implicit-def: $sgpr10
	s_waitcnt vmcnt(0) lgkmcnt(0)
	v_mfma_f32_16x16x4f32 a[0:3], v12, v13, a[0:3]
	v_lshrrev_b32_e32 v13, 8, v6
	v_cmp_gt_i16_sdwa s[6:7], v13, s4 src0_sel:BYTE_0 src1_sel:DWORD
	s_mov_b64 s[4:5], 0
	s_and_saveexec_b64 s[8:9], s[6:7]
	s_xor_b64 s[6:7], exec, s[8:9]
	s_cbranch_execz .LBB2_265
; %bb.36105:
	s_getpc_b64 s[14:15]
.Lpost_getpc21636:
	s_add_u32 s14, s14, (.LBB2_14601-.Lpost_getpc21636)&4294967295
	s_addc_u32 s15, s15, (.LBB2_14601-.Lpost_getpc21636)>>32
	s_setpc_b64 s[14:15]
.LBB2_265:
	s_or_saveexec_b64 s[6:7], s[6:7]
	v_mov_b32_e32 v12, s10
	s_xor_b64 exec, exec, s[6:7]
	s_cbranch_execz .LBB2_266
; %bb.36107:
	s_getpc_b64 s[14:15]
.Lpost_getpc21637:
	s_add_u32 s14, s14, (.LBB2_14604-.Lpost_getpc21637)&4294967295
	s_addc_u32 s15, s15, (.LBB2_14604-.Lpost_getpc21637)>>32
	s_setpc_b64 s[14:15]
.LBB2_266:
	s_or_b64 exec, exec, s[6:7]
	s_and_saveexec_b64 s[6:7], s[4:5]
	s_cbranch_execz .LBB2_268
.LBB2_267:
	v_bfe_u32 v12, v6, 8, 3
	v_ffbh_u32_e32 v15, v12
	v_min_u32_e32 v15, 32, v15
	v_lshrrev_b16_e32 v14, 3, v13
	v_subrev_u32_e32 v16, 28, v15
	v_and_b32_e32 v14, 15, v14
	v_lshlrev_b32_e32 v13, v16, v13
	v_sub_u32_e32 v15, 29, v15
	v_and_b32_e32 v13, 7, v13
	v_cmp_eq_u16_e32 vcc, 0, v14
	v_cndmask_b32_e32 v12, v12, v13, vcc
	v_cndmask_b32_e32 v13, v14, v15, vcc
	v_lshlrev_b32_e32 v14, 16, v6
	v_mov_b32_e32 v15, 0x3b800000
	v_lshlrev_b32_e32 v12, 20, v12
	v_and_b32_e32 v14, 0x80000000, v14
	v_lshl_add_u32 v13, v13, 23, v15
	v_or3_b32 v12, v14, v13, v12
.LBB2_268:
	s_or_b64 exec, exec, s[6:7]
	v_lshrrev_b32_e32 v13, 8, v2
	s_movk_i32 s4, 0x7f
	v_cmp_gt_i16_sdwa s[6:7], v13, s4 src0_sel:BYTE_0 src1_sel:DWORD
	s_mov_b64 s[4:5], 0
                                        ; implicit-def: $sgpr10
	s_and_saveexec_b64 s[8:9], s[6:7]
	s_xor_b64 s[6:7], exec, s[8:9]
	s_cbranch_execz .LBB2_269
; %bb.36109:
	s_getpc_b64 s[14:15]
.Lpost_getpc21638:
	s_add_u32 s14, s14, (.LBB2_14605-.Lpost_getpc21638)&4294967295
	s_addc_u32 s15, s15, (.LBB2_14605-.Lpost_getpc21638)>>32
	s_setpc_b64 s[14:15]
.LBB2_269:
	s_or_saveexec_b64 s[6:7], s[6:7]
	v_mov_b32_e32 v14, s10
	s_xor_b64 exec, exec, s[6:7]
	s_cbranch_execz .LBB2_270
; %bb.36111:
	s_getpc_b64 s[14:15]
.Lpost_getpc21639:
	s_add_u32 s14, s14, (.LBB2_14608-.Lpost_getpc21639)&4294967295
	s_addc_u32 s15, s15, (.LBB2_14608-.Lpost_getpc21639)>>32
	s_setpc_b64 s[14:15]
.LBB2_270:
	s_or_b64 exec, exec, s[6:7]
	s_and_saveexec_b64 s[6:7], s[4:5]
	s_cbranch_execz .LBB2_272
.LBB2_271:
	v_bfe_u32 v14, v2, 8, 3
	v_ffbh_u32_e32 v16, v14
	v_min_u32_e32 v16, 32, v16
	v_lshrrev_b16_e32 v15, 3, v13
	v_subrev_u32_e32 v17, 28, v16
	v_and_b32_e32 v15, 15, v15
	v_lshlrev_b32_e32 v13, v17, v13
	v_sub_u32_e32 v16, 29, v16
	v_and_b32_e32 v13, 7, v13
	v_cmp_eq_u16_e32 vcc, 0, v15
	v_cndmask_b32_e32 v13, v14, v13, vcc
	v_cndmask_b32_e32 v14, v15, v16, vcc
	v_lshlrev_b32_e32 v15, 16, v2
	v_mov_b32_e32 v16, 0x3b800000
	v_lshlrev_b32_e32 v13, 20, v13
	v_and_b32_e32 v15, 0x80000000, v15
	v_lshl_add_u32 v14, v14, 23, v16
	v_or3_b32 v14, v15, v14, v13
.LBB2_272:
	s_or_b64 exec, exec, s[6:7]
	s_nop 0
	v_mfma_f32_16x16x4f32 a[0:3], v12, v14, a[0:3]
	s_movk_i32 s4, 0xff
	v_and_b32_sdwa v13, v6, s4 dst_sel:DWORD dst_unused:UNUSED_PAD src0_sel:WORD_1 src1_sel:DWORD
	s_movk_i32 s4, 0x7f
	v_cmp_lt_i16_e32 vcc, s4, v13
	s_mov_b64 s[4:5], 0
                                        ; implicit-def: $sgpr10
	s_and_saveexec_b64 s[6:7], vcc
	s_xor_b64 s[6:7], exec, s[6:7]
	s_cbranch_execz .LBB2_273
; %bb.36113:
	s_getpc_b64 s[14:15]
.Lpost_getpc21640:
	s_add_u32 s14, s14, (.LBB2_14609-.Lpost_getpc21640)&4294967295
	s_addc_u32 s15, s15, (.LBB2_14609-.Lpost_getpc21640)>>32
	s_setpc_b64 s[14:15]
.LBB2_273:
	s_or_saveexec_b64 s[6:7], s[6:7]
	v_mov_b32_e32 v12, s10
	s_xor_b64 exec, exec, s[6:7]
	s_cbranch_execz .LBB2_274
; %bb.36115:
	s_getpc_b64 s[14:15]
.Lpost_getpc21641:
	s_add_u32 s14, s14, (.LBB2_14612-.Lpost_getpc21641)&4294967295
	s_addc_u32 s15, s15, (.LBB2_14612-.Lpost_getpc21641)>>32
	s_setpc_b64 s[14:15]
.LBB2_274:
	s_or_b64 exec, exec, s[6:7]
	s_and_saveexec_b64 s[6:7], s[4:5]
	s_cbranch_execz .LBB2_276
.LBB2_275:
	v_bfe_u32 v12, v6, 16, 3
	v_ffbh_u32_e32 v15, v12
	v_min_u32_e32 v15, 32, v15
	v_lshrrev_b32_e32 v13, 19, v6
	v_subrev_u32_e32 v16, 28, v15
	v_and_b32_e32 v13, 15, v13
	v_lshlrev_b32_sdwa v16, v16, v6 dst_sel:DWORD dst_unused:UNUSED_PAD src0_sel:DWORD src1_sel:WORD_1
	v_bfe_u32 v14, v6, 19, 4
	v_sub_u32_e32 v15, 29, v15
	v_and_b32_e32 v16, 7, v16
	v_cmp_eq_u16_e32 vcc, 0, v13
	v_cndmask_b32_e32 v12, v12, v16, vcc
	v_cndmask_b32_e32 v13, v14, v15, vcc
	v_lshlrev_b32_e32 v14, 8, v6
	v_mov_b32_e32 v15, 0x3b800000
	v_lshlrev_b32_e32 v12, 20, v12
	v_and_b32_e32 v14, 0x80000000, v14
	v_lshl_add_u32 v13, v13, 23, v15
	v_or3_b32 v12, v14, v13, v12
.LBB2_276:
	s_or_b64 exec, exec, s[6:7]
	s_movk_i32 s4, 0xff
	v_and_b32_sdwa v13, v2, s4 dst_sel:DWORD dst_unused:UNUSED_PAD src0_sel:WORD_1 src1_sel:DWORD
	s_movk_i32 s4, 0x7f
	v_cmp_lt_i16_e32 vcc, s4, v13
	s_mov_b64 s[4:5], 0
                                        ; implicit-def: $sgpr10
	s_and_saveexec_b64 s[6:7], vcc
	s_xor_b64 s[6:7], exec, s[6:7]
	s_cbranch_execz .LBB2_277
; %bb.36117:
	s_getpc_b64 s[14:15]
.Lpost_getpc21642:
	s_add_u32 s14, s14, (.LBB2_14613-.Lpost_getpc21642)&4294967295
	s_addc_u32 s15, s15, (.LBB2_14613-.Lpost_getpc21642)>>32
	s_setpc_b64 s[14:15]
.LBB2_277:
	s_or_saveexec_b64 s[6:7], s[6:7]
	v_mov_b32_e32 v14, s10
	s_xor_b64 exec, exec, s[6:7]
	s_cbranch_execz .LBB2_278
; %bb.36119:
	s_getpc_b64 s[14:15]
.Lpost_getpc21643:
	s_add_u32 s14, s14, (.LBB2_14616-.Lpost_getpc21643)&4294967295
	s_addc_u32 s15, s15, (.LBB2_14616-.Lpost_getpc21643)>>32
	s_setpc_b64 s[14:15]
.LBB2_278:
	s_or_b64 exec, exec, s[6:7]
	s_and_saveexec_b64 s[6:7], s[4:5]
	s_cbranch_execz .LBB2_280
.LBB2_279:
	v_bfe_u32 v13, v2, 16, 3
	v_ffbh_u32_e32 v16, v13
	v_min_u32_e32 v16, 32, v16
	v_lshrrev_b32_e32 v14, 19, v2
	v_subrev_u32_e32 v17, 28, v16
	v_and_b32_e32 v14, 15, v14
	v_lshlrev_b32_sdwa v17, v17, v2 dst_sel:DWORD dst_unused:UNUSED_PAD src0_sel:DWORD src1_sel:WORD_1
	v_bfe_u32 v15, v2, 19, 4
	v_sub_u32_e32 v16, 29, v16
	v_and_b32_e32 v17, 7, v17
	v_cmp_eq_u16_e32 vcc, 0, v14
	v_cndmask_b32_e32 v13, v13, v17, vcc
	v_cndmask_b32_e32 v14, v15, v16, vcc
	v_lshlrev_b32_e32 v15, 8, v2
	v_mov_b32_e32 v16, 0x3b800000
	v_lshlrev_b32_e32 v13, 20, v13
	v_and_b32_e32 v15, 0x80000000, v15
	v_lshl_add_u32 v14, v14, 23, v16
	v_or3_b32 v14, v15, v14, v13
.LBB2_280:
	s_or_b64 exec, exec, s[6:7]
	s_nop 0
	v_mfma_f32_16x16x4f32 a[0:3], v12, v14, a[0:3]
	s_movk_i32 s4, 0x7f
	v_cmp_gt_i16_sdwa s[6:7], v6, s4 src0_sel:BYTE_3 src1_sel:DWORD
	s_mov_b64 s[4:5], 0
                                        ; implicit-def: $sgpr10
	s_and_saveexec_b64 s[8:9], s[6:7]
	s_xor_b64 s[6:7], exec, s[8:9]
	s_cbranch_execz .LBB2_281
; %bb.36121:
	s_getpc_b64 s[14:15]
.Lpost_getpc21644:
	s_add_u32 s14, s14, (.LBB2_14617-.Lpost_getpc21644)&4294967295
	s_addc_u32 s15, s15, (.LBB2_14617-.Lpost_getpc21644)>>32
	s_setpc_b64 s[14:15]
.LBB2_281:
	s_or_saveexec_b64 s[6:7], s[6:7]
	v_mov_b32_e32 v12, s10
	s_xor_b64 exec, exec, s[6:7]
	s_cbranch_execz .LBB2_282
; %bb.36123:
	s_getpc_b64 s[14:15]
.Lpost_getpc21645:
	s_add_u32 s14, s14, (.LBB2_14620-.Lpost_getpc21645)&4294967295
	s_addc_u32 s15, s15, (.LBB2_14620-.Lpost_getpc21645)>>32
	s_setpc_b64 s[14:15]
.LBB2_282:
	s_or_b64 exec, exec, s[6:7]
	s_and_saveexec_b64 s[6:7], s[4:5]
	s_cbranch_execz .LBB2_284
.LBB2_283:
	v_bfe_u32 v12, v6, 24, 3
	v_ffbh_u32_e32 v16, v12
	v_min_u32_e32 v16, 32, v16
	v_lshrrev_b32_e32 v14, 27, v6
	v_subrev_u32_e32 v17, 28, v16
	v_and_b32_e32 v13, 0x80000000, v6
	v_and_b32_e32 v14, 15, v14
	v_bfe_u32 v15, v6, 27, 4
	v_lshlrev_b32_sdwa v6, v17, v6 dst_sel:DWORD dst_unused:UNUSED_PAD src0_sel:DWORD src1_sel:BYTE_3
	v_sub_u32_e32 v16, 29, v16
	v_and_b32_e32 v6, 7, v6
	v_cmp_eq_u16_e32 vcc, 0, v14
	v_cndmask_b32_e32 v6, v12, v6, vcc
	v_cndmask_b32_e32 v12, v15, v16, vcc
	v_mov_b32_e32 v14, 0x3b800000
	v_lshlrev_b32_e32 v6, 20, v6
	v_lshl_add_u32 v12, v12, 23, v14
	v_or3_b32 v12, v13, v12, v6
.LBB2_284:
	s_or_b64 exec, exec, s[6:7]
	s_movk_i32 s4, 0x7f
	v_cmp_gt_i16_sdwa s[6:7], v2, s4 src0_sel:BYTE_3 src1_sel:DWORD
	s_mov_b64 s[4:5], 0
                                        ; implicit-def: $sgpr10
	s_and_saveexec_b64 s[8:9], s[6:7]
	s_xor_b64 s[6:7], exec, s[8:9]
	s_cbranch_execz .LBB2_285
; %bb.36125:
	s_getpc_b64 s[14:15]
.Lpost_getpc21646:
	s_add_u32 s14, s14, (.LBB2_14621-.Lpost_getpc21646)&4294967295
	s_addc_u32 s15, s15, (.LBB2_14621-.Lpost_getpc21646)>>32
	s_setpc_b64 s[14:15]
.LBB2_285:
	s_or_saveexec_b64 s[6:7], s[6:7]
	v_mov_b32_e32 v6, s10
	s_xor_b64 exec, exec, s[6:7]
	s_cbranch_execz .LBB2_286
; %bb.36127:
	s_getpc_b64 s[14:15]
.Lpost_getpc21647:
	s_add_u32 s14, s14, (.LBB2_14624-.Lpost_getpc21647)&4294967295
	s_addc_u32 s15, s15, (.LBB2_14624-.Lpost_getpc21647)>>32
	s_setpc_b64 s[14:15]
.LBB2_286:
	s_or_b64 exec, exec, s[6:7]
	s_and_saveexec_b64 s[6:7], s[4:5]
	s_cbranch_execz .LBB2_288
.LBB2_287:
	v_bfe_u32 v6, v2, 24, 3
	v_ffbh_u32_e32 v16, v6
	v_min_u32_e32 v16, 32, v16
	v_lshrrev_b32_e32 v14, 27, v2
	v_subrev_u32_e32 v17, 28, v16
	v_and_b32_e32 v13, 0x80000000, v2
	v_and_b32_e32 v14, 15, v14
	v_bfe_u32 v15, v2, 27, 4
	v_lshlrev_b32_sdwa v2, v17, v2 dst_sel:DWORD dst_unused:UNUSED_PAD src0_sel:DWORD src1_sel:BYTE_3
	v_sub_u32_e32 v16, 29, v16
	v_and_b32_e32 v2, 7, v2
	v_cmp_eq_u16_e32 vcc, 0, v14
	v_cndmask_b32_e32 v2, v6, v2, vcc
	v_cndmask_b32_e32 v6, v15, v16, vcc
	v_mov_b32_e32 v14, 0x3b800000
	v_lshlrev_b32_e32 v2, 20, v2
	v_lshl_add_u32 v6, v6, 23, v14
	v_or3_b32 v6, v13, v6, v2
.LBB2_288:
	s_or_b64 exec, exec, s[6:7]
	s_nop 0
	v_mfma_f32_16x16x4f32 a[0:3], v12, v6, a[0:3]
	s_movk_i32 s4, 0x7f
	v_cmp_gt_i16_sdwa s[6:7], v7, s4 src0_sel:BYTE_0 src1_sel:DWORD
	s_mov_b64 s[4:5], 0
                                        ; implicit-def: $sgpr10
	s_and_saveexec_b64 s[8:9], s[6:7]
	s_xor_b64 s[6:7], exec, s[8:9]
	s_cbranch_execz .LBB2_289
; %bb.36129:
	s_getpc_b64 s[14:15]
.Lpost_getpc21648:
	s_add_u32 s14, s14, (.LBB2_14625-.Lpost_getpc21648)&4294967295
	s_addc_u32 s15, s15, (.LBB2_14625-.Lpost_getpc21648)>>32
	s_setpc_b64 s[14:15]
.LBB2_289:
	s_or_saveexec_b64 s[6:7], s[6:7]
	v_mov_b32_e32 v2, s10
	s_xor_b64 exec, exec, s[6:7]
	s_cbranch_execz .LBB2_290
; %bb.36131:
	s_getpc_b64 s[14:15]
.Lpost_getpc21649:
	s_add_u32 s14, s14, (.LBB2_14628-.Lpost_getpc21649)&4294967295
	s_addc_u32 s15, s15, (.LBB2_14628-.Lpost_getpc21649)>>32
	s_setpc_b64 s[14:15]
.LBB2_290:
	s_or_b64 exec, exec, s[6:7]
	s_and_saveexec_b64 s[6:7], s[4:5]
	s_cbranch_execz .LBB2_292
.LBB2_291:
	v_and_b32_e32 v2, 7, v7
	v_ffbh_u32_e32 v12, v2
	v_min_u32_e32 v12, 32, v12
	v_lshrrev_b16_e32 v6, 3, v7
	v_subrev_u32_e32 v13, 28, v12
	v_and_b32_e32 v6, 15, v6
	v_lshlrev_b32_e32 v13, v13, v7
	v_sub_u32_e32 v12, 29, v12
	v_and_b32_e32 v13, 7, v13
	v_cmp_eq_u16_e32 vcc, 0, v6
	v_cndmask_b32_e32 v2, v2, v13, vcc
	v_cndmask_b32_e32 v6, v6, v12, vcc
	v_lshlrev_b32_e32 v12, 24, v7
	v_mov_b32_e32 v13, 0x3b800000
	v_lshlrev_b32_e32 v2, 20, v2
	v_and_b32_e32 v12, 0x80000000, v12
	v_lshl_add_u32 v6, v6, 23, v13
	v_or3_b32 v2, v12, v6, v2
.LBB2_292:
	s_or_b64 exec, exec, s[6:7]
	s_movk_i32 s4, 0x7f
	v_cmp_gt_i16_sdwa s[6:7], v3, s4 src0_sel:BYTE_0 src1_sel:DWORD
	s_mov_b64 s[4:5], 0
                                        ; implicit-def: $sgpr10
	s_and_saveexec_b64 s[8:9], s[6:7]
	s_xor_b64 s[6:7], exec, s[8:9]
	s_cbranch_execz .LBB2_293
; %bb.36133:
	s_getpc_b64 s[14:15]
.Lpost_getpc21650:
	s_add_u32 s14, s14, (.LBB2_14629-.Lpost_getpc21650)&4294967295
	s_addc_u32 s15, s15, (.LBB2_14629-.Lpost_getpc21650)>>32
	s_setpc_b64 s[14:15]
.LBB2_293:
	s_or_saveexec_b64 s[6:7], s[6:7]
	v_mov_b32_e32 v6, s10
	s_xor_b64 exec, exec, s[6:7]
	s_cbranch_execz .LBB2_294
; %bb.36135:
	s_getpc_b64 s[14:15]
.Lpost_getpc21651:
	s_add_u32 s14, s14, (.LBB2_14632-.Lpost_getpc21651)&4294967295
	s_addc_u32 s15, s15, (.LBB2_14632-.Lpost_getpc21651)>>32
	s_setpc_b64 s[14:15]
.LBB2_294:
	s_or_b64 exec, exec, s[6:7]
	s_and_saveexec_b64 s[6:7], s[4:5]
	s_cbranch_execz .LBB2_296
.LBB2_295:
	v_and_b32_e32 v6, 7, v3
	v_ffbh_u32_e32 v13, v6
	v_min_u32_e32 v13, 32, v13
	v_lshrrev_b16_e32 v12, 3, v3
	v_subrev_u32_e32 v14, 28, v13
	v_and_b32_e32 v12, 15, v12
	v_lshlrev_b32_e32 v14, v14, v3
	v_sub_u32_e32 v13, 29, v13
	v_and_b32_e32 v14, 7, v14
	v_cmp_eq_u16_e32 vcc, 0, v12
	v_cndmask_b32_e32 v6, v6, v14, vcc
	v_cndmask_b32_e32 v12, v12, v13, vcc
	v_lshlrev_b32_e32 v13, 24, v3
	v_mov_b32_e32 v14, 0x3b800000
	v_lshlrev_b32_e32 v6, 20, v6
	v_and_b32_e32 v13, 0x80000000, v13
	v_lshl_add_u32 v12, v12, 23, v14
	v_or3_b32 v6, v13, v12, v6
.LBB2_296:
	s_or_b64 exec, exec, s[6:7]
	s_nop 0
	v_mfma_f32_16x16x4f32 a[0:3], v2, v6, a[0:3]
	v_lshrrev_b32_e32 v6, 8, v7
	s_movk_i32 s4, 0x7f
	v_cmp_gt_i16_sdwa s[6:7], v6, s4 src0_sel:BYTE_0 src1_sel:DWORD
	s_mov_b64 s[4:5], 0
                                        ; implicit-def: $sgpr10
	s_and_saveexec_b64 s[8:9], s[6:7]
	s_xor_b64 s[6:7], exec, s[8:9]
	s_cbranch_execz .LBB2_297
; %bb.36137:
	s_getpc_b64 s[14:15]
.Lpost_getpc21652:
	s_add_u32 s14, s14, (.LBB2_14633-.Lpost_getpc21652)&4294967295
	s_addc_u32 s15, s15, (.LBB2_14633-.Lpost_getpc21652)>>32
	s_setpc_b64 s[14:15]
.LBB2_297:
	s_or_saveexec_b64 s[6:7], s[6:7]
	v_mov_b32_e32 v2, s10
	s_xor_b64 exec, exec, s[6:7]
	s_cbranch_execz .LBB2_298
; %bb.36139:
	s_getpc_b64 s[14:15]
.Lpost_getpc21653:
	s_add_u32 s14, s14, (.LBB2_14636-.Lpost_getpc21653)&4294967295
	s_addc_u32 s15, s15, (.LBB2_14636-.Lpost_getpc21653)>>32
	s_setpc_b64 s[14:15]
.LBB2_298:
	s_or_b64 exec, exec, s[6:7]
	s_and_saveexec_b64 s[6:7], s[4:5]
	s_cbranch_execz .LBB2_300
.LBB2_299:
	v_bfe_u32 v2, v7, 8, 3
	v_ffbh_u32_e32 v13, v2
	v_min_u32_e32 v13, 32, v13
	v_lshrrev_b16_e32 v12, 3, v6
	v_subrev_u32_e32 v14, 28, v13
	v_and_b32_e32 v12, 15, v12
	v_lshlrev_b32_e32 v6, v14, v6
	v_sub_u32_e32 v13, 29, v13
	v_and_b32_e32 v6, 7, v6
	v_cmp_eq_u16_e32 vcc, 0, v12
	v_cndmask_b32_e32 v2, v2, v6, vcc
	v_cndmask_b32_e32 v6, v12, v13, vcc
	v_lshlrev_b32_e32 v12, 16, v7
	v_mov_b32_e32 v13, 0x3b800000
	v_lshlrev_b32_e32 v2, 20, v2
	v_and_b32_e32 v12, 0x80000000, v12
	v_lshl_add_u32 v6, v6, 23, v13
	v_or3_b32 v2, v12, v6, v2
.LBB2_300:
	s_or_b64 exec, exec, s[6:7]
	v_lshrrev_b32_e32 v6, 8, v3
	s_movk_i32 s4, 0x7f
	v_cmp_gt_i16_sdwa s[6:7], v6, s4 src0_sel:BYTE_0 src1_sel:DWORD
	s_mov_b64 s[4:5], 0
                                        ; implicit-def: $sgpr10
	s_and_saveexec_b64 s[8:9], s[6:7]
	s_xor_b64 s[6:7], exec, s[8:9]
	s_cbranch_execz .LBB2_301
; %bb.36141:
	s_getpc_b64 s[14:15]
.Lpost_getpc21654:
	s_add_u32 s14, s14, (.LBB2_14637-.Lpost_getpc21654)&4294967295
	s_addc_u32 s15, s15, (.LBB2_14637-.Lpost_getpc21654)>>32
	s_setpc_b64 s[14:15]
.LBB2_301:
	s_or_saveexec_b64 s[6:7], s[6:7]
	v_mov_b32_e32 v12, s10
	s_xor_b64 exec, exec, s[6:7]
	s_cbranch_execz .LBB2_302
; %bb.36143:
	s_getpc_b64 s[14:15]
.Lpost_getpc21655:
	s_add_u32 s14, s14, (.LBB2_14640-.Lpost_getpc21655)&4294967295
	s_addc_u32 s15, s15, (.LBB2_14640-.Lpost_getpc21655)>>32
	s_setpc_b64 s[14:15]
.LBB2_302:
	s_or_b64 exec, exec, s[6:7]
	s_and_saveexec_b64 s[6:7], s[4:5]
	s_cbranch_execz .LBB2_304
.LBB2_303:
	v_bfe_u32 v12, v3, 8, 3
	v_ffbh_u32_e32 v14, v12
	v_min_u32_e32 v14, 32, v14
	v_lshrrev_b16_e32 v13, 3, v6
	v_subrev_u32_e32 v15, 28, v14
	v_and_b32_e32 v13, 15, v13
	v_lshlrev_b32_e32 v6, v15, v6
	v_sub_u32_e32 v14, 29, v14
	v_and_b32_e32 v6, 7, v6
	v_cmp_eq_u16_e32 vcc, 0, v13
	v_cndmask_b32_e32 v6, v12, v6, vcc
	v_cndmask_b32_e32 v12, v13, v14, vcc
	v_lshlrev_b32_e32 v13, 16, v3
	v_mov_b32_e32 v14, 0x3b800000
	v_lshlrev_b32_e32 v6, 20, v6
	v_and_b32_e32 v13, 0x80000000, v13
	v_lshl_add_u32 v12, v12, 23, v14
	v_or3_b32 v12, v13, v12, v6
.LBB2_304:
	s_or_b64 exec, exec, s[6:7]
	s_nop 0
	v_mfma_f32_16x16x4f32 a[0:3], v2, v12, a[0:3]
	s_movk_i32 s4, 0xff
	v_and_b32_sdwa v6, v7, s4 dst_sel:DWORD dst_unused:UNUSED_PAD src0_sel:WORD_1 src1_sel:DWORD
	s_movk_i32 s4, 0x7f
	v_cmp_lt_i16_e32 vcc, s4, v6
	s_mov_b64 s[4:5], 0
                                        ; implicit-def: $sgpr10
	s_and_saveexec_b64 s[6:7], vcc
	s_xor_b64 s[6:7], exec, s[6:7]
	s_cbranch_execz .LBB2_305
; %bb.36145:
	s_getpc_b64 s[14:15]
.Lpost_getpc21656:
	s_add_u32 s14, s14, (.LBB2_14641-.Lpost_getpc21656)&4294967295
	s_addc_u32 s15, s15, (.LBB2_14641-.Lpost_getpc21656)>>32
	s_setpc_b64 s[14:15]
.LBB2_305:
	s_or_saveexec_b64 s[6:7], s[6:7]
	v_mov_b32_e32 v2, s10
	s_xor_b64 exec, exec, s[6:7]
	s_cbranch_execz .LBB2_306
; %bb.36147:
	s_getpc_b64 s[14:15]
.Lpost_getpc21657:
	s_add_u32 s14, s14, (.LBB2_14644-.Lpost_getpc21657)&4294967295
	s_addc_u32 s15, s15, (.LBB2_14644-.Lpost_getpc21657)>>32
	s_setpc_b64 s[14:15]
.LBB2_306:
	s_or_b64 exec, exec, s[6:7]
	s_and_saveexec_b64 s[6:7], s[4:5]
	s_cbranch_execz .LBB2_308
.LBB2_307:
	v_bfe_u32 v2, v7, 16, 3
	v_ffbh_u32_e32 v13, v2
	v_min_u32_e32 v13, 32, v13
	v_lshrrev_b32_e32 v6, 19, v7
	v_subrev_u32_e32 v14, 28, v13
	v_and_b32_e32 v6, 15, v6
	v_lshlrev_b32_sdwa v14, v14, v7 dst_sel:DWORD dst_unused:UNUSED_PAD src0_sel:DWORD src1_sel:WORD_1
	v_bfe_u32 v12, v7, 19, 4
	v_sub_u32_e32 v13, 29, v13
	v_and_b32_e32 v14, 7, v14
	v_cmp_eq_u16_e32 vcc, 0, v6
	v_cndmask_b32_e32 v2, v2, v14, vcc
	v_cndmask_b32_e32 v6, v12, v13, vcc
	v_lshlrev_b32_e32 v12, 8, v7
	v_mov_b32_e32 v13, 0x3b800000
	v_lshlrev_b32_e32 v2, 20, v2
	v_and_b32_e32 v12, 0x80000000, v12
	v_lshl_add_u32 v6, v6, 23, v13
	v_or3_b32 v2, v12, v6, v2
.LBB2_308:
	s_or_b64 exec, exec, s[6:7]
	s_movk_i32 s4, 0xff
	v_and_b32_sdwa v6, v3, s4 dst_sel:DWORD dst_unused:UNUSED_PAD src0_sel:WORD_1 src1_sel:DWORD
	s_movk_i32 s4, 0x7f
	v_cmp_lt_i16_e32 vcc, s4, v6
	s_mov_b64 s[4:5], 0
                                        ; implicit-def: $sgpr10
	s_and_saveexec_b64 s[6:7], vcc
	s_xor_b64 s[6:7], exec, s[6:7]
	s_cbranch_execz .LBB2_309
; %bb.36149:
	s_getpc_b64 s[14:15]
.Lpost_getpc21658:
	s_add_u32 s14, s14, (.LBB2_14645-.Lpost_getpc21658)&4294967295
	s_addc_u32 s15, s15, (.LBB2_14645-.Lpost_getpc21658)>>32
	s_setpc_b64 s[14:15]
.LBB2_309:
	s_or_saveexec_b64 s[6:7], s[6:7]
	v_mov_b32_e32 v12, s10
	s_xor_b64 exec, exec, s[6:7]
	s_cbranch_execz .LBB2_310
; %bb.36151:
	s_getpc_b64 s[14:15]
.Lpost_getpc21659:
	s_add_u32 s14, s14, (.LBB2_14648-.Lpost_getpc21659)&4294967295
	s_addc_u32 s15, s15, (.LBB2_14648-.Lpost_getpc21659)>>32
	s_setpc_b64 s[14:15]
.LBB2_310:
	s_or_b64 exec, exec, s[6:7]
	s_and_saveexec_b64 s[6:7], s[4:5]
	s_cbranch_execz .LBB2_312
.LBB2_311:
	v_bfe_u32 v6, v3, 16, 3
	v_ffbh_u32_e32 v14, v6
	v_min_u32_e32 v14, 32, v14
	v_lshrrev_b32_e32 v12, 19, v3
	v_subrev_u32_e32 v15, 28, v14
	v_and_b32_e32 v12, 15, v12
	v_lshlrev_b32_sdwa v15, v15, v3 dst_sel:DWORD dst_unused:UNUSED_PAD src0_sel:DWORD src1_sel:WORD_1
	v_bfe_u32 v13, v3, 19, 4
	v_sub_u32_e32 v14, 29, v14
	v_and_b32_e32 v15, 7, v15
	v_cmp_eq_u16_e32 vcc, 0, v12
	v_cndmask_b32_e32 v6, v6, v15, vcc
	v_cndmask_b32_e32 v12, v13, v14, vcc
	v_lshlrev_b32_e32 v13, 8, v3
	v_mov_b32_e32 v14, 0x3b800000
	v_lshlrev_b32_e32 v6, 20, v6
	v_and_b32_e32 v13, 0x80000000, v13
	v_lshl_add_u32 v12, v12, 23, v14
	v_or3_b32 v12, v13, v12, v6
.LBB2_312:
	s_or_b64 exec, exec, s[6:7]
	s_nop 0
	v_mfma_f32_16x16x4f32 a[0:3], v2, v12, a[0:3]
	s_movk_i32 s4, 0x7f
	v_cmp_gt_i16_sdwa s[6:7], v7, s4 src0_sel:BYTE_3 src1_sel:DWORD
	s_mov_b64 s[4:5], 0
                                        ; implicit-def: $sgpr10
	s_and_saveexec_b64 s[8:9], s[6:7]
	s_xor_b64 s[6:7], exec, s[8:9]
	s_cbranch_execz .LBB2_313
; %bb.36153:
	s_getpc_b64 s[14:15]
.Lpost_getpc21660:
	s_add_u32 s14, s14, (.LBB2_14649-.Lpost_getpc21660)&4294967295
	s_addc_u32 s15, s15, (.LBB2_14649-.Lpost_getpc21660)>>32
	s_setpc_b64 s[14:15]
.LBB2_313:
	s_or_saveexec_b64 s[6:7], s[6:7]
	v_mov_b32_e32 v2, s10
	s_xor_b64 exec, exec, s[6:7]
	s_cbranch_execz .LBB2_314
; %bb.36155:
	s_getpc_b64 s[14:15]
.Lpost_getpc21661:
	s_add_u32 s14, s14, (.LBB2_14652-.Lpost_getpc21661)&4294967295
	s_addc_u32 s15, s15, (.LBB2_14652-.Lpost_getpc21661)>>32
	s_setpc_b64 s[14:15]
.LBB2_314:
	s_or_b64 exec, exec, s[6:7]
	s_and_saveexec_b64 s[6:7], s[4:5]
	s_cbranch_execz .LBB2_316
.LBB2_315:
	v_bfe_u32 v2, v7, 24, 3
	v_ffbh_u32_e32 v14, v2
	v_min_u32_e32 v14, 32, v14
	v_lshrrev_b32_e32 v12, 27, v7
	v_subrev_u32_e32 v15, 28, v14
	v_and_b32_e32 v6, 0x80000000, v7
	v_and_b32_e32 v12, 15, v12
	v_bfe_u32 v13, v7, 27, 4
	v_lshlrev_b32_sdwa v7, v15, v7 dst_sel:DWORD dst_unused:UNUSED_PAD src0_sel:DWORD src1_sel:BYTE_3
	v_sub_u32_e32 v14, 29, v14
	v_and_b32_e32 v7, 7, v7
	v_cmp_eq_u16_e32 vcc, 0, v12
	v_cndmask_b32_e32 v2, v2, v7, vcc
	v_cndmask_b32_e32 v7, v13, v14, vcc
	v_mov_b32_e32 v12, 0x3b800000
	v_lshlrev_b32_e32 v2, 20, v2
	v_lshl_add_u32 v7, v7, 23, v12
	v_or3_b32 v2, v6, v7, v2
.LBB2_316:
	s_or_b64 exec, exec, s[6:7]
	s_movk_i32 s4, 0x7f
	v_cmp_gt_i16_sdwa s[6:7], v3, s4 src0_sel:BYTE_3 src1_sel:DWORD
	s_mov_b64 s[4:5], 0
                                        ; implicit-def: $sgpr10
	s_and_saveexec_b64 s[8:9], s[6:7]
	s_xor_b64 s[6:7], exec, s[8:9]
	s_cbranch_execz .LBB2_317
; %bb.36157:
	s_getpc_b64 s[14:15]
.Lpost_getpc21662:
	s_add_u32 s14, s14, (.LBB2_14653-.Lpost_getpc21662)&4294967295
	s_addc_u32 s15, s15, (.LBB2_14653-.Lpost_getpc21662)>>32
	s_setpc_b64 s[14:15]
.LBB2_317:
	s_or_saveexec_b64 s[6:7], s[6:7]
	v_mov_b32_e32 v6, s10
	s_xor_b64 exec, exec, s[6:7]
	s_cbranch_execz .LBB2_318
; %bb.36159:
	s_getpc_b64 s[14:15]
.Lpost_getpc21663:
	s_add_u32 s14, s14, (.LBB2_14656-.Lpost_getpc21663)&4294967295
	s_addc_u32 s15, s15, (.LBB2_14656-.Lpost_getpc21663)>>32
	s_setpc_b64 s[14:15]
.LBB2_318:
	s_or_b64 exec, exec, s[6:7]
	s_and_saveexec_b64 s[6:7], s[4:5]
	s_cbranch_execz .LBB2_320
.LBB2_319:
	v_bfe_u32 v6, v3, 24, 3
	v_ffbh_u32_e32 v14, v6
	v_min_u32_e32 v14, 32, v14
	v_lshrrev_b32_e32 v12, 27, v3
	v_subrev_u32_e32 v15, 28, v14
	v_and_b32_e32 v7, 0x80000000, v3
	v_and_b32_e32 v12, 15, v12
	v_bfe_u32 v13, v3, 27, 4
	v_lshlrev_b32_sdwa v3, v15, v3 dst_sel:DWORD dst_unused:UNUSED_PAD src0_sel:DWORD src1_sel:BYTE_3
	v_sub_u32_e32 v14, 29, v14
	v_and_b32_e32 v3, 7, v3
	v_cmp_eq_u16_e32 vcc, 0, v12
	v_cndmask_b32_e32 v3, v6, v3, vcc
	v_cndmask_b32_e32 v6, v13, v14, vcc
	v_mov_b32_e32 v12, 0x3b800000
	v_lshlrev_b32_e32 v3, 20, v3
	v_lshl_add_u32 v6, v6, 23, v12
	v_or3_b32 v6, v7, v6, v3
.LBB2_320:
	s_or_b64 exec, exec, s[6:7]
	s_nop 0
	v_mfma_f32_16x16x4f32 a[0:3], v2, v6, a[0:3]
	s_movk_i32 s4, 0x7f
	v_cmp_gt_i16_sdwa s[6:7], v8, s4 src0_sel:BYTE_0 src1_sel:DWORD
	s_mov_b64 s[4:5], 0
                                        ; implicit-def: $sgpr10
	s_and_saveexec_b64 s[8:9], s[6:7]
	s_xor_b64 s[6:7], exec, s[8:9]
	s_cbranch_execz .LBB2_321
; %bb.36161:
	s_getpc_b64 s[14:15]
.Lpost_getpc21664:
	s_add_u32 s14, s14, (.LBB2_14657-.Lpost_getpc21664)&4294967295
	s_addc_u32 s15, s15, (.LBB2_14657-.Lpost_getpc21664)>>32
	s_setpc_b64 s[14:15]
.LBB2_321:
	s_or_saveexec_b64 s[6:7], s[6:7]
	v_mov_b32_e32 v2, s10
	s_xor_b64 exec, exec, s[6:7]
	s_cbranch_execz .LBB2_322
; %bb.36163:
	s_getpc_b64 s[14:15]
.Lpost_getpc21665:
	s_add_u32 s14, s14, (.LBB2_14660-.Lpost_getpc21665)&4294967295
	s_addc_u32 s15, s15, (.LBB2_14660-.Lpost_getpc21665)>>32
	s_setpc_b64 s[14:15]
.LBB2_322:
	s_or_b64 exec, exec, s[6:7]
	s_and_saveexec_b64 s[6:7], s[4:5]
	s_cbranch_execz .LBB2_324
.LBB2_323:
	v_and_b32_e32 v2, 7, v8
	v_ffbh_u32_e32 v6, v2
	v_min_u32_e32 v6, 32, v6
	v_lshrrev_b16_e32 v3, 3, v8
	v_subrev_u32_e32 v7, 28, v6
	v_and_b32_e32 v3, 15, v3
	v_lshlrev_b32_e32 v7, v7, v8
	v_sub_u32_e32 v6, 29, v6
	v_and_b32_e32 v7, 7, v7
	v_cmp_eq_u16_e32 vcc, 0, v3
	v_cndmask_b32_e32 v2, v2, v7, vcc
	v_cndmask_b32_e32 v3, v3, v6, vcc
	v_lshlrev_b32_e32 v6, 24, v8
	v_mov_b32_e32 v7, 0x3b800000
	v_lshlrev_b32_e32 v2, 20, v2
	v_and_b32_e32 v6, 0x80000000, v6
	v_lshl_add_u32 v3, v3, 23, v7
	v_or3_b32 v2, v6, v3, v2
.LBB2_324:
	s_or_b64 exec, exec, s[6:7]
	s_movk_i32 s4, 0x7f
	v_cmp_gt_i16_sdwa s[6:7], v4, s4 src0_sel:BYTE_0 src1_sel:DWORD
	s_mov_b64 s[4:5], 0
                                        ; implicit-def: $sgpr10
	s_and_saveexec_b64 s[8:9], s[6:7]
	s_xor_b64 s[6:7], exec, s[8:9]
	s_cbranch_execz .LBB2_325
; %bb.36165:
	s_getpc_b64 s[14:15]
.Lpost_getpc21666:
	s_add_u32 s14, s14, (.LBB2_14661-.Lpost_getpc21666)&4294967295
	s_addc_u32 s15, s15, (.LBB2_14661-.Lpost_getpc21666)>>32
	s_setpc_b64 s[14:15]
.LBB2_325:
	s_or_saveexec_b64 s[6:7], s[6:7]
	v_mov_b32_e32 v3, s10
	s_xor_b64 exec, exec, s[6:7]
	s_cbranch_execz .LBB2_326
; %bb.36167:
	s_getpc_b64 s[14:15]
.Lpost_getpc21667:
	s_add_u32 s14, s14, (.LBB2_14664-.Lpost_getpc21667)&4294967295
	s_addc_u32 s15, s15, (.LBB2_14664-.Lpost_getpc21667)>>32
	s_setpc_b64 s[14:15]
.LBB2_326:
	s_or_b64 exec, exec, s[6:7]
	s_and_saveexec_b64 s[6:7], s[4:5]
	s_cbranch_execz .LBB2_328
.LBB2_327:
	v_and_b32_e32 v3, 7, v4
	v_ffbh_u32_e32 v7, v3
	v_min_u32_e32 v7, 32, v7
	v_lshrrev_b16_e32 v6, 3, v4
	v_subrev_u32_e32 v12, 28, v7
	v_and_b32_e32 v6, 15, v6
	v_lshlrev_b32_e32 v12, v12, v4
	v_sub_u32_e32 v7, 29, v7
	v_and_b32_e32 v12, 7, v12
	v_cmp_eq_u16_e32 vcc, 0, v6
	v_cndmask_b32_e32 v3, v3, v12, vcc
	v_cndmask_b32_e32 v6, v6, v7, vcc
	v_lshlrev_b32_e32 v7, 24, v4
	v_mov_b32_e32 v12, 0x3b800000
	v_lshlrev_b32_e32 v3, 20, v3
	v_and_b32_e32 v7, 0x80000000, v7
	v_lshl_add_u32 v6, v6, 23, v12
	v_or3_b32 v3, v7, v6, v3
.LBB2_328:
	s_or_b64 exec, exec, s[6:7]
	s_nop 0
	v_mfma_f32_16x16x4f32 a[0:3], v2, v3, a[0:3]
	v_lshrrev_b32_e32 v3, 8, v8
	s_movk_i32 s4, 0x7f
	v_cmp_gt_i16_sdwa s[6:7], v3, s4 src0_sel:BYTE_0 src1_sel:DWORD
	s_mov_b64 s[4:5], 0
                                        ; implicit-def: $sgpr10
	s_and_saveexec_b64 s[8:9], s[6:7]
	s_xor_b64 s[6:7], exec, s[8:9]
	s_cbranch_execz .LBB2_329
; %bb.36169:
	s_getpc_b64 s[14:15]
.Lpost_getpc21668:
	s_add_u32 s14, s14, (.LBB2_14665-.Lpost_getpc21668)&4294967295
	s_addc_u32 s15, s15, (.LBB2_14665-.Lpost_getpc21668)>>32
	s_setpc_b64 s[14:15]
.LBB2_329:
	s_or_saveexec_b64 s[6:7], s[6:7]
	v_mov_b32_e32 v2, s10
	s_xor_b64 exec, exec, s[6:7]
	s_cbranch_execz .LBB2_330
; %bb.36171:
	s_getpc_b64 s[14:15]
.Lpost_getpc21669:
	s_add_u32 s14, s14, (.LBB2_14668-.Lpost_getpc21669)&4294967295
	s_addc_u32 s15, s15, (.LBB2_14668-.Lpost_getpc21669)>>32
	s_setpc_b64 s[14:15]
.LBB2_330:
	s_or_b64 exec, exec, s[6:7]
	s_and_saveexec_b64 s[6:7], s[4:5]
	s_cbranch_execz .LBB2_332
.LBB2_331:
	v_bfe_u32 v2, v8, 8, 3
	v_ffbh_u32_e32 v7, v2
	v_min_u32_e32 v7, 32, v7
	v_lshrrev_b16_e32 v6, 3, v3
	v_subrev_u32_e32 v12, 28, v7
	v_and_b32_e32 v6, 15, v6
	v_lshlrev_b32_e32 v3, v12, v3
	v_sub_u32_e32 v7, 29, v7
	v_and_b32_e32 v3, 7, v3
	v_cmp_eq_u16_e32 vcc, 0, v6
	v_cndmask_b32_e32 v2, v2, v3, vcc
	v_cndmask_b32_e32 v3, v6, v7, vcc
	v_lshlrev_b32_e32 v6, 16, v8
	v_mov_b32_e32 v7, 0x3b800000
	v_lshlrev_b32_e32 v2, 20, v2
	v_and_b32_e32 v6, 0x80000000, v6
	v_lshl_add_u32 v3, v3, 23, v7
	v_or3_b32 v2, v6, v3, v2
.LBB2_332:
	s_or_b64 exec, exec, s[6:7]
	v_lshrrev_b32_e32 v3, 8, v4
	s_movk_i32 s4, 0x7f
	v_cmp_gt_i16_sdwa s[6:7], v3, s4 src0_sel:BYTE_0 src1_sel:DWORD
	s_mov_b64 s[4:5], 0
                                        ; implicit-def: $sgpr10
	s_and_saveexec_b64 s[8:9], s[6:7]
	s_xor_b64 s[6:7], exec, s[8:9]
	s_cbranch_execz .LBB2_333
; %bb.36173:
	s_getpc_b64 s[14:15]
.Lpost_getpc21670:
	s_add_u32 s14, s14, (.LBB2_14669-.Lpost_getpc21670)&4294967295
	s_addc_u32 s15, s15, (.LBB2_14669-.Lpost_getpc21670)>>32
	s_setpc_b64 s[14:15]
.LBB2_333:
	s_or_saveexec_b64 s[6:7], s[6:7]
	v_mov_b32_e32 v6, s10
	s_xor_b64 exec, exec, s[6:7]
	s_cbranch_execz .LBB2_334
; %bb.36175:
	s_getpc_b64 s[14:15]
.Lpost_getpc21671:
	s_add_u32 s14, s14, (.LBB2_14672-.Lpost_getpc21671)&4294967295
	s_addc_u32 s15, s15, (.LBB2_14672-.Lpost_getpc21671)>>32
	s_setpc_b64 s[14:15]
.LBB2_334:
	s_or_b64 exec, exec, s[6:7]
	s_and_saveexec_b64 s[6:7], s[4:5]
	s_cbranch_execz .LBB2_336
.LBB2_335:
	v_bfe_u32 v6, v4, 8, 3
	v_ffbh_u32_e32 v12, v6
	v_min_u32_e32 v12, 32, v12
	v_lshrrev_b16_e32 v7, 3, v3
	v_subrev_u32_e32 v13, 28, v12
	v_and_b32_e32 v7, 15, v7
	v_lshlrev_b32_e32 v3, v13, v3
	v_sub_u32_e32 v12, 29, v12
	v_and_b32_e32 v3, 7, v3
	v_cmp_eq_u16_e32 vcc, 0, v7
	v_cndmask_b32_e32 v3, v6, v3, vcc
	v_cndmask_b32_e32 v6, v7, v12, vcc
	v_lshlrev_b32_e32 v7, 16, v4
	v_mov_b32_e32 v12, 0x3b800000
	v_lshlrev_b32_e32 v3, 20, v3
	v_and_b32_e32 v7, 0x80000000, v7
	v_lshl_add_u32 v6, v6, 23, v12
	v_or3_b32 v6, v7, v6, v3
.LBB2_336:
	s_or_b64 exec, exec, s[6:7]
	s_nop 0
	v_mfma_f32_16x16x4f32 a[0:3], v2, v6, a[0:3]
	s_movk_i32 s4, 0xff
	v_and_b32_sdwa v3, v8, s4 dst_sel:DWORD dst_unused:UNUSED_PAD src0_sel:WORD_1 src1_sel:DWORD
	s_movk_i32 s4, 0x7f
	v_cmp_lt_i16_e32 vcc, s4, v3
	s_mov_b64 s[4:5], 0
                                        ; implicit-def: $sgpr10
	s_and_saveexec_b64 s[6:7], vcc
	s_xor_b64 s[6:7], exec, s[6:7]
	s_cbranch_execz .LBB2_337
; %bb.36177:
	s_getpc_b64 s[14:15]
.Lpost_getpc21672:
	s_add_u32 s14, s14, (.LBB2_14673-.Lpost_getpc21672)&4294967295
	s_addc_u32 s15, s15, (.LBB2_14673-.Lpost_getpc21672)>>32
	s_setpc_b64 s[14:15]
.LBB2_337:
	s_or_saveexec_b64 s[6:7], s[6:7]
	v_mov_b32_e32 v2, s10
	s_xor_b64 exec, exec, s[6:7]
	s_cbranch_execz .LBB2_338
; %bb.36179:
	s_getpc_b64 s[14:15]
.Lpost_getpc21673:
	s_add_u32 s14, s14, (.LBB2_14676-.Lpost_getpc21673)&4294967295
	s_addc_u32 s15, s15, (.LBB2_14676-.Lpost_getpc21673)>>32
	s_setpc_b64 s[14:15]
.LBB2_338:
	s_or_b64 exec, exec, s[6:7]
	s_and_saveexec_b64 s[6:7], s[4:5]
	s_cbranch_execz .LBB2_340
.LBB2_339:
	v_bfe_u32 v2, v8, 16, 3
	v_ffbh_u32_e32 v7, v2
	v_min_u32_e32 v7, 32, v7
	v_lshrrev_b32_e32 v3, 19, v8
	v_subrev_u32_e32 v12, 28, v7
	v_and_b32_e32 v3, 15, v3
	v_lshlrev_b32_sdwa v12, v12, v8 dst_sel:DWORD dst_unused:UNUSED_PAD src0_sel:DWORD src1_sel:WORD_1
	v_bfe_u32 v6, v8, 19, 4
	v_sub_u32_e32 v7, 29, v7
	v_and_b32_e32 v12, 7, v12
	v_cmp_eq_u16_e32 vcc, 0, v3
	v_cndmask_b32_e32 v2, v2, v12, vcc
	v_cndmask_b32_e32 v3, v6, v7, vcc
	v_lshlrev_b32_e32 v6, 8, v8
	v_mov_b32_e32 v7, 0x3b800000
	v_lshlrev_b32_e32 v2, 20, v2
	v_and_b32_e32 v6, 0x80000000, v6
	v_lshl_add_u32 v3, v3, 23, v7
	v_or3_b32 v2, v6, v3, v2
.LBB2_340:
	s_or_b64 exec, exec, s[6:7]
	s_movk_i32 s4, 0xff
	v_and_b32_sdwa v3, v4, s4 dst_sel:DWORD dst_unused:UNUSED_PAD src0_sel:WORD_1 src1_sel:DWORD
	s_movk_i32 s4, 0x7f
	v_cmp_lt_i16_e32 vcc, s4, v3
	s_mov_b64 s[4:5], 0
                                        ; implicit-def: $sgpr10
	s_and_saveexec_b64 s[6:7], vcc
	s_xor_b64 s[6:7], exec, s[6:7]
	s_cbranch_execz .LBB2_341
; %bb.36181:
	s_getpc_b64 s[14:15]
.Lpost_getpc21674:
	s_add_u32 s14, s14, (.LBB2_14677-.Lpost_getpc21674)&4294967295
	s_addc_u32 s15, s15, (.LBB2_14677-.Lpost_getpc21674)>>32
	s_setpc_b64 s[14:15]
.LBB2_341:
	s_or_saveexec_b64 s[6:7], s[6:7]
	v_mov_b32_e32 v6, s10
	s_xor_b64 exec, exec, s[6:7]
	s_cbranch_execz .LBB2_342
; %bb.36183:
	s_getpc_b64 s[14:15]
.Lpost_getpc21675:
	s_add_u32 s14, s14, (.LBB2_14680-.Lpost_getpc21675)&4294967295
	s_addc_u32 s15, s15, (.LBB2_14680-.Lpost_getpc21675)>>32
	s_setpc_b64 s[14:15]
.LBB2_342:
	s_or_b64 exec, exec, s[6:7]
	s_and_saveexec_b64 s[6:7], s[4:5]
	s_cbranch_execz .LBB2_344
.LBB2_343:
	v_bfe_u32 v3, v4, 16, 3
	v_ffbh_u32_e32 v12, v3
	v_min_u32_e32 v12, 32, v12
	v_lshrrev_b32_e32 v6, 19, v4
	v_subrev_u32_e32 v13, 28, v12
	v_and_b32_e32 v6, 15, v6
	v_lshlrev_b32_sdwa v13, v13, v4 dst_sel:DWORD dst_unused:UNUSED_PAD src0_sel:DWORD src1_sel:WORD_1
	v_bfe_u32 v7, v4, 19, 4
	v_sub_u32_e32 v12, 29, v12
	v_and_b32_e32 v13, 7, v13
	v_cmp_eq_u16_e32 vcc, 0, v6
	v_cndmask_b32_e32 v3, v3, v13, vcc
	v_cndmask_b32_e32 v6, v7, v12, vcc
	v_lshlrev_b32_e32 v7, 8, v4
	v_mov_b32_e32 v12, 0x3b800000
	v_lshlrev_b32_e32 v3, 20, v3
	v_and_b32_e32 v7, 0x80000000, v7
	v_lshl_add_u32 v6, v6, 23, v12
	v_or3_b32 v6, v7, v6, v3
.LBB2_344:
	s_or_b64 exec, exec, s[6:7]
	s_nop 0
	v_mfma_f32_16x16x4f32 a[0:3], v2, v6, a[0:3]
	s_movk_i32 s4, 0x7f
	v_cmp_gt_i16_sdwa s[6:7], v8, s4 src0_sel:BYTE_3 src1_sel:DWORD
	s_mov_b64 s[4:5], 0
                                        ; implicit-def: $sgpr10
	s_and_saveexec_b64 s[8:9], s[6:7]
	s_xor_b64 s[6:7], exec, s[8:9]
	s_cbranch_execz .LBB2_345
; %bb.36185:
	s_getpc_b64 s[14:15]
.Lpost_getpc21676:
	s_add_u32 s14, s14, (.LBB2_14681-.Lpost_getpc21676)&4294967295
	s_addc_u32 s15, s15, (.LBB2_14681-.Lpost_getpc21676)>>32
	s_setpc_b64 s[14:15]
.LBB2_345:
	s_or_saveexec_b64 s[6:7], s[6:7]
	v_mov_b32_e32 v2, s10
	s_xor_b64 exec, exec, s[6:7]
	s_cbranch_execz .LBB2_346
; %bb.36187:
	s_getpc_b64 s[14:15]
.Lpost_getpc21677:
	s_add_u32 s14, s14, (.LBB2_14684-.Lpost_getpc21677)&4294967295
	s_addc_u32 s15, s15, (.LBB2_14684-.Lpost_getpc21677)>>32
	s_setpc_b64 s[14:15]
.LBB2_346:
	s_or_b64 exec, exec, s[6:7]
	s_and_saveexec_b64 s[6:7], s[4:5]
	s_cbranch_execz .LBB2_348
.LBB2_347:
	v_bfe_u32 v2, v8, 24, 3
	v_ffbh_u32_e32 v12, v2
	v_min_u32_e32 v12, 32, v12
	v_lshrrev_b32_e32 v6, 27, v8
	v_subrev_u32_e32 v13, 28, v12
	v_and_b32_e32 v3, 0x80000000, v8
	v_and_b32_e32 v6, 15, v6
	v_bfe_u32 v7, v8, 27, 4
	v_lshlrev_b32_sdwa v8, v13, v8 dst_sel:DWORD dst_unused:UNUSED_PAD src0_sel:DWORD src1_sel:BYTE_3
	v_sub_u32_e32 v12, 29, v12
	v_and_b32_e32 v8, 7, v8
	v_cmp_eq_u16_e32 vcc, 0, v6
	v_cndmask_b32_e32 v2, v2, v8, vcc
	v_cndmask_b32_e32 v6, v7, v12, vcc
	v_mov_b32_e32 v7, 0x3b800000
	v_lshlrev_b32_e32 v2, 20, v2
	v_lshl_add_u32 v6, v6, 23, v7
	v_or3_b32 v2, v3, v6, v2
.LBB2_348:
	s_or_b64 exec, exec, s[6:7]
	s_movk_i32 s4, 0x7f
	v_cmp_gt_i16_sdwa s[6:7], v4, s4 src0_sel:BYTE_3 src1_sel:DWORD
	s_mov_b64 s[4:5], 0
                                        ; implicit-def: $sgpr10
	s_and_saveexec_b64 s[8:9], s[6:7]
	s_xor_b64 s[6:7], exec, s[8:9]
	s_cbranch_execz .LBB2_349
; %bb.36189:
	s_getpc_b64 s[14:15]
.Lpost_getpc21678:
	s_add_u32 s14, s14, (.LBB2_14685-.Lpost_getpc21678)&4294967295
	s_addc_u32 s15, s15, (.LBB2_14685-.Lpost_getpc21678)>>32
	s_setpc_b64 s[14:15]
.LBB2_349:
	s_or_saveexec_b64 s[6:7], s[6:7]
	v_mov_b32_e32 v3, s10
	s_xor_b64 exec, exec, s[6:7]
	s_cbranch_execz .LBB2_350
; %bb.36191:
	s_getpc_b64 s[14:15]
.Lpost_getpc21679:
	s_add_u32 s14, s14, (.LBB2_14688-.Lpost_getpc21679)&4294967295
	s_addc_u32 s15, s15, (.LBB2_14688-.Lpost_getpc21679)>>32
	s_setpc_b64 s[14:15]
.LBB2_350:
	s_or_b64 exec, exec, s[6:7]
	s_and_saveexec_b64 s[6:7], s[4:5]
	s_cbranch_execz .LBB2_352
.LBB2_351:
	v_bfe_u32 v3, v4, 24, 3
	v_ffbh_u32_e32 v12, v3
	v_min_u32_e32 v12, 32, v12
	v_lshrrev_b32_e32 v7, 27, v4
	v_subrev_u32_e32 v13, 28, v12
	v_and_b32_e32 v6, 0x80000000, v4
	v_and_b32_e32 v7, 15, v7
	v_bfe_u32 v8, v4, 27, 4
	v_lshlrev_b32_sdwa v4, v13, v4 dst_sel:DWORD dst_unused:UNUSED_PAD src0_sel:DWORD src1_sel:BYTE_3
	v_sub_u32_e32 v12, 29, v12
	v_and_b32_e32 v4, 7, v4
	v_cmp_eq_u16_e32 vcc, 0, v7
	v_cndmask_b32_e32 v3, v3, v4, vcc
	v_cndmask_b32_e32 v4, v8, v12, vcc
	v_mov_b32_e32 v7, 0x3b800000
	v_lshlrev_b32_e32 v3, 20, v3
	v_lshl_add_u32 v4, v4, 23, v7
	v_or3_b32 v3, v6, v4, v3
.LBB2_352:
	s_or_b64 exec, exec, s[6:7]
	s_nop 0
	v_mfma_f32_16x16x4f32 a[0:3], v2, v3, a[0:3]
	s_movk_i32 s4, 0x7f
	v_cmp_gt_i16_sdwa s[6:7], v9, s4 src0_sel:BYTE_0 src1_sel:DWORD
	s_mov_b64 s[4:5], 0
                                        ; implicit-def: $sgpr10
	s_and_saveexec_b64 s[8:9], s[6:7]
	s_xor_b64 s[6:7], exec, s[8:9]
	s_cbranch_execz .LBB2_353
; %bb.36193:
	s_getpc_b64 s[14:15]
.Lpost_getpc21680:
	s_add_u32 s14, s14, (.LBB2_14689-.Lpost_getpc21680)&4294967295
	s_addc_u32 s15, s15, (.LBB2_14689-.Lpost_getpc21680)>>32
	s_setpc_b64 s[14:15]
.LBB2_353:
	s_or_saveexec_b64 s[6:7], s[6:7]
	v_mov_b32_e32 v2, s10
	s_xor_b64 exec, exec, s[6:7]
	s_cbranch_execz .LBB2_354
; %bb.36195:
	s_getpc_b64 s[14:15]
.Lpost_getpc21681:
	s_add_u32 s14, s14, (.LBB2_14692-.Lpost_getpc21681)&4294967295
	s_addc_u32 s15, s15, (.LBB2_14692-.Lpost_getpc21681)>>32
	s_setpc_b64 s[14:15]
.LBB2_354:
	s_or_b64 exec, exec, s[6:7]
	s_and_saveexec_b64 s[6:7], s[4:5]
	s_cbranch_execz .LBB2_356
.LBB2_355:
	v_mov_b32_e32 v2, 8
	v_and_b32_e32 v3, 7, v9
	v_lshrrev_b32_sdwa v2, v2, v9 dst_sel:BYTE_1 dst_unused:UNUSED_PAD src0_sel:DWORD src1_sel:DWORD
	v_ffbh_u32_e32 v4, v3
	v_or_b32_sdwa v2, v9, v2 dst_sel:DWORD dst_unused:UNUSED_PAD src0_sel:BYTE_0 src1_sel:DWORD
	v_min_u32_e32 v4, 32, v4
	v_lshrrev_b16_e32 v2, 3, v2
	v_subrev_u32_e32 v6, 28, v4
	v_and_b32_e32 v2, 15, v2
	v_lshlrev_b32_e32 v6, v6, v9
	v_sub_u32_e32 v4, 29, v4
	v_and_b32_e32 v6, 7, v6
	v_cmp_eq_u16_e32 vcc, 0, v2
	v_cndmask_b32_e32 v3, v3, v6, vcc
	v_cndmask_b32_e32 v2, v2, v4, vcc
	v_lshlrev_b32_e32 v4, 24, v9
	v_mov_b32_e32 v6, 0x3b800000
	v_lshlrev_b32_e32 v3, 20, v3
	v_and_b32_e32 v4, 0x80000000, v4
	v_lshl_add_u32 v2, v2, 23, v6
	v_or3_b32 v2, v4, v2, v3
.LBB2_356:
	s_or_b64 exec, exec, s[6:7]
	s_movk_i32 s4, 0x7f
	v_cmp_gt_i16_sdwa s[6:7], v5, s4 src0_sel:BYTE_0 src1_sel:DWORD
	s_mov_b64 s[4:5], 0
                                        ; implicit-def: $sgpr10
	s_and_saveexec_b64 s[8:9], s[6:7]
	s_xor_b64 s[6:7], exec, s[8:9]
	s_cbranch_execz .LBB2_357
; %bb.36197:
	s_getpc_b64 s[14:15]
.Lpost_getpc21682:
	s_add_u32 s14, s14, (.LBB2_14693-.Lpost_getpc21682)&4294967295
	s_addc_u32 s15, s15, (.LBB2_14693-.Lpost_getpc21682)>>32
	s_setpc_b64 s[14:15]
.LBB2_357:
	s_or_saveexec_b64 s[6:7], s[6:7]
	v_mov_b32_e32 v3, s10
	s_xor_b64 exec, exec, s[6:7]
	s_cbranch_execz .LBB2_358
; %bb.36199:
	s_getpc_b64 s[14:15]
.Lpost_getpc21683:
	s_add_u32 s14, s14, (.LBB2_14696-.Lpost_getpc21683)&4294967295
	s_addc_u32 s15, s15, (.LBB2_14696-.Lpost_getpc21683)>>32
	s_setpc_b64 s[14:15]
.LBB2_358:
	s_or_b64 exec, exec, s[6:7]
	s_and_saveexec_b64 s[6:7], s[4:5]
	s_cbranch_execz .LBB2_360
.LBB2_359:
	v_mov_b32_e32 v3, 8
	v_and_b32_e32 v4, 7, v5
	v_lshrrev_b32_sdwa v3, v3, v5 dst_sel:BYTE_1 dst_unused:UNUSED_PAD src0_sel:DWORD src1_sel:DWORD
	v_ffbh_u32_e32 v6, v4
	v_or_b32_sdwa v3, v5, v3 dst_sel:DWORD dst_unused:UNUSED_PAD src0_sel:BYTE_0 src1_sel:DWORD
	v_min_u32_e32 v6, 32, v6
	v_lshrrev_b16_e32 v3, 3, v3
	v_subrev_u32_e32 v7, 28, v6
	v_and_b32_e32 v3, 15, v3
	v_lshlrev_b32_e32 v7, v7, v5
	v_sub_u32_e32 v6, 29, v6
	v_and_b32_e32 v7, 7, v7
	v_cmp_eq_u16_e32 vcc, 0, v3
	v_cndmask_b32_e32 v4, v4, v7, vcc
	v_cndmask_b32_e32 v3, v3, v6, vcc
	v_lshlrev_b32_e32 v6, 24, v5
	v_mov_b32_e32 v7, 0x3b800000
	v_lshlrev_b32_e32 v4, 20, v4
	v_and_b32_e32 v6, 0x80000000, v6
	v_lshl_add_u32 v3, v3, 23, v7
	v_or3_b32 v3, v6, v3, v4
.LBB2_360:
	s_or_b64 exec, exec, s[6:7]
	s_nop 0
	v_mfma_f32_16x16x4f32 a[0:3], v2, v3, a[0:3]
	v_lshrrev_b32_e32 v3, 8, v9
	s_movk_i32 s4, 0x7f
	v_cmp_gt_i16_sdwa s[6:7], v3, s4 src0_sel:BYTE_0 src1_sel:DWORD
	s_mov_b64 s[4:5], 0
                                        ; implicit-def: $sgpr10
	s_and_saveexec_b64 s[8:9], s[6:7]
	s_xor_b64 s[6:7], exec, s[8:9]
	s_cbranch_execz .LBB2_361
; %bb.36201:
	s_getpc_b64 s[14:15]
.Lpost_getpc21684:
	s_add_u32 s14, s14, (.LBB2_14697-.Lpost_getpc21684)&4294967295
	s_addc_u32 s15, s15, (.LBB2_14697-.Lpost_getpc21684)>>32
	s_setpc_b64 s[14:15]
.LBB2_361:
	s_or_saveexec_b64 s[6:7], s[6:7]
	v_mov_b32_e32 v2, s10
	s_xor_b64 exec, exec, s[6:7]
	s_cbranch_execz .LBB2_362
; %bb.36203:
	s_getpc_b64 s[14:15]
.Lpost_getpc21685:
	s_add_u32 s14, s14, (.LBB2_14700-.Lpost_getpc21685)&4294967295
	s_addc_u32 s15, s15, (.LBB2_14700-.Lpost_getpc21685)>>32
	s_setpc_b64 s[14:15]
.LBB2_362:
	s_or_b64 exec, exec, s[6:7]
	s_and_saveexec_b64 s[6:7], s[4:5]
	s_cbranch_execz .LBB2_364
.LBB2_363:
	v_bfe_u32 v2, v9, 8, 3
	v_ffbh_u32_e32 v6, v2
	v_min_u32_e32 v6, 32, v6
	v_lshrrev_b16_e32 v4, 3, v3
	v_subrev_u32_e32 v7, 28, v6
	v_and_b32_e32 v4, 15, v4
	v_lshlrev_b32_e32 v3, v7, v3
	v_sub_u32_e32 v6, 29, v6
	v_and_b32_e32 v3, 7, v3
	v_cmp_eq_u16_e32 vcc, 0, v4
	v_cndmask_b32_e32 v2, v2, v3, vcc
	v_cndmask_b32_e32 v3, v4, v6, vcc
	v_lshlrev_b32_e32 v4, 16, v9
	v_mov_b32_e32 v6, 0x3b800000
	v_lshlrev_b32_e32 v2, 20, v2
	v_and_b32_e32 v4, 0x80000000, v4
	v_lshl_add_u32 v3, v3, 23, v6
	v_or3_b32 v2, v4, v3, v2
.LBB2_364:
	s_or_b64 exec, exec, s[6:7]
	v_lshrrev_b32_e32 v3, 8, v5
	s_movk_i32 s4, 0x7f
	v_cmp_gt_i16_sdwa s[6:7], v3, s4 src0_sel:BYTE_0 src1_sel:DWORD
	s_mov_b64 s[4:5], 0
                                        ; implicit-def: $sgpr10
	s_and_saveexec_b64 s[8:9], s[6:7]
	s_xor_b64 s[6:7], exec, s[8:9]
	s_cbranch_execz .LBB2_365
; %bb.36205:
	s_getpc_b64 s[14:15]
.Lpost_getpc21686:
	s_add_u32 s14, s14, (.LBB2_14701-.Lpost_getpc21686)&4294967295
	s_addc_u32 s15, s15, (.LBB2_14701-.Lpost_getpc21686)>>32
	s_setpc_b64 s[14:15]
.LBB2_365:
	s_or_saveexec_b64 s[6:7], s[6:7]
	v_mov_b32_e32 v4, s10
	s_xor_b64 exec, exec, s[6:7]
	s_cbranch_execz .LBB2_366
; %bb.36207:
	s_getpc_b64 s[14:15]
.Lpost_getpc21687:
	s_add_u32 s14, s14, (.LBB2_14704-.Lpost_getpc21687)&4294967295
	s_addc_u32 s15, s15, (.LBB2_14704-.Lpost_getpc21687)>>32
	s_setpc_b64 s[14:15]
.LBB2_366:
	s_or_b64 exec, exec, s[6:7]
	s_and_saveexec_b64 s[6:7], s[4:5]
	s_cbranch_execz .LBB2_368
.LBB2_367:
	v_bfe_u32 v4, v5, 8, 3
	v_ffbh_u32_e32 v7, v4
	v_min_u32_e32 v7, 32, v7
	v_lshrrev_b16_e32 v6, 3, v3
	v_subrev_u32_e32 v8, 28, v7
	v_and_b32_e32 v6, 15, v6
	v_lshlrev_b32_e32 v3, v8, v3
	v_sub_u32_e32 v7, 29, v7
	v_and_b32_e32 v3, 7, v3
	v_cmp_eq_u16_e32 vcc, 0, v6
	v_cndmask_b32_e32 v3, v4, v3, vcc
	v_cndmask_b32_e32 v4, v6, v7, vcc
	v_lshlrev_b32_e32 v6, 16, v5
	v_mov_b32_e32 v7, 0x3b800000
	v_lshlrev_b32_e32 v3, 20, v3
	v_and_b32_e32 v6, 0x80000000, v6
	v_lshl_add_u32 v4, v4, 23, v7
	v_or3_b32 v4, v6, v4, v3
.LBB2_368:
	s_or_b64 exec, exec, s[6:7]
	s_nop 0
	v_mfma_f32_16x16x4f32 a[0:3], v2, v4, a[0:3]
	s_movk_i32 s4, 0xff
	v_and_b32_sdwa v3, v9, s4 dst_sel:DWORD dst_unused:UNUSED_PAD src0_sel:WORD_1 src1_sel:DWORD
	s_movk_i32 s4, 0x7f
	v_cmp_lt_i16_e32 vcc, s4, v3
	s_mov_b64 s[4:5], 0
                                        ; implicit-def: $sgpr10
	s_and_saveexec_b64 s[6:7], vcc
	s_xor_b64 s[6:7], exec, s[6:7]
	s_cbranch_execz .LBB2_369
; %bb.36209:
	s_getpc_b64 s[14:15]
.Lpost_getpc21688:
	s_add_u32 s14, s14, (.LBB2_14705-.Lpost_getpc21688)&4294967295
	s_addc_u32 s15, s15, (.LBB2_14705-.Lpost_getpc21688)>>32
	s_setpc_b64 s[14:15]
.LBB2_369:
	s_or_saveexec_b64 s[6:7], s[6:7]
	v_mov_b32_e32 v2, s10
	s_xor_b64 exec, exec, s[6:7]
	s_cbranch_execz .LBB2_370
; %bb.36211:
	s_getpc_b64 s[14:15]
.Lpost_getpc21689:
	s_add_u32 s14, s14, (.LBB2_14708-.Lpost_getpc21689)&4294967295
	s_addc_u32 s15, s15, (.LBB2_14708-.Lpost_getpc21689)>>32
	s_setpc_b64 s[14:15]
.LBB2_370:
	s_or_b64 exec, exec, s[6:7]
	s_and_saveexec_b64 s[6:7], s[4:5]
	s_cbranch_execz .LBB2_372
.LBB2_371:
	v_bfe_u32 v2, v9, 16, 3
	v_ffbh_u32_e32 v6, v2
	v_min_u32_e32 v6, 32, v6
	v_lshrrev_b32_e32 v3, 19, v9
	v_subrev_u32_e32 v7, 28, v6
	v_and_b32_e32 v3, 15, v3
	v_lshlrev_b32_sdwa v7, v7, v9 dst_sel:DWORD dst_unused:UNUSED_PAD src0_sel:DWORD src1_sel:WORD_1
	v_bfe_u32 v4, v9, 19, 4
	v_sub_u32_e32 v6, 29, v6
	v_and_b32_e32 v7, 7, v7
	v_cmp_eq_u16_e32 vcc, 0, v3
	v_cndmask_b32_e32 v2, v2, v7, vcc
	v_cndmask_b32_e32 v3, v4, v6, vcc
	v_lshlrev_b32_e32 v4, 8, v9
	v_mov_b32_e32 v6, 0x3b800000
	v_lshlrev_b32_e32 v2, 20, v2
	v_and_b32_e32 v4, 0x80000000, v4
	v_lshl_add_u32 v3, v3, 23, v6
	v_or3_b32 v2, v4, v3, v2
.LBB2_372:
	s_or_b64 exec, exec, s[6:7]
	s_movk_i32 s4, 0xff
	v_and_b32_sdwa v3, v5, s4 dst_sel:DWORD dst_unused:UNUSED_PAD src0_sel:WORD_1 src1_sel:DWORD
	s_movk_i32 s4, 0x7f
	v_cmp_lt_i16_e32 vcc, s4, v3
	s_mov_b64 s[4:5], 0
                                        ; implicit-def: $sgpr10
	s_and_saveexec_b64 s[6:7], vcc
	s_xor_b64 s[6:7], exec, s[6:7]
	s_cbranch_execz .LBB2_373
; %bb.36213:
	s_getpc_b64 s[14:15]
.Lpost_getpc21690:
	s_add_u32 s14, s14, (.LBB2_14709-.Lpost_getpc21690)&4294967295
	s_addc_u32 s15, s15, (.LBB2_14709-.Lpost_getpc21690)>>32
	s_setpc_b64 s[14:15]
.LBB2_373:
	s_or_saveexec_b64 s[6:7], s[6:7]
	v_mov_b32_e32 v4, s10
	s_xor_b64 exec, exec, s[6:7]
	s_cbranch_execz .LBB2_374
; %bb.36215:
	s_getpc_b64 s[14:15]
.Lpost_getpc21691:
	s_add_u32 s14, s14, (.LBB2_14712-.Lpost_getpc21691)&4294967295
	s_addc_u32 s15, s15, (.LBB2_14712-.Lpost_getpc21691)>>32
	s_setpc_b64 s[14:15]
.LBB2_374:
	s_or_b64 exec, exec, s[6:7]
	s_and_saveexec_b64 s[6:7], s[4:5]
	s_cbranch_execz .LBB2_376
.LBB2_375:
	v_bfe_u32 v3, v5, 16, 3
	v_ffbh_u32_e32 v7, v3
	v_min_u32_e32 v7, 32, v7
	v_lshrrev_b32_e32 v4, 19, v5
	v_subrev_u32_e32 v8, 28, v7
	v_and_b32_e32 v4, 15, v4
	v_lshlrev_b32_sdwa v8, v8, v5 dst_sel:DWORD dst_unused:UNUSED_PAD src0_sel:DWORD src1_sel:WORD_1
	v_bfe_u32 v6, v5, 19, 4
	v_sub_u32_e32 v7, 29, v7
	v_and_b32_e32 v8, 7, v8
	v_cmp_eq_u16_e32 vcc, 0, v4
	v_cndmask_b32_e32 v3, v3, v8, vcc
	v_cndmask_b32_e32 v4, v6, v7, vcc
	v_lshlrev_b32_e32 v6, 8, v5
	v_mov_b32_e32 v7, 0x3b800000
	v_lshlrev_b32_e32 v3, 20, v3
	v_and_b32_e32 v6, 0x80000000, v6
	v_lshl_add_u32 v4, v4, 23, v7
	v_or3_b32 v4, v6, v4, v3
.LBB2_376:
	s_or_b64 exec, exec, s[6:7]
	s_nop 0
	v_mfma_f32_16x16x4f32 a[0:3], v2, v4, a[0:3]
	s_movk_i32 s4, 0x7f
	v_cmp_gt_i16_sdwa s[6:7], v9, s4 src0_sel:BYTE_3 src1_sel:DWORD
	s_mov_b64 s[4:5], 0
                                        ; implicit-def: $sgpr10
	s_and_saveexec_b64 s[8:9], s[6:7]
	s_xor_b64 s[6:7], exec, s[8:9]
	s_cbranch_execz .LBB2_377
; %bb.36217:
	s_getpc_b64 s[14:15]
.Lpost_getpc21692:
	s_add_u32 s14, s14, (.LBB2_14713-.Lpost_getpc21692)&4294967295
	s_addc_u32 s15, s15, (.LBB2_14713-.Lpost_getpc21692)>>32
	s_setpc_b64 s[14:15]
.LBB2_377:
	s_or_saveexec_b64 s[6:7], s[6:7]
	v_mov_b32_e32 v2, s10
	s_xor_b64 exec, exec, s[6:7]
	s_cbranch_execz .LBB2_378
; %bb.36219:
	s_getpc_b64 s[14:15]
.Lpost_getpc21693:
	s_add_u32 s14, s14, (.LBB2_14716-.Lpost_getpc21693)&4294967295
	s_addc_u32 s15, s15, (.LBB2_14716-.Lpost_getpc21693)>>32
	s_setpc_b64 s[14:15]
.LBB2_378:
	s_or_b64 exec, exec, s[6:7]
	s_and_saveexec_b64 s[6:7], s[4:5]
	s_cbranch_execz .LBB2_380
.LBB2_379:
	v_bfe_u32 v2, v9, 24, 3
	v_ffbh_u32_e32 v7, v2
	v_min_u32_e32 v7, 32, v7
	v_lshrrev_b32_e32 v4, 27, v9
	v_subrev_u32_e32 v8, 28, v7
	v_and_b32_e32 v4, 15, v4
	v_lshlrev_b32_sdwa v8, v8, v9 dst_sel:DWORD dst_unused:UNUSED_PAD src0_sel:DWORD src1_sel:BYTE_3
	v_bfe_u32 v6, v9, 27, 4
	v_sub_u32_e32 v7, 29, v7
	v_and_b32_e32 v8, 7, v8
	v_cmp_eq_u16_e32 vcc, 0, v4
	v_cndmask_b32_e32 v2, v2, v8, vcc
	v_cndmask_b32_e32 v4, v6, v7, vcc
	v_mov_b32_e32 v6, 0x3b800000
	v_and_b32_e32 v3, 0x80000000, v9
	v_lshlrev_b32_e32 v2, 20, v2
	v_lshl_add_u32 v4, v4, 23, v6
	v_or3_b32 v2, v3, v4, v2
.LBB2_380:
	s_or_b64 exec, exec, s[6:7]
	s_movk_i32 s4, 0x7f
	v_cmp_gt_i16_sdwa s[6:7], v5, s4 src0_sel:BYTE_3 src1_sel:DWORD
	s_mov_b64 s[4:5], 0
                                        ; implicit-def: $sgpr10
	s_and_saveexec_b64 s[8:9], s[6:7]
	s_xor_b64 s[6:7], exec, s[8:9]
	s_cbranch_execz .LBB2_381
; %bb.36221:
	s_getpc_b64 s[14:15]
.Lpost_getpc21694:
	s_add_u32 s14, s14, (.LBB2_14717-.Lpost_getpc21694)&4294967295
	s_addc_u32 s15, s15, (.LBB2_14717-.Lpost_getpc21694)>>32
	s_setpc_b64 s[14:15]
.LBB2_381:
	s_or_saveexec_b64 s[6:7], s[6:7]
	v_mov_b32_e32 v3, s10
	s_xor_b64 exec, exec, s[6:7]
	s_cbranch_execz .LBB2_382
; %bb.36223:
	s_getpc_b64 s[14:15]
.Lpost_getpc21695:
	s_add_u32 s14, s14, (.LBB2_14720-.Lpost_getpc21695)&4294967295
	s_addc_u32 s15, s15, (.LBB2_14720-.Lpost_getpc21695)>>32
	s_setpc_b64 s[14:15]
.LBB2_382:
	s_or_b64 exec, exec, s[6:7]
	s_and_saveexec_b64 s[6:7], s[4:5]
	s_cbranch_execz .LBB2_384
.LBB2_383:
	v_bfe_u32 v3, v5, 24, 3
	v_ffbh_u32_e32 v8, v3
	v_min_u32_e32 v8, 32, v8
	v_lshrrev_b32_e32 v6, 27, v5
	v_subrev_u32_e32 v9, 28, v8
	v_and_b32_e32 v4, 0x80000000, v5
	v_and_b32_e32 v6, 15, v6
	v_bfe_u32 v7, v5, 27, 4
	v_lshlrev_b32_sdwa v5, v9, v5 dst_sel:DWORD dst_unused:UNUSED_PAD src0_sel:DWORD src1_sel:BYTE_3
	v_sub_u32_e32 v8, 29, v8
	v_and_b32_e32 v5, 7, v5
	v_cmp_eq_u16_e32 vcc, 0, v6
	v_cndmask_b32_e32 v3, v3, v5, vcc
	v_cndmask_b32_e32 v5, v7, v8, vcc
	v_mov_b32_e32 v6, 0x3b800000
	v_lshlrev_b32_e32 v3, 20, v3
	v_lshl_add_u32 v5, v5, 23, v6
	v_or3_b32 v3, v4, v5, v3
.LBB2_384:
	s_or_b64 exec, exec, s[6:7]
	s_nop 0
	v_mfma_f32_16x16x4f32 a[0:3], v2, v3, a[0:3]
	s_movk_i32 s4, 0x7f
                                        ; implicit-def: $sgpr10
	s_nop 7
	s_nop 1
	flat_store_dwordx4 v[10:11], a[0:3] offset:32
	flat_load_dwordx4 v[12:15], v[0:1]
	s_nop 0
	flat_load_dwordx2 v[10:11], v[0:1] offset:16
	s_waitcnt vmcnt(0) lgkmcnt(0)
	flat_load_dwordx4 v[6:9], v[12:13]
	flat_load_dwordx4 v[2:5], v[14:15] offset:48
	s_waitcnt vmcnt(0) lgkmcnt(0)
	v_cmp_gt_i16_sdwa s[6:7], v6, s4 src0_sel:BYTE_0 src1_sel:DWORD
	s_mov_b64 s[4:5], 0
	s_and_saveexec_b64 s[8:9], s[6:7]
	s_xor_b64 s[6:7], exec, s[8:9]
	s_cbranch_execz .LBB2_385
; %bb.36225:
	s_getpc_b64 s[14:15]
.Lpost_getpc21696:
	s_add_u32 s14, s14, (.LBB2_14721-.Lpost_getpc21696)&4294967295
	s_addc_u32 s15, s15, (.LBB2_14721-.Lpost_getpc21696)>>32
	s_setpc_b64 s[14:15]
.LBB2_385:
	s_or_saveexec_b64 s[6:7], s[6:7]
	v_mov_b32_e32 v12, s10
	s_xor_b64 exec, exec, s[6:7]
	s_cbranch_execz .LBB2_386
; %bb.36227:
	s_getpc_b64 s[14:15]
.Lpost_getpc21697:
	s_add_u32 s14, s14, (.LBB2_14724-.Lpost_getpc21697)&4294967295
	s_addc_u32 s15, s15, (.LBB2_14724-.Lpost_getpc21697)>>32
	s_setpc_b64 s[14:15]
.LBB2_386:
	s_or_b64 exec, exec, s[6:7]
	s_and_saveexec_b64 s[6:7], s[4:5]
	s_cbranch_execz .LBB2_388
.LBB2_387:
	v_and_b32_e32 v12, 7, v6
	v_ffbh_u32_e32 v14, v12
	v_min_u32_e32 v14, 32, v14
	v_lshrrev_b16_e32 v13, 3, v6
	v_subrev_u32_e32 v15, 28, v14
	v_and_b32_e32 v13, 15, v13
	v_lshlrev_b32_e32 v15, v15, v6
	v_sub_u32_e32 v14, 29, v14
	v_and_b32_e32 v15, 7, v15
	v_cmp_eq_u16_e32 vcc, 0, v13
	v_cndmask_b32_e32 v12, v12, v15, vcc
	v_cndmask_b32_e32 v13, v13, v14, vcc
	v_lshlrev_b32_e32 v14, 24, v6
	v_mov_b32_e32 v15, 0x3b800000
	v_lshlrev_b32_e32 v12, 20, v12
	v_and_b32_e32 v14, 0x80000000, v14
	v_lshl_add_u32 v13, v13, 23, v15
	v_or3_b32 v12, v14, v13, v12
.LBB2_388:
	s_or_b64 exec, exec, s[6:7]
	s_movk_i32 s4, 0x7f
	v_cmp_gt_i16_sdwa s[6:7], v2, s4 src0_sel:BYTE_0 src1_sel:DWORD
	s_mov_b64 s[4:5], 0
                                        ; implicit-def: $sgpr10
	s_and_saveexec_b64 s[8:9], s[6:7]
	s_xor_b64 s[6:7], exec, s[8:9]
	s_cbranch_execz .LBB2_389
; %bb.36229:
	s_getpc_b64 s[14:15]
.Lpost_getpc21698:
	s_add_u32 s14, s14, (.LBB2_14725-.Lpost_getpc21698)&4294967295
	s_addc_u32 s15, s15, (.LBB2_14725-.Lpost_getpc21698)>>32
	s_setpc_b64 s[14:15]
.LBB2_389:
	s_or_saveexec_b64 s[6:7], s[6:7]
	v_mov_b32_e32 v13, s10
	s_xor_b64 exec, exec, s[6:7]
	s_cbranch_execz .LBB2_390
; %bb.36231:
	s_getpc_b64 s[14:15]
.Lpost_getpc21699:
	s_add_u32 s14, s14, (.LBB2_14728-.Lpost_getpc21699)&4294967295
	s_addc_u32 s15, s15, (.LBB2_14728-.Lpost_getpc21699)>>32
	s_setpc_b64 s[14:15]
.LBB2_390:
	s_or_b64 exec, exec, s[6:7]
	s_and_saveexec_b64 s[6:7], s[4:5]
	s_cbranch_execz .LBB2_392
.LBB2_391:
	v_and_b32_e32 v13, 7, v2
	v_ffbh_u32_e32 v15, v13
	v_min_u32_e32 v15, 32, v15
	v_lshrrev_b16_e32 v14, 3, v2
	v_subrev_u32_e32 v16, 28, v15
	v_and_b32_e32 v14, 15, v14
	v_lshlrev_b32_e32 v16, v16, v2
	v_sub_u32_e32 v15, 29, v15
	v_and_b32_e32 v16, 7, v16
	v_cmp_eq_u16_e32 vcc, 0, v14
	v_cndmask_b32_e32 v13, v13, v16, vcc
	v_cndmask_b32_e32 v14, v14, v15, vcc
	v_lshlrev_b32_e32 v15, 24, v2
	v_mov_b32_e32 v16, 0x3b800000
	v_lshlrev_b32_e32 v13, 20, v13
	v_and_b32_e32 v15, 0x80000000, v15
	v_lshl_add_u32 v14, v14, 23, v16
	v_or3_b32 v13, v15, v14, v13
.LBB2_392:
	s_or_b64 exec, exec, s[6:7]
	flat_load_dwordx4 a[0:3], v[10:11] offset:48
	s_movk_i32 s4, 0x7f
                                        ; implicit-def: $sgpr10
	s_waitcnt vmcnt(0) lgkmcnt(0)
	v_mfma_f32_16x16x4f32 a[0:3], v12, v13, a[0:3]
	v_lshrrev_b32_e32 v13, 8, v6
	v_cmp_gt_i16_sdwa s[6:7], v13, s4 src0_sel:BYTE_0 src1_sel:DWORD
	s_mov_b64 s[4:5], 0
	s_and_saveexec_b64 s[8:9], s[6:7]
	s_xor_b64 s[6:7], exec, s[8:9]
	s_cbranch_execz .LBB2_393
; %bb.36233:
	s_getpc_b64 s[14:15]
.Lpost_getpc21700:
	s_add_u32 s14, s14, (.LBB2_14729-.Lpost_getpc21700)&4294967295
	s_addc_u32 s15, s15, (.LBB2_14729-.Lpost_getpc21700)>>32
	s_setpc_b64 s[14:15]
.LBB2_393:
	s_or_saveexec_b64 s[6:7], s[6:7]
	v_mov_b32_e32 v12, s10
	s_xor_b64 exec, exec, s[6:7]
	s_cbranch_execz .LBB2_394
; %bb.36235:
	s_getpc_b64 s[14:15]
.Lpost_getpc21701:
	s_add_u32 s14, s14, (.LBB2_14732-.Lpost_getpc21701)&4294967295
	s_addc_u32 s15, s15, (.LBB2_14732-.Lpost_getpc21701)>>32
	s_setpc_b64 s[14:15]
.LBB2_394:
	s_or_b64 exec, exec, s[6:7]
	s_and_saveexec_b64 s[6:7], s[4:5]
	s_cbranch_execz .LBB2_396
.LBB2_395:
	v_bfe_u32 v12, v6, 8, 3
	v_ffbh_u32_e32 v15, v12
	v_min_u32_e32 v15, 32, v15
	v_lshrrev_b16_e32 v14, 3, v13
	v_subrev_u32_e32 v16, 28, v15
	v_and_b32_e32 v14, 15, v14
	v_lshlrev_b32_e32 v13, v16, v13
	v_sub_u32_e32 v15, 29, v15
	v_and_b32_e32 v13, 7, v13
	v_cmp_eq_u16_e32 vcc, 0, v14
	v_cndmask_b32_e32 v12, v12, v13, vcc
	v_cndmask_b32_e32 v13, v14, v15, vcc
	v_lshlrev_b32_e32 v14, 16, v6
	v_mov_b32_e32 v15, 0x3b800000
	v_lshlrev_b32_e32 v12, 20, v12
	v_and_b32_e32 v14, 0x80000000, v14
	v_lshl_add_u32 v13, v13, 23, v15
	v_or3_b32 v12, v14, v13, v12
.LBB2_396:
	s_or_b64 exec, exec, s[6:7]
	v_lshrrev_b32_e32 v13, 8, v2
	s_movk_i32 s4, 0x7f
	v_cmp_gt_i16_sdwa s[6:7], v13, s4 src0_sel:BYTE_0 src1_sel:DWORD
	s_mov_b64 s[4:5], 0
                                        ; implicit-def: $sgpr10
	s_and_saveexec_b64 s[8:9], s[6:7]
	s_xor_b64 s[6:7], exec, s[8:9]
	s_cbranch_execz .LBB2_397
; %bb.36237:
	s_getpc_b64 s[14:15]
.Lpost_getpc21702:
	s_add_u32 s14, s14, (.LBB2_14733-.Lpost_getpc21702)&4294967295
	s_addc_u32 s15, s15, (.LBB2_14733-.Lpost_getpc21702)>>32
	s_setpc_b64 s[14:15]
.LBB2_397:
	s_or_saveexec_b64 s[6:7], s[6:7]
	v_mov_b32_e32 v14, s10
	s_xor_b64 exec, exec, s[6:7]
	s_cbranch_execz .LBB2_398
; %bb.36239:
	s_getpc_b64 s[14:15]
.Lpost_getpc21703:
	s_add_u32 s14, s14, (.LBB2_14736-.Lpost_getpc21703)&4294967295
	s_addc_u32 s15, s15, (.LBB2_14736-.Lpost_getpc21703)>>32
	s_setpc_b64 s[14:15]
.LBB2_398:
	s_or_b64 exec, exec, s[6:7]
	s_and_saveexec_b64 s[6:7], s[4:5]
	s_cbranch_execz .LBB2_400
.LBB2_399:
	v_bfe_u32 v14, v2, 8, 3
	v_ffbh_u32_e32 v16, v14
	v_min_u32_e32 v16, 32, v16
	v_lshrrev_b16_e32 v15, 3, v13
	v_subrev_u32_e32 v17, 28, v16
	v_and_b32_e32 v15, 15, v15
	v_lshlrev_b32_e32 v13, v17, v13
	v_sub_u32_e32 v16, 29, v16
	v_and_b32_e32 v13, 7, v13
	v_cmp_eq_u16_e32 vcc, 0, v15
	v_cndmask_b32_e32 v13, v14, v13, vcc
	v_cndmask_b32_e32 v14, v15, v16, vcc
	v_lshlrev_b32_e32 v15, 16, v2
	v_mov_b32_e32 v16, 0x3b800000
	v_lshlrev_b32_e32 v13, 20, v13
	v_and_b32_e32 v15, 0x80000000, v15
	v_lshl_add_u32 v14, v14, 23, v16
	v_or3_b32 v14, v15, v14, v13
.LBB2_400:
	s_or_b64 exec, exec, s[6:7]
	s_nop 0
	v_mfma_f32_16x16x4f32 a[0:3], v12, v14, a[0:3]
	s_movk_i32 s4, 0xff
	v_and_b32_sdwa v13, v6, s4 dst_sel:DWORD dst_unused:UNUSED_PAD src0_sel:WORD_1 src1_sel:DWORD
	s_movk_i32 s4, 0x7f
	v_cmp_lt_i16_e32 vcc, s4, v13
	s_mov_b64 s[4:5], 0
                                        ; implicit-def: $sgpr10
	s_and_saveexec_b64 s[6:7], vcc
	s_xor_b64 s[6:7], exec, s[6:7]
	s_cbranch_execz .LBB2_401
; %bb.36241:
	s_getpc_b64 s[14:15]
.Lpost_getpc21704:
	s_add_u32 s14, s14, (.LBB2_14737-.Lpost_getpc21704)&4294967295
	s_addc_u32 s15, s15, (.LBB2_14737-.Lpost_getpc21704)>>32
	s_setpc_b64 s[14:15]
.LBB2_401:
	s_or_saveexec_b64 s[6:7], s[6:7]
	v_mov_b32_e32 v12, s10
	s_xor_b64 exec, exec, s[6:7]
	s_cbranch_execz .LBB2_402
; %bb.36243:
	s_getpc_b64 s[14:15]
.Lpost_getpc21705:
	s_add_u32 s14, s14, (.LBB2_14740-.Lpost_getpc21705)&4294967295
	s_addc_u32 s15, s15, (.LBB2_14740-.Lpost_getpc21705)>>32
	s_setpc_b64 s[14:15]
.LBB2_402:
	s_or_b64 exec, exec, s[6:7]
	s_and_saveexec_b64 s[6:7], s[4:5]
	s_cbranch_execz .LBB2_404
.LBB2_403:
	v_bfe_u32 v12, v6, 16, 3
	v_ffbh_u32_e32 v15, v12
	v_min_u32_e32 v15, 32, v15
	v_lshrrev_b32_e32 v13, 19, v6
	v_subrev_u32_e32 v16, 28, v15
	v_and_b32_e32 v13, 15, v13
	v_lshlrev_b32_sdwa v16, v16, v6 dst_sel:DWORD dst_unused:UNUSED_PAD src0_sel:DWORD src1_sel:WORD_1
	v_bfe_u32 v14, v6, 19, 4
	v_sub_u32_e32 v15, 29, v15
	v_and_b32_e32 v16, 7, v16
	v_cmp_eq_u16_e32 vcc, 0, v13
	v_cndmask_b32_e32 v12, v12, v16, vcc
	v_cndmask_b32_e32 v13, v14, v15, vcc
	v_lshlrev_b32_e32 v14, 8, v6
	v_mov_b32_e32 v15, 0x3b800000
	v_lshlrev_b32_e32 v12, 20, v12
	v_and_b32_e32 v14, 0x80000000, v14
	v_lshl_add_u32 v13, v13, 23, v15
	v_or3_b32 v12, v14, v13, v12
.LBB2_404:
	s_or_b64 exec, exec, s[6:7]
	s_movk_i32 s4, 0xff
	v_and_b32_sdwa v13, v2, s4 dst_sel:DWORD dst_unused:UNUSED_PAD src0_sel:WORD_1 src1_sel:DWORD
	s_movk_i32 s4, 0x7f
	v_cmp_lt_i16_e32 vcc, s4, v13
	s_mov_b64 s[4:5], 0
                                        ; implicit-def: $sgpr10
	s_and_saveexec_b64 s[6:7], vcc
	s_xor_b64 s[6:7], exec, s[6:7]
	s_cbranch_execz .LBB2_405
; %bb.36245:
	s_getpc_b64 s[14:15]
.Lpost_getpc21706:
	s_add_u32 s14, s14, (.LBB2_14741-.Lpost_getpc21706)&4294967295
	s_addc_u32 s15, s15, (.LBB2_14741-.Lpost_getpc21706)>>32
	s_setpc_b64 s[14:15]
.LBB2_405:
	s_or_saveexec_b64 s[6:7], s[6:7]
	v_mov_b32_e32 v14, s10
	s_xor_b64 exec, exec, s[6:7]
	s_cbranch_execz .LBB2_406
; %bb.36247:
	s_getpc_b64 s[14:15]
.Lpost_getpc21707:
	s_add_u32 s14, s14, (.LBB2_14744-.Lpost_getpc21707)&4294967295
	s_addc_u32 s15, s15, (.LBB2_14744-.Lpost_getpc21707)>>32
	s_setpc_b64 s[14:15]
.LBB2_406:
	s_or_b64 exec, exec, s[6:7]
	s_and_saveexec_b64 s[6:7], s[4:5]
	s_cbranch_execz .LBB2_408
.LBB2_407:
	v_bfe_u32 v13, v2, 16, 3
	v_ffbh_u32_e32 v16, v13
	v_min_u32_e32 v16, 32, v16
	v_lshrrev_b32_e32 v14, 19, v2
	v_subrev_u32_e32 v17, 28, v16
	v_and_b32_e32 v14, 15, v14
	v_lshlrev_b32_sdwa v17, v17, v2 dst_sel:DWORD dst_unused:UNUSED_PAD src0_sel:DWORD src1_sel:WORD_1
	v_bfe_u32 v15, v2, 19, 4
	v_sub_u32_e32 v16, 29, v16
	v_and_b32_e32 v17, 7, v17
	v_cmp_eq_u16_e32 vcc, 0, v14
	v_cndmask_b32_e32 v13, v13, v17, vcc
	v_cndmask_b32_e32 v14, v15, v16, vcc
	v_lshlrev_b32_e32 v15, 8, v2
	v_mov_b32_e32 v16, 0x3b800000
	v_lshlrev_b32_e32 v13, 20, v13
	v_and_b32_e32 v15, 0x80000000, v15
	v_lshl_add_u32 v14, v14, 23, v16
	v_or3_b32 v14, v15, v14, v13
.LBB2_408:
	s_or_b64 exec, exec, s[6:7]
	s_nop 0
	v_mfma_f32_16x16x4f32 a[0:3], v12, v14, a[0:3]
	s_movk_i32 s4, 0x7f
	v_cmp_gt_i16_sdwa s[6:7], v6, s4 src0_sel:BYTE_3 src1_sel:DWORD
	s_mov_b64 s[4:5], 0
                                        ; implicit-def: $sgpr10
	s_and_saveexec_b64 s[8:9], s[6:7]
	s_xor_b64 s[6:7], exec, s[8:9]
	s_cbranch_execz .LBB2_409
; %bb.36249:
	s_getpc_b64 s[14:15]
.Lpost_getpc21708:
	s_add_u32 s14, s14, (.LBB2_14745-.Lpost_getpc21708)&4294967295
	s_addc_u32 s15, s15, (.LBB2_14745-.Lpost_getpc21708)>>32
	s_setpc_b64 s[14:15]
.LBB2_409:
	s_or_saveexec_b64 s[6:7], s[6:7]
	v_mov_b32_e32 v12, s10
	s_xor_b64 exec, exec, s[6:7]
	s_cbranch_execz .LBB2_410
; %bb.36251:
	s_getpc_b64 s[14:15]
.Lpost_getpc21709:
	s_add_u32 s14, s14, (.LBB2_14748-.Lpost_getpc21709)&4294967295
	s_addc_u32 s15, s15, (.LBB2_14748-.Lpost_getpc21709)>>32
	s_setpc_b64 s[14:15]
.LBB2_410:
	s_or_b64 exec, exec, s[6:7]
	s_and_saveexec_b64 s[6:7], s[4:5]
	s_cbranch_execz .LBB2_412
.LBB2_411:
	v_bfe_u32 v12, v6, 24, 3
	v_ffbh_u32_e32 v16, v12
	v_min_u32_e32 v16, 32, v16
	v_lshrrev_b32_e32 v14, 27, v6
	v_subrev_u32_e32 v17, 28, v16
	v_and_b32_e32 v13, 0x80000000, v6
	v_and_b32_e32 v14, 15, v14
	v_bfe_u32 v15, v6, 27, 4
	v_lshlrev_b32_sdwa v6, v17, v6 dst_sel:DWORD dst_unused:UNUSED_PAD src0_sel:DWORD src1_sel:BYTE_3
	v_sub_u32_e32 v16, 29, v16
	v_and_b32_e32 v6, 7, v6
	v_cmp_eq_u16_e32 vcc, 0, v14
	v_cndmask_b32_e32 v6, v12, v6, vcc
	v_cndmask_b32_e32 v12, v15, v16, vcc
	v_mov_b32_e32 v14, 0x3b800000
	v_lshlrev_b32_e32 v6, 20, v6
	v_lshl_add_u32 v12, v12, 23, v14
	v_or3_b32 v12, v13, v12, v6
.LBB2_412:
	s_or_b64 exec, exec, s[6:7]
	s_movk_i32 s4, 0x7f
	v_cmp_gt_i16_sdwa s[6:7], v2, s4 src0_sel:BYTE_3 src1_sel:DWORD
	s_mov_b64 s[4:5], 0
                                        ; implicit-def: $sgpr10
	s_and_saveexec_b64 s[8:9], s[6:7]
	s_xor_b64 s[6:7], exec, s[8:9]
	s_cbranch_execz .LBB2_413
; %bb.36253:
	s_getpc_b64 s[14:15]
.Lpost_getpc21710:
	s_add_u32 s14, s14, (.LBB2_14749-.Lpost_getpc21710)&4294967295
	s_addc_u32 s15, s15, (.LBB2_14749-.Lpost_getpc21710)>>32
	s_setpc_b64 s[14:15]
.LBB2_413:
	s_or_saveexec_b64 s[6:7], s[6:7]
	v_mov_b32_e32 v6, s10
	s_xor_b64 exec, exec, s[6:7]
	s_cbranch_execz .LBB2_414
; %bb.36255:
	s_getpc_b64 s[14:15]
.Lpost_getpc21711:
	s_add_u32 s14, s14, (.LBB2_14752-.Lpost_getpc21711)&4294967295
	s_addc_u32 s15, s15, (.LBB2_14752-.Lpost_getpc21711)>>32
	s_setpc_b64 s[14:15]
.LBB2_414:
	s_or_b64 exec, exec, s[6:7]
	s_and_saveexec_b64 s[6:7], s[4:5]
	s_cbranch_execz .LBB2_416
.LBB2_415:
	v_bfe_u32 v6, v2, 24, 3
	v_ffbh_u32_e32 v16, v6
	v_min_u32_e32 v16, 32, v16
	v_lshrrev_b32_e32 v14, 27, v2
	v_subrev_u32_e32 v17, 28, v16
	v_and_b32_e32 v13, 0x80000000, v2
	v_and_b32_e32 v14, 15, v14
	v_bfe_u32 v15, v2, 27, 4
	v_lshlrev_b32_sdwa v2, v17, v2 dst_sel:DWORD dst_unused:UNUSED_PAD src0_sel:DWORD src1_sel:BYTE_3
	v_sub_u32_e32 v16, 29, v16
	v_and_b32_e32 v2, 7, v2
	v_cmp_eq_u16_e32 vcc, 0, v14
	v_cndmask_b32_e32 v2, v6, v2, vcc
	v_cndmask_b32_e32 v6, v15, v16, vcc
	v_mov_b32_e32 v14, 0x3b800000
	v_lshlrev_b32_e32 v2, 20, v2
	v_lshl_add_u32 v6, v6, 23, v14
	v_or3_b32 v6, v13, v6, v2
.LBB2_416:
	s_or_b64 exec, exec, s[6:7]
	s_nop 0
	v_mfma_f32_16x16x4f32 a[0:3], v12, v6, a[0:3]
	s_movk_i32 s4, 0x7f
	v_cmp_gt_i16_sdwa s[6:7], v7, s4 src0_sel:BYTE_0 src1_sel:DWORD
	s_mov_b64 s[4:5], 0
                                        ; implicit-def: $sgpr10
	s_and_saveexec_b64 s[8:9], s[6:7]
	s_xor_b64 s[6:7], exec, s[8:9]
	s_cbranch_execz .LBB2_417
; %bb.36257:
	s_getpc_b64 s[14:15]
.Lpost_getpc21712:
	s_add_u32 s14, s14, (.LBB2_14753-.Lpost_getpc21712)&4294967295
	s_addc_u32 s15, s15, (.LBB2_14753-.Lpost_getpc21712)>>32
	s_setpc_b64 s[14:15]
.LBB2_417:
	s_or_saveexec_b64 s[6:7], s[6:7]
	v_mov_b32_e32 v2, s10
	s_xor_b64 exec, exec, s[6:7]
	s_cbranch_execz .LBB2_418
; %bb.36259:
	s_getpc_b64 s[14:15]
.Lpost_getpc21713:
	s_add_u32 s14, s14, (.LBB2_14756-.Lpost_getpc21713)&4294967295
	s_addc_u32 s15, s15, (.LBB2_14756-.Lpost_getpc21713)>>32
	s_setpc_b64 s[14:15]
.LBB2_418:
	s_or_b64 exec, exec, s[6:7]
	s_and_saveexec_b64 s[6:7], s[4:5]
	s_cbranch_execz .LBB2_420
.LBB2_419:
	v_and_b32_e32 v2, 7, v7
	v_ffbh_u32_e32 v12, v2
	v_min_u32_e32 v12, 32, v12
	v_lshrrev_b16_e32 v6, 3, v7
	v_subrev_u32_e32 v13, 28, v12
	v_and_b32_e32 v6, 15, v6
	v_lshlrev_b32_e32 v13, v13, v7
	v_sub_u32_e32 v12, 29, v12
	v_and_b32_e32 v13, 7, v13
	v_cmp_eq_u16_e32 vcc, 0, v6
	v_cndmask_b32_e32 v2, v2, v13, vcc
	v_cndmask_b32_e32 v6, v6, v12, vcc
	v_lshlrev_b32_e32 v12, 24, v7
	v_mov_b32_e32 v13, 0x3b800000
	v_lshlrev_b32_e32 v2, 20, v2
	v_and_b32_e32 v12, 0x80000000, v12
	v_lshl_add_u32 v6, v6, 23, v13
	v_or3_b32 v2, v12, v6, v2
.LBB2_420:
	s_or_b64 exec, exec, s[6:7]
	s_movk_i32 s4, 0x7f
	v_cmp_gt_i16_sdwa s[6:7], v3, s4 src0_sel:BYTE_0 src1_sel:DWORD
	s_mov_b64 s[4:5], 0
                                        ; implicit-def: $sgpr10
	s_and_saveexec_b64 s[8:9], s[6:7]
	s_xor_b64 s[6:7], exec, s[8:9]
	s_cbranch_execz .LBB2_421
; %bb.36261:
	s_getpc_b64 s[14:15]
.Lpost_getpc21714:
	s_add_u32 s14, s14, (.LBB2_14757-.Lpost_getpc21714)&4294967295
	s_addc_u32 s15, s15, (.LBB2_14757-.Lpost_getpc21714)>>32
	s_setpc_b64 s[14:15]
.LBB2_421:
	s_or_saveexec_b64 s[6:7], s[6:7]
	v_mov_b32_e32 v6, s10
	s_xor_b64 exec, exec, s[6:7]
	s_cbranch_execz .LBB2_422
; %bb.36263:
	s_getpc_b64 s[14:15]
.Lpost_getpc21715:
	s_add_u32 s14, s14, (.LBB2_14760-.Lpost_getpc21715)&4294967295
	s_addc_u32 s15, s15, (.LBB2_14760-.Lpost_getpc21715)>>32
	s_setpc_b64 s[14:15]
.LBB2_422:
	s_or_b64 exec, exec, s[6:7]
	s_and_saveexec_b64 s[6:7], s[4:5]
	s_cbranch_execz .LBB2_424
.LBB2_423:
	v_and_b32_e32 v6, 7, v3
	v_ffbh_u32_e32 v13, v6
	v_min_u32_e32 v13, 32, v13
	v_lshrrev_b16_e32 v12, 3, v3
	v_subrev_u32_e32 v14, 28, v13
	v_and_b32_e32 v12, 15, v12
	v_lshlrev_b32_e32 v14, v14, v3
	v_sub_u32_e32 v13, 29, v13
	v_and_b32_e32 v14, 7, v14
	v_cmp_eq_u16_e32 vcc, 0, v12
	v_cndmask_b32_e32 v6, v6, v14, vcc
	v_cndmask_b32_e32 v12, v12, v13, vcc
	v_lshlrev_b32_e32 v13, 24, v3
	v_mov_b32_e32 v14, 0x3b800000
	v_lshlrev_b32_e32 v6, 20, v6
	v_and_b32_e32 v13, 0x80000000, v13
	v_lshl_add_u32 v12, v12, 23, v14
	v_or3_b32 v6, v13, v12, v6
.LBB2_424:
	s_or_b64 exec, exec, s[6:7]
	s_nop 0
	v_mfma_f32_16x16x4f32 a[0:3], v2, v6, a[0:3]
	v_lshrrev_b32_e32 v6, 8, v7
	s_movk_i32 s4, 0x7f
	v_cmp_gt_i16_sdwa s[6:7], v6, s4 src0_sel:BYTE_0 src1_sel:DWORD
	s_mov_b64 s[4:5], 0
                                        ; implicit-def: $sgpr10
	s_and_saveexec_b64 s[8:9], s[6:7]
	s_xor_b64 s[6:7], exec, s[8:9]
	s_cbranch_execz .LBB2_425
; %bb.36265:
	s_getpc_b64 s[14:15]
.Lpost_getpc21716:
	s_add_u32 s14, s14, (.LBB2_14761-.Lpost_getpc21716)&4294967295
	s_addc_u32 s15, s15, (.LBB2_14761-.Lpost_getpc21716)>>32
	s_setpc_b64 s[14:15]
.LBB2_425:
	s_or_saveexec_b64 s[6:7], s[6:7]
	v_mov_b32_e32 v2, s10
	s_xor_b64 exec, exec, s[6:7]
	s_cbranch_execz .LBB2_426
; %bb.36267:
	s_getpc_b64 s[14:15]
.Lpost_getpc21717:
	s_add_u32 s14, s14, (.LBB2_14764-.Lpost_getpc21717)&4294967295
	s_addc_u32 s15, s15, (.LBB2_14764-.Lpost_getpc21717)>>32
	s_setpc_b64 s[14:15]
.LBB2_426:
	s_or_b64 exec, exec, s[6:7]
	s_and_saveexec_b64 s[6:7], s[4:5]
	s_cbranch_execz .LBB2_428
.LBB2_427:
	v_bfe_u32 v2, v7, 8, 3
	v_ffbh_u32_e32 v13, v2
	v_min_u32_e32 v13, 32, v13
	v_lshrrev_b16_e32 v12, 3, v6
	v_subrev_u32_e32 v14, 28, v13
	v_and_b32_e32 v12, 15, v12
	v_lshlrev_b32_e32 v6, v14, v6
	v_sub_u32_e32 v13, 29, v13
	v_and_b32_e32 v6, 7, v6
	v_cmp_eq_u16_e32 vcc, 0, v12
	v_cndmask_b32_e32 v2, v2, v6, vcc
	v_cndmask_b32_e32 v6, v12, v13, vcc
	v_lshlrev_b32_e32 v12, 16, v7
	v_mov_b32_e32 v13, 0x3b800000
	v_lshlrev_b32_e32 v2, 20, v2
	v_and_b32_e32 v12, 0x80000000, v12
	v_lshl_add_u32 v6, v6, 23, v13
	v_or3_b32 v2, v12, v6, v2
.LBB2_428:
	s_or_b64 exec, exec, s[6:7]
	v_lshrrev_b32_e32 v6, 8, v3
	s_movk_i32 s4, 0x7f
	v_cmp_gt_i16_sdwa s[6:7], v6, s4 src0_sel:BYTE_0 src1_sel:DWORD
	s_mov_b64 s[4:5], 0
                                        ; implicit-def: $sgpr10
	s_and_saveexec_b64 s[8:9], s[6:7]
	s_xor_b64 s[6:7], exec, s[8:9]
	s_cbranch_execz .LBB2_429
; %bb.36269:
	s_getpc_b64 s[14:15]
.Lpost_getpc21718:
	s_add_u32 s14, s14, (.LBB2_14765-.Lpost_getpc21718)&4294967295
	s_addc_u32 s15, s15, (.LBB2_14765-.Lpost_getpc21718)>>32
	s_setpc_b64 s[14:15]
.LBB2_429:
	s_or_saveexec_b64 s[6:7], s[6:7]
	v_mov_b32_e32 v12, s10
	s_xor_b64 exec, exec, s[6:7]
	s_cbranch_execz .LBB2_430
; %bb.36271:
	s_getpc_b64 s[14:15]
.Lpost_getpc21719:
	s_add_u32 s14, s14, (.LBB2_14768-.Lpost_getpc21719)&4294967295
	s_addc_u32 s15, s15, (.LBB2_14768-.Lpost_getpc21719)>>32
	s_setpc_b64 s[14:15]
.LBB2_430:
	s_or_b64 exec, exec, s[6:7]
	s_and_saveexec_b64 s[6:7], s[4:5]
	s_cbranch_execz .LBB2_432
.LBB2_431:
	v_bfe_u32 v12, v3, 8, 3
	v_ffbh_u32_e32 v14, v12
	v_min_u32_e32 v14, 32, v14
	v_lshrrev_b16_e32 v13, 3, v6
	v_subrev_u32_e32 v15, 28, v14
	v_and_b32_e32 v13, 15, v13
	v_lshlrev_b32_e32 v6, v15, v6
	v_sub_u32_e32 v14, 29, v14
	v_and_b32_e32 v6, 7, v6
	v_cmp_eq_u16_e32 vcc, 0, v13
	v_cndmask_b32_e32 v6, v12, v6, vcc
	v_cndmask_b32_e32 v12, v13, v14, vcc
	v_lshlrev_b32_e32 v13, 16, v3
	v_mov_b32_e32 v14, 0x3b800000
	v_lshlrev_b32_e32 v6, 20, v6
	v_and_b32_e32 v13, 0x80000000, v13
	v_lshl_add_u32 v12, v12, 23, v14
	v_or3_b32 v12, v13, v12, v6
.LBB2_432:
	s_or_b64 exec, exec, s[6:7]
	s_nop 0
	v_mfma_f32_16x16x4f32 a[0:3], v2, v12, a[0:3]
	s_movk_i32 s4, 0xff
	v_and_b32_sdwa v6, v7, s4 dst_sel:DWORD dst_unused:UNUSED_PAD src0_sel:WORD_1 src1_sel:DWORD
	s_movk_i32 s4, 0x7f
	v_cmp_lt_i16_e32 vcc, s4, v6
	s_mov_b64 s[4:5], 0
                                        ; implicit-def: $sgpr10
	s_and_saveexec_b64 s[6:7], vcc
	s_xor_b64 s[6:7], exec, s[6:7]
	s_cbranch_execz .LBB2_433
; %bb.36273:
	s_getpc_b64 s[14:15]
.Lpost_getpc21720:
	s_add_u32 s14, s14, (.LBB2_14769-.Lpost_getpc21720)&4294967295
	s_addc_u32 s15, s15, (.LBB2_14769-.Lpost_getpc21720)>>32
	s_setpc_b64 s[14:15]
.LBB2_433:
	s_or_saveexec_b64 s[6:7], s[6:7]
	v_mov_b32_e32 v2, s10
	s_xor_b64 exec, exec, s[6:7]
	s_cbranch_execz .LBB2_434
; %bb.36275:
	s_getpc_b64 s[14:15]
.Lpost_getpc21721:
	s_add_u32 s14, s14, (.LBB2_14772-.Lpost_getpc21721)&4294967295
	s_addc_u32 s15, s15, (.LBB2_14772-.Lpost_getpc21721)>>32
	s_setpc_b64 s[14:15]
.LBB2_434:
	s_or_b64 exec, exec, s[6:7]
	s_and_saveexec_b64 s[6:7], s[4:5]
	s_cbranch_execz .LBB2_436
.LBB2_435:
	v_bfe_u32 v2, v7, 16, 3
	v_ffbh_u32_e32 v13, v2
	v_min_u32_e32 v13, 32, v13
	v_lshrrev_b32_e32 v6, 19, v7
	v_subrev_u32_e32 v14, 28, v13
	v_and_b32_e32 v6, 15, v6
	v_lshlrev_b32_sdwa v14, v14, v7 dst_sel:DWORD dst_unused:UNUSED_PAD src0_sel:DWORD src1_sel:WORD_1
	v_bfe_u32 v12, v7, 19, 4
	v_sub_u32_e32 v13, 29, v13
	v_and_b32_e32 v14, 7, v14
	v_cmp_eq_u16_e32 vcc, 0, v6
	v_cndmask_b32_e32 v2, v2, v14, vcc
	v_cndmask_b32_e32 v6, v12, v13, vcc
	v_lshlrev_b32_e32 v12, 8, v7
	v_mov_b32_e32 v13, 0x3b800000
	v_lshlrev_b32_e32 v2, 20, v2
	v_and_b32_e32 v12, 0x80000000, v12
	v_lshl_add_u32 v6, v6, 23, v13
	v_or3_b32 v2, v12, v6, v2
.LBB2_436:
	s_or_b64 exec, exec, s[6:7]
	s_movk_i32 s4, 0xff
	v_and_b32_sdwa v6, v3, s4 dst_sel:DWORD dst_unused:UNUSED_PAD src0_sel:WORD_1 src1_sel:DWORD
	s_movk_i32 s4, 0x7f
	v_cmp_lt_i16_e32 vcc, s4, v6
	s_mov_b64 s[4:5], 0
                                        ; implicit-def: $sgpr10
	s_and_saveexec_b64 s[6:7], vcc
	s_xor_b64 s[6:7], exec, s[6:7]
	s_cbranch_execz .LBB2_437
; %bb.36277:
	s_getpc_b64 s[14:15]
.Lpost_getpc21722:
	s_add_u32 s14, s14, (.LBB2_14773-.Lpost_getpc21722)&4294967295
	s_addc_u32 s15, s15, (.LBB2_14773-.Lpost_getpc21722)>>32
	s_setpc_b64 s[14:15]
.LBB2_437:
	s_or_saveexec_b64 s[6:7], s[6:7]
	v_mov_b32_e32 v12, s10
	s_xor_b64 exec, exec, s[6:7]
	s_cbranch_execz .LBB2_438
; %bb.36279:
	s_getpc_b64 s[14:15]
.Lpost_getpc21723:
	s_add_u32 s14, s14, (.LBB2_14776-.Lpost_getpc21723)&4294967295
	s_addc_u32 s15, s15, (.LBB2_14776-.Lpost_getpc21723)>>32
	s_setpc_b64 s[14:15]
.LBB2_438:
	s_or_b64 exec, exec, s[6:7]
	s_and_saveexec_b64 s[6:7], s[4:5]
	s_cbranch_execz .LBB2_440
.LBB2_439:
	v_bfe_u32 v6, v3, 16, 3
	v_ffbh_u32_e32 v14, v6
	v_min_u32_e32 v14, 32, v14
	v_lshrrev_b32_e32 v12, 19, v3
	v_subrev_u32_e32 v15, 28, v14
	v_and_b32_e32 v12, 15, v12
	v_lshlrev_b32_sdwa v15, v15, v3 dst_sel:DWORD dst_unused:UNUSED_PAD src0_sel:DWORD src1_sel:WORD_1
	v_bfe_u32 v13, v3, 19, 4
	v_sub_u32_e32 v14, 29, v14
	v_and_b32_e32 v15, 7, v15
	v_cmp_eq_u16_e32 vcc, 0, v12
	v_cndmask_b32_e32 v6, v6, v15, vcc
	v_cndmask_b32_e32 v12, v13, v14, vcc
	v_lshlrev_b32_e32 v13, 8, v3
	v_mov_b32_e32 v14, 0x3b800000
	v_lshlrev_b32_e32 v6, 20, v6
	v_and_b32_e32 v13, 0x80000000, v13
	v_lshl_add_u32 v12, v12, 23, v14
	v_or3_b32 v12, v13, v12, v6
.LBB2_440:
	s_or_b64 exec, exec, s[6:7]
	s_nop 0
	v_mfma_f32_16x16x4f32 a[0:3], v2, v12, a[0:3]
	s_movk_i32 s4, 0x7f
	v_cmp_gt_i16_sdwa s[6:7], v7, s4 src0_sel:BYTE_3 src1_sel:DWORD
	s_mov_b64 s[4:5], 0
                                        ; implicit-def: $sgpr10
	s_and_saveexec_b64 s[8:9], s[6:7]
	s_xor_b64 s[6:7], exec, s[8:9]
	s_cbranch_execz .LBB2_441
; %bb.36281:
	s_getpc_b64 s[14:15]
.Lpost_getpc21724:
	s_add_u32 s14, s14, (.LBB2_14777-.Lpost_getpc21724)&4294967295
	s_addc_u32 s15, s15, (.LBB2_14777-.Lpost_getpc21724)>>32
	s_setpc_b64 s[14:15]
.LBB2_441:
	s_or_saveexec_b64 s[6:7], s[6:7]
	v_mov_b32_e32 v2, s10
	s_xor_b64 exec, exec, s[6:7]
	s_cbranch_execz .LBB2_442
; %bb.36283:
	s_getpc_b64 s[14:15]
.Lpost_getpc21725:
	s_add_u32 s14, s14, (.LBB2_14780-.Lpost_getpc21725)&4294967295
	s_addc_u32 s15, s15, (.LBB2_14780-.Lpost_getpc21725)>>32
	s_setpc_b64 s[14:15]
.LBB2_442:
	s_or_b64 exec, exec, s[6:7]
	s_and_saveexec_b64 s[6:7], s[4:5]
	s_cbranch_execz .LBB2_444
.LBB2_443:
	v_bfe_u32 v2, v7, 24, 3
	v_ffbh_u32_e32 v14, v2
	v_min_u32_e32 v14, 32, v14
	v_lshrrev_b32_e32 v12, 27, v7
	v_subrev_u32_e32 v15, 28, v14
	v_and_b32_e32 v6, 0x80000000, v7
	v_and_b32_e32 v12, 15, v12
	v_bfe_u32 v13, v7, 27, 4
	v_lshlrev_b32_sdwa v7, v15, v7 dst_sel:DWORD dst_unused:UNUSED_PAD src0_sel:DWORD src1_sel:BYTE_3
	v_sub_u32_e32 v14, 29, v14
	v_and_b32_e32 v7, 7, v7
	v_cmp_eq_u16_e32 vcc, 0, v12
	v_cndmask_b32_e32 v2, v2, v7, vcc
	v_cndmask_b32_e32 v7, v13, v14, vcc
	v_mov_b32_e32 v12, 0x3b800000
	v_lshlrev_b32_e32 v2, 20, v2
	v_lshl_add_u32 v7, v7, 23, v12
	v_or3_b32 v2, v6, v7, v2
.LBB2_444:
	s_or_b64 exec, exec, s[6:7]
	s_movk_i32 s4, 0x7f
	v_cmp_gt_i16_sdwa s[6:7], v3, s4 src0_sel:BYTE_3 src1_sel:DWORD
	s_mov_b64 s[4:5], 0
                                        ; implicit-def: $sgpr10
	s_and_saveexec_b64 s[8:9], s[6:7]
	s_xor_b64 s[6:7], exec, s[8:9]
	s_cbranch_execz .LBB2_445
; %bb.36285:
	s_getpc_b64 s[14:15]
.Lpost_getpc21726:
	s_add_u32 s14, s14, (.LBB2_14781-.Lpost_getpc21726)&4294967295
	s_addc_u32 s15, s15, (.LBB2_14781-.Lpost_getpc21726)>>32
	s_setpc_b64 s[14:15]
.LBB2_445:
	s_or_saveexec_b64 s[6:7], s[6:7]
	v_mov_b32_e32 v6, s10
	s_xor_b64 exec, exec, s[6:7]
	s_cbranch_execz .LBB2_446
; %bb.36287:
	s_getpc_b64 s[14:15]
.Lpost_getpc21727:
	s_add_u32 s14, s14, (.LBB2_14784-.Lpost_getpc21727)&4294967295
	s_addc_u32 s15, s15, (.LBB2_14784-.Lpost_getpc21727)>>32
	s_setpc_b64 s[14:15]
.LBB2_446:
	s_or_b64 exec, exec, s[6:7]
	s_and_saveexec_b64 s[6:7], s[4:5]
	s_cbranch_execz .LBB2_448
.LBB2_447:
	v_bfe_u32 v6, v3, 24, 3
	v_ffbh_u32_e32 v14, v6
	v_min_u32_e32 v14, 32, v14
	v_lshrrev_b32_e32 v12, 27, v3
	v_subrev_u32_e32 v15, 28, v14
	v_and_b32_e32 v7, 0x80000000, v3
	v_and_b32_e32 v12, 15, v12
	v_bfe_u32 v13, v3, 27, 4
	v_lshlrev_b32_sdwa v3, v15, v3 dst_sel:DWORD dst_unused:UNUSED_PAD src0_sel:DWORD src1_sel:BYTE_3
	v_sub_u32_e32 v14, 29, v14
	v_and_b32_e32 v3, 7, v3
	v_cmp_eq_u16_e32 vcc, 0, v12
	v_cndmask_b32_e32 v3, v6, v3, vcc
	v_cndmask_b32_e32 v6, v13, v14, vcc
	v_mov_b32_e32 v12, 0x3b800000
	v_lshlrev_b32_e32 v3, 20, v3
	v_lshl_add_u32 v6, v6, 23, v12
	v_or3_b32 v6, v7, v6, v3
.LBB2_448:
	s_or_b64 exec, exec, s[6:7]
	s_nop 0
	v_mfma_f32_16x16x4f32 a[0:3], v2, v6, a[0:3]
	s_movk_i32 s4, 0x7f
	v_cmp_gt_i16_sdwa s[6:7], v8, s4 src0_sel:BYTE_0 src1_sel:DWORD
	s_mov_b64 s[4:5], 0
                                        ; implicit-def: $sgpr10
	s_and_saveexec_b64 s[8:9], s[6:7]
	s_xor_b64 s[6:7], exec, s[8:9]
	s_cbranch_execz .LBB2_449
; %bb.36289:
	s_getpc_b64 s[14:15]
.Lpost_getpc21728:
	s_add_u32 s14, s14, (.LBB2_14785-.Lpost_getpc21728)&4294967295
	s_addc_u32 s15, s15, (.LBB2_14785-.Lpost_getpc21728)>>32
	s_setpc_b64 s[14:15]
.LBB2_449:
	s_or_saveexec_b64 s[6:7], s[6:7]
	v_mov_b32_e32 v2, s10
	s_xor_b64 exec, exec, s[6:7]
	s_cbranch_execz .LBB2_450
; %bb.36291:
	s_getpc_b64 s[14:15]
.Lpost_getpc21729:
	s_add_u32 s14, s14, (.LBB2_14788-.Lpost_getpc21729)&4294967295
	s_addc_u32 s15, s15, (.LBB2_14788-.Lpost_getpc21729)>>32
	s_setpc_b64 s[14:15]
.LBB2_450:
	s_or_b64 exec, exec, s[6:7]
	s_and_saveexec_b64 s[6:7], s[4:5]
	s_cbranch_execz .LBB2_452
.LBB2_451:
	v_and_b32_e32 v2, 7, v8
	v_ffbh_u32_e32 v6, v2
	v_min_u32_e32 v6, 32, v6
	v_lshrrev_b16_e32 v3, 3, v8
	v_subrev_u32_e32 v7, 28, v6
	v_and_b32_e32 v3, 15, v3
	v_lshlrev_b32_e32 v7, v7, v8
	v_sub_u32_e32 v6, 29, v6
	v_and_b32_e32 v7, 7, v7
	v_cmp_eq_u16_e32 vcc, 0, v3
	v_cndmask_b32_e32 v2, v2, v7, vcc
	v_cndmask_b32_e32 v3, v3, v6, vcc
	v_lshlrev_b32_e32 v6, 24, v8
	v_mov_b32_e32 v7, 0x3b800000
	v_lshlrev_b32_e32 v2, 20, v2
	v_and_b32_e32 v6, 0x80000000, v6
	v_lshl_add_u32 v3, v3, 23, v7
	v_or3_b32 v2, v6, v3, v2
.LBB2_452:
	s_or_b64 exec, exec, s[6:7]
	s_movk_i32 s4, 0x7f
	v_cmp_gt_i16_sdwa s[6:7], v4, s4 src0_sel:BYTE_0 src1_sel:DWORD
	s_mov_b64 s[4:5], 0
                                        ; implicit-def: $sgpr10
	s_and_saveexec_b64 s[8:9], s[6:7]
	s_xor_b64 s[6:7], exec, s[8:9]
	s_cbranch_execz .LBB2_453
; %bb.36293:
	s_getpc_b64 s[14:15]
.Lpost_getpc21730:
	s_add_u32 s14, s14, (.LBB2_14789-.Lpost_getpc21730)&4294967295
	s_addc_u32 s15, s15, (.LBB2_14789-.Lpost_getpc21730)>>32
	s_setpc_b64 s[14:15]
.LBB2_453:
	s_or_saveexec_b64 s[6:7], s[6:7]
	v_mov_b32_e32 v3, s10
	s_xor_b64 exec, exec, s[6:7]
	s_cbranch_execz .LBB2_454
; %bb.36295:
	s_getpc_b64 s[14:15]
.Lpost_getpc21731:
	s_add_u32 s14, s14, (.LBB2_14792-.Lpost_getpc21731)&4294967295
	s_addc_u32 s15, s15, (.LBB2_14792-.Lpost_getpc21731)>>32
	s_setpc_b64 s[14:15]
.LBB2_454:
	s_or_b64 exec, exec, s[6:7]
	s_and_saveexec_b64 s[6:7], s[4:5]
	s_cbranch_execz .LBB2_456
.LBB2_455:
	v_and_b32_e32 v3, 7, v4
	v_ffbh_u32_e32 v7, v3
	v_min_u32_e32 v7, 32, v7
	v_lshrrev_b16_e32 v6, 3, v4
	v_subrev_u32_e32 v12, 28, v7
	v_and_b32_e32 v6, 15, v6
	v_lshlrev_b32_e32 v12, v12, v4
	v_sub_u32_e32 v7, 29, v7
	v_and_b32_e32 v12, 7, v12
	v_cmp_eq_u16_e32 vcc, 0, v6
	v_cndmask_b32_e32 v3, v3, v12, vcc
	v_cndmask_b32_e32 v6, v6, v7, vcc
	v_lshlrev_b32_e32 v7, 24, v4
	v_mov_b32_e32 v12, 0x3b800000
	v_lshlrev_b32_e32 v3, 20, v3
	v_and_b32_e32 v7, 0x80000000, v7
	v_lshl_add_u32 v6, v6, 23, v12
	v_or3_b32 v3, v7, v6, v3
.LBB2_456:
	s_or_b64 exec, exec, s[6:7]
	s_nop 0
	v_mfma_f32_16x16x4f32 a[0:3], v2, v3, a[0:3]
	v_lshrrev_b32_e32 v3, 8, v8
	s_movk_i32 s4, 0x7f
	v_cmp_gt_i16_sdwa s[6:7], v3, s4 src0_sel:BYTE_0 src1_sel:DWORD
	s_mov_b64 s[4:5], 0
                                        ; implicit-def: $sgpr10
	s_and_saveexec_b64 s[8:9], s[6:7]
	s_xor_b64 s[6:7], exec, s[8:9]
	s_cbranch_execz .LBB2_457
; %bb.36297:
	s_getpc_b64 s[14:15]
.Lpost_getpc21732:
	s_add_u32 s14, s14, (.LBB2_14793-.Lpost_getpc21732)&4294967295
	s_addc_u32 s15, s15, (.LBB2_14793-.Lpost_getpc21732)>>32
	s_setpc_b64 s[14:15]
.LBB2_457:
	s_or_saveexec_b64 s[6:7], s[6:7]
	v_mov_b32_e32 v2, s10
	s_xor_b64 exec, exec, s[6:7]
	s_cbranch_execz .LBB2_458
; %bb.36299:
	s_getpc_b64 s[14:15]
.Lpost_getpc21733:
	s_add_u32 s14, s14, (.LBB2_14796-.Lpost_getpc21733)&4294967295
	s_addc_u32 s15, s15, (.LBB2_14796-.Lpost_getpc21733)>>32
	s_setpc_b64 s[14:15]
.LBB2_458:
	s_or_b64 exec, exec, s[6:7]
	s_and_saveexec_b64 s[6:7], s[4:5]
	s_cbranch_execz .LBB2_460
.LBB2_459:
	v_bfe_u32 v2, v8, 8, 3
	v_ffbh_u32_e32 v7, v2
	v_min_u32_e32 v7, 32, v7
	v_lshrrev_b16_e32 v6, 3, v3
	v_subrev_u32_e32 v12, 28, v7
	v_and_b32_e32 v6, 15, v6
	v_lshlrev_b32_e32 v3, v12, v3
	v_sub_u32_e32 v7, 29, v7
	v_and_b32_e32 v3, 7, v3
	v_cmp_eq_u16_e32 vcc, 0, v6
	v_cndmask_b32_e32 v2, v2, v3, vcc
	v_cndmask_b32_e32 v3, v6, v7, vcc
	v_lshlrev_b32_e32 v6, 16, v8
	v_mov_b32_e32 v7, 0x3b800000
	v_lshlrev_b32_e32 v2, 20, v2
	v_and_b32_e32 v6, 0x80000000, v6
	v_lshl_add_u32 v3, v3, 23, v7
	v_or3_b32 v2, v6, v3, v2
.LBB2_460:
	s_or_b64 exec, exec, s[6:7]
	v_lshrrev_b32_e32 v3, 8, v4
	s_movk_i32 s4, 0x7f
	v_cmp_gt_i16_sdwa s[6:7], v3, s4 src0_sel:BYTE_0 src1_sel:DWORD
	s_mov_b64 s[4:5], 0
                                        ; implicit-def: $sgpr10
	s_and_saveexec_b64 s[8:9], s[6:7]
	s_xor_b64 s[6:7], exec, s[8:9]
	s_cbranch_execz .LBB2_461
; %bb.36301:
	s_getpc_b64 s[14:15]
.Lpost_getpc21734:
	s_add_u32 s14, s14, (.LBB2_14797-.Lpost_getpc21734)&4294967295
	s_addc_u32 s15, s15, (.LBB2_14797-.Lpost_getpc21734)>>32
	s_setpc_b64 s[14:15]
.LBB2_461:
	s_or_saveexec_b64 s[6:7], s[6:7]
	v_mov_b32_e32 v6, s10
	s_xor_b64 exec, exec, s[6:7]
	s_cbranch_execz .LBB2_462
; %bb.36303:
	s_getpc_b64 s[14:15]
.Lpost_getpc21735:
	s_add_u32 s14, s14, (.LBB2_14800-.Lpost_getpc21735)&4294967295
	s_addc_u32 s15, s15, (.LBB2_14800-.Lpost_getpc21735)>>32
	s_setpc_b64 s[14:15]
.LBB2_462:
	s_or_b64 exec, exec, s[6:7]
	s_and_saveexec_b64 s[6:7], s[4:5]
	s_cbranch_execz .LBB2_464
.LBB2_463:
	v_bfe_u32 v6, v4, 8, 3
	v_ffbh_u32_e32 v12, v6
	v_min_u32_e32 v12, 32, v12
	v_lshrrev_b16_e32 v7, 3, v3
	v_subrev_u32_e32 v13, 28, v12
	v_and_b32_e32 v7, 15, v7
	v_lshlrev_b32_e32 v3, v13, v3
	v_sub_u32_e32 v12, 29, v12
	v_and_b32_e32 v3, 7, v3
	v_cmp_eq_u16_e32 vcc, 0, v7
	v_cndmask_b32_e32 v3, v6, v3, vcc
	v_cndmask_b32_e32 v6, v7, v12, vcc
	v_lshlrev_b32_e32 v7, 16, v4
	v_mov_b32_e32 v12, 0x3b800000
	v_lshlrev_b32_e32 v3, 20, v3
	v_and_b32_e32 v7, 0x80000000, v7
	v_lshl_add_u32 v6, v6, 23, v12
	v_or3_b32 v6, v7, v6, v3
.LBB2_464:
	s_or_b64 exec, exec, s[6:7]
	s_nop 0
	v_mfma_f32_16x16x4f32 a[0:3], v2, v6, a[0:3]
	s_movk_i32 s4, 0xff
	v_and_b32_sdwa v3, v8, s4 dst_sel:DWORD dst_unused:UNUSED_PAD src0_sel:WORD_1 src1_sel:DWORD
	s_movk_i32 s4, 0x7f
	v_cmp_lt_i16_e32 vcc, s4, v3
	s_mov_b64 s[4:5], 0
                                        ; implicit-def: $sgpr10
	s_and_saveexec_b64 s[6:7], vcc
	s_xor_b64 s[6:7], exec, s[6:7]
	s_cbranch_execz .LBB2_465
; %bb.36305:
	s_getpc_b64 s[14:15]
.Lpost_getpc21736:
	s_add_u32 s14, s14, (.LBB2_14801-.Lpost_getpc21736)&4294967295
	s_addc_u32 s15, s15, (.LBB2_14801-.Lpost_getpc21736)>>32
	s_setpc_b64 s[14:15]
.LBB2_465:
	s_or_saveexec_b64 s[6:7], s[6:7]
	v_mov_b32_e32 v2, s10
	s_xor_b64 exec, exec, s[6:7]
	s_cbranch_execz .LBB2_466
; %bb.36307:
	s_getpc_b64 s[14:15]
.Lpost_getpc21737:
	s_add_u32 s14, s14, (.LBB2_14804-.Lpost_getpc21737)&4294967295
	s_addc_u32 s15, s15, (.LBB2_14804-.Lpost_getpc21737)>>32
	s_setpc_b64 s[14:15]
.LBB2_466:
	s_or_b64 exec, exec, s[6:7]
	s_and_saveexec_b64 s[6:7], s[4:5]
	s_cbranch_execz .LBB2_468
.LBB2_467:
	v_bfe_u32 v2, v8, 16, 3
	v_ffbh_u32_e32 v7, v2
	v_min_u32_e32 v7, 32, v7
	v_lshrrev_b32_e32 v3, 19, v8
	v_subrev_u32_e32 v12, 28, v7
	v_and_b32_e32 v3, 15, v3
	v_lshlrev_b32_sdwa v12, v12, v8 dst_sel:DWORD dst_unused:UNUSED_PAD src0_sel:DWORD src1_sel:WORD_1
	v_bfe_u32 v6, v8, 19, 4
	v_sub_u32_e32 v7, 29, v7
	v_and_b32_e32 v12, 7, v12
	v_cmp_eq_u16_e32 vcc, 0, v3
	v_cndmask_b32_e32 v2, v2, v12, vcc
	v_cndmask_b32_e32 v3, v6, v7, vcc
	v_lshlrev_b32_e32 v6, 8, v8
	v_mov_b32_e32 v7, 0x3b800000
	v_lshlrev_b32_e32 v2, 20, v2
	v_and_b32_e32 v6, 0x80000000, v6
	v_lshl_add_u32 v3, v3, 23, v7
	v_or3_b32 v2, v6, v3, v2
.LBB2_468:
	s_or_b64 exec, exec, s[6:7]
	s_movk_i32 s4, 0xff
	v_and_b32_sdwa v3, v4, s4 dst_sel:DWORD dst_unused:UNUSED_PAD src0_sel:WORD_1 src1_sel:DWORD
	s_movk_i32 s4, 0x7f
	v_cmp_lt_i16_e32 vcc, s4, v3
	s_mov_b64 s[4:5], 0
                                        ; implicit-def: $sgpr10
	s_and_saveexec_b64 s[6:7], vcc
	s_xor_b64 s[6:7], exec, s[6:7]
	s_cbranch_execz .LBB2_469
; %bb.36309:
	s_getpc_b64 s[14:15]
.Lpost_getpc21738:
	s_add_u32 s14, s14, (.LBB2_14805-.Lpost_getpc21738)&4294967295
	s_addc_u32 s15, s15, (.LBB2_14805-.Lpost_getpc21738)>>32
	s_setpc_b64 s[14:15]
.LBB2_469:
	s_or_saveexec_b64 s[6:7], s[6:7]
	v_mov_b32_e32 v6, s10
	s_xor_b64 exec, exec, s[6:7]
	s_cbranch_execz .LBB2_470
; %bb.36311:
	s_getpc_b64 s[14:15]
.Lpost_getpc21739:
	s_add_u32 s14, s14, (.LBB2_14808-.Lpost_getpc21739)&4294967295
	s_addc_u32 s15, s15, (.LBB2_14808-.Lpost_getpc21739)>>32
	s_setpc_b64 s[14:15]
.LBB2_470:
	s_or_b64 exec, exec, s[6:7]
	s_and_saveexec_b64 s[6:7], s[4:5]
	s_cbranch_execz .LBB2_472
.LBB2_471:
	v_bfe_u32 v3, v4, 16, 3
	v_ffbh_u32_e32 v12, v3
	v_min_u32_e32 v12, 32, v12
	v_lshrrev_b32_e32 v6, 19, v4
	v_subrev_u32_e32 v13, 28, v12
	v_and_b32_e32 v6, 15, v6
	v_lshlrev_b32_sdwa v13, v13, v4 dst_sel:DWORD dst_unused:UNUSED_PAD src0_sel:DWORD src1_sel:WORD_1
	v_bfe_u32 v7, v4, 19, 4
	v_sub_u32_e32 v12, 29, v12
	v_and_b32_e32 v13, 7, v13
	v_cmp_eq_u16_e32 vcc, 0, v6
	v_cndmask_b32_e32 v3, v3, v13, vcc
	v_cndmask_b32_e32 v6, v7, v12, vcc
	v_lshlrev_b32_e32 v7, 8, v4
	v_mov_b32_e32 v12, 0x3b800000
	v_lshlrev_b32_e32 v3, 20, v3
	v_and_b32_e32 v7, 0x80000000, v7
	v_lshl_add_u32 v6, v6, 23, v12
	v_or3_b32 v6, v7, v6, v3
.LBB2_472:
	s_or_b64 exec, exec, s[6:7]
	s_nop 0
	v_mfma_f32_16x16x4f32 a[0:3], v2, v6, a[0:3]
	s_movk_i32 s4, 0x7f
	v_cmp_gt_i16_sdwa s[6:7], v8, s4 src0_sel:BYTE_3 src1_sel:DWORD
	s_mov_b64 s[4:5], 0
                                        ; implicit-def: $sgpr10
	s_and_saveexec_b64 s[8:9], s[6:7]
	s_xor_b64 s[6:7], exec, s[8:9]
	s_cbranch_execz .LBB2_473
; %bb.36313:
	s_getpc_b64 s[14:15]
.Lpost_getpc21740:
	s_add_u32 s14, s14, (.LBB2_14809-.Lpost_getpc21740)&4294967295
	s_addc_u32 s15, s15, (.LBB2_14809-.Lpost_getpc21740)>>32
	s_setpc_b64 s[14:15]
.LBB2_473:
	s_or_saveexec_b64 s[6:7], s[6:7]
	v_mov_b32_e32 v2, s10
	s_xor_b64 exec, exec, s[6:7]
	s_cbranch_execz .LBB2_474
; %bb.36315:
	s_getpc_b64 s[14:15]
.Lpost_getpc21741:
	s_add_u32 s14, s14, (.LBB2_14812-.Lpost_getpc21741)&4294967295
	s_addc_u32 s15, s15, (.LBB2_14812-.Lpost_getpc21741)>>32
	s_setpc_b64 s[14:15]
.LBB2_474:
	s_or_b64 exec, exec, s[6:7]
	s_and_saveexec_b64 s[6:7], s[4:5]
	s_cbranch_execz .LBB2_476
.LBB2_475:
	v_bfe_u32 v2, v8, 24, 3
	v_ffbh_u32_e32 v12, v2
	v_min_u32_e32 v12, 32, v12
	v_lshrrev_b32_e32 v6, 27, v8
	v_subrev_u32_e32 v13, 28, v12
	v_and_b32_e32 v3, 0x80000000, v8
	v_and_b32_e32 v6, 15, v6
	v_bfe_u32 v7, v8, 27, 4
	v_lshlrev_b32_sdwa v8, v13, v8 dst_sel:DWORD dst_unused:UNUSED_PAD src0_sel:DWORD src1_sel:BYTE_3
	v_sub_u32_e32 v12, 29, v12
	v_and_b32_e32 v8, 7, v8
	v_cmp_eq_u16_e32 vcc, 0, v6
	v_cndmask_b32_e32 v2, v2, v8, vcc
	v_cndmask_b32_e32 v6, v7, v12, vcc
	v_mov_b32_e32 v7, 0x3b800000
	v_lshlrev_b32_e32 v2, 20, v2
	v_lshl_add_u32 v6, v6, 23, v7
	v_or3_b32 v2, v3, v6, v2
.LBB2_476:
	s_or_b64 exec, exec, s[6:7]
	s_movk_i32 s4, 0x7f
	v_cmp_gt_i16_sdwa s[6:7], v4, s4 src0_sel:BYTE_3 src1_sel:DWORD
	s_mov_b64 s[4:5], 0
                                        ; implicit-def: $sgpr10
	s_and_saveexec_b64 s[8:9], s[6:7]
	s_xor_b64 s[6:7], exec, s[8:9]
	s_cbranch_execz .LBB2_477
; %bb.36317:
	s_getpc_b64 s[14:15]
.Lpost_getpc21742:
	s_add_u32 s14, s14, (.LBB2_14813-.Lpost_getpc21742)&4294967295
	s_addc_u32 s15, s15, (.LBB2_14813-.Lpost_getpc21742)>>32
	s_setpc_b64 s[14:15]
.LBB2_477:
	s_or_saveexec_b64 s[6:7], s[6:7]
	v_mov_b32_e32 v3, s10
	s_xor_b64 exec, exec, s[6:7]
	s_cbranch_execz .LBB2_478
; %bb.36319:
	s_getpc_b64 s[14:15]
.Lpost_getpc21743:
	s_add_u32 s14, s14, (.LBB2_14816-.Lpost_getpc21743)&4294967295
	s_addc_u32 s15, s15, (.LBB2_14816-.Lpost_getpc21743)>>32
	s_setpc_b64 s[14:15]
.LBB2_478:
	s_or_b64 exec, exec, s[6:7]
	s_and_saveexec_b64 s[6:7], s[4:5]
	s_cbranch_execz .LBB2_480
.LBB2_479:
	v_bfe_u32 v3, v4, 24, 3
	v_ffbh_u32_e32 v12, v3
	v_min_u32_e32 v12, 32, v12
	v_lshrrev_b32_e32 v7, 27, v4
	v_subrev_u32_e32 v13, 28, v12
	v_and_b32_e32 v6, 0x80000000, v4
	v_and_b32_e32 v7, 15, v7
	v_bfe_u32 v8, v4, 27, 4
	v_lshlrev_b32_sdwa v4, v13, v4 dst_sel:DWORD dst_unused:UNUSED_PAD src0_sel:DWORD src1_sel:BYTE_3
	v_sub_u32_e32 v12, 29, v12
	v_and_b32_e32 v4, 7, v4
	v_cmp_eq_u16_e32 vcc, 0, v7
	v_cndmask_b32_e32 v3, v3, v4, vcc
	v_cndmask_b32_e32 v4, v8, v12, vcc
	v_mov_b32_e32 v7, 0x3b800000
	v_lshlrev_b32_e32 v3, 20, v3
	v_lshl_add_u32 v4, v4, 23, v7
	v_or3_b32 v3, v6, v4, v3
.LBB2_480:
	s_or_b64 exec, exec, s[6:7]
	s_nop 0
	v_mfma_f32_16x16x4f32 a[0:3], v2, v3, a[0:3]
	s_movk_i32 s4, 0x7f
	v_cmp_gt_i16_sdwa s[6:7], v9, s4 src0_sel:BYTE_0 src1_sel:DWORD
	s_mov_b64 s[4:5], 0
                                        ; implicit-def: $sgpr10
	s_and_saveexec_b64 s[8:9], s[6:7]
	s_xor_b64 s[6:7], exec, s[8:9]
	s_cbranch_execz .LBB2_481
; %bb.36321:
	s_getpc_b64 s[14:15]
.Lpost_getpc21744:
	s_add_u32 s14, s14, (.LBB2_14817-.Lpost_getpc21744)&4294967295
	s_addc_u32 s15, s15, (.LBB2_14817-.Lpost_getpc21744)>>32
	s_setpc_b64 s[14:15]
.LBB2_481:
	s_or_saveexec_b64 s[6:7], s[6:7]
	v_mov_b32_e32 v2, s10
	s_xor_b64 exec, exec, s[6:7]
	s_cbranch_execz .LBB2_482
; %bb.36323:
	s_getpc_b64 s[14:15]
.Lpost_getpc21745:
	s_add_u32 s14, s14, (.LBB2_14820-.Lpost_getpc21745)&4294967295
	s_addc_u32 s15, s15, (.LBB2_14820-.Lpost_getpc21745)>>32
	s_setpc_b64 s[14:15]
.LBB2_482:
	s_or_b64 exec, exec, s[6:7]
	s_and_saveexec_b64 s[6:7], s[4:5]
	s_cbranch_execz .LBB2_484
.LBB2_483:
	v_mov_b32_e32 v2, 8
	v_and_b32_e32 v3, 7, v9
	v_lshrrev_b32_sdwa v2, v2, v9 dst_sel:BYTE_1 dst_unused:UNUSED_PAD src0_sel:DWORD src1_sel:DWORD
	v_ffbh_u32_e32 v4, v3
	v_or_b32_sdwa v2, v9, v2 dst_sel:DWORD dst_unused:UNUSED_PAD src0_sel:BYTE_0 src1_sel:DWORD
	v_min_u32_e32 v4, 32, v4
	v_lshrrev_b16_e32 v2, 3, v2
	v_subrev_u32_e32 v6, 28, v4
	v_and_b32_e32 v2, 15, v2
	v_lshlrev_b32_e32 v6, v6, v9
	v_sub_u32_e32 v4, 29, v4
	v_and_b32_e32 v6, 7, v6
	v_cmp_eq_u16_e32 vcc, 0, v2
	v_cndmask_b32_e32 v3, v3, v6, vcc
	v_cndmask_b32_e32 v2, v2, v4, vcc
	v_lshlrev_b32_e32 v4, 24, v9
	v_mov_b32_e32 v6, 0x3b800000
	v_lshlrev_b32_e32 v3, 20, v3
	v_and_b32_e32 v4, 0x80000000, v4
	v_lshl_add_u32 v2, v2, 23, v6
	v_or3_b32 v2, v4, v2, v3
.LBB2_484:
	s_or_b64 exec, exec, s[6:7]
	s_movk_i32 s4, 0x7f
	v_cmp_gt_i16_sdwa s[6:7], v5, s4 src0_sel:BYTE_0 src1_sel:DWORD
	s_mov_b64 s[4:5], 0
                                        ; implicit-def: $sgpr10
	s_and_saveexec_b64 s[8:9], s[6:7]
	s_xor_b64 s[6:7], exec, s[8:9]
	s_cbranch_execz .LBB2_485
; %bb.36325:
	s_getpc_b64 s[14:15]
.Lpost_getpc21746:
	s_add_u32 s14, s14, (.LBB2_14821-.Lpost_getpc21746)&4294967295
	s_addc_u32 s15, s15, (.LBB2_14821-.Lpost_getpc21746)>>32
	s_setpc_b64 s[14:15]
.LBB2_485:
	s_or_saveexec_b64 s[6:7], s[6:7]
	v_mov_b32_e32 v3, s10
	s_xor_b64 exec, exec, s[6:7]
	s_cbranch_execz .LBB2_486
; %bb.36327:
	s_getpc_b64 s[14:15]
.Lpost_getpc21747:
	s_add_u32 s14, s14, (.LBB2_14824-.Lpost_getpc21747)&4294967295
	s_addc_u32 s15, s15, (.LBB2_14824-.Lpost_getpc21747)>>32
	s_setpc_b64 s[14:15]
.LBB2_486:
	s_or_b64 exec, exec, s[6:7]
	s_and_saveexec_b64 s[6:7], s[4:5]
	s_cbranch_execz .LBB2_488
.LBB2_487:
	v_mov_b32_e32 v3, 8
	v_and_b32_e32 v4, 7, v5
	v_lshrrev_b32_sdwa v3, v3, v5 dst_sel:BYTE_1 dst_unused:UNUSED_PAD src0_sel:DWORD src1_sel:DWORD
	v_ffbh_u32_e32 v6, v4
	v_or_b32_sdwa v3, v5, v3 dst_sel:DWORD dst_unused:UNUSED_PAD src0_sel:BYTE_0 src1_sel:DWORD
	v_min_u32_e32 v6, 32, v6
	v_lshrrev_b16_e32 v3, 3, v3
	v_subrev_u32_e32 v7, 28, v6
	v_and_b32_e32 v3, 15, v3
	v_lshlrev_b32_e32 v7, v7, v5
	v_sub_u32_e32 v6, 29, v6
	v_and_b32_e32 v7, 7, v7
	v_cmp_eq_u16_e32 vcc, 0, v3
	v_cndmask_b32_e32 v4, v4, v7, vcc
	v_cndmask_b32_e32 v3, v3, v6, vcc
	v_lshlrev_b32_e32 v6, 24, v5
	v_mov_b32_e32 v7, 0x3b800000
	v_lshlrev_b32_e32 v4, 20, v4
	v_and_b32_e32 v6, 0x80000000, v6
	v_lshl_add_u32 v3, v3, 23, v7
	v_or3_b32 v3, v6, v3, v4
.LBB2_488:
	s_or_b64 exec, exec, s[6:7]
	s_nop 0
	v_mfma_f32_16x16x4f32 a[0:3], v2, v3, a[0:3]
	v_lshrrev_b32_e32 v3, 8, v9
	s_movk_i32 s4, 0x7f
	v_cmp_gt_i16_sdwa s[6:7], v3, s4 src0_sel:BYTE_0 src1_sel:DWORD
	s_mov_b64 s[4:5], 0
                                        ; implicit-def: $sgpr10
	s_and_saveexec_b64 s[8:9], s[6:7]
	s_xor_b64 s[6:7], exec, s[8:9]
	s_cbranch_execz .LBB2_489
; %bb.36329:
	s_getpc_b64 s[14:15]
.Lpost_getpc21748:
	s_add_u32 s14, s14, (.LBB2_14825-.Lpost_getpc21748)&4294967295
	s_addc_u32 s15, s15, (.LBB2_14825-.Lpost_getpc21748)>>32
	s_setpc_b64 s[14:15]
.LBB2_489:
	s_or_saveexec_b64 s[6:7], s[6:7]
	v_mov_b32_e32 v2, s10
	s_xor_b64 exec, exec, s[6:7]
	s_cbranch_execz .LBB2_490
; %bb.36331:
	s_getpc_b64 s[14:15]
.Lpost_getpc21749:
	s_add_u32 s14, s14, (.LBB2_14828-.Lpost_getpc21749)&4294967295
	s_addc_u32 s15, s15, (.LBB2_14828-.Lpost_getpc21749)>>32
	s_setpc_b64 s[14:15]
.LBB2_490:
	s_or_b64 exec, exec, s[6:7]
	s_and_saveexec_b64 s[6:7], s[4:5]
	s_cbranch_execz .LBB2_492
.LBB2_491:
	v_bfe_u32 v2, v9, 8, 3
	v_ffbh_u32_e32 v6, v2
	v_min_u32_e32 v6, 32, v6
	v_lshrrev_b16_e32 v4, 3, v3
	v_subrev_u32_e32 v7, 28, v6
	v_and_b32_e32 v4, 15, v4
	v_lshlrev_b32_e32 v3, v7, v3
	v_sub_u32_e32 v6, 29, v6
	v_and_b32_e32 v3, 7, v3
	v_cmp_eq_u16_e32 vcc, 0, v4
	v_cndmask_b32_e32 v2, v2, v3, vcc
	v_cndmask_b32_e32 v3, v4, v6, vcc
	v_lshlrev_b32_e32 v4, 16, v9
	v_mov_b32_e32 v6, 0x3b800000
	v_lshlrev_b32_e32 v2, 20, v2
	v_and_b32_e32 v4, 0x80000000, v4
	v_lshl_add_u32 v3, v3, 23, v6
	v_or3_b32 v2, v4, v3, v2
.LBB2_492:
	s_or_b64 exec, exec, s[6:7]
	v_lshrrev_b32_e32 v3, 8, v5
	s_movk_i32 s4, 0x7f
	v_cmp_gt_i16_sdwa s[6:7], v3, s4 src0_sel:BYTE_0 src1_sel:DWORD
	s_mov_b64 s[4:5], 0
                                        ; implicit-def: $sgpr10
	s_and_saveexec_b64 s[8:9], s[6:7]
	s_xor_b64 s[6:7], exec, s[8:9]
	s_cbranch_execz .LBB2_493
; %bb.36333:
	s_getpc_b64 s[14:15]
.Lpost_getpc21750:
	s_add_u32 s14, s14, (.LBB2_14829-.Lpost_getpc21750)&4294967295
	s_addc_u32 s15, s15, (.LBB2_14829-.Lpost_getpc21750)>>32
	s_setpc_b64 s[14:15]
.LBB2_493:
	s_or_saveexec_b64 s[6:7], s[6:7]
	v_mov_b32_e32 v4, s10
	s_xor_b64 exec, exec, s[6:7]
	s_cbranch_execz .LBB2_494
; %bb.36335:
	s_getpc_b64 s[14:15]
.Lpost_getpc21751:
	s_add_u32 s14, s14, (.LBB2_14832-.Lpost_getpc21751)&4294967295
	s_addc_u32 s15, s15, (.LBB2_14832-.Lpost_getpc21751)>>32
	s_setpc_b64 s[14:15]
.LBB2_494:
	s_or_b64 exec, exec, s[6:7]
	s_and_saveexec_b64 s[6:7], s[4:5]
	s_cbranch_execz .LBB2_496
.LBB2_495:
	v_bfe_u32 v4, v5, 8, 3
	v_ffbh_u32_e32 v7, v4
	v_min_u32_e32 v7, 32, v7
	v_lshrrev_b16_e32 v6, 3, v3
	v_subrev_u32_e32 v8, 28, v7
	v_and_b32_e32 v6, 15, v6
	v_lshlrev_b32_e32 v3, v8, v3
	v_sub_u32_e32 v7, 29, v7
	v_and_b32_e32 v3, 7, v3
	v_cmp_eq_u16_e32 vcc, 0, v6
	v_cndmask_b32_e32 v3, v4, v3, vcc
	v_cndmask_b32_e32 v4, v6, v7, vcc
	v_lshlrev_b32_e32 v6, 16, v5
	v_mov_b32_e32 v7, 0x3b800000
	v_lshlrev_b32_e32 v3, 20, v3
	v_and_b32_e32 v6, 0x80000000, v6
	v_lshl_add_u32 v4, v4, 23, v7
	v_or3_b32 v4, v6, v4, v3
.LBB2_496:
	s_or_b64 exec, exec, s[6:7]
	s_nop 0
	v_mfma_f32_16x16x4f32 a[0:3], v2, v4, a[0:3]
	s_movk_i32 s4, 0xff
	v_and_b32_sdwa v3, v9, s4 dst_sel:DWORD dst_unused:UNUSED_PAD src0_sel:WORD_1 src1_sel:DWORD
	s_movk_i32 s4, 0x7f
	v_cmp_lt_i16_e32 vcc, s4, v3
	s_mov_b64 s[4:5], 0
                                        ; implicit-def: $sgpr10
	s_and_saveexec_b64 s[6:7], vcc
	s_xor_b64 s[6:7], exec, s[6:7]
	s_cbranch_execz .LBB2_497
; %bb.36337:
	s_getpc_b64 s[14:15]
.Lpost_getpc21752:
	s_add_u32 s14, s14, (.LBB2_14833-.Lpost_getpc21752)&4294967295
	s_addc_u32 s15, s15, (.LBB2_14833-.Lpost_getpc21752)>>32
	s_setpc_b64 s[14:15]
.LBB2_497:
	s_or_saveexec_b64 s[6:7], s[6:7]
	v_mov_b32_e32 v2, s10
	s_xor_b64 exec, exec, s[6:7]
	s_cbranch_execz .LBB2_498
; %bb.36339:
	s_getpc_b64 s[14:15]
.Lpost_getpc21753:
	s_add_u32 s14, s14, (.LBB2_14836-.Lpost_getpc21753)&4294967295
	s_addc_u32 s15, s15, (.LBB2_14836-.Lpost_getpc21753)>>32
	s_setpc_b64 s[14:15]
.LBB2_498:
	s_or_b64 exec, exec, s[6:7]
	s_and_saveexec_b64 s[6:7], s[4:5]
	s_cbranch_execz .LBB2_500
.LBB2_499:
	v_bfe_u32 v2, v9, 16, 3
	v_ffbh_u32_e32 v6, v2
	v_min_u32_e32 v6, 32, v6
	v_lshrrev_b32_e32 v3, 19, v9
	v_subrev_u32_e32 v7, 28, v6
	v_and_b32_e32 v3, 15, v3
	v_lshlrev_b32_sdwa v7, v7, v9 dst_sel:DWORD dst_unused:UNUSED_PAD src0_sel:DWORD src1_sel:WORD_1
	v_bfe_u32 v4, v9, 19, 4
	v_sub_u32_e32 v6, 29, v6
	v_and_b32_e32 v7, 7, v7
	v_cmp_eq_u16_e32 vcc, 0, v3
	v_cndmask_b32_e32 v2, v2, v7, vcc
	v_cndmask_b32_e32 v3, v4, v6, vcc
	v_lshlrev_b32_e32 v4, 8, v9
	v_mov_b32_e32 v6, 0x3b800000
	v_lshlrev_b32_e32 v2, 20, v2
	v_and_b32_e32 v4, 0x80000000, v4
	v_lshl_add_u32 v3, v3, 23, v6
	v_or3_b32 v2, v4, v3, v2
.LBB2_500:
	s_or_b64 exec, exec, s[6:7]
	s_movk_i32 s4, 0xff
	v_and_b32_sdwa v3, v5, s4 dst_sel:DWORD dst_unused:UNUSED_PAD src0_sel:WORD_1 src1_sel:DWORD
	s_movk_i32 s4, 0x7f
	v_cmp_lt_i16_e32 vcc, s4, v3
	s_mov_b64 s[4:5], 0
                                        ; implicit-def: $sgpr10
	s_and_saveexec_b64 s[6:7], vcc
	s_xor_b64 s[6:7], exec, s[6:7]
	s_cbranch_execz .LBB2_501
; %bb.36341:
	s_getpc_b64 s[14:15]
.Lpost_getpc21754:
	s_add_u32 s14, s14, (.LBB2_14837-.Lpost_getpc21754)&4294967295
	s_addc_u32 s15, s15, (.LBB2_14837-.Lpost_getpc21754)>>32
	s_setpc_b64 s[14:15]
.LBB2_501:
	s_or_saveexec_b64 s[6:7], s[6:7]
	v_mov_b32_e32 v4, s10
	s_xor_b64 exec, exec, s[6:7]
	s_cbranch_execz .LBB2_502
; %bb.36343:
	s_getpc_b64 s[14:15]
.Lpost_getpc21755:
	s_add_u32 s14, s14, (.LBB2_14840-.Lpost_getpc21755)&4294967295
	s_addc_u32 s15, s15, (.LBB2_14840-.Lpost_getpc21755)>>32
	s_setpc_b64 s[14:15]
.LBB2_502:
	s_or_b64 exec, exec, s[6:7]
	s_and_saveexec_b64 s[6:7], s[4:5]
	s_cbranch_execz .LBB2_504
.LBB2_503:
	v_bfe_u32 v3, v5, 16, 3
	v_ffbh_u32_e32 v7, v3
	v_min_u32_e32 v7, 32, v7
	v_lshrrev_b32_e32 v4, 19, v5
	v_subrev_u32_e32 v8, 28, v7
	v_and_b32_e32 v4, 15, v4
	v_lshlrev_b32_sdwa v8, v8, v5 dst_sel:DWORD dst_unused:UNUSED_PAD src0_sel:DWORD src1_sel:WORD_1
	v_bfe_u32 v6, v5, 19, 4
	v_sub_u32_e32 v7, 29, v7
	v_and_b32_e32 v8, 7, v8
	v_cmp_eq_u16_e32 vcc, 0, v4
	v_cndmask_b32_e32 v3, v3, v8, vcc
	v_cndmask_b32_e32 v4, v6, v7, vcc
	v_lshlrev_b32_e32 v6, 8, v5
	v_mov_b32_e32 v7, 0x3b800000
	v_lshlrev_b32_e32 v3, 20, v3
	v_and_b32_e32 v6, 0x80000000, v6
	v_lshl_add_u32 v4, v4, 23, v7
	v_or3_b32 v4, v6, v4, v3
.LBB2_504:
	s_or_b64 exec, exec, s[6:7]
	s_nop 0
	v_mfma_f32_16x16x4f32 a[0:3], v2, v4, a[0:3]
	s_movk_i32 s4, 0x7f
	v_cmp_gt_i16_sdwa s[6:7], v9, s4 src0_sel:BYTE_3 src1_sel:DWORD
	s_mov_b64 s[4:5], 0
                                        ; implicit-def: $sgpr10
	s_and_saveexec_b64 s[8:9], s[6:7]
	s_xor_b64 s[6:7], exec, s[8:9]
	s_cbranch_execz .LBB2_505
; %bb.36345:
	s_getpc_b64 s[14:15]
.Lpost_getpc21756:
	s_add_u32 s14, s14, (.LBB2_14841-.Lpost_getpc21756)&4294967295
	s_addc_u32 s15, s15, (.LBB2_14841-.Lpost_getpc21756)>>32
	s_setpc_b64 s[14:15]
.LBB2_505:
	s_or_saveexec_b64 s[6:7], s[6:7]
	v_mov_b32_e32 v2, s10
	s_xor_b64 exec, exec, s[6:7]
	s_cbranch_execz .LBB2_506
; %bb.36347:
	s_getpc_b64 s[14:15]
.Lpost_getpc21757:
	s_add_u32 s14, s14, (.LBB2_14844-.Lpost_getpc21757)&4294967295
	s_addc_u32 s15, s15, (.LBB2_14844-.Lpost_getpc21757)>>32
	s_setpc_b64 s[14:15]
.LBB2_506:
	s_or_b64 exec, exec, s[6:7]
	s_and_saveexec_b64 s[6:7], s[4:5]
	s_cbranch_execz .LBB2_508
.LBB2_507:
	v_bfe_u32 v2, v9, 24, 3
	v_ffbh_u32_e32 v7, v2
	v_min_u32_e32 v7, 32, v7
	v_lshrrev_b32_e32 v4, 27, v9
	v_subrev_u32_e32 v8, 28, v7
	v_and_b32_e32 v4, 15, v4
	v_lshlrev_b32_sdwa v8, v8, v9 dst_sel:DWORD dst_unused:UNUSED_PAD src0_sel:DWORD src1_sel:BYTE_3
	v_bfe_u32 v6, v9, 27, 4
	v_sub_u32_e32 v7, 29, v7
	v_and_b32_e32 v8, 7, v8
	v_cmp_eq_u16_e32 vcc, 0, v4
	v_cndmask_b32_e32 v2, v2, v8, vcc
	v_cndmask_b32_e32 v4, v6, v7, vcc
	v_mov_b32_e32 v6, 0x3b800000
	v_and_b32_e32 v3, 0x80000000, v9
	v_lshlrev_b32_e32 v2, 20, v2
	v_lshl_add_u32 v4, v4, 23, v6
	v_or3_b32 v2, v3, v4, v2
.LBB2_508:
	s_or_b64 exec, exec, s[6:7]
	s_movk_i32 s4, 0x7f
	v_cmp_gt_i16_sdwa s[6:7], v5, s4 src0_sel:BYTE_3 src1_sel:DWORD
	s_mov_b64 s[4:5], 0
                                        ; implicit-def: $sgpr10
	s_and_saveexec_b64 s[8:9], s[6:7]
	s_xor_b64 s[6:7], exec, s[8:9]
	s_cbranch_execz .LBB2_509
; %bb.36349:
	s_getpc_b64 s[14:15]
.Lpost_getpc21758:
	s_add_u32 s14, s14, (.LBB2_14845-.Lpost_getpc21758)&4294967295
	s_addc_u32 s15, s15, (.LBB2_14845-.Lpost_getpc21758)>>32
	s_setpc_b64 s[14:15]
.LBB2_509:
	s_or_saveexec_b64 s[6:7], s[6:7]
	v_mov_b32_e32 v3, s10
	s_xor_b64 exec, exec, s[6:7]
	s_cbranch_execz .LBB2_510
; %bb.36351:
	s_getpc_b64 s[14:15]
.Lpost_getpc21759:
	s_add_u32 s14, s14, (.LBB2_14848-.Lpost_getpc21759)&4294967295
	s_addc_u32 s15, s15, (.LBB2_14848-.Lpost_getpc21759)>>32
	s_setpc_b64 s[14:15]
.LBB2_510:
	s_or_b64 exec, exec, s[6:7]
	s_and_saveexec_b64 s[6:7], s[4:5]
	s_cbranch_execz .LBB2_512
.LBB2_511:
	v_bfe_u32 v3, v5, 24, 3
	v_ffbh_u32_e32 v8, v3
	v_min_u32_e32 v8, 32, v8
	v_lshrrev_b32_e32 v6, 27, v5
	v_subrev_u32_e32 v9, 28, v8
	v_and_b32_e32 v4, 0x80000000, v5
	v_and_b32_e32 v6, 15, v6
	v_bfe_u32 v7, v5, 27, 4
	v_lshlrev_b32_sdwa v5, v9, v5 dst_sel:DWORD dst_unused:UNUSED_PAD src0_sel:DWORD src1_sel:BYTE_3
	v_sub_u32_e32 v8, 29, v8
	v_and_b32_e32 v5, 7, v5
	v_cmp_eq_u16_e32 vcc, 0, v6
	v_cndmask_b32_e32 v3, v3, v5, vcc
	v_cndmask_b32_e32 v5, v7, v8, vcc
	v_mov_b32_e32 v6, 0x3b800000
	v_lshlrev_b32_e32 v3, 20, v3
	v_lshl_add_u32 v5, v5, 23, v6
	v_or3_b32 v3, v4, v5, v3
.LBB2_512:
	s_or_b64 exec, exec, s[6:7]
	s_nop 0
	v_mfma_f32_16x16x4f32 a[0:3], v2, v3, a[0:3]
	s_movk_i32 s4, 0x7f
                                        ; implicit-def: $sgpr10
	s_nop 7
	s_nop 1
	flat_store_dwordx4 v[10:11], a[0:3] offset:48
	flat_load_dwordx4 v[12:15], v[0:1]
	s_nop 0
	flat_load_dwordx2 v[10:11], v[0:1] offset:16
	s_waitcnt vmcnt(0) lgkmcnt(0)
	flat_load_dwordx4 v[6:9], v[12:13]
	flat_load_dwordx4 v[2:5], v[14:15] offset:64
	s_waitcnt vmcnt(0) lgkmcnt(0)
	v_cmp_gt_i16_sdwa s[6:7], v6, s4 src0_sel:BYTE_0 src1_sel:DWORD
	s_mov_b64 s[4:5], 0
	s_and_saveexec_b64 s[8:9], s[6:7]
	s_xor_b64 s[6:7], exec, s[8:9]
	s_cbranch_execz .LBB2_513
; %bb.36353:
	s_getpc_b64 s[14:15]
.Lpost_getpc21760:
	s_add_u32 s14, s14, (.LBB2_14849-.Lpost_getpc21760)&4294967295
	s_addc_u32 s15, s15, (.LBB2_14849-.Lpost_getpc21760)>>32
	s_setpc_b64 s[14:15]
.LBB2_513:
	s_or_saveexec_b64 s[6:7], s[6:7]
	v_mov_b32_e32 v12, s10
	s_xor_b64 exec, exec, s[6:7]
	s_cbranch_execz .LBB2_514
; %bb.36355:
	s_getpc_b64 s[14:15]
.Lpost_getpc21761:
	s_add_u32 s14, s14, (.LBB2_14852-.Lpost_getpc21761)&4294967295
	s_addc_u32 s15, s15, (.LBB2_14852-.Lpost_getpc21761)>>32
	s_setpc_b64 s[14:15]
.LBB2_514:
	s_or_b64 exec, exec, s[6:7]
	s_and_saveexec_b64 s[6:7], s[4:5]
	s_cbranch_execz .LBB2_516
.LBB2_515:
	v_and_b32_e32 v12, 7, v6
	v_ffbh_u32_e32 v14, v12
	v_min_u32_e32 v14, 32, v14
	v_lshrrev_b16_e32 v13, 3, v6
	v_subrev_u32_e32 v15, 28, v14
	v_and_b32_e32 v13, 15, v13
	v_lshlrev_b32_e32 v15, v15, v6
	v_sub_u32_e32 v14, 29, v14
	v_and_b32_e32 v15, 7, v15
	v_cmp_eq_u16_e32 vcc, 0, v13
	v_cndmask_b32_e32 v12, v12, v15, vcc
	v_cndmask_b32_e32 v13, v13, v14, vcc
	v_lshlrev_b32_e32 v14, 24, v6
	v_mov_b32_e32 v15, 0x3b800000
	v_lshlrev_b32_e32 v12, 20, v12
	v_and_b32_e32 v14, 0x80000000, v14
	v_lshl_add_u32 v13, v13, 23, v15
	v_or3_b32 v12, v14, v13, v12
.LBB2_516:
	s_or_b64 exec, exec, s[6:7]
	s_movk_i32 s4, 0x7f
	v_cmp_gt_i16_sdwa s[6:7], v2, s4 src0_sel:BYTE_0 src1_sel:DWORD
	s_mov_b64 s[4:5], 0
                                        ; implicit-def: $sgpr10
	s_and_saveexec_b64 s[8:9], s[6:7]
	s_xor_b64 s[6:7], exec, s[8:9]
	s_cbranch_execz .LBB2_517
; %bb.36357:
	s_getpc_b64 s[14:15]
.Lpost_getpc21762:
	s_add_u32 s14, s14, (.LBB2_14853-.Lpost_getpc21762)&4294967295
	s_addc_u32 s15, s15, (.LBB2_14853-.Lpost_getpc21762)>>32
	s_setpc_b64 s[14:15]
.LBB2_517:
	s_or_saveexec_b64 s[6:7], s[6:7]
	v_mov_b32_e32 v13, s10
	s_xor_b64 exec, exec, s[6:7]
	s_cbranch_execz .LBB2_518
; %bb.36359:
	s_getpc_b64 s[14:15]
.Lpost_getpc21763:
	s_add_u32 s14, s14, (.LBB2_14856-.Lpost_getpc21763)&4294967295
	s_addc_u32 s15, s15, (.LBB2_14856-.Lpost_getpc21763)>>32
	s_setpc_b64 s[14:15]
.LBB2_518:
	s_or_b64 exec, exec, s[6:7]
	s_and_saveexec_b64 s[6:7], s[4:5]
	s_cbranch_execz .LBB2_520
.LBB2_519:
	v_and_b32_e32 v13, 7, v2
	v_ffbh_u32_e32 v15, v13
	v_min_u32_e32 v15, 32, v15
	v_lshrrev_b16_e32 v14, 3, v2
	v_subrev_u32_e32 v16, 28, v15
	v_and_b32_e32 v14, 15, v14
	v_lshlrev_b32_e32 v16, v16, v2
	v_sub_u32_e32 v15, 29, v15
	v_and_b32_e32 v16, 7, v16
	v_cmp_eq_u16_e32 vcc, 0, v14
	v_cndmask_b32_e32 v13, v13, v16, vcc
	v_cndmask_b32_e32 v14, v14, v15, vcc
	v_lshlrev_b32_e32 v15, 24, v2
	v_mov_b32_e32 v16, 0x3b800000
	v_lshlrev_b32_e32 v13, 20, v13
	v_and_b32_e32 v15, 0x80000000, v15
	v_lshl_add_u32 v14, v14, 23, v16
	v_or3_b32 v13, v15, v14, v13
.LBB2_520:
	s_or_b64 exec, exec, s[6:7]
	flat_load_dwordx4 a[0:3], v[10:11] offset:64
	s_movk_i32 s4, 0x7f
                                        ; implicit-def: $sgpr10
	s_waitcnt vmcnt(0) lgkmcnt(0)
	v_mfma_f32_16x16x4f32 a[0:3], v12, v13, a[0:3]
	v_lshrrev_b32_e32 v13, 8, v6
	v_cmp_gt_i16_sdwa s[6:7], v13, s4 src0_sel:BYTE_0 src1_sel:DWORD
	s_mov_b64 s[4:5], 0
	s_and_saveexec_b64 s[8:9], s[6:7]
	s_xor_b64 s[6:7], exec, s[8:9]
	s_cbranch_execz .LBB2_521
; %bb.36361:
	s_getpc_b64 s[14:15]
.Lpost_getpc21764:
	s_add_u32 s14, s14, (.LBB2_14857-.Lpost_getpc21764)&4294967295
	s_addc_u32 s15, s15, (.LBB2_14857-.Lpost_getpc21764)>>32
	s_setpc_b64 s[14:15]
.LBB2_521:
	s_or_saveexec_b64 s[6:7], s[6:7]
	v_mov_b32_e32 v12, s10
	s_xor_b64 exec, exec, s[6:7]
	s_cbranch_execz .LBB2_522
; %bb.36363:
	s_getpc_b64 s[14:15]
.Lpost_getpc21765:
	s_add_u32 s14, s14, (.LBB2_14860-.Lpost_getpc21765)&4294967295
	s_addc_u32 s15, s15, (.LBB2_14860-.Lpost_getpc21765)>>32
	s_setpc_b64 s[14:15]
.LBB2_522:
	s_or_b64 exec, exec, s[6:7]
	s_and_saveexec_b64 s[6:7], s[4:5]
	s_cbranch_execz .LBB2_524
.LBB2_523:
	v_bfe_u32 v12, v6, 8, 3
	v_ffbh_u32_e32 v15, v12
	v_min_u32_e32 v15, 32, v15
	v_lshrrev_b16_e32 v14, 3, v13
	v_subrev_u32_e32 v16, 28, v15
	v_and_b32_e32 v14, 15, v14
	v_lshlrev_b32_e32 v13, v16, v13
	v_sub_u32_e32 v15, 29, v15
	v_and_b32_e32 v13, 7, v13
	v_cmp_eq_u16_e32 vcc, 0, v14
	v_cndmask_b32_e32 v12, v12, v13, vcc
	v_cndmask_b32_e32 v13, v14, v15, vcc
	v_lshlrev_b32_e32 v14, 16, v6
	v_mov_b32_e32 v15, 0x3b800000
	v_lshlrev_b32_e32 v12, 20, v12
	v_and_b32_e32 v14, 0x80000000, v14
	v_lshl_add_u32 v13, v13, 23, v15
	v_or3_b32 v12, v14, v13, v12
.LBB2_524:
	s_or_b64 exec, exec, s[6:7]
	v_lshrrev_b32_e32 v13, 8, v2
	s_movk_i32 s4, 0x7f
	v_cmp_gt_i16_sdwa s[6:7], v13, s4 src0_sel:BYTE_0 src1_sel:DWORD
	s_mov_b64 s[4:5], 0
                                        ; implicit-def: $sgpr10
	s_and_saveexec_b64 s[8:9], s[6:7]
	s_xor_b64 s[6:7], exec, s[8:9]
	s_cbranch_execz .LBB2_525
; %bb.36365:
	s_getpc_b64 s[14:15]
.Lpost_getpc21766:
	s_add_u32 s14, s14, (.LBB2_14861-.Lpost_getpc21766)&4294967295
	s_addc_u32 s15, s15, (.LBB2_14861-.Lpost_getpc21766)>>32
	s_setpc_b64 s[14:15]
.LBB2_525:
	s_or_saveexec_b64 s[6:7], s[6:7]
	v_mov_b32_e32 v14, s10
	s_xor_b64 exec, exec, s[6:7]
	s_cbranch_execz .LBB2_526
; %bb.36367:
	s_getpc_b64 s[14:15]
.Lpost_getpc21767:
	s_add_u32 s14, s14, (.LBB2_14864-.Lpost_getpc21767)&4294967295
	s_addc_u32 s15, s15, (.LBB2_14864-.Lpost_getpc21767)>>32
	s_setpc_b64 s[14:15]
.LBB2_526:
	s_or_b64 exec, exec, s[6:7]
	s_and_saveexec_b64 s[6:7], s[4:5]
	s_cbranch_execz .LBB2_528
.LBB2_527:
	v_bfe_u32 v14, v2, 8, 3
	v_ffbh_u32_e32 v16, v14
	v_min_u32_e32 v16, 32, v16
	v_lshrrev_b16_e32 v15, 3, v13
	v_subrev_u32_e32 v17, 28, v16
	v_and_b32_e32 v15, 15, v15
	v_lshlrev_b32_e32 v13, v17, v13
	v_sub_u32_e32 v16, 29, v16
	v_and_b32_e32 v13, 7, v13
	v_cmp_eq_u16_e32 vcc, 0, v15
	v_cndmask_b32_e32 v13, v14, v13, vcc
	v_cndmask_b32_e32 v14, v15, v16, vcc
	v_lshlrev_b32_e32 v15, 16, v2
	v_mov_b32_e32 v16, 0x3b800000
	v_lshlrev_b32_e32 v13, 20, v13
	v_and_b32_e32 v15, 0x80000000, v15
	v_lshl_add_u32 v14, v14, 23, v16
	v_or3_b32 v14, v15, v14, v13
.LBB2_528:
	s_or_b64 exec, exec, s[6:7]
	s_nop 0
	v_mfma_f32_16x16x4f32 a[0:3], v12, v14, a[0:3]
	s_movk_i32 s4, 0xff
	v_and_b32_sdwa v13, v6, s4 dst_sel:DWORD dst_unused:UNUSED_PAD src0_sel:WORD_1 src1_sel:DWORD
	s_movk_i32 s4, 0x7f
	v_cmp_lt_i16_e32 vcc, s4, v13
	s_mov_b64 s[4:5], 0
                                        ; implicit-def: $sgpr10
	s_and_saveexec_b64 s[6:7], vcc
	s_xor_b64 s[6:7], exec, s[6:7]
	s_cbranch_execz .LBB2_529
; %bb.36369:
	s_getpc_b64 s[14:15]
.Lpost_getpc21768:
	s_add_u32 s14, s14, (.LBB2_14865-.Lpost_getpc21768)&4294967295
	s_addc_u32 s15, s15, (.LBB2_14865-.Lpost_getpc21768)>>32
	s_setpc_b64 s[14:15]
.LBB2_529:
	s_or_saveexec_b64 s[6:7], s[6:7]
	v_mov_b32_e32 v12, s10
	s_xor_b64 exec, exec, s[6:7]
	s_cbranch_execz .LBB2_530
; %bb.36371:
	s_getpc_b64 s[14:15]
.Lpost_getpc21769:
	s_add_u32 s14, s14, (.LBB2_14868-.Lpost_getpc21769)&4294967295
	s_addc_u32 s15, s15, (.LBB2_14868-.Lpost_getpc21769)>>32
	s_setpc_b64 s[14:15]
.LBB2_530:
	s_or_b64 exec, exec, s[6:7]
	s_and_saveexec_b64 s[6:7], s[4:5]
	s_cbranch_execz .LBB2_532
.LBB2_531:
	v_bfe_u32 v12, v6, 16, 3
	v_ffbh_u32_e32 v15, v12
	v_min_u32_e32 v15, 32, v15
	v_lshrrev_b32_e32 v13, 19, v6
	v_subrev_u32_e32 v16, 28, v15
	v_and_b32_e32 v13, 15, v13
	v_lshlrev_b32_sdwa v16, v16, v6 dst_sel:DWORD dst_unused:UNUSED_PAD src0_sel:DWORD src1_sel:WORD_1
	v_bfe_u32 v14, v6, 19, 4
	v_sub_u32_e32 v15, 29, v15
	v_and_b32_e32 v16, 7, v16
	v_cmp_eq_u16_e32 vcc, 0, v13
	v_cndmask_b32_e32 v12, v12, v16, vcc
	v_cndmask_b32_e32 v13, v14, v15, vcc
	v_lshlrev_b32_e32 v14, 8, v6
	v_mov_b32_e32 v15, 0x3b800000
	v_lshlrev_b32_e32 v12, 20, v12
	v_and_b32_e32 v14, 0x80000000, v14
	v_lshl_add_u32 v13, v13, 23, v15
	v_or3_b32 v12, v14, v13, v12
.LBB2_532:
	s_or_b64 exec, exec, s[6:7]
	s_movk_i32 s4, 0xff
	v_and_b32_sdwa v13, v2, s4 dst_sel:DWORD dst_unused:UNUSED_PAD src0_sel:WORD_1 src1_sel:DWORD
	s_movk_i32 s4, 0x7f
	v_cmp_lt_i16_e32 vcc, s4, v13
	s_mov_b64 s[4:5], 0
                                        ; implicit-def: $sgpr10
	s_and_saveexec_b64 s[6:7], vcc
	s_xor_b64 s[6:7], exec, s[6:7]
	s_cbranch_execz .LBB2_533
; %bb.36373:
	s_getpc_b64 s[14:15]
.Lpost_getpc21770:
	s_add_u32 s14, s14, (.LBB2_14869-.Lpost_getpc21770)&4294967295
	s_addc_u32 s15, s15, (.LBB2_14869-.Lpost_getpc21770)>>32
	s_setpc_b64 s[14:15]
.LBB2_533:
	s_or_saveexec_b64 s[6:7], s[6:7]
	v_mov_b32_e32 v14, s10
	s_xor_b64 exec, exec, s[6:7]
	s_cbranch_execz .LBB2_534
; %bb.36375:
	s_getpc_b64 s[14:15]
.Lpost_getpc21771:
	s_add_u32 s14, s14, (.LBB2_14872-.Lpost_getpc21771)&4294967295
	s_addc_u32 s15, s15, (.LBB2_14872-.Lpost_getpc21771)>>32
	s_setpc_b64 s[14:15]
.LBB2_534:
	s_or_b64 exec, exec, s[6:7]
	s_and_saveexec_b64 s[6:7], s[4:5]
	s_cbranch_execz .LBB2_536
.LBB2_535:
	v_bfe_u32 v13, v2, 16, 3
	v_ffbh_u32_e32 v16, v13
	v_min_u32_e32 v16, 32, v16
	v_lshrrev_b32_e32 v14, 19, v2
	v_subrev_u32_e32 v17, 28, v16
	v_and_b32_e32 v14, 15, v14
	v_lshlrev_b32_sdwa v17, v17, v2 dst_sel:DWORD dst_unused:UNUSED_PAD src0_sel:DWORD src1_sel:WORD_1
	v_bfe_u32 v15, v2, 19, 4
	v_sub_u32_e32 v16, 29, v16
	v_and_b32_e32 v17, 7, v17
	v_cmp_eq_u16_e32 vcc, 0, v14
	v_cndmask_b32_e32 v13, v13, v17, vcc
	v_cndmask_b32_e32 v14, v15, v16, vcc
	v_lshlrev_b32_e32 v15, 8, v2
	v_mov_b32_e32 v16, 0x3b800000
	v_lshlrev_b32_e32 v13, 20, v13
	v_and_b32_e32 v15, 0x80000000, v15
	v_lshl_add_u32 v14, v14, 23, v16
	v_or3_b32 v14, v15, v14, v13
.LBB2_536:
	s_or_b64 exec, exec, s[6:7]
	s_nop 0
	v_mfma_f32_16x16x4f32 a[0:3], v12, v14, a[0:3]
	s_movk_i32 s4, 0x7f
	v_cmp_gt_i16_sdwa s[6:7], v6, s4 src0_sel:BYTE_3 src1_sel:DWORD
	s_mov_b64 s[4:5], 0
                                        ; implicit-def: $sgpr10
	s_and_saveexec_b64 s[8:9], s[6:7]
	s_xor_b64 s[6:7], exec, s[8:9]
	s_cbranch_execz .LBB2_537
; %bb.36377:
	s_getpc_b64 s[14:15]
.Lpost_getpc21772:
	s_add_u32 s14, s14, (.LBB2_14873-.Lpost_getpc21772)&4294967295
	s_addc_u32 s15, s15, (.LBB2_14873-.Lpost_getpc21772)>>32
	s_setpc_b64 s[14:15]
.LBB2_537:
	s_or_saveexec_b64 s[6:7], s[6:7]
	v_mov_b32_e32 v12, s10
	s_xor_b64 exec, exec, s[6:7]
	s_cbranch_execz .LBB2_538
; %bb.36379:
	s_getpc_b64 s[14:15]
.Lpost_getpc21773:
	s_add_u32 s14, s14, (.LBB2_14876-.Lpost_getpc21773)&4294967295
	s_addc_u32 s15, s15, (.LBB2_14876-.Lpost_getpc21773)>>32
	s_setpc_b64 s[14:15]
.LBB2_538:
	s_or_b64 exec, exec, s[6:7]
	s_and_saveexec_b64 s[6:7], s[4:5]
	s_cbranch_execz .LBB2_540
.LBB2_539:
	v_bfe_u32 v12, v6, 24, 3
	v_ffbh_u32_e32 v16, v12
	v_min_u32_e32 v16, 32, v16
	v_lshrrev_b32_e32 v14, 27, v6
	v_subrev_u32_e32 v17, 28, v16
	v_and_b32_e32 v13, 0x80000000, v6
	v_and_b32_e32 v14, 15, v14
	v_bfe_u32 v15, v6, 27, 4
	v_lshlrev_b32_sdwa v6, v17, v6 dst_sel:DWORD dst_unused:UNUSED_PAD src0_sel:DWORD src1_sel:BYTE_3
	v_sub_u32_e32 v16, 29, v16
	v_and_b32_e32 v6, 7, v6
	v_cmp_eq_u16_e32 vcc, 0, v14
	v_cndmask_b32_e32 v6, v12, v6, vcc
	v_cndmask_b32_e32 v12, v15, v16, vcc
	v_mov_b32_e32 v14, 0x3b800000
	v_lshlrev_b32_e32 v6, 20, v6
	v_lshl_add_u32 v12, v12, 23, v14
	v_or3_b32 v12, v13, v12, v6
.LBB2_540:
	s_or_b64 exec, exec, s[6:7]
	s_movk_i32 s4, 0x7f
	v_cmp_gt_i16_sdwa s[6:7], v2, s4 src0_sel:BYTE_3 src1_sel:DWORD
	s_mov_b64 s[4:5], 0
                                        ; implicit-def: $sgpr10
	s_and_saveexec_b64 s[8:9], s[6:7]
	s_xor_b64 s[6:7], exec, s[8:9]
	s_cbranch_execz .LBB2_541
; %bb.36381:
	s_getpc_b64 s[14:15]
.Lpost_getpc21774:
	s_add_u32 s14, s14, (.LBB2_14877-.Lpost_getpc21774)&4294967295
	s_addc_u32 s15, s15, (.LBB2_14877-.Lpost_getpc21774)>>32
	s_setpc_b64 s[14:15]
.LBB2_541:
	s_or_saveexec_b64 s[6:7], s[6:7]
	v_mov_b32_e32 v6, s10
	s_xor_b64 exec, exec, s[6:7]
	s_cbranch_execz .LBB2_542
; %bb.36383:
	s_getpc_b64 s[14:15]
.Lpost_getpc21775:
	s_add_u32 s14, s14, (.LBB2_14880-.Lpost_getpc21775)&4294967295
	s_addc_u32 s15, s15, (.LBB2_14880-.Lpost_getpc21775)>>32
	s_setpc_b64 s[14:15]
.LBB2_542:
	s_or_b64 exec, exec, s[6:7]
	s_and_saveexec_b64 s[6:7], s[4:5]
	s_cbranch_execz .LBB2_544
.LBB2_543:
	v_bfe_u32 v6, v2, 24, 3
	v_ffbh_u32_e32 v16, v6
	v_min_u32_e32 v16, 32, v16
	v_lshrrev_b32_e32 v14, 27, v2
	v_subrev_u32_e32 v17, 28, v16
	v_and_b32_e32 v13, 0x80000000, v2
	v_and_b32_e32 v14, 15, v14
	v_bfe_u32 v15, v2, 27, 4
	v_lshlrev_b32_sdwa v2, v17, v2 dst_sel:DWORD dst_unused:UNUSED_PAD src0_sel:DWORD src1_sel:BYTE_3
	v_sub_u32_e32 v16, 29, v16
	v_and_b32_e32 v2, 7, v2
	v_cmp_eq_u16_e32 vcc, 0, v14
	v_cndmask_b32_e32 v2, v6, v2, vcc
	v_cndmask_b32_e32 v6, v15, v16, vcc
	v_mov_b32_e32 v14, 0x3b800000
	v_lshlrev_b32_e32 v2, 20, v2
	v_lshl_add_u32 v6, v6, 23, v14
	v_or3_b32 v6, v13, v6, v2
.LBB2_544:
	s_or_b64 exec, exec, s[6:7]
	s_nop 0
	v_mfma_f32_16x16x4f32 a[0:3], v12, v6, a[0:3]
	s_movk_i32 s4, 0x7f
	v_cmp_gt_i16_sdwa s[6:7], v7, s4 src0_sel:BYTE_0 src1_sel:DWORD
	s_mov_b64 s[4:5], 0
                                        ; implicit-def: $sgpr10
	s_and_saveexec_b64 s[8:9], s[6:7]
	s_xor_b64 s[6:7], exec, s[8:9]
	s_cbranch_execz .LBB2_545
; %bb.36385:
	s_getpc_b64 s[14:15]
.Lpost_getpc21776:
	s_add_u32 s14, s14, (.LBB2_14881-.Lpost_getpc21776)&4294967295
	s_addc_u32 s15, s15, (.LBB2_14881-.Lpost_getpc21776)>>32
	s_setpc_b64 s[14:15]
.LBB2_545:
	s_or_saveexec_b64 s[6:7], s[6:7]
	v_mov_b32_e32 v2, s10
	s_xor_b64 exec, exec, s[6:7]
	s_cbranch_execz .LBB2_546
; %bb.36387:
	s_getpc_b64 s[14:15]
.Lpost_getpc21777:
	s_add_u32 s14, s14, (.LBB2_14884-.Lpost_getpc21777)&4294967295
	s_addc_u32 s15, s15, (.LBB2_14884-.Lpost_getpc21777)>>32
	s_setpc_b64 s[14:15]
.LBB2_546:
	s_or_b64 exec, exec, s[6:7]
	s_and_saveexec_b64 s[6:7], s[4:5]
	s_cbranch_execz .LBB2_548
.LBB2_547:
	v_and_b32_e32 v2, 7, v7
	v_ffbh_u32_e32 v12, v2
	v_min_u32_e32 v12, 32, v12
	v_lshrrev_b16_e32 v6, 3, v7
	v_subrev_u32_e32 v13, 28, v12
	v_and_b32_e32 v6, 15, v6
	v_lshlrev_b32_e32 v13, v13, v7
	v_sub_u32_e32 v12, 29, v12
	v_and_b32_e32 v13, 7, v13
	v_cmp_eq_u16_e32 vcc, 0, v6
	v_cndmask_b32_e32 v2, v2, v13, vcc
	v_cndmask_b32_e32 v6, v6, v12, vcc
	v_lshlrev_b32_e32 v12, 24, v7
	v_mov_b32_e32 v13, 0x3b800000
	v_lshlrev_b32_e32 v2, 20, v2
	v_and_b32_e32 v12, 0x80000000, v12
	v_lshl_add_u32 v6, v6, 23, v13
	v_or3_b32 v2, v12, v6, v2
.LBB2_548:
	s_or_b64 exec, exec, s[6:7]
	s_movk_i32 s4, 0x7f
	v_cmp_gt_i16_sdwa s[6:7], v3, s4 src0_sel:BYTE_0 src1_sel:DWORD
	s_mov_b64 s[4:5], 0
                                        ; implicit-def: $sgpr10
	s_and_saveexec_b64 s[8:9], s[6:7]
	s_xor_b64 s[6:7], exec, s[8:9]
	s_cbranch_execz .LBB2_549
; %bb.36389:
	s_getpc_b64 s[14:15]
.Lpost_getpc21778:
	s_add_u32 s14, s14, (.LBB2_14885-.Lpost_getpc21778)&4294967295
	s_addc_u32 s15, s15, (.LBB2_14885-.Lpost_getpc21778)>>32
	s_setpc_b64 s[14:15]
.LBB2_549:
	s_or_saveexec_b64 s[6:7], s[6:7]
	v_mov_b32_e32 v6, s10
	s_xor_b64 exec, exec, s[6:7]
	s_cbranch_execz .LBB2_550
; %bb.36391:
	s_getpc_b64 s[14:15]
.Lpost_getpc21779:
	s_add_u32 s14, s14, (.LBB2_14888-.Lpost_getpc21779)&4294967295
	s_addc_u32 s15, s15, (.LBB2_14888-.Lpost_getpc21779)>>32
	s_setpc_b64 s[14:15]
.LBB2_550:
	s_or_b64 exec, exec, s[6:7]
	s_and_saveexec_b64 s[6:7], s[4:5]
	s_cbranch_execz .LBB2_552
.LBB2_551:
	v_and_b32_e32 v6, 7, v3
	v_ffbh_u32_e32 v13, v6
	v_min_u32_e32 v13, 32, v13
	v_lshrrev_b16_e32 v12, 3, v3
	v_subrev_u32_e32 v14, 28, v13
	v_and_b32_e32 v12, 15, v12
	v_lshlrev_b32_e32 v14, v14, v3
	v_sub_u32_e32 v13, 29, v13
	v_and_b32_e32 v14, 7, v14
	v_cmp_eq_u16_e32 vcc, 0, v12
	v_cndmask_b32_e32 v6, v6, v14, vcc
	v_cndmask_b32_e32 v12, v12, v13, vcc
	v_lshlrev_b32_e32 v13, 24, v3
	v_mov_b32_e32 v14, 0x3b800000
	v_lshlrev_b32_e32 v6, 20, v6
	v_and_b32_e32 v13, 0x80000000, v13
	v_lshl_add_u32 v12, v12, 23, v14
	v_or3_b32 v6, v13, v12, v6
.LBB2_552:
	s_or_b64 exec, exec, s[6:7]
	s_nop 0
	v_mfma_f32_16x16x4f32 a[0:3], v2, v6, a[0:3]
	v_lshrrev_b32_e32 v6, 8, v7
	s_movk_i32 s4, 0x7f
	v_cmp_gt_i16_sdwa s[6:7], v6, s4 src0_sel:BYTE_0 src1_sel:DWORD
	s_mov_b64 s[4:5], 0
                                        ; implicit-def: $sgpr10
	s_and_saveexec_b64 s[8:9], s[6:7]
	s_xor_b64 s[6:7], exec, s[8:9]
	s_cbranch_execz .LBB2_553
; %bb.36393:
	s_getpc_b64 s[14:15]
.Lpost_getpc21780:
	s_add_u32 s14, s14, (.LBB2_14889-.Lpost_getpc21780)&4294967295
	s_addc_u32 s15, s15, (.LBB2_14889-.Lpost_getpc21780)>>32
	s_setpc_b64 s[14:15]
.LBB2_553:
	s_or_saveexec_b64 s[6:7], s[6:7]
	v_mov_b32_e32 v2, s10
	s_xor_b64 exec, exec, s[6:7]
	s_cbranch_execz .LBB2_554
; %bb.36395:
	s_getpc_b64 s[14:15]
.Lpost_getpc21781:
	s_add_u32 s14, s14, (.LBB2_14892-.Lpost_getpc21781)&4294967295
	s_addc_u32 s15, s15, (.LBB2_14892-.Lpost_getpc21781)>>32
	s_setpc_b64 s[14:15]
.LBB2_554:
	s_or_b64 exec, exec, s[6:7]
	s_and_saveexec_b64 s[6:7], s[4:5]
	s_cbranch_execz .LBB2_556
.LBB2_555:
	v_bfe_u32 v2, v7, 8, 3
	v_ffbh_u32_e32 v13, v2
	v_min_u32_e32 v13, 32, v13
	v_lshrrev_b16_e32 v12, 3, v6
	v_subrev_u32_e32 v14, 28, v13
	v_and_b32_e32 v12, 15, v12
	v_lshlrev_b32_e32 v6, v14, v6
	v_sub_u32_e32 v13, 29, v13
	v_and_b32_e32 v6, 7, v6
	v_cmp_eq_u16_e32 vcc, 0, v12
	v_cndmask_b32_e32 v2, v2, v6, vcc
	v_cndmask_b32_e32 v6, v12, v13, vcc
	v_lshlrev_b32_e32 v12, 16, v7
	v_mov_b32_e32 v13, 0x3b800000
	v_lshlrev_b32_e32 v2, 20, v2
	v_and_b32_e32 v12, 0x80000000, v12
	v_lshl_add_u32 v6, v6, 23, v13
	v_or3_b32 v2, v12, v6, v2
.LBB2_556:
	s_or_b64 exec, exec, s[6:7]
	v_lshrrev_b32_e32 v6, 8, v3
	s_movk_i32 s4, 0x7f
	v_cmp_gt_i16_sdwa s[6:7], v6, s4 src0_sel:BYTE_0 src1_sel:DWORD
	s_mov_b64 s[4:5], 0
                                        ; implicit-def: $sgpr10
	s_and_saveexec_b64 s[8:9], s[6:7]
	s_xor_b64 s[6:7], exec, s[8:9]
	s_cbranch_execz .LBB2_557
; %bb.36397:
	s_getpc_b64 s[14:15]
.Lpost_getpc21782:
	s_add_u32 s14, s14, (.LBB2_14893-.Lpost_getpc21782)&4294967295
	s_addc_u32 s15, s15, (.LBB2_14893-.Lpost_getpc21782)>>32
	s_setpc_b64 s[14:15]
.LBB2_557:
	s_or_saveexec_b64 s[6:7], s[6:7]
	v_mov_b32_e32 v12, s10
	s_xor_b64 exec, exec, s[6:7]
	s_cbranch_execz .LBB2_558
; %bb.36399:
	s_getpc_b64 s[14:15]
.Lpost_getpc21783:
	s_add_u32 s14, s14, (.LBB2_14896-.Lpost_getpc21783)&4294967295
	s_addc_u32 s15, s15, (.LBB2_14896-.Lpost_getpc21783)>>32
	s_setpc_b64 s[14:15]
.LBB2_558:
	s_or_b64 exec, exec, s[6:7]
	s_and_saveexec_b64 s[6:7], s[4:5]
	s_cbranch_execz .LBB2_560
.LBB2_559:
	v_bfe_u32 v12, v3, 8, 3
	v_ffbh_u32_e32 v14, v12
	v_min_u32_e32 v14, 32, v14
	v_lshrrev_b16_e32 v13, 3, v6
	v_subrev_u32_e32 v15, 28, v14
	v_and_b32_e32 v13, 15, v13
	v_lshlrev_b32_e32 v6, v15, v6
	v_sub_u32_e32 v14, 29, v14
	v_and_b32_e32 v6, 7, v6
	v_cmp_eq_u16_e32 vcc, 0, v13
	v_cndmask_b32_e32 v6, v12, v6, vcc
	v_cndmask_b32_e32 v12, v13, v14, vcc
	v_lshlrev_b32_e32 v13, 16, v3
	v_mov_b32_e32 v14, 0x3b800000
	v_lshlrev_b32_e32 v6, 20, v6
	v_and_b32_e32 v13, 0x80000000, v13
	v_lshl_add_u32 v12, v12, 23, v14
	v_or3_b32 v12, v13, v12, v6
.LBB2_560:
	s_or_b64 exec, exec, s[6:7]
	s_nop 0
	v_mfma_f32_16x16x4f32 a[0:3], v2, v12, a[0:3]
	s_movk_i32 s4, 0xff
	v_and_b32_sdwa v6, v7, s4 dst_sel:DWORD dst_unused:UNUSED_PAD src0_sel:WORD_1 src1_sel:DWORD
	s_movk_i32 s4, 0x7f
	v_cmp_lt_i16_e32 vcc, s4, v6
	s_mov_b64 s[4:5], 0
                                        ; implicit-def: $sgpr10
	s_and_saveexec_b64 s[6:7], vcc
	s_xor_b64 s[6:7], exec, s[6:7]
	s_cbranch_execz .LBB2_561
; %bb.36401:
	s_getpc_b64 s[14:15]
.Lpost_getpc21784:
	s_add_u32 s14, s14, (.LBB2_14897-.Lpost_getpc21784)&4294967295
	s_addc_u32 s15, s15, (.LBB2_14897-.Lpost_getpc21784)>>32
	s_setpc_b64 s[14:15]
.LBB2_561:
	s_or_saveexec_b64 s[6:7], s[6:7]
	v_mov_b32_e32 v2, s10
	s_xor_b64 exec, exec, s[6:7]
	s_cbranch_execz .LBB2_562
; %bb.36403:
	s_getpc_b64 s[14:15]
.Lpost_getpc21785:
	s_add_u32 s14, s14, (.LBB2_14900-.Lpost_getpc21785)&4294967295
	s_addc_u32 s15, s15, (.LBB2_14900-.Lpost_getpc21785)>>32
	s_setpc_b64 s[14:15]
.LBB2_562:
	s_or_b64 exec, exec, s[6:7]
	s_and_saveexec_b64 s[6:7], s[4:5]
	s_cbranch_execz .LBB2_564
.LBB2_563:
	v_bfe_u32 v2, v7, 16, 3
	v_ffbh_u32_e32 v13, v2
	v_min_u32_e32 v13, 32, v13
	v_lshrrev_b32_e32 v6, 19, v7
	v_subrev_u32_e32 v14, 28, v13
	v_and_b32_e32 v6, 15, v6
	v_lshlrev_b32_sdwa v14, v14, v7 dst_sel:DWORD dst_unused:UNUSED_PAD src0_sel:DWORD src1_sel:WORD_1
	v_bfe_u32 v12, v7, 19, 4
	v_sub_u32_e32 v13, 29, v13
	v_and_b32_e32 v14, 7, v14
	v_cmp_eq_u16_e32 vcc, 0, v6
	v_cndmask_b32_e32 v2, v2, v14, vcc
	v_cndmask_b32_e32 v6, v12, v13, vcc
	v_lshlrev_b32_e32 v12, 8, v7
	v_mov_b32_e32 v13, 0x3b800000
	v_lshlrev_b32_e32 v2, 20, v2
	v_and_b32_e32 v12, 0x80000000, v12
	v_lshl_add_u32 v6, v6, 23, v13
	v_or3_b32 v2, v12, v6, v2
.LBB2_564:
	s_or_b64 exec, exec, s[6:7]
	s_movk_i32 s4, 0xff
	v_and_b32_sdwa v6, v3, s4 dst_sel:DWORD dst_unused:UNUSED_PAD src0_sel:WORD_1 src1_sel:DWORD
	s_movk_i32 s4, 0x7f
	v_cmp_lt_i16_e32 vcc, s4, v6
	s_mov_b64 s[4:5], 0
                                        ; implicit-def: $sgpr10
	s_and_saveexec_b64 s[6:7], vcc
	s_xor_b64 s[6:7], exec, s[6:7]
	s_cbranch_execz .LBB2_565
; %bb.36405:
	s_getpc_b64 s[14:15]
.Lpost_getpc21786:
	s_add_u32 s14, s14, (.LBB2_14901-.Lpost_getpc21786)&4294967295
	s_addc_u32 s15, s15, (.LBB2_14901-.Lpost_getpc21786)>>32
	s_setpc_b64 s[14:15]
.LBB2_565:
	s_or_saveexec_b64 s[6:7], s[6:7]
	v_mov_b32_e32 v12, s10
	s_xor_b64 exec, exec, s[6:7]
	s_cbranch_execz .LBB2_566
; %bb.36407:
	s_getpc_b64 s[14:15]
.Lpost_getpc21787:
	s_add_u32 s14, s14, (.LBB2_14904-.Lpost_getpc21787)&4294967295
	s_addc_u32 s15, s15, (.LBB2_14904-.Lpost_getpc21787)>>32
	s_setpc_b64 s[14:15]
.LBB2_566:
	s_or_b64 exec, exec, s[6:7]
	s_and_saveexec_b64 s[6:7], s[4:5]
	s_cbranch_execz .LBB2_568
.LBB2_567:
	v_bfe_u32 v6, v3, 16, 3
	v_ffbh_u32_e32 v14, v6
	v_min_u32_e32 v14, 32, v14
	v_lshrrev_b32_e32 v12, 19, v3
	v_subrev_u32_e32 v15, 28, v14
	v_and_b32_e32 v12, 15, v12
	v_lshlrev_b32_sdwa v15, v15, v3 dst_sel:DWORD dst_unused:UNUSED_PAD src0_sel:DWORD src1_sel:WORD_1
	v_bfe_u32 v13, v3, 19, 4
	v_sub_u32_e32 v14, 29, v14
	v_and_b32_e32 v15, 7, v15
	v_cmp_eq_u16_e32 vcc, 0, v12
	v_cndmask_b32_e32 v6, v6, v15, vcc
	v_cndmask_b32_e32 v12, v13, v14, vcc
	v_lshlrev_b32_e32 v13, 8, v3
	v_mov_b32_e32 v14, 0x3b800000
	v_lshlrev_b32_e32 v6, 20, v6
	v_and_b32_e32 v13, 0x80000000, v13
	v_lshl_add_u32 v12, v12, 23, v14
	v_or3_b32 v12, v13, v12, v6
.LBB2_568:
	s_or_b64 exec, exec, s[6:7]
	s_nop 0
	v_mfma_f32_16x16x4f32 a[0:3], v2, v12, a[0:3]
	s_movk_i32 s4, 0x7f
	v_cmp_gt_i16_sdwa s[6:7], v7, s4 src0_sel:BYTE_3 src1_sel:DWORD
	s_mov_b64 s[4:5], 0
                                        ; implicit-def: $sgpr10
	s_and_saveexec_b64 s[8:9], s[6:7]
	s_xor_b64 s[6:7], exec, s[8:9]
	s_cbranch_execz .LBB2_569
; %bb.36409:
	s_getpc_b64 s[14:15]
.Lpost_getpc21788:
	s_add_u32 s14, s14, (.LBB2_14905-.Lpost_getpc21788)&4294967295
	s_addc_u32 s15, s15, (.LBB2_14905-.Lpost_getpc21788)>>32
	s_setpc_b64 s[14:15]
.LBB2_569:
	s_or_saveexec_b64 s[6:7], s[6:7]
	v_mov_b32_e32 v2, s10
	s_xor_b64 exec, exec, s[6:7]
	s_cbranch_execz .LBB2_570
; %bb.36411:
	s_getpc_b64 s[14:15]
.Lpost_getpc21789:
	s_add_u32 s14, s14, (.LBB2_14908-.Lpost_getpc21789)&4294967295
	s_addc_u32 s15, s15, (.LBB2_14908-.Lpost_getpc21789)>>32
	s_setpc_b64 s[14:15]
.LBB2_570:
	s_or_b64 exec, exec, s[6:7]
	s_and_saveexec_b64 s[6:7], s[4:5]
	s_cbranch_execz .LBB2_572
.LBB2_571:
	v_bfe_u32 v2, v7, 24, 3
	v_ffbh_u32_e32 v14, v2
	v_min_u32_e32 v14, 32, v14
	v_lshrrev_b32_e32 v12, 27, v7
	v_subrev_u32_e32 v15, 28, v14
	v_and_b32_e32 v6, 0x80000000, v7
	v_and_b32_e32 v12, 15, v12
	v_bfe_u32 v13, v7, 27, 4
	v_lshlrev_b32_sdwa v7, v15, v7 dst_sel:DWORD dst_unused:UNUSED_PAD src0_sel:DWORD src1_sel:BYTE_3
	v_sub_u32_e32 v14, 29, v14
	v_and_b32_e32 v7, 7, v7
	v_cmp_eq_u16_e32 vcc, 0, v12
	v_cndmask_b32_e32 v2, v2, v7, vcc
	v_cndmask_b32_e32 v7, v13, v14, vcc
	v_mov_b32_e32 v12, 0x3b800000
	v_lshlrev_b32_e32 v2, 20, v2
	v_lshl_add_u32 v7, v7, 23, v12
	v_or3_b32 v2, v6, v7, v2
.LBB2_572:
	s_or_b64 exec, exec, s[6:7]
	s_movk_i32 s4, 0x7f
	v_cmp_gt_i16_sdwa s[6:7], v3, s4 src0_sel:BYTE_3 src1_sel:DWORD
	s_mov_b64 s[4:5], 0
                                        ; implicit-def: $sgpr10
	s_and_saveexec_b64 s[8:9], s[6:7]
	s_xor_b64 s[6:7], exec, s[8:9]
	s_cbranch_execz .LBB2_573
; %bb.36413:
	s_getpc_b64 s[14:15]
.Lpost_getpc21790:
	s_add_u32 s14, s14, (.LBB2_14909-.Lpost_getpc21790)&4294967295
	s_addc_u32 s15, s15, (.LBB2_14909-.Lpost_getpc21790)>>32
	s_setpc_b64 s[14:15]
.LBB2_573:
	s_or_saveexec_b64 s[6:7], s[6:7]
	v_mov_b32_e32 v6, s10
	s_xor_b64 exec, exec, s[6:7]
	s_cbranch_execz .LBB2_574
; %bb.36415:
	s_getpc_b64 s[14:15]
.Lpost_getpc21791:
	s_add_u32 s14, s14, (.LBB2_14912-.Lpost_getpc21791)&4294967295
	s_addc_u32 s15, s15, (.LBB2_14912-.Lpost_getpc21791)>>32
	s_setpc_b64 s[14:15]
.LBB2_574:
	s_or_b64 exec, exec, s[6:7]
	s_and_saveexec_b64 s[6:7], s[4:5]
	s_cbranch_execz .LBB2_576
.LBB2_575:
	v_bfe_u32 v6, v3, 24, 3
	v_ffbh_u32_e32 v14, v6
	v_min_u32_e32 v14, 32, v14
	v_lshrrev_b32_e32 v12, 27, v3
	v_subrev_u32_e32 v15, 28, v14
	v_and_b32_e32 v7, 0x80000000, v3
	v_and_b32_e32 v12, 15, v12
	v_bfe_u32 v13, v3, 27, 4
	v_lshlrev_b32_sdwa v3, v15, v3 dst_sel:DWORD dst_unused:UNUSED_PAD src0_sel:DWORD src1_sel:BYTE_3
	v_sub_u32_e32 v14, 29, v14
	v_and_b32_e32 v3, 7, v3
	v_cmp_eq_u16_e32 vcc, 0, v12
	v_cndmask_b32_e32 v3, v6, v3, vcc
	v_cndmask_b32_e32 v6, v13, v14, vcc
	v_mov_b32_e32 v12, 0x3b800000
	v_lshlrev_b32_e32 v3, 20, v3
	v_lshl_add_u32 v6, v6, 23, v12
	v_or3_b32 v6, v7, v6, v3
.LBB2_576:
	s_or_b64 exec, exec, s[6:7]
	s_nop 0
	v_mfma_f32_16x16x4f32 a[0:3], v2, v6, a[0:3]
	s_movk_i32 s4, 0x7f
	v_cmp_gt_i16_sdwa s[6:7], v8, s4 src0_sel:BYTE_0 src1_sel:DWORD
	s_mov_b64 s[4:5], 0
                                        ; implicit-def: $sgpr10
	s_and_saveexec_b64 s[8:9], s[6:7]
	s_xor_b64 s[6:7], exec, s[8:9]
	s_cbranch_execz .LBB2_577
; %bb.36417:
	s_getpc_b64 s[14:15]
.Lpost_getpc21792:
	s_add_u32 s14, s14, (.LBB2_14913-.Lpost_getpc21792)&4294967295
	s_addc_u32 s15, s15, (.LBB2_14913-.Lpost_getpc21792)>>32
	s_setpc_b64 s[14:15]
.LBB2_577:
	s_or_saveexec_b64 s[6:7], s[6:7]
	v_mov_b32_e32 v2, s10
	s_xor_b64 exec, exec, s[6:7]
	s_cbranch_execz .LBB2_578
; %bb.36419:
	s_getpc_b64 s[14:15]
.Lpost_getpc21793:
	s_add_u32 s14, s14, (.LBB2_14916-.Lpost_getpc21793)&4294967295
	s_addc_u32 s15, s15, (.LBB2_14916-.Lpost_getpc21793)>>32
	s_setpc_b64 s[14:15]
.LBB2_578:
	s_or_b64 exec, exec, s[6:7]
	s_and_saveexec_b64 s[6:7], s[4:5]
	s_cbranch_execz .LBB2_580
.LBB2_579:
	v_and_b32_e32 v2, 7, v8
	v_ffbh_u32_e32 v6, v2
	v_min_u32_e32 v6, 32, v6
	v_lshrrev_b16_e32 v3, 3, v8
	v_subrev_u32_e32 v7, 28, v6
	v_and_b32_e32 v3, 15, v3
	v_lshlrev_b32_e32 v7, v7, v8
	v_sub_u32_e32 v6, 29, v6
	v_and_b32_e32 v7, 7, v7
	v_cmp_eq_u16_e32 vcc, 0, v3
	v_cndmask_b32_e32 v2, v2, v7, vcc
	v_cndmask_b32_e32 v3, v3, v6, vcc
	v_lshlrev_b32_e32 v6, 24, v8
	v_mov_b32_e32 v7, 0x3b800000
	v_lshlrev_b32_e32 v2, 20, v2
	v_and_b32_e32 v6, 0x80000000, v6
	v_lshl_add_u32 v3, v3, 23, v7
	v_or3_b32 v2, v6, v3, v2
.LBB2_580:
	s_or_b64 exec, exec, s[6:7]
	s_movk_i32 s4, 0x7f
	v_cmp_gt_i16_sdwa s[6:7], v4, s4 src0_sel:BYTE_0 src1_sel:DWORD
	s_mov_b64 s[4:5], 0
                                        ; implicit-def: $sgpr10
	s_and_saveexec_b64 s[8:9], s[6:7]
	s_xor_b64 s[6:7], exec, s[8:9]
	s_cbranch_execz .LBB2_581
; %bb.36421:
	s_getpc_b64 s[14:15]
.Lpost_getpc21794:
	s_add_u32 s14, s14, (.LBB2_14917-.Lpost_getpc21794)&4294967295
	s_addc_u32 s15, s15, (.LBB2_14917-.Lpost_getpc21794)>>32
	s_setpc_b64 s[14:15]
.LBB2_581:
	s_or_saveexec_b64 s[6:7], s[6:7]
	v_mov_b32_e32 v3, s10
	s_xor_b64 exec, exec, s[6:7]
	s_cbranch_execz .LBB2_582
; %bb.36423:
	s_getpc_b64 s[14:15]
.Lpost_getpc21795:
	s_add_u32 s14, s14, (.LBB2_14920-.Lpost_getpc21795)&4294967295
	s_addc_u32 s15, s15, (.LBB2_14920-.Lpost_getpc21795)>>32
	s_setpc_b64 s[14:15]
.LBB2_582:
	s_or_b64 exec, exec, s[6:7]
	s_and_saveexec_b64 s[6:7], s[4:5]
	s_cbranch_execz .LBB2_584
.LBB2_583:
	v_and_b32_e32 v3, 7, v4
	v_ffbh_u32_e32 v7, v3
	v_min_u32_e32 v7, 32, v7
	v_lshrrev_b16_e32 v6, 3, v4
	v_subrev_u32_e32 v12, 28, v7
	v_and_b32_e32 v6, 15, v6
	v_lshlrev_b32_e32 v12, v12, v4
	v_sub_u32_e32 v7, 29, v7
	v_and_b32_e32 v12, 7, v12
	v_cmp_eq_u16_e32 vcc, 0, v6
	v_cndmask_b32_e32 v3, v3, v12, vcc
	v_cndmask_b32_e32 v6, v6, v7, vcc
	v_lshlrev_b32_e32 v7, 24, v4
	v_mov_b32_e32 v12, 0x3b800000
	v_lshlrev_b32_e32 v3, 20, v3
	v_and_b32_e32 v7, 0x80000000, v7
	v_lshl_add_u32 v6, v6, 23, v12
	v_or3_b32 v3, v7, v6, v3
.LBB2_584:
	s_or_b64 exec, exec, s[6:7]
	s_nop 0
	v_mfma_f32_16x16x4f32 a[0:3], v2, v3, a[0:3]
	v_lshrrev_b32_e32 v3, 8, v8
	s_movk_i32 s4, 0x7f
	v_cmp_gt_i16_sdwa s[6:7], v3, s4 src0_sel:BYTE_0 src1_sel:DWORD
	s_mov_b64 s[4:5], 0
                                        ; implicit-def: $sgpr10
	s_and_saveexec_b64 s[8:9], s[6:7]
	s_xor_b64 s[6:7], exec, s[8:9]
	s_cbranch_execz .LBB2_585
; %bb.36425:
	s_getpc_b64 s[14:15]
.Lpost_getpc21796:
	s_add_u32 s14, s14, (.LBB2_14921-.Lpost_getpc21796)&4294967295
	s_addc_u32 s15, s15, (.LBB2_14921-.Lpost_getpc21796)>>32
	s_setpc_b64 s[14:15]
.LBB2_585:
	s_or_saveexec_b64 s[6:7], s[6:7]
	v_mov_b32_e32 v2, s10
	s_xor_b64 exec, exec, s[6:7]
	s_cbranch_execz .LBB2_586
; %bb.36427:
	s_getpc_b64 s[14:15]
.Lpost_getpc21797:
	s_add_u32 s14, s14, (.LBB2_14924-.Lpost_getpc21797)&4294967295
	s_addc_u32 s15, s15, (.LBB2_14924-.Lpost_getpc21797)>>32
	s_setpc_b64 s[14:15]
.LBB2_586:
	s_or_b64 exec, exec, s[6:7]
	s_and_saveexec_b64 s[6:7], s[4:5]
	s_cbranch_execz .LBB2_588
.LBB2_587:
	v_bfe_u32 v2, v8, 8, 3
	v_ffbh_u32_e32 v7, v2
	v_min_u32_e32 v7, 32, v7
	v_lshrrev_b16_e32 v6, 3, v3
	v_subrev_u32_e32 v12, 28, v7
	v_and_b32_e32 v6, 15, v6
	v_lshlrev_b32_e32 v3, v12, v3
	v_sub_u32_e32 v7, 29, v7
	v_and_b32_e32 v3, 7, v3
	v_cmp_eq_u16_e32 vcc, 0, v6
	v_cndmask_b32_e32 v2, v2, v3, vcc
	v_cndmask_b32_e32 v3, v6, v7, vcc
	v_lshlrev_b32_e32 v6, 16, v8
	v_mov_b32_e32 v7, 0x3b800000
	v_lshlrev_b32_e32 v2, 20, v2
	v_and_b32_e32 v6, 0x80000000, v6
	v_lshl_add_u32 v3, v3, 23, v7
	v_or3_b32 v2, v6, v3, v2
.LBB2_588:
	s_or_b64 exec, exec, s[6:7]
	v_lshrrev_b32_e32 v3, 8, v4
	s_movk_i32 s4, 0x7f
	v_cmp_gt_i16_sdwa s[6:7], v3, s4 src0_sel:BYTE_0 src1_sel:DWORD
	s_mov_b64 s[4:5], 0
                                        ; implicit-def: $sgpr10
	s_and_saveexec_b64 s[8:9], s[6:7]
	s_xor_b64 s[6:7], exec, s[8:9]
	s_cbranch_execz .LBB2_589
; %bb.36429:
	s_getpc_b64 s[14:15]
.Lpost_getpc21798:
	s_add_u32 s14, s14, (.LBB2_14925-.Lpost_getpc21798)&4294967295
	s_addc_u32 s15, s15, (.LBB2_14925-.Lpost_getpc21798)>>32
	s_setpc_b64 s[14:15]
.LBB2_589:
	s_or_saveexec_b64 s[6:7], s[6:7]
	v_mov_b32_e32 v6, s10
	s_xor_b64 exec, exec, s[6:7]
	s_cbranch_execz .LBB2_590
; %bb.36431:
	s_getpc_b64 s[14:15]
.Lpost_getpc21799:
	s_add_u32 s14, s14, (.LBB2_14928-.Lpost_getpc21799)&4294967295
	s_addc_u32 s15, s15, (.LBB2_14928-.Lpost_getpc21799)>>32
	s_setpc_b64 s[14:15]
.LBB2_590:
	s_or_b64 exec, exec, s[6:7]
	s_and_saveexec_b64 s[6:7], s[4:5]
	s_cbranch_execz .LBB2_592
.LBB2_591:
	v_bfe_u32 v6, v4, 8, 3
	v_ffbh_u32_e32 v12, v6
	v_min_u32_e32 v12, 32, v12
	v_lshrrev_b16_e32 v7, 3, v3
	v_subrev_u32_e32 v13, 28, v12
	v_and_b32_e32 v7, 15, v7
	v_lshlrev_b32_e32 v3, v13, v3
	v_sub_u32_e32 v12, 29, v12
	v_and_b32_e32 v3, 7, v3
	v_cmp_eq_u16_e32 vcc, 0, v7
	v_cndmask_b32_e32 v3, v6, v3, vcc
	v_cndmask_b32_e32 v6, v7, v12, vcc
	v_lshlrev_b32_e32 v7, 16, v4
	v_mov_b32_e32 v12, 0x3b800000
	v_lshlrev_b32_e32 v3, 20, v3
	v_and_b32_e32 v7, 0x80000000, v7
	v_lshl_add_u32 v6, v6, 23, v12
	v_or3_b32 v6, v7, v6, v3
.LBB2_592:
	s_or_b64 exec, exec, s[6:7]
	s_nop 0
	v_mfma_f32_16x16x4f32 a[0:3], v2, v6, a[0:3]
	s_movk_i32 s4, 0xff
	v_and_b32_sdwa v3, v8, s4 dst_sel:DWORD dst_unused:UNUSED_PAD src0_sel:WORD_1 src1_sel:DWORD
	s_movk_i32 s4, 0x7f
	v_cmp_lt_i16_e32 vcc, s4, v3
	s_mov_b64 s[4:5], 0
                                        ; implicit-def: $sgpr10
	s_and_saveexec_b64 s[6:7], vcc
	s_xor_b64 s[6:7], exec, s[6:7]
	s_cbranch_execz .LBB2_593
; %bb.36433:
	s_getpc_b64 s[14:15]
.Lpost_getpc21800:
	s_add_u32 s14, s14, (.LBB2_14929-.Lpost_getpc21800)&4294967295
	s_addc_u32 s15, s15, (.LBB2_14929-.Lpost_getpc21800)>>32
	s_setpc_b64 s[14:15]
.LBB2_593:
	s_or_saveexec_b64 s[6:7], s[6:7]
	v_mov_b32_e32 v2, s10
	s_xor_b64 exec, exec, s[6:7]
	s_cbranch_execz .LBB2_594
; %bb.36435:
	s_getpc_b64 s[14:15]
.Lpost_getpc21801:
	s_add_u32 s14, s14, (.LBB2_14932-.Lpost_getpc21801)&4294967295
	s_addc_u32 s15, s15, (.LBB2_14932-.Lpost_getpc21801)>>32
	s_setpc_b64 s[14:15]
.LBB2_594:
	s_or_b64 exec, exec, s[6:7]
	s_and_saveexec_b64 s[6:7], s[4:5]
	s_cbranch_execz .LBB2_596
.LBB2_595:
	v_bfe_u32 v2, v8, 16, 3
	v_ffbh_u32_e32 v7, v2
	v_min_u32_e32 v7, 32, v7
	v_lshrrev_b32_e32 v3, 19, v8
	v_subrev_u32_e32 v12, 28, v7
	v_and_b32_e32 v3, 15, v3
	v_lshlrev_b32_sdwa v12, v12, v8 dst_sel:DWORD dst_unused:UNUSED_PAD src0_sel:DWORD src1_sel:WORD_1
	v_bfe_u32 v6, v8, 19, 4
	v_sub_u32_e32 v7, 29, v7
	v_and_b32_e32 v12, 7, v12
	v_cmp_eq_u16_e32 vcc, 0, v3
	v_cndmask_b32_e32 v2, v2, v12, vcc
	v_cndmask_b32_e32 v3, v6, v7, vcc
	v_lshlrev_b32_e32 v6, 8, v8
	v_mov_b32_e32 v7, 0x3b800000
	v_lshlrev_b32_e32 v2, 20, v2
	v_and_b32_e32 v6, 0x80000000, v6
	v_lshl_add_u32 v3, v3, 23, v7
	v_or3_b32 v2, v6, v3, v2
.LBB2_596:
	s_or_b64 exec, exec, s[6:7]
	s_movk_i32 s4, 0xff
	v_and_b32_sdwa v3, v4, s4 dst_sel:DWORD dst_unused:UNUSED_PAD src0_sel:WORD_1 src1_sel:DWORD
	s_movk_i32 s4, 0x7f
	v_cmp_lt_i16_e32 vcc, s4, v3
	s_mov_b64 s[4:5], 0
                                        ; implicit-def: $sgpr10
	s_and_saveexec_b64 s[6:7], vcc
	s_xor_b64 s[6:7], exec, s[6:7]
	s_cbranch_execz .LBB2_597
; %bb.36437:
	s_getpc_b64 s[14:15]
.Lpost_getpc21802:
	s_add_u32 s14, s14, (.LBB2_14933-.Lpost_getpc21802)&4294967295
	s_addc_u32 s15, s15, (.LBB2_14933-.Lpost_getpc21802)>>32
	s_setpc_b64 s[14:15]
.LBB2_597:
	s_or_saveexec_b64 s[6:7], s[6:7]
	v_mov_b32_e32 v6, s10
	s_xor_b64 exec, exec, s[6:7]
	s_cbranch_execz .LBB2_598
; %bb.36439:
	s_getpc_b64 s[14:15]
.Lpost_getpc21803:
	s_add_u32 s14, s14, (.LBB2_14936-.Lpost_getpc21803)&4294967295
	s_addc_u32 s15, s15, (.LBB2_14936-.Lpost_getpc21803)>>32
	s_setpc_b64 s[14:15]
.LBB2_598:
	s_or_b64 exec, exec, s[6:7]
	s_and_saveexec_b64 s[6:7], s[4:5]
	s_cbranch_execz .LBB2_600
.LBB2_599:
	v_bfe_u32 v3, v4, 16, 3
	v_ffbh_u32_e32 v12, v3
	v_min_u32_e32 v12, 32, v12
	v_lshrrev_b32_e32 v6, 19, v4
	v_subrev_u32_e32 v13, 28, v12
	v_and_b32_e32 v6, 15, v6
	v_lshlrev_b32_sdwa v13, v13, v4 dst_sel:DWORD dst_unused:UNUSED_PAD src0_sel:DWORD src1_sel:WORD_1
	v_bfe_u32 v7, v4, 19, 4
	v_sub_u32_e32 v12, 29, v12
	v_and_b32_e32 v13, 7, v13
	v_cmp_eq_u16_e32 vcc, 0, v6
	v_cndmask_b32_e32 v3, v3, v13, vcc
	v_cndmask_b32_e32 v6, v7, v12, vcc
	v_lshlrev_b32_e32 v7, 8, v4
	v_mov_b32_e32 v12, 0x3b800000
	v_lshlrev_b32_e32 v3, 20, v3
	v_and_b32_e32 v7, 0x80000000, v7
	v_lshl_add_u32 v6, v6, 23, v12
	v_or3_b32 v6, v7, v6, v3
.LBB2_600:
	s_or_b64 exec, exec, s[6:7]
	s_nop 0
	v_mfma_f32_16x16x4f32 a[0:3], v2, v6, a[0:3]
	s_movk_i32 s4, 0x7f
	v_cmp_gt_i16_sdwa s[6:7], v8, s4 src0_sel:BYTE_3 src1_sel:DWORD
	s_mov_b64 s[4:5], 0
                                        ; implicit-def: $sgpr10
	s_and_saveexec_b64 s[8:9], s[6:7]
	s_xor_b64 s[6:7], exec, s[8:9]
	s_cbranch_execz .LBB2_601
; %bb.36441:
	s_getpc_b64 s[14:15]
.Lpost_getpc21804:
	s_add_u32 s14, s14, (.LBB2_14937-.Lpost_getpc21804)&4294967295
	s_addc_u32 s15, s15, (.LBB2_14937-.Lpost_getpc21804)>>32
	s_setpc_b64 s[14:15]
.LBB2_601:
	s_or_saveexec_b64 s[6:7], s[6:7]
	v_mov_b32_e32 v2, s10
	s_xor_b64 exec, exec, s[6:7]
	s_cbranch_execz .LBB2_602
; %bb.36443:
	s_getpc_b64 s[14:15]
.Lpost_getpc21805:
	s_add_u32 s14, s14, (.LBB2_14940-.Lpost_getpc21805)&4294967295
	s_addc_u32 s15, s15, (.LBB2_14940-.Lpost_getpc21805)>>32
	s_setpc_b64 s[14:15]
.LBB2_602:
	s_or_b64 exec, exec, s[6:7]
	s_and_saveexec_b64 s[6:7], s[4:5]
	s_cbranch_execz .LBB2_604
.LBB2_603:
	v_bfe_u32 v2, v8, 24, 3
	v_ffbh_u32_e32 v12, v2
	v_min_u32_e32 v12, 32, v12
	v_lshrrev_b32_e32 v6, 27, v8
	v_subrev_u32_e32 v13, 28, v12
	v_and_b32_e32 v3, 0x80000000, v8
	v_and_b32_e32 v6, 15, v6
	v_bfe_u32 v7, v8, 27, 4
	v_lshlrev_b32_sdwa v8, v13, v8 dst_sel:DWORD dst_unused:UNUSED_PAD src0_sel:DWORD src1_sel:BYTE_3
	v_sub_u32_e32 v12, 29, v12
	v_and_b32_e32 v8, 7, v8
	v_cmp_eq_u16_e32 vcc, 0, v6
	v_cndmask_b32_e32 v2, v2, v8, vcc
	v_cndmask_b32_e32 v6, v7, v12, vcc
	v_mov_b32_e32 v7, 0x3b800000
	v_lshlrev_b32_e32 v2, 20, v2
	v_lshl_add_u32 v6, v6, 23, v7
	v_or3_b32 v2, v3, v6, v2
.LBB2_604:
	s_or_b64 exec, exec, s[6:7]
	s_movk_i32 s4, 0x7f
	v_cmp_gt_i16_sdwa s[6:7], v4, s4 src0_sel:BYTE_3 src1_sel:DWORD
	s_mov_b64 s[4:5], 0
                                        ; implicit-def: $sgpr10
	s_and_saveexec_b64 s[8:9], s[6:7]
	s_xor_b64 s[6:7], exec, s[8:9]
	s_cbranch_execz .LBB2_605
; %bb.36445:
	s_getpc_b64 s[14:15]
.Lpost_getpc21806:
	s_add_u32 s14, s14, (.LBB2_14941-.Lpost_getpc21806)&4294967295
	s_addc_u32 s15, s15, (.LBB2_14941-.Lpost_getpc21806)>>32
	s_setpc_b64 s[14:15]
.LBB2_605:
	s_or_saveexec_b64 s[6:7], s[6:7]
	v_mov_b32_e32 v3, s10
	s_xor_b64 exec, exec, s[6:7]
	s_cbranch_execz .LBB2_606
; %bb.36447:
	s_getpc_b64 s[14:15]
.Lpost_getpc21807:
	s_add_u32 s14, s14, (.LBB2_14944-.Lpost_getpc21807)&4294967295
	s_addc_u32 s15, s15, (.LBB2_14944-.Lpost_getpc21807)>>32
	s_setpc_b64 s[14:15]
.LBB2_606:
	s_or_b64 exec, exec, s[6:7]
	s_and_saveexec_b64 s[6:7], s[4:5]
	s_cbranch_execz .LBB2_608
.LBB2_607:
	v_bfe_u32 v3, v4, 24, 3
	v_ffbh_u32_e32 v12, v3
	v_min_u32_e32 v12, 32, v12
	v_lshrrev_b32_e32 v7, 27, v4
	v_subrev_u32_e32 v13, 28, v12
	v_and_b32_e32 v6, 0x80000000, v4
	v_and_b32_e32 v7, 15, v7
	v_bfe_u32 v8, v4, 27, 4
	v_lshlrev_b32_sdwa v4, v13, v4 dst_sel:DWORD dst_unused:UNUSED_PAD src0_sel:DWORD src1_sel:BYTE_3
	v_sub_u32_e32 v12, 29, v12
	v_and_b32_e32 v4, 7, v4
	v_cmp_eq_u16_e32 vcc, 0, v7
	v_cndmask_b32_e32 v3, v3, v4, vcc
	v_cndmask_b32_e32 v4, v8, v12, vcc
	v_mov_b32_e32 v7, 0x3b800000
	v_lshlrev_b32_e32 v3, 20, v3
	v_lshl_add_u32 v4, v4, 23, v7
	v_or3_b32 v3, v6, v4, v3
.LBB2_608:
	s_or_b64 exec, exec, s[6:7]
	s_nop 0
	v_mfma_f32_16x16x4f32 a[0:3], v2, v3, a[0:3]
	s_movk_i32 s4, 0x7f
	v_cmp_gt_i16_sdwa s[6:7], v9, s4 src0_sel:BYTE_0 src1_sel:DWORD
	s_mov_b64 s[4:5], 0
                                        ; implicit-def: $sgpr10
	s_and_saveexec_b64 s[8:9], s[6:7]
	s_xor_b64 s[6:7], exec, s[8:9]
	s_cbranch_execz .LBB2_609
; %bb.36449:
	s_getpc_b64 s[14:15]
.Lpost_getpc21808:
	s_add_u32 s14, s14, (.LBB2_14945-.Lpost_getpc21808)&4294967295
	s_addc_u32 s15, s15, (.LBB2_14945-.Lpost_getpc21808)>>32
	s_setpc_b64 s[14:15]
.LBB2_609:
	s_or_saveexec_b64 s[6:7], s[6:7]
	v_mov_b32_e32 v2, s10
	s_xor_b64 exec, exec, s[6:7]
	s_cbranch_execz .LBB2_610
; %bb.36451:
	s_getpc_b64 s[14:15]
.Lpost_getpc21809:
	s_add_u32 s14, s14, (.LBB2_14948-.Lpost_getpc21809)&4294967295
	s_addc_u32 s15, s15, (.LBB2_14948-.Lpost_getpc21809)>>32
	s_setpc_b64 s[14:15]
.LBB2_610:
	s_or_b64 exec, exec, s[6:7]
	s_and_saveexec_b64 s[6:7], s[4:5]
	s_cbranch_execz .LBB2_612
.LBB2_611:
	v_mov_b32_e32 v2, 8
	v_and_b32_e32 v3, 7, v9
	v_lshrrev_b32_sdwa v2, v2, v9 dst_sel:BYTE_1 dst_unused:UNUSED_PAD src0_sel:DWORD src1_sel:DWORD
	v_ffbh_u32_e32 v4, v3
	v_or_b32_sdwa v2, v9, v2 dst_sel:DWORD dst_unused:UNUSED_PAD src0_sel:BYTE_0 src1_sel:DWORD
	v_min_u32_e32 v4, 32, v4
	v_lshrrev_b16_e32 v2, 3, v2
	v_subrev_u32_e32 v6, 28, v4
	v_and_b32_e32 v2, 15, v2
	v_lshlrev_b32_e32 v6, v6, v9
	v_sub_u32_e32 v4, 29, v4
	v_and_b32_e32 v6, 7, v6
	v_cmp_eq_u16_e32 vcc, 0, v2
	v_cndmask_b32_e32 v3, v3, v6, vcc
	v_cndmask_b32_e32 v2, v2, v4, vcc
	v_lshlrev_b32_e32 v4, 24, v9
	v_mov_b32_e32 v6, 0x3b800000
	v_lshlrev_b32_e32 v3, 20, v3
	v_and_b32_e32 v4, 0x80000000, v4
	v_lshl_add_u32 v2, v2, 23, v6
	v_or3_b32 v2, v4, v2, v3
.LBB2_612:
	s_or_b64 exec, exec, s[6:7]
	s_movk_i32 s4, 0x7f
	v_cmp_gt_i16_sdwa s[6:7], v5, s4 src0_sel:BYTE_0 src1_sel:DWORD
	s_mov_b64 s[4:5], 0
                                        ; implicit-def: $sgpr10
	s_and_saveexec_b64 s[8:9], s[6:7]
	s_xor_b64 s[6:7], exec, s[8:9]
	s_cbranch_execz .LBB2_613
; %bb.36453:
	s_getpc_b64 s[14:15]
.Lpost_getpc21810:
	s_add_u32 s14, s14, (.LBB2_14949-.Lpost_getpc21810)&4294967295
	s_addc_u32 s15, s15, (.LBB2_14949-.Lpost_getpc21810)>>32
	s_setpc_b64 s[14:15]
.LBB2_613:
	s_or_saveexec_b64 s[6:7], s[6:7]
	v_mov_b32_e32 v3, s10
	s_xor_b64 exec, exec, s[6:7]
	s_cbranch_execz .LBB2_614
; %bb.36455:
	s_getpc_b64 s[14:15]
.Lpost_getpc21811:
	s_add_u32 s14, s14, (.LBB2_14952-.Lpost_getpc21811)&4294967295
	s_addc_u32 s15, s15, (.LBB2_14952-.Lpost_getpc21811)>>32
	s_setpc_b64 s[14:15]
.LBB2_614:
	s_or_b64 exec, exec, s[6:7]
	s_and_saveexec_b64 s[6:7], s[4:5]
	s_cbranch_execz .LBB2_616
.LBB2_615:
	v_mov_b32_e32 v3, 8
	v_and_b32_e32 v4, 7, v5
	v_lshrrev_b32_sdwa v3, v3, v5 dst_sel:BYTE_1 dst_unused:UNUSED_PAD src0_sel:DWORD src1_sel:DWORD
	v_ffbh_u32_e32 v6, v4
	v_or_b32_sdwa v3, v5, v3 dst_sel:DWORD dst_unused:UNUSED_PAD src0_sel:BYTE_0 src1_sel:DWORD
	v_min_u32_e32 v6, 32, v6
	v_lshrrev_b16_e32 v3, 3, v3
	v_subrev_u32_e32 v7, 28, v6
	v_and_b32_e32 v3, 15, v3
	v_lshlrev_b32_e32 v7, v7, v5
	v_sub_u32_e32 v6, 29, v6
	v_and_b32_e32 v7, 7, v7
	v_cmp_eq_u16_e32 vcc, 0, v3
	v_cndmask_b32_e32 v4, v4, v7, vcc
	v_cndmask_b32_e32 v3, v3, v6, vcc
	v_lshlrev_b32_e32 v6, 24, v5
	v_mov_b32_e32 v7, 0x3b800000
	v_lshlrev_b32_e32 v4, 20, v4
	v_and_b32_e32 v6, 0x80000000, v6
	v_lshl_add_u32 v3, v3, 23, v7
	v_or3_b32 v3, v6, v3, v4
.LBB2_616:
	s_or_b64 exec, exec, s[6:7]
	s_nop 0
	v_mfma_f32_16x16x4f32 a[0:3], v2, v3, a[0:3]
	v_lshrrev_b32_e32 v3, 8, v9
	s_movk_i32 s4, 0x7f
	v_cmp_gt_i16_sdwa s[6:7], v3, s4 src0_sel:BYTE_0 src1_sel:DWORD
	s_mov_b64 s[4:5], 0
                                        ; implicit-def: $sgpr10
	s_and_saveexec_b64 s[8:9], s[6:7]
	s_xor_b64 s[6:7], exec, s[8:9]
	s_cbranch_execz .LBB2_617
; %bb.36457:
	s_getpc_b64 s[14:15]
.Lpost_getpc21812:
	s_add_u32 s14, s14, (.LBB2_14953-.Lpost_getpc21812)&4294967295
	s_addc_u32 s15, s15, (.LBB2_14953-.Lpost_getpc21812)>>32
	s_setpc_b64 s[14:15]
.LBB2_617:
	s_or_saveexec_b64 s[6:7], s[6:7]
	v_mov_b32_e32 v2, s10
	s_xor_b64 exec, exec, s[6:7]
	s_cbranch_execz .LBB2_618
; %bb.36459:
	s_getpc_b64 s[14:15]
.Lpost_getpc21813:
	s_add_u32 s14, s14, (.LBB2_14956-.Lpost_getpc21813)&4294967295
	s_addc_u32 s15, s15, (.LBB2_14956-.Lpost_getpc21813)>>32
	s_setpc_b64 s[14:15]
.LBB2_618:
	s_or_b64 exec, exec, s[6:7]
	s_and_saveexec_b64 s[6:7], s[4:5]
	s_cbranch_execz .LBB2_620
.LBB2_619:
	v_bfe_u32 v2, v9, 8, 3
	v_ffbh_u32_e32 v6, v2
	v_min_u32_e32 v6, 32, v6
	v_lshrrev_b16_e32 v4, 3, v3
	v_subrev_u32_e32 v7, 28, v6
	v_and_b32_e32 v4, 15, v4
	v_lshlrev_b32_e32 v3, v7, v3
	v_sub_u32_e32 v6, 29, v6
	v_and_b32_e32 v3, 7, v3
	v_cmp_eq_u16_e32 vcc, 0, v4
	v_cndmask_b32_e32 v2, v2, v3, vcc
	v_cndmask_b32_e32 v3, v4, v6, vcc
	v_lshlrev_b32_e32 v4, 16, v9
	v_mov_b32_e32 v6, 0x3b800000
	v_lshlrev_b32_e32 v2, 20, v2
	v_and_b32_e32 v4, 0x80000000, v4
	v_lshl_add_u32 v3, v3, 23, v6
	v_or3_b32 v2, v4, v3, v2
.LBB2_620:
	s_or_b64 exec, exec, s[6:7]
	v_lshrrev_b32_e32 v3, 8, v5
	s_movk_i32 s4, 0x7f
	v_cmp_gt_i16_sdwa s[6:7], v3, s4 src0_sel:BYTE_0 src1_sel:DWORD
	s_mov_b64 s[4:5], 0
                                        ; implicit-def: $sgpr10
	s_and_saveexec_b64 s[8:9], s[6:7]
	s_xor_b64 s[6:7], exec, s[8:9]
	s_cbranch_execz .LBB2_621
; %bb.36461:
	s_getpc_b64 s[14:15]
.Lpost_getpc21814:
	s_add_u32 s14, s14, (.LBB2_14957-.Lpost_getpc21814)&4294967295
	s_addc_u32 s15, s15, (.LBB2_14957-.Lpost_getpc21814)>>32
	s_setpc_b64 s[14:15]
.LBB2_621:
	s_or_saveexec_b64 s[6:7], s[6:7]
	v_mov_b32_e32 v4, s10
	s_xor_b64 exec, exec, s[6:7]
	s_cbranch_execz .LBB2_622
; %bb.36463:
	s_getpc_b64 s[14:15]
.Lpost_getpc21815:
	s_add_u32 s14, s14, (.LBB2_14960-.Lpost_getpc21815)&4294967295
	s_addc_u32 s15, s15, (.LBB2_14960-.Lpost_getpc21815)>>32
	s_setpc_b64 s[14:15]
.LBB2_622:
	s_or_b64 exec, exec, s[6:7]
	s_and_saveexec_b64 s[6:7], s[4:5]
	s_cbranch_execz .LBB2_624
.LBB2_623:
	v_bfe_u32 v4, v5, 8, 3
	v_ffbh_u32_e32 v7, v4
	v_min_u32_e32 v7, 32, v7
	v_lshrrev_b16_e32 v6, 3, v3
	v_subrev_u32_e32 v8, 28, v7
	v_and_b32_e32 v6, 15, v6
	v_lshlrev_b32_e32 v3, v8, v3
	v_sub_u32_e32 v7, 29, v7
	v_and_b32_e32 v3, 7, v3
	v_cmp_eq_u16_e32 vcc, 0, v6
	v_cndmask_b32_e32 v3, v4, v3, vcc
	v_cndmask_b32_e32 v4, v6, v7, vcc
	v_lshlrev_b32_e32 v6, 16, v5
	v_mov_b32_e32 v7, 0x3b800000
	v_lshlrev_b32_e32 v3, 20, v3
	v_and_b32_e32 v6, 0x80000000, v6
	v_lshl_add_u32 v4, v4, 23, v7
	v_or3_b32 v4, v6, v4, v3
.LBB2_624:
	s_or_b64 exec, exec, s[6:7]
	s_nop 0
	v_mfma_f32_16x16x4f32 a[0:3], v2, v4, a[0:3]
	s_movk_i32 s4, 0xff
	v_and_b32_sdwa v3, v9, s4 dst_sel:DWORD dst_unused:UNUSED_PAD src0_sel:WORD_1 src1_sel:DWORD
	s_movk_i32 s4, 0x7f
	v_cmp_lt_i16_e32 vcc, s4, v3
	s_mov_b64 s[4:5], 0
                                        ; implicit-def: $sgpr10
	s_and_saveexec_b64 s[6:7], vcc
	s_xor_b64 s[6:7], exec, s[6:7]
	s_cbranch_execz .LBB2_625
; %bb.36465:
	s_getpc_b64 s[14:15]
.Lpost_getpc21816:
	s_add_u32 s14, s14, (.LBB2_14961-.Lpost_getpc21816)&4294967295
	s_addc_u32 s15, s15, (.LBB2_14961-.Lpost_getpc21816)>>32
	s_setpc_b64 s[14:15]
.LBB2_625:
	s_or_saveexec_b64 s[6:7], s[6:7]
	v_mov_b32_e32 v2, s10
	s_xor_b64 exec, exec, s[6:7]
	s_cbranch_execz .LBB2_626
; %bb.36467:
	s_getpc_b64 s[14:15]
.Lpost_getpc21817:
	s_add_u32 s14, s14, (.LBB2_14964-.Lpost_getpc21817)&4294967295
	s_addc_u32 s15, s15, (.LBB2_14964-.Lpost_getpc21817)>>32
	s_setpc_b64 s[14:15]
.LBB2_626:
	s_or_b64 exec, exec, s[6:7]
	s_and_saveexec_b64 s[6:7], s[4:5]
	s_cbranch_execz .LBB2_628
.LBB2_627:
	v_bfe_u32 v2, v9, 16, 3
	v_ffbh_u32_e32 v6, v2
	v_min_u32_e32 v6, 32, v6
	v_lshrrev_b32_e32 v3, 19, v9
	v_subrev_u32_e32 v7, 28, v6
	v_and_b32_e32 v3, 15, v3
	v_lshlrev_b32_sdwa v7, v7, v9 dst_sel:DWORD dst_unused:UNUSED_PAD src0_sel:DWORD src1_sel:WORD_1
	v_bfe_u32 v4, v9, 19, 4
	v_sub_u32_e32 v6, 29, v6
	v_and_b32_e32 v7, 7, v7
	v_cmp_eq_u16_e32 vcc, 0, v3
	v_cndmask_b32_e32 v2, v2, v7, vcc
	v_cndmask_b32_e32 v3, v4, v6, vcc
	v_lshlrev_b32_e32 v4, 8, v9
	v_mov_b32_e32 v6, 0x3b800000
	v_lshlrev_b32_e32 v2, 20, v2
	v_and_b32_e32 v4, 0x80000000, v4
	v_lshl_add_u32 v3, v3, 23, v6
	v_or3_b32 v2, v4, v3, v2
.LBB2_628:
	s_or_b64 exec, exec, s[6:7]
	s_movk_i32 s4, 0xff
	v_and_b32_sdwa v3, v5, s4 dst_sel:DWORD dst_unused:UNUSED_PAD src0_sel:WORD_1 src1_sel:DWORD
	s_movk_i32 s4, 0x7f
	v_cmp_lt_i16_e32 vcc, s4, v3
	s_mov_b64 s[4:5], 0
                                        ; implicit-def: $sgpr10
	s_and_saveexec_b64 s[6:7], vcc
	s_xor_b64 s[6:7], exec, s[6:7]
	s_cbranch_execz .LBB2_629
; %bb.36469:
	s_getpc_b64 s[14:15]
.Lpost_getpc21818:
	s_add_u32 s14, s14, (.LBB2_14965-.Lpost_getpc21818)&4294967295
	s_addc_u32 s15, s15, (.LBB2_14965-.Lpost_getpc21818)>>32
	s_setpc_b64 s[14:15]
.LBB2_629:
	s_or_saveexec_b64 s[6:7], s[6:7]
	v_mov_b32_e32 v4, s10
	s_xor_b64 exec, exec, s[6:7]
	s_cbranch_execz .LBB2_630
; %bb.36471:
	s_getpc_b64 s[14:15]
.Lpost_getpc21819:
	s_add_u32 s14, s14, (.LBB2_14968-.Lpost_getpc21819)&4294967295
	s_addc_u32 s15, s15, (.LBB2_14968-.Lpost_getpc21819)>>32
	s_setpc_b64 s[14:15]
.LBB2_630:
	s_or_b64 exec, exec, s[6:7]
	s_and_saveexec_b64 s[6:7], s[4:5]
	s_cbranch_execz .LBB2_632
.LBB2_631:
	v_bfe_u32 v3, v5, 16, 3
	v_ffbh_u32_e32 v7, v3
	v_min_u32_e32 v7, 32, v7
	v_lshrrev_b32_e32 v4, 19, v5
	v_subrev_u32_e32 v8, 28, v7
	v_and_b32_e32 v4, 15, v4
	v_lshlrev_b32_sdwa v8, v8, v5 dst_sel:DWORD dst_unused:UNUSED_PAD src0_sel:DWORD src1_sel:WORD_1
	v_bfe_u32 v6, v5, 19, 4
	v_sub_u32_e32 v7, 29, v7
	v_and_b32_e32 v8, 7, v8
	v_cmp_eq_u16_e32 vcc, 0, v4
	v_cndmask_b32_e32 v3, v3, v8, vcc
	v_cndmask_b32_e32 v4, v6, v7, vcc
	v_lshlrev_b32_e32 v6, 8, v5
	v_mov_b32_e32 v7, 0x3b800000
	v_lshlrev_b32_e32 v3, 20, v3
	v_and_b32_e32 v6, 0x80000000, v6
	v_lshl_add_u32 v4, v4, 23, v7
	v_or3_b32 v4, v6, v4, v3
.LBB2_632:
	s_or_b64 exec, exec, s[6:7]
	s_nop 0
	v_mfma_f32_16x16x4f32 a[0:3], v2, v4, a[0:3]
	s_movk_i32 s4, 0x7f
	v_cmp_gt_i16_sdwa s[6:7], v9, s4 src0_sel:BYTE_3 src1_sel:DWORD
	s_mov_b64 s[4:5], 0
                                        ; implicit-def: $sgpr10
	s_and_saveexec_b64 s[8:9], s[6:7]
	s_xor_b64 s[6:7], exec, s[8:9]
	s_cbranch_execz .LBB2_633
; %bb.36473:
	s_getpc_b64 s[14:15]
.Lpost_getpc21820:
	s_add_u32 s14, s14, (.LBB2_14969-.Lpost_getpc21820)&4294967295
	s_addc_u32 s15, s15, (.LBB2_14969-.Lpost_getpc21820)>>32
	s_setpc_b64 s[14:15]
.LBB2_633:
	s_or_saveexec_b64 s[6:7], s[6:7]
	v_mov_b32_e32 v2, s10
	s_xor_b64 exec, exec, s[6:7]
	s_cbranch_execz .LBB2_634
; %bb.36475:
	s_getpc_b64 s[14:15]
.Lpost_getpc21821:
	s_add_u32 s14, s14, (.LBB2_14972-.Lpost_getpc21821)&4294967295
	s_addc_u32 s15, s15, (.LBB2_14972-.Lpost_getpc21821)>>32
	s_setpc_b64 s[14:15]
.LBB2_634:
	s_or_b64 exec, exec, s[6:7]
	s_and_saveexec_b64 s[6:7], s[4:5]
	s_cbranch_execz .LBB2_636
.LBB2_635:
	v_bfe_u32 v2, v9, 24, 3
	v_ffbh_u32_e32 v7, v2
	v_min_u32_e32 v7, 32, v7
	v_lshrrev_b32_e32 v4, 27, v9
	v_subrev_u32_e32 v8, 28, v7
	v_and_b32_e32 v4, 15, v4
	v_lshlrev_b32_sdwa v8, v8, v9 dst_sel:DWORD dst_unused:UNUSED_PAD src0_sel:DWORD src1_sel:BYTE_3
	v_bfe_u32 v6, v9, 27, 4
	v_sub_u32_e32 v7, 29, v7
	v_and_b32_e32 v8, 7, v8
	v_cmp_eq_u16_e32 vcc, 0, v4
	v_cndmask_b32_e32 v2, v2, v8, vcc
	v_cndmask_b32_e32 v4, v6, v7, vcc
	v_mov_b32_e32 v6, 0x3b800000
	v_and_b32_e32 v3, 0x80000000, v9
	v_lshlrev_b32_e32 v2, 20, v2
	v_lshl_add_u32 v4, v4, 23, v6
	v_or3_b32 v2, v3, v4, v2
.LBB2_636:
	s_or_b64 exec, exec, s[6:7]
	s_movk_i32 s4, 0x7f
	v_cmp_gt_i16_sdwa s[6:7], v5, s4 src0_sel:BYTE_3 src1_sel:DWORD
	s_mov_b64 s[4:5], 0
                                        ; implicit-def: $sgpr10
	s_and_saveexec_b64 s[8:9], s[6:7]
	s_xor_b64 s[6:7], exec, s[8:9]
	s_cbranch_execz .LBB2_637
; %bb.36477:
	s_getpc_b64 s[14:15]
.Lpost_getpc21822:
	s_add_u32 s14, s14, (.LBB2_14973-.Lpost_getpc21822)&4294967295
	s_addc_u32 s15, s15, (.LBB2_14973-.Lpost_getpc21822)>>32
	s_setpc_b64 s[14:15]
.LBB2_637:
	s_or_saveexec_b64 s[6:7], s[6:7]
	v_mov_b32_e32 v3, s10
	s_xor_b64 exec, exec, s[6:7]
	s_cbranch_execz .LBB2_638
; %bb.36479:
	s_getpc_b64 s[14:15]
.Lpost_getpc21823:
	s_add_u32 s14, s14, (.LBB2_14976-.Lpost_getpc21823)&4294967295
	s_addc_u32 s15, s15, (.LBB2_14976-.Lpost_getpc21823)>>32
	s_setpc_b64 s[14:15]
.LBB2_638:
	s_or_b64 exec, exec, s[6:7]
	s_and_saveexec_b64 s[6:7], s[4:5]
	s_cbranch_execz .LBB2_640
.LBB2_639:
	v_bfe_u32 v3, v5, 24, 3
	v_ffbh_u32_e32 v8, v3
	v_min_u32_e32 v8, 32, v8
	v_lshrrev_b32_e32 v6, 27, v5
	v_subrev_u32_e32 v9, 28, v8
	v_and_b32_e32 v4, 0x80000000, v5
	v_and_b32_e32 v6, 15, v6
	v_bfe_u32 v7, v5, 27, 4
	v_lshlrev_b32_sdwa v5, v9, v5 dst_sel:DWORD dst_unused:UNUSED_PAD src0_sel:DWORD src1_sel:BYTE_3
	v_sub_u32_e32 v8, 29, v8
	v_and_b32_e32 v5, 7, v5
	v_cmp_eq_u16_e32 vcc, 0, v6
	v_cndmask_b32_e32 v3, v3, v5, vcc
	v_cndmask_b32_e32 v5, v7, v8, vcc
	v_mov_b32_e32 v6, 0x3b800000
	v_lshlrev_b32_e32 v3, 20, v3
	v_lshl_add_u32 v5, v5, 23, v6
	v_or3_b32 v3, v4, v5, v3
.LBB2_640:
	s_or_b64 exec, exec, s[6:7]
	s_nop 0
	v_mfma_f32_16x16x4f32 a[0:3], v2, v3, a[0:3]
	s_movk_i32 s4, 0x7f
                                        ; implicit-def: $sgpr10
	s_nop 7
	s_nop 1
	flat_store_dwordx4 v[10:11], a[0:3] offset:64
	flat_load_dwordx4 v[12:15], v[0:1]
	s_nop 0
	flat_load_dwordx2 v[10:11], v[0:1] offset:16
	s_waitcnt vmcnt(0) lgkmcnt(0)
	flat_load_dwordx4 v[6:9], v[12:13]
	flat_load_dwordx4 v[2:5], v[14:15] offset:80
	s_waitcnt vmcnt(0) lgkmcnt(0)
	v_cmp_gt_i16_sdwa s[6:7], v6, s4 src0_sel:BYTE_0 src1_sel:DWORD
	s_mov_b64 s[4:5], 0
	s_and_saveexec_b64 s[8:9], s[6:7]
	s_xor_b64 s[6:7], exec, s[8:9]
	s_cbranch_execz .LBB2_641
; %bb.36481:
	s_getpc_b64 s[14:15]
.Lpost_getpc21824:
	s_add_u32 s14, s14, (.LBB2_14977-.Lpost_getpc21824)&4294967295
	s_addc_u32 s15, s15, (.LBB2_14977-.Lpost_getpc21824)>>32
	s_setpc_b64 s[14:15]
.LBB2_641:
	s_or_saveexec_b64 s[6:7], s[6:7]
	v_mov_b32_e32 v12, s10
	s_xor_b64 exec, exec, s[6:7]
	s_cbranch_execz .LBB2_642
; %bb.36483:
	s_getpc_b64 s[14:15]
.Lpost_getpc21825:
	s_add_u32 s14, s14, (.LBB2_14980-.Lpost_getpc21825)&4294967295
	s_addc_u32 s15, s15, (.LBB2_14980-.Lpost_getpc21825)>>32
	s_setpc_b64 s[14:15]
.LBB2_642:
	s_or_b64 exec, exec, s[6:7]
	s_and_saveexec_b64 s[6:7], s[4:5]
	s_cbranch_execz .LBB2_644
.LBB2_643:
	v_and_b32_e32 v12, 7, v6
	v_ffbh_u32_e32 v14, v12
	v_min_u32_e32 v14, 32, v14
	v_lshrrev_b16_e32 v13, 3, v6
	v_subrev_u32_e32 v15, 28, v14
	v_and_b32_e32 v13, 15, v13
	v_lshlrev_b32_e32 v15, v15, v6
	v_sub_u32_e32 v14, 29, v14
	v_and_b32_e32 v15, 7, v15
	v_cmp_eq_u16_e32 vcc, 0, v13
	v_cndmask_b32_e32 v12, v12, v15, vcc
	v_cndmask_b32_e32 v13, v13, v14, vcc
	v_lshlrev_b32_e32 v14, 24, v6
	v_mov_b32_e32 v15, 0x3b800000
	v_lshlrev_b32_e32 v12, 20, v12
	v_and_b32_e32 v14, 0x80000000, v14
	v_lshl_add_u32 v13, v13, 23, v15
	v_or3_b32 v12, v14, v13, v12
.LBB2_644:
	s_or_b64 exec, exec, s[6:7]
	s_movk_i32 s4, 0x7f
	v_cmp_gt_i16_sdwa s[6:7], v2, s4 src0_sel:BYTE_0 src1_sel:DWORD
	s_mov_b64 s[4:5], 0
                                        ; implicit-def: $sgpr10
	s_and_saveexec_b64 s[8:9], s[6:7]
	s_xor_b64 s[6:7], exec, s[8:9]
	s_cbranch_execz .LBB2_645
; %bb.36485:
	s_getpc_b64 s[14:15]
.Lpost_getpc21826:
	s_add_u32 s14, s14, (.LBB2_14981-.Lpost_getpc21826)&4294967295
	s_addc_u32 s15, s15, (.LBB2_14981-.Lpost_getpc21826)>>32
	s_setpc_b64 s[14:15]
.LBB2_645:
	s_or_saveexec_b64 s[6:7], s[6:7]
	v_mov_b32_e32 v13, s10
	s_xor_b64 exec, exec, s[6:7]
	s_cbranch_execz .LBB2_646
; %bb.36487:
	s_getpc_b64 s[14:15]
.Lpost_getpc21827:
	s_add_u32 s14, s14, (.LBB2_14984-.Lpost_getpc21827)&4294967295
	s_addc_u32 s15, s15, (.LBB2_14984-.Lpost_getpc21827)>>32
	s_setpc_b64 s[14:15]
.LBB2_646:
	s_or_b64 exec, exec, s[6:7]
	s_and_saveexec_b64 s[6:7], s[4:5]
	s_cbranch_execz .LBB2_648
.LBB2_647:
	v_and_b32_e32 v13, 7, v2
	v_ffbh_u32_e32 v15, v13
	v_min_u32_e32 v15, 32, v15
	v_lshrrev_b16_e32 v14, 3, v2
	v_subrev_u32_e32 v16, 28, v15
	v_and_b32_e32 v14, 15, v14
	v_lshlrev_b32_e32 v16, v16, v2
	v_sub_u32_e32 v15, 29, v15
	v_and_b32_e32 v16, 7, v16
	v_cmp_eq_u16_e32 vcc, 0, v14
	v_cndmask_b32_e32 v13, v13, v16, vcc
	v_cndmask_b32_e32 v14, v14, v15, vcc
	v_lshlrev_b32_e32 v15, 24, v2
	v_mov_b32_e32 v16, 0x3b800000
	v_lshlrev_b32_e32 v13, 20, v13
	v_and_b32_e32 v15, 0x80000000, v15
	v_lshl_add_u32 v14, v14, 23, v16
	v_or3_b32 v13, v15, v14, v13
.LBB2_648:
	s_or_b64 exec, exec, s[6:7]
	flat_load_dwordx4 a[0:3], v[10:11] offset:80
	s_movk_i32 s4, 0x7f
                                        ; implicit-def: $sgpr10
	s_waitcnt vmcnt(0) lgkmcnt(0)
	v_mfma_f32_16x16x4f32 a[0:3], v12, v13, a[0:3]
	v_lshrrev_b32_e32 v13, 8, v6
	v_cmp_gt_i16_sdwa s[6:7], v13, s4 src0_sel:BYTE_0 src1_sel:DWORD
	s_mov_b64 s[4:5], 0
	s_and_saveexec_b64 s[8:9], s[6:7]
	s_xor_b64 s[6:7], exec, s[8:9]
	s_cbranch_execz .LBB2_649
; %bb.36489:
	s_getpc_b64 s[14:15]
.Lpost_getpc21828:
	s_add_u32 s14, s14, (.LBB2_14985-.Lpost_getpc21828)&4294967295
	s_addc_u32 s15, s15, (.LBB2_14985-.Lpost_getpc21828)>>32
	s_setpc_b64 s[14:15]
.LBB2_649:
	s_or_saveexec_b64 s[6:7], s[6:7]
	v_mov_b32_e32 v12, s10
	s_xor_b64 exec, exec, s[6:7]
	s_cbranch_execz .LBB2_650
; %bb.36491:
	s_getpc_b64 s[14:15]
.Lpost_getpc21829:
	s_add_u32 s14, s14, (.LBB2_14988-.Lpost_getpc21829)&4294967295
	s_addc_u32 s15, s15, (.LBB2_14988-.Lpost_getpc21829)>>32
	s_setpc_b64 s[14:15]
.LBB2_650:
	s_or_b64 exec, exec, s[6:7]
	s_and_saveexec_b64 s[6:7], s[4:5]
	s_cbranch_execz .LBB2_652
.LBB2_651:
	v_bfe_u32 v12, v6, 8, 3
	v_ffbh_u32_e32 v15, v12
	v_min_u32_e32 v15, 32, v15
	v_lshrrev_b16_e32 v14, 3, v13
	v_subrev_u32_e32 v16, 28, v15
	v_and_b32_e32 v14, 15, v14
	v_lshlrev_b32_e32 v13, v16, v13
	v_sub_u32_e32 v15, 29, v15
	v_and_b32_e32 v13, 7, v13
	v_cmp_eq_u16_e32 vcc, 0, v14
	v_cndmask_b32_e32 v12, v12, v13, vcc
	v_cndmask_b32_e32 v13, v14, v15, vcc
	v_lshlrev_b32_e32 v14, 16, v6
	v_mov_b32_e32 v15, 0x3b800000
	v_lshlrev_b32_e32 v12, 20, v12
	v_and_b32_e32 v14, 0x80000000, v14
	v_lshl_add_u32 v13, v13, 23, v15
	v_or3_b32 v12, v14, v13, v12
.LBB2_652:
	s_or_b64 exec, exec, s[6:7]
	v_lshrrev_b32_e32 v13, 8, v2
	s_movk_i32 s4, 0x7f
	v_cmp_gt_i16_sdwa s[6:7], v13, s4 src0_sel:BYTE_0 src1_sel:DWORD
	s_mov_b64 s[4:5], 0
                                        ; implicit-def: $sgpr10
	s_and_saveexec_b64 s[8:9], s[6:7]
	s_xor_b64 s[6:7], exec, s[8:9]
	s_cbranch_execz .LBB2_653
; %bb.36493:
	s_getpc_b64 s[14:15]
.Lpost_getpc21830:
	s_add_u32 s14, s14, (.LBB2_14989-.Lpost_getpc21830)&4294967295
	s_addc_u32 s15, s15, (.LBB2_14989-.Lpost_getpc21830)>>32
	s_setpc_b64 s[14:15]
.LBB2_653:
	s_or_saveexec_b64 s[6:7], s[6:7]
	v_mov_b32_e32 v14, s10
	s_xor_b64 exec, exec, s[6:7]
	s_cbranch_execz .LBB2_654
; %bb.36495:
	s_getpc_b64 s[14:15]
.Lpost_getpc21831:
	s_add_u32 s14, s14, (.LBB2_14992-.Lpost_getpc21831)&4294967295
	s_addc_u32 s15, s15, (.LBB2_14992-.Lpost_getpc21831)>>32
	s_setpc_b64 s[14:15]
.LBB2_654:
	s_or_b64 exec, exec, s[6:7]
	s_and_saveexec_b64 s[6:7], s[4:5]
	s_cbranch_execz .LBB2_656
.LBB2_655:
	v_bfe_u32 v14, v2, 8, 3
	v_ffbh_u32_e32 v16, v14
	v_min_u32_e32 v16, 32, v16
	v_lshrrev_b16_e32 v15, 3, v13
	v_subrev_u32_e32 v17, 28, v16
	v_and_b32_e32 v15, 15, v15
	v_lshlrev_b32_e32 v13, v17, v13
	v_sub_u32_e32 v16, 29, v16
	v_and_b32_e32 v13, 7, v13
	v_cmp_eq_u16_e32 vcc, 0, v15
	v_cndmask_b32_e32 v13, v14, v13, vcc
	v_cndmask_b32_e32 v14, v15, v16, vcc
	v_lshlrev_b32_e32 v15, 16, v2
	v_mov_b32_e32 v16, 0x3b800000
	v_lshlrev_b32_e32 v13, 20, v13
	v_and_b32_e32 v15, 0x80000000, v15
	v_lshl_add_u32 v14, v14, 23, v16
	v_or3_b32 v14, v15, v14, v13
.LBB2_656:
	s_or_b64 exec, exec, s[6:7]
	s_nop 0
	v_mfma_f32_16x16x4f32 a[0:3], v12, v14, a[0:3]
	s_movk_i32 s4, 0xff
	v_and_b32_sdwa v13, v6, s4 dst_sel:DWORD dst_unused:UNUSED_PAD src0_sel:WORD_1 src1_sel:DWORD
	s_movk_i32 s4, 0x7f
	v_cmp_lt_i16_e32 vcc, s4, v13
	s_mov_b64 s[4:5], 0
                                        ; implicit-def: $sgpr10
	s_and_saveexec_b64 s[6:7], vcc
	s_xor_b64 s[6:7], exec, s[6:7]
	s_cbranch_execz .LBB2_657
; %bb.36497:
	s_getpc_b64 s[14:15]
.Lpost_getpc21832:
	s_add_u32 s14, s14, (.LBB2_14993-.Lpost_getpc21832)&4294967295
	s_addc_u32 s15, s15, (.LBB2_14993-.Lpost_getpc21832)>>32
	s_setpc_b64 s[14:15]
.LBB2_657:
	s_or_saveexec_b64 s[6:7], s[6:7]
	v_mov_b32_e32 v12, s10
	s_xor_b64 exec, exec, s[6:7]
	s_cbranch_execz .LBB2_658
; %bb.36499:
	s_getpc_b64 s[14:15]
.Lpost_getpc21833:
	s_add_u32 s14, s14, (.LBB2_14996-.Lpost_getpc21833)&4294967295
	s_addc_u32 s15, s15, (.LBB2_14996-.Lpost_getpc21833)>>32
	s_setpc_b64 s[14:15]
.LBB2_658:
	s_or_b64 exec, exec, s[6:7]
	s_and_saveexec_b64 s[6:7], s[4:5]
	s_cbranch_execz .LBB2_660
.LBB2_659:
	v_bfe_u32 v12, v6, 16, 3
	v_ffbh_u32_e32 v15, v12
	v_min_u32_e32 v15, 32, v15
	v_lshrrev_b32_e32 v13, 19, v6
	v_subrev_u32_e32 v16, 28, v15
	v_and_b32_e32 v13, 15, v13
	v_lshlrev_b32_sdwa v16, v16, v6 dst_sel:DWORD dst_unused:UNUSED_PAD src0_sel:DWORD src1_sel:WORD_1
	v_bfe_u32 v14, v6, 19, 4
	v_sub_u32_e32 v15, 29, v15
	v_and_b32_e32 v16, 7, v16
	v_cmp_eq_u16_e32 vcc, 0, v13
	v_cndmask_b32_e32 v12, v12, v16, vcc
	v_cndmask_b32_e32 v13, v14, v15, vcc
	v_lshlrev_b32_e32 v14, 8, v6
	v_mov_b32_e32 v15, 0x3b800000
	v_lshlrev_b32_e32 v12, 20, v12
	v_and_b32_e32 v14, 0x80000000, v14
	v_lshl_add_u32 v13, v13, 23, v15
	v_or3_b32 v12, v14, v13, v12
.LBB2_660:
	s_or_b64 exec, exec, s[6:7]
	s_movk_i32 s4, 0xff
	v_and_b32_sdwa v13, v2, s4 dst_sel:DWORD dst_unused:UNUSED_PAD src0_sel:WORD_1 src1_sel:DWORD
	s_movk_i32 s4, 0x7f
	v_cmp_lt_i16_e32 vcc, s4, v13
	s_mov_b64 s[4:5], 0
                                        ; implicit-def: $sgpr10
	s_and_saveexec_b64 s[6:7], vcc
	s_xor_b64 s[6:7], exec, s[6:7]
	s_cbranch_execz .LBB2_661
; %bb.36501:
	s_getpc_b64 s[14:15]
.Lpost_getpc21834:
	s_add_u32 s14, s14, (.LBB2_14997-.Lpost_getpc21834)&4294967295
	s_addc_u32 s15, s15, (.LBB2_14997-.Lpost_getpc21834)>>32
	s_setpc_b64 s[14:15]
.LBB2_661:
	s_or_saveexec_b64 s[6:7], s[6:7]
	v_mov_b32_e32 v14, s10
	s_xor_b64 exec, exec, s[6:7]
	s_cbranch_execz .LBB2_662
; %bb.36503:
	s_getpc_b64 s[14:15]
.Lpost_getpc21835:
	s_add_u32 s14, s14, (.LBB2_15000-.Lpost_getpc21835)&4294967295
	s_addc_u32 s15, s15, (.LBB2_15000-.Lpost_getpc21835)>>32
	s_setpc_b64 s[14:15]
.LBB2_662:
	s_or_b64 exec, exec, s[6:7]
	s_and_saveexec_b64 s[6:7], s[4:5]
	s_cbranch_execz .LBB2_664
.LBB2_663:
	v_bfe_u32 v13, v2, 16, 3
	v_ffbh_u32_e32 v16, v13
	v_min_u32_e32 v16, 32, v16
	v_lshrrev_b32_e32 v14, 19, v2
	v_subrev_u32_e32 v17, 28, v16
	v_and_b32_e32 v14, 15, v14
	v_lshlrev_b32_sdwa v17, v17, v2 dst_sel:DWORD dst_unused:UNUSED_PAD src0_sel:DWORD src1_sel:WORD_1
	v_bfe_u32 v15, v2, 19, 4
	v_sub_u32_e32 v16, 29, v16
	v_and_b32_e32 v17, 7, v17
	v_cmp_eq_u16_e32 vcc, 0, v14
	v_cndmask_b32_e32 v13, v13, v17, vcc
	v_cndmask_b32_e32 v14, v15, v16, vcc
	v_lshlrev_b32_e32 v15, 8, v2
	v_mov_b32_e32 v16, 0x3b800000
	v_lshlrev_b32_e32 v13, 20, v13
	v_and_b32_e32 v15, 0x80000000, v15
	v_lshl_add_u32 v14, v14, 23, v16
	v_or3_b32 v14, v15, v14, v13
.LBB2_664:
	s_or_b64 exec, exec, s[6:7]
	s_nop 0
	v_mfma_f32_16x16x4f32 a[0:3], v12, v14, a[0:3]
	s_movk_i32 s4, 0x7f
	v_cmp_gt_i16_sdwa s[6:7], v6, s4 src0_sel:BYTE_3 src1_sel:DWORD
	s_mov_b64 s[4:5], 0
                                        ; implicit-def: $sgpr10
	s_and_saveexec_b64 s[8:9], s[6:7]
	s_xor_b64 s[6:7], exec, s[8:9]
	s_cbranch_execz .LBB2_665
; %bb.36505:
	s_getpc_b64 s[14:15]
.Lpost_getpc21836:
	s_add_u32 s14, s14, (.LBB2_15001-.Lpost_getpc21836)&4294967295
	s_addc_u32 s15, s15, (.LBB2_15001-.Lpost_getpc21836)>>32
	s_setpc_b64 s[14:15]
.LBB2_665:
	s_or_saveexec_b64 s[6:7], s[6:7]
	v_mov_b32_e32 v12, s10
	s_xor_b64 exec, exec, s[6:7]
	s_cbranch_execz .LBB2_666
; %bb.36507:
	s_getpc_b64 s[14:15]
.Lpost_getpc21837:
	s_add_u32 s14, s14, (.LBB2_15004-.Lpost_getpc21837)&4294967295
	s_addc_u32 s15, s15, (.LBB2_15004-.Lpost_getpc21837)>>32
	s_setpc_b64 s[14:15]
.LBB2_666:
	s_or_b64 exec, exec, s[6:7]
	s_and_saveexec_b64 s[6:7], s[4:5]
	s_cbranch_execz .LBB2_668
.LBB2_667:
	v_bfe_u32 v12, v6, 24, 3
	v_ffbh_u32_e32 v16, v12
	v_min_u32_e32 v16, 32, v16
	v_lshrrev_b32_e32 v14, 27, v6
	v_subrev_u32_e32 v17, 28, v16
	v_and_b32_e32 v13, 0x80000000, v6
	v_and_b32_e32 v14, 15, v14
	v_bfe_u32 v15, v6, 27, 4
	v_lshlrev_b32_sdwa v6, v17, v6 dst_sel:DWORD dst_unused:UNUSED_PAD src0_sel:DWORD src1_sel:BYTE_3
	v_sub_u32_e32 v16, 29, v16
	v_and_b32_e32 v6, 7, v6
	v_cmp_eq_u16_e32 vcc, 0, v14
	v_cndmask_b32_e32 v6, v12, v6, vcc
	v_cndmask_b32_e32 v12, v15, v16, vcc
	v_mov_b32_e32 v14, 0x3b800000
	v_lshlrev_b32_e32 v6, 20, v6
	v_lshl_add_u32 v12, v12, 23, v14
	v_or3_b32 v12, v13, v12, v6
.LBB2_668:
	s_or_b64 exec, exec, s[6:7]
	s_movk_i32 s4, 0x7f
	v_cmp_gt_i16_sdwa s[6:7], v2, s4 src0_sel:BYTE_3 src1_sel:DWORD
	s_mov_b64 s[4:5], 0
                                        ; implicit-def: $sgpr10
	s_and_saveexec_b64 s[8:9], s[6:7]
	s_xor_b64 s[6:7], exec, s[8:9]
	s_cbranch_execz .LBB2_669
; %bb.36509:
	s_getpc_b64 s[14:15]
.Lpost_getpc21838:
	s_add_u32 s14, s14, (.LBB2_15005-.Lpost_getpc21838)&4294967295
	s_addc_u32 s15, s15, (.LBB2_15005-.Lpost_getpc21838)>>32
	s_setpc_b64 s[14:15]
.LBB2_669:
	s_or_saveexec_b64 s[6:7], s[6:7]
	v_mov_b32_e32 v6, s10
	s_xor_b64 exec, exec, s[6:7]
	s_cbranch_execz .LBB2_670
; %bb.36511:
	s_getpc_b64 s[14:15]
.Lpost_getpc21839:
	s_add_u32 s14, s14, (.LBB2_15008-.Lpost_getpc21839)&4294967295
	s_addc_u32 s15, s15, (.LBB2_15008-.Lpost_getpc21839)>>32
	s_setpc_b64 s[14:15]
.LBB2_670:
	s_or_b64 exec, exec, s[6:7]
	s_and_saveexec_b64 s[6:7], s[4:5]
	s_cbranch_execz .LBB2_672
.LBB2_671:
	v_bfe_u32 v6, v2, 24, 3
	v_ffbh_u32_e32 v16, v6
	v_min_u32_e32 v16, 32, v16
	v_lshrrev_b32_e32 v14, 27, v2
	v_subrev_u32_e32 v17, 28, v16
	v_and_b32_e32 v13, 0x80000000, v2
	v_and_b32_e32 v14, 15, v14
	v_bfe_u32 v15, v2, 27, 4
	v_lshlrev_b32_sdwa v2, v17, v2 dst_sel:DWORD dst_unused:UNUSED_PAD src0_sel:DWORD src1_sel:BYTE_3
	v_sub_u32_e32 v16, 29, v16
	v_and_b32_e32 v2, 7, v2
	v_cmp_eq_u16_e32 vcc, 0, v14
	v_cndmask_b32_e32 v2, v6, v2, vcc
	v_cndmask_b32_e32 v6, v15, v16, vcc
	v_mov_b32_e32 v14, 0x3b800000
	v_lshlrev_b32_e32 v2, 20, v2
	v_lshl_add_u32 v6, v6, 23, v14
	v_or3_b32 v6, v13, v6, v2
.LBB2_672:
	s_or_b64 exec, exec, s[6:7]
	s_nop 0
	v_mfma_f32_16x16x4f32 a[0:3], v12, v6, a[0:3]
	s_movk_i32 s4, 0x7f
	v_cmp_gt_i16_sdwa s[6:7], v7, s4 src0_sel:BYTE_0 src1_sel:DWORD
	s_mov_b64 s[4:5], 0
                                        ; implicit-def: $sgpr10
	s_and_saveexec_b64 s[8:9], s[6:7]
	s_xor_b64 s[6:7], exec, s[8:9]
	s_cbranch_execz .LBB2_673
; %bb.36513:
	s_getpc_b64 s[14:15]
.Lpost_getpc21840:
	s_add_u32 s14, s14, (.LBB2_15009-.Lpost_getpc21840)&4294967295
	s_addc_u32 s15, s15, (.LBB2_15009-.Lpost_getpc21840)>>32
	s_setpc_b64 s[14:15]
.LBB2_673:
	s_or_saveexec_b64 s[6:7], s[6:7]
	v_mov_b32_e32 v2, s10
	s_xor_b64 exec, exec, s[6:7]
	s_cbranch_execz .LBB2_674
; %bb.36515:
	s_getpc_b64 s[14:15]
.Lpost_getpc21841:
	s_add_u32 s14, s14, (.LBB2_15012-.Lpost_getpc21841)&4294967295
	s_addc_u32 s15, s15, (.LBB2_15012-.Lpost_getpc21841)>>32
	s_setpc_b64 s[14:15]
.LBB2_674:
	s_or_b64 exec, exec, s[6:7]
	s_and_saveexec_b64 s[6:7], s[4:5]
	s_cbranch_execz .LBB2_676
.LBB2_675:
	v_and_b32_e32 v2, 7, v7
	v_ffbh_u32_e32 v12, v2
	v_min_u32_e32 v12, 32, v12
	v_lshrrev_b16_e32 v6, 3, v7
	v_subrev_u32_e32 v13, 28, v12
	v_and_b32_e32 v6, 15, v6
	v_lshlrev_b32_e32 v13, v13, v7
	v_sub_u32_e32 v12, 29, v12
	v_and_b32_e32 v13, 7, v13
	v_cmp_eq_u16_e32 vcc, 0, v6
	v_cndmask_b32_e32 v2, v2, v13, vcc
	v_cndmask_b32_e32 v6, v6, v12, vcc
	v_lshlrev_b32_e32 v12, 24, v7
	v_mov_b32_e32 v13, 0x3b800000
	v_lshlrev_b32_e32 v2, 20, v2
	v_and_b32_e32 v12, 0x80000000, v12
	v_lshl_add_u32 v6, v6, 23, v13
	v_or3_b32 v2, v12, v6, v2
.LBB2_676:
	s_or_b64 exec, exec, s[6:7]
	s_movk_i32 s4, 0x7f
	v_cmp_gt_i16_sdwa s[6:7], v3, s4 src0_sel:BYTE_0 src1_sel:DWORD
	s_mov_b64 s[4:5], 0
                                        ; implicit-def: $sgpr10
	s_and_saveexec_b64 s[8:9], s[6:7]
	s_xor_b64 s[6:7], exec, s[8:9]
	s_cbranch_execz .LBB2_677
; %bb.36517:
	s_getpc_b64 s[14:15]
.Lpost_getpc21842:
	s_add_u32 s14, s14, (.LBB2_15013-.Lpost_getpc21842)&4294967295
	s_addc_u32 s15, s15, (.LBB2_15013-.Lpost_getpc21842)>>32
	s_setpc_b64 s[14:15]
.LBB2_677:
	s_or_saveexec_b64 s[6:7], s[6:7]
	v_mov_b32_e32 v6, s10
	s_xor_b64 exec, exec, s[6:7]
	s_cbranch_execz .LBB2_678
; %bb.36519:
	s_getpc_b64 s[14:15]
.Lpost_getpc21843:
	s_add_u32 s14, s14, (.LBB2_15016-.Lpost_getpc21843)&4294967295
	s_addc_u32 s15, s15, (.LBB2_15016-.Lpost_getpc21843)>>32
	s_setpc_b64 s[14:15]
.LBB2_678:
	s_or_b64 exec, exec, s[6:7]
	s_and_saveexec_b64 s[6:7], s[4:5]
	s_cbranch_execz .LBB2_680
.LBB2_679:
	v_and_b32_e32 v6, 7, v3
	v_ffbh_u32_e32 v13, v6
	v_min_u32_e32 v13, 32, v13
	v_lshrrev_b16_e32 v12, 3, v3
	v_subrev_u32_e32 v14, 28, v13
	v_and_b32_e32 v12, 15, v12
	v_lshlrev_b32_e32 v14, v14, v3
	v_sub_u32_e32 v13, 29, v13
	v_and_b32_e32 v14, 7, v14
	v_cmp_eq_u16_e32 vcc, 0, v12
	v_cndmask_b32_e32 v6, v6, v14, vcc
	v_cndmask_b32_e32 v12, v12, v13, vcc
	v_lshlrev_b32_e32 v13, 24, v3
	v_mov_b32_e32 v14, 0x3b800000
	v_lshlrev_b32_e32 v6, 20, v6
	v_and_b32_e32 v13, 0x80000000, v13
	v_lshl_add_u32 v12, v12, 23, v14
	v_or3_b32 v6, v13, v12, v6
.LBB2_680:
	s_or_b64 exec, exec, s[6:7]
	s_nop 0
	v_mfma_f32_16x16x4f32 a[0:3], v2, v6, a[0:3]
	v_lshrrev_b32_e32 v6, 8, v7
	s_movk_i32 s4, 0x7f
	v_cmp_gt_i16_sdwa s[6:7], v6, s4 src0_sel:BYTE_0 src1_sel:DWORD
	s_mov_b64 s[4:5], 0
                                        ; implicit-def: $sgpr10
	s_and_saveexec_b64 s[8:9], s[6:7]
	s_xor_b64 s[6:7], exec, s[8:9]
	s_cbranch_execz .LBB2_681
; %bb.36521:
	s_getpc_b64 s[14:15]
.Lpost_getpc21844:
	s_add_u32 s14, s14, (.LBB2_15017-.Lpost_getpc21844)&4294967295
	s_addc_u32 s15, s15, (.LBB2_15017-.Lpost_getpc21844)>>32
	s_setpc_b64 s[14:15]
.LBB2_681:
	s_or_saveexec_b64 s[6:7], s[6:7]
	v_mov_b32_e32 v2, s10
	s_xor_b64 exec, exec, s[6:7]
	s_cbranch_execz .LBB2_682
; %bb.36523:
	s_getpc_b64 s[14:15]
.Lpost_getpc21845:
	s_add_u32 s14, s14, (.LBB2_15020-.Lpost_getpc21845)&4294967295
	s_addc_u32 s15, s15, (.LBB2_15020-.Lpost_getpc21845)>>32
	s_setpc_b64 s[14:15]
.LBB2_682:
	s_or_b64 exec, exec, s[6:7]
	s_and_saveexec_b64 s[6:7], s[4:5]
	s_cbranch_execz .LBB2_684
.LBB2_683:
	v_bfe_u32 v2, v7, 8, 3
	v_ffbh_u32_e32 v13, v2
	v_min_u32_e32 v13, 32, v13
	v_lshrrev_b16_e32 v12, 3, v6
	v_subrev_u32_e32 v14, 28, v13
	v_and_b32_e32 v12, 15, v12
	v_lshlrev_b32_e32 v6, v14, v6
	v_sub_u32_e32 v13, 29, v13
	v_and_b32_e32 v6, 7, v6
	v_cmp_eq_u16_e32 vcc, 0, v12
	v_cndmask_b32_e32 v2, v2, v6, vcc
	v_cndmask_b32_e32 v6, v12, v13, vcc
	v_lshlrev_b32_e32 v12, 16, v7
	v_mov_b32_e32 v13, 0x3b800000
	v_lshlrev_b32_e32 v2, 20, v2
	v_and_b32_e32 v12, 0x80000000, v12
	v_lshl_add_u32 v6, v6, 23, v13
	v_or3_b32 v2, v12, v6, v2
.LBB2_684:
	s_or_b64 exec, exec, s[6:7]
	v_lshrrev_b32_e32 v6, 8, v3
	s_movk_i32 s4, 0x7f
	v_cmp_gt_i16_sdwa s[6:7], v6, s4 src0_sel:BYTE_0 src1_sel:DWORD
	s_mov_b64 s[4:5], 0
                                        ; implicit-def: $sgpr10
	s_and_saveexec_b64 s[8:9], s[6:7]
	s_xor_b64 s[6:7], exec, s[8:9]
	s_cbranch_execz .LBB2_685
; %bb.36525:
	s_getpc_b64 s[14:15]
.Lpost_getpc21846:
	s_add_u32 s14, s14, (.LBB2_15021-.Lpost_getpc21846)&4294967295
	s_addc_u32 s15, s15, (.LBB2_15021-.Lpost_getpc21846)>>32
	s_setpc_b64 s[14:15]
.LBB2_685:
	s_or_saveexec_b64 s[6:7], s[6:7]
	v_mov_b32_e32 v12, s10
	s_xor_b64 exec, exec, s[6:7]
	s_cbranch_execz .LBB2_686
; %bb.36527:
	s_getpc_b64 s[14:15]
.Lpost_getpc21847:
	s_add_u32 s14, s14, (.LBB2_15024-.Lpost_getpc21847)&4294967295
	s_addc_u32 s15, s15, (.LBB2_15024-.Lpost_getpc21847)>>32
	s_setpc_b64 s[14:15]
.LBB2_686:
	s_or_b64 exec, exec, s[6:7]
	s_and_saveexec_b64 s[6:7], s[4:5]
	s_cbranch_execz .LBB2_688
.LBB2_687:
	v_bfe_u32 v12, v3, 8, 3
	v_ffbh_u32_e32 v14, v12
	v_min_u32_e32 v14, 32, v14
	v_lshrrev_b16_e32 v13, 3, v6
	v_subrev_u32_e32 v15, 28, v14
	v_and_b32_e32 v13, 15, v13
	v_lshlrev_b32_e32 v6, v15, v6
	v_sub_u32_e32 v14, 29, v14
	v_and_b32_e32 v6, 7, v6
	v_cmp_eq_u16_e32 vcc, 0, v13
	v_cndmask_b32_e32 v6, v12, v6, vcc
	v_cndmask_b32_e32 v12, v13, v14, vcc
	v_lshlrev_b32_e32 v13, 16, v3
	v_mov_b32_e32 v14, 0x3b800000
	v_lshlrev_b32_e32 v6, 20, v6
	v_and_b32_e32 v13, 0x80000000, v13
	v_lshl_add_u32 v12, v12, 23, v14
	v_or3_b32 v12, v13, v12, v6
.LBB2_688:
	s_or_b64 exec, exec, s[6:7]
	s_nop 0
	v_mfma_f32_16x16x4f32 a[0:3], v2, v12, a[0:3]
	s_movk_i32 s4, 0xff
	v_and_b32_sdwa v6, v7, s4 dst_sel:DWORD dst_unused:UNUSED_PAD src0_sel:WORD_1 src1_sel:DWORD
	s_movk_i32 s4, 0x7f
	v_cmp_lt_i16_e32 vcc, s4, v6
	s_mov_b64 s[4:5], 0
                                        ; implicit-def: $sgpr10
	s_and_saveexec_b64 s[6:7], vcc
	s_xor_b64 s[6:7], exec, s[6:7]
	s_cbranch_execz .LBB2_689
; %bb.36529:
	s_getpc_b64 s[14:15]
.Lpost_getpc21848:
	s_add_u32 s14, s14, (.LBB2_15025-.Lpost_getpc21848)&4294967295
	s_addc_u32 s15, s15, (.LBB2_15025-.Lpost_getpc21848)>>32
	s_setpc_b64 s[14:15]
.LBB2_689:
	s_or_saveexec_b64 s[6:7], s[6:7]
	v_mov_b32_e32 v2, s10
	s_xor_b64 exec, exec, s[6:7]
	s_cbranch_execz .LBB2_690
; %bb.36531:
	s_getpc_b64 s[14:15]
.Lpost_getpc21849:
	s_add_u32 s14, s14, (.LBB2_15028-.Lpost_getpc21849)&4294967295
	s_addc_u32 s15, s15, (.LBB2_15028-.Lpost_getpc21849)>>32
	s_setpc_b64 s[14:15]
.LBB2_690:
	s_or_b64 exec, exec, s[6:7]
	s_and_saveexec_b64 s[6:7], s[4:5]
	s_cbranch_execz .LBB2_692
.LBB2_691:
	v_bfe_u32 v2, v7, 16, 3
	v_ffbh_u32_e32 v13, v2
	v_min_u32_e32 v13, 32, v13
	v_lshrrev_b32_e32 v6, 19, v7
	v_subrev_u32_e32 v14, 28, v13
	v_and_b32_e32 v6, 15, v6
	v_lshlrev_b32_sdwa v14, v14, v7 dst_sel:DWORD dst_unused:UNUSED_PAD src0_sel:DWORD src1_sel:WORD_1
	v_bfe_u32 v12, v7, 19, 4
	v_sub_u32_e32 v13, 29, v13
	v_and_b32_e32 v14, 7, v14
	v_cmp_eq_u16_e32 vcc, 0, v6
	v_cndmask_b32_e32 v2, v2, v14, vcc
	v_cndmask_b32_e32 v6, v12, v13, vcc
	v_lshlrev_b32_e32 v12, 8, v7
	v_mov_b32_e32 v13, 0x3b800000
	v_lshlrev_b32_e32 v2, 20, v2
	v_and_b32_e32 v12, 0x80000000, v12
	v_lshl_add_u32 v6, v6, 23, v13
	v_or3_b32 v2, v12, v6, v2
.LBB2_692:
	s_or_b64 exec, exec, s[6:7]
	s_movk_i32 s4, 0xff
	v_and_b32_sdwa v6, v3, s4 dst_sel:DWORD dst_unused:UNUSED_PAD src0_sel:WORD_1 src1_sel:DWORD
	s_movk_i32 s4, 0x7f
	v_cmp_lt_i16_e32 vcc, s4, v6
	s_mov_b64 s[4:5], 0
                                        ; implicit-def: $sgpr10
	s_and_saveexec_b64 s[6:7], vcc
	s_xor_b64 s[6:7], exec, s[6:7]
	s_cbranch_execz .LBB2_693
; %bb.36533:
	s_getpc_b64 s[14:15]
.Lpost_getpc21850:
	s_add_u32 s14, s14, (.LBB2_15029-.Lpost_getpc21850)&4294967295
	s_addc_u32 s15, s15, (.LBB2_15029-.Lpost_getpc21850)>>32
	s_setpc_b64 s[14:15]
.LBB2_693:
	s_or_saveexec_b64 s[6:7], s[6:7]
	v_mov_b32_e32 v12, s10
	s_xor_b64 exec, exec, s[6:7]
	s_cbranch_execz .LBB2_694
; %bb.36535:
	s_getpc_b64 s[14:15]
.Lpost_getpc21851:
	s_add_u32 s14, s14, (.LBB2_15032-.Lpost_getpc21851)&4294967295
	s_addc_u32 s15, s15, (.LBB2_15032-.Lpost_getpc21851)>>32
	s_setpc_b64 s[14:15]
.LBB2_694:
	s_or_b64 exec, exec, s[6:7]
	s_and_saveexec_b64 s[6:7], s[4:5]
	s_cbranch_execz .LBB2_696
.LBB2_695:
	v_bfe_u32 v6, v3, 16, 3
	v_ffbh_u32_e32 v14, v6
	v_min_u32_e32 v14, 32, v14
	v_lshrrev_b32_e32 v12, 19, v3
	v_subrev_u32_e32 v15, 28, v14
	v_and_b32_e32 v12, 15, v12
	v_lshlrev_b32_sdwa v15, v15, v3 dst_sel:DWORD dst_unused:UNUSED_PAD src0_sel:DWORD src1_sel:WORD_1
	v_bfe_u32 v13, v3, 19, 4
	v_sub_u32_e32 v14, 29, v14
	v_and_b32_e32 v15, 7, v15
	v_cmp_eq_u16_e32 vcc, 0, v12
	v_cndmask_b32_e32 v6, v6, v15, vcc
	v_cndmask_b32_e32 v12, v13, v14, vcc
	v_lshlrev_b32_e32 v13, 8, v3
	v_mov_b32_e32 v14, 0x3b800000
	v_lshlrev_b32_e32 v6, 20, v6
	v_and_b32_e32 v13, 0x80000000, v13
	v_lshl_add_u32 v12, v12, 23, v14
	v_or3_b32 v12, v13, v12, v6
.LBB2_696:
	s_or_b64 exec, exec, s[6:7]
	s_nop 0
	v_mfma_f32_16x16x4f32 a[0:3], v2, v12, a[0:3]
	s_movk_i32 s4, 0x7f
	v_cmp_gt_i16_sdwa s[6:7], v7, s4 src0_sel:BYTE_3 src1_sel:DWORD
	s_mov_b64 s[4:5], 0
                                        ; implicit-def: $sgpr10
	s_and_saveexec_b64 s[8:9], s[6:7]
	s_xor_b64 s[6:7], exec, s[8:9]
	s_cbranch_execz .LBB2_697
; %bb.36537:
	s_getpc_b64 s[14:15]
.Lpost_getpc21852:
	s_add_u32 s14, s14, (.LBB2_15033-.Lpost_getpc21852)&4294967295
	s_addc_u32 s15, s15, (.LBB2_15033-.Lpost_getpc21852)>>32
	s_setpc_b64 s[14:15]
.LBB2_697:
	s_or_saveexec_b64 s[6:7], s[6:7]
	v_mov_b32_e32 v2, s10
	s_xor_b64 exec, exec, s[6:7]
	s_cbranch_execz .LBB2_698
; %bb.36539:
	s_getpc_b64 s[14:15]
.Lpost_getpc21853:
	s_add_u32 s14, s14, (.LBB2_15036-.Lpost_getpc21853)&4294967295
	s_addc_u32 s15, s15, (.LBB2_15036-.Lpost_getpc21853)>>32
	s_setpc_b64 s[14:15]
.LBB2_698:
	s_or_b64 exec, exec, s[6:7]
	s_and_saveexec_b64 s[6:7], s[4:5]
	s_cbranch_execz .LBB2_700
.LBB2_699:
	v_bfe_u32 v2, v7, 24, 3
	v_ffbh_u32_e32 v14, v2
	v_min_u32_e32 v14, 32, v14
	v_lshrrev_b32_e32 v12, 27, v7
	v_subrev_u32_e32 v15, 28, v14
	v_and_b32_e32 v6, 0x80000000, v7
	v_and_b32_e32 v12, 15, v12
	v_bfe_u32 v13, v7, 27, 4
	v_lshlrev_b32_sdwa v7, v15, v7 dst_sel:DWORD dst_unused:UNUSED_PAD src0_sel:DWORD src1_sel:BYTE_3
	v_sub_u32_e32 v14, 29, v14
	v_and_b32_e32 v7, 7, v7
	v_cmp_eq_u16_e32 vcc, 0, v12
	v_cndmask_b32_e32 v2, v2, v7, vcc
	v_cndmask_b32_e32 v7, v13, v14, vcc
	v_mov_b32_e32 v12, 0x3b800000
	v_lshlrev_b32_e32 v2, 20, v2
	v_lshl_add_u32 v7, v7, 23, v12
	v_or3_b32 v2, v6, v7, v2
.LBB2_700:
	s_or_b64 exec, exec, s[6:7]
	s_movk_i32 s4, 0x7f
	v_cmp_gt_i16_sdwa s[6:7], v3, s4 src0_sel:BYTE_3 src1_sel:DWORD
	s_mov_b64 s[4:5], 0
                                        ; implicit-def: $sgpr10
	s_and_saveexec_b64 s[8:9], s[6:7]
	s_xor_b64 s[6:7], exec, s[8:9]
	s_cbranch_execz .LBB2_701
; %bb.36541:
	s_getpc_b64 s[14:15]
.Lpost_getpc21854:
	s_add_u32 s14, s14, (.LBB2_15037-.Lpost_getpc21854)&4294967295
	s_addc_u32 s15, s15, (.LBB2_15037-.Lpost_getpc21854)>>32
	s_setpc_b64 s[14:15]
.LBB2_701:
	s_or_saveexec_b64 s[6:7], s[6:7]
	v_mov_b32_e32 v6, s10
	s_xor_b64 exec, exec, s[6:7]
	s_cbranch_execz .LBB2_702
; %bb.36543:
	s_getpc_b64 s[14:15]
.Lpost_getpc21855:
	s_add_u32 s14, s14, (.LBB2_15040-.Lpost_getpc21855)&4294967295
	s_addc_u32 s15, s15, (.LBB2_15040-.Lpost_getpc21855)>>32
	s_setpc_b64 s[14:15]
.LBB2_702:
	s_or_b64 exec, exec, s[6:7]
	s_and_saveexec_b64 s[6:7], s[4:5]
	s_cbranch_execz .LBB2_704
.LBB2_703:
	v_bfe_u32 v6, v3, 24, 3
	v_ffbh_u32_e32 v14, v6
	v_min_u32_e32 v14, 32, v14
	v_lshrrev_b32_e32 v12, 27, v3
	v_subrev_u32_e32 v15, 28, v14
	v_and_b32_e32 v7, 0x80000000, v3
	v_and_b32_e32 v12, 15, v12
	v_bfe_u32 v13, v3, 27, 4
	v_lshlrev_b32_sdwa v3, v15, v3 dst_sel:DWORD dst_unused:UNUSED_PAD src0_sel:DWORD src1_sel:BYTE_3
	v_sub_u32_e32 v14, 29, v14
	v_and_b32_e32 v3, 7, v3
	v_cmp_eq_u16_e32 vcc, 0, v12
	v_cndmask_b32_e32 v3, v6, v3, vcc
	v_cndmask_b32_e32 v6, v13, v14, vcc
	v_mov_b32_e32 v12, 0x3b800000
	v_lshlrev_b32_e32 v3, 20, v3
	v_lshl_add_u32 v6, v6, 23, v12
	v_or3_b32 v6, v7, v6, v3
.LBB2_704:
	s_or_b64 exec, exec, s[6:7]
	s_nop 0
	v_mfma_f32_16x16x4f32 a[0:3], v2, v6, a[0:3]
	s_movk_i32 s4, 0x7f
	v_cmp_gt_i16_sdwa s[6:7], v8, s4 src0_sel:BYTE_0 src1_sel:DWORD
	s_mov_b64 s[4:5], 0
                                        ; implicit-def: $sgpr10
	s_and_saveexec_b64 s[8:9], s[6:7]
	s_xor_b64 s[6:7], exec, s[8:9]
	s_cbranch_execz .LBB2_705
; %bb.36545:
	s_getpc_b64 s[14:15]
.Lpost_getpc21856:
	s_add_u32 s14, s14, (.LBB2_15041-.Lpost_getpc21856)&4294967295
	s_addc_u32 s15, s15, (.LBB2_15041-.Lpost_getpc21856)>>32
	s_setpc_b64 s[14:15]
.LBB2_705:
	s_or_saveexec_b64 s[6:7], s[6:7]
	v_mov_b32_e32 v2, s10
	s_xor_b64 exec, exec, s[6:7]
	s_cbranch_execz .LBB2_706
; %bb.36547:
	s_getpc_b64 s[14:15]
.Lpost_getpc21857:
	s_add_u32 s14, s14, (.LBB2_15044-.Lpost_getpc21857)&4294967295
	s_addc_u32 s15, s15, (.LBB2_15044-.Lpost_getpc21857)>>32
	s_setpc_b64 s[14:15]
.LBB2_706:
	s_or_b64 exec, exec, s[6:7]
	s_and_saveexec_b64 s[6:7], s[4:5]
	s_cbranch_execz .LBB2_708
.LBB2_707:
	v_and_b32_e32 v2, 7, v8
	v_ffbh_u32_e32 v6, v2
	v_min_u32_e32 v6, 32, v6
	v_lshrrev_b16_e32 v3, 3, v8
	v_subrev_u32_e32 v7, 28, v6
	v_and_b32_e32 v3, 15, v3
	v_lshlrev_b32_e32 v7, v7, v8
	v_sub_u32_e32 v6, 29, v6
	v_and_b32_e32 v7, 7, v7
	v_cmp_eq_u16_e32 vcc, 0, v3
	v_cndmask_b32_e32 v2, v2, v7, vcc
	v_cndmask_b32_e32 v3, v3, v6, vcc
	v_lshlrev_b32_e32 v6, 24, v8
	v_mov_b32_e32 v7, 0x3b800000
	v_lshlrev_b32_e32 v2, 20, v2
	v_and_b32_e32 v6, 0x80000000, v6
	v_lshl_add_u32 v3, v3, 23, v7
	v_or3_b32 v2, v6, v3, v2
.LBB2_708:
	s_or_b64 exec, exec, s[6:7]
	s_movk_i32 s4, 0x7f
	v_cmp_gt_i16_sdwa s[6:7], v4, s4 src0_sel:BYTE_0 src1_sel:DWORD
	s_mov_b64 s[4:5], 0
                                        ; implicit-def: $sgpr10
	s_and_saveexec_b64 s[8:9], s[6:7]
	s_xor_b64 s[6:7], exec, s[8:9]
	s_cbranch_execz .LBB2_709
; %bb.36549:
	s_getpc_b64 s[14:15]
.Lpost_getpc21858:
	s_add_u32 s14, s14, (.LBB2_15045-.Lpost_getpc21858)&4294967295
	s_addc_u32 s15, s15, (.LBB2_15045-.Lpost_getpc21858)>>32
	s_setpc_b64 s[14:15]
.LBB2_709:
	s_or_saveexec_b64 s[6:7], s[6:7]
	v_mov_b32_e32 v3, s10
	s_xor_b64 exec, exec, s[6:7]
	s_cbranch_execz .LBB2_710
; %bb.36551:
	s_getpc_b64 s[14:15]
.Lpost_getpc21859:
	s_add_u32 s14, s14, (.LBB2_15048-.Lpost_getpc21859)&4294967295
	s_addc_u32 s15, s15, (.LBB2_15048-.Lpost_getpc21859)>>32
	s_setpc_b64 s[14:15]
.LBB2_710:
	s_or_b64 exec, exec, s[6:7]
	s_and_saveexec_b64 s[6:7], s[4:5]
	s_cbranch_execz .LBB2_712
.LBB2_711:
	v_and_b32_e32 v3, 7, v4
	v_ffbh_u32_e32 v7, v3
	v_min_u32_e32 v7, 32, v7
	v_lshrrev_b16_e32 v6, 3, v4
	v_subrev_u32_e32 v12, 28, v7
	v_and_b32_e32 v6, 15, v6
	v_lshlrev_b32_e32 v12, v12, v4
	v_sub_u32_e32 v7, 29, v7
	v_and_b32_e32 v12, 7, v12
	v_cmp_eq_u16_e32 vcc, 0, v6
	v_cndmask_b32_e32 v3, v3, v12, vcc
	v_cndmask_b32_e32 v6, v6, v7, vcc
	v_lshlrev_b32_e32 v7, 24, v4
	v_mov_b32_e32 v12, 0x3b800000
	v_lshlrev_b32_e32 v3, 20, v3
	v_and_b32_e32 v7, 0x80000000, v7
	v_lshl_add_u32 v6, v6, 23, v12
	v_or3_b32 v3, v7, v6, v3
.LBB2_712:
	s_or_b64 exec, exec, s[6:7]
	s_nop 0
	v_mfma_f32_16x16x4f32 a[0:3], v2, v3, a[0:3]
	v_lshrrev_b32_e32 v3, 8, v8
	s_movk_i32 s4, 0x7f
	v_cmp_gt_i16_sdwa s[6:7], v3, s4 src0_sel:BYTE_0 src1_sel:DWORD
	s_mov_b64 s[4:5], 0
                                        ; implicit-def: $sgpr10
	s_and_saveexec_b64 s[8:9], s[6:7]
	s_xor_b64 s[6:7], exec, s[8:9]
	s_cbranch_execz .LBB2_713
; %bb.36553:
	s_getpc_b64 s[14:15]
.Lpost_getpc21860:
	s_add_u32 s14, s14, (.LBB2_15049-.Lpost_getpc21860)&4294967295
	s_addc_u32 s15, s15, (.LBB2_15049-.Lpost_getpc21860)>>32
	s_setpc_b64 s[14:15]
.LBB2_713:
	s_or_saveexec_b64 s[6:7], s[6:7]
	v_mov_b32_e32 v2, s10
	s_xor_b64 exec, exec, s[6:7]
	s_cbranch_execz .LBB2_714
; %bb.36555:
	s_getpc_b64 s[14:15]
.Lpost_getpc21861:
	s_add_u32 s14, s14, (.LBB2_15052-.Lpost_getpc21861)&4294967295
	s_addc_u32 s15, s15, (.LBB2_15052-.Lpost_getpc21861)>>32
	s_setpc_b64 s[14:15]
.LBB2_714:
	s_or_b64 exec, exec, s[6:7]
	s_and_saveexec_b64 s[6:7], s[4:5]
	s_cbranch_execz .LBB2_716
.LBB2_715:
	v_bfe_u32 v2, v8, 8, 3
	v_ffbh_u32_e32 v7, v2
	v_min_u32_e32 v7, 32, v7
	v_lshrrev_b16_e32 v6, 3, v3
	v_subrev_u32_e32 v12, 28, v7
	v_and_b32_e32 v6, 15, v6
	v_lshlrev_b32_e32 v3, v12, v3
	v_sub_u32_e32 v7, 29, v7
	v_and_b32_e32 v3, 7, v3
	v_cmp_eq_u16_e32 vcc, 0, v6
	v_cndmask_b32_e32 v2, v2, v3, vcc
	v_cndmask_b32_e32 v3, v6, v7, vcc
	v_lshlrev_b32_e32 v6, 16, v8
	v_mov_b32_e32 v7, 0x3b800000
	v_lshlrev_b32_e32 v2, 20, v2
	v_and_b32_e32 v6, 0x80000000, v6
	v_lshl_add_u32 v3, v3, 23, v7
	v_or3_b32 v2, v6, v3, v2
.LBB2_716:
	s_or_b64 exec, exec, s[6:7]
	v_lshrrev_b32_e32 v3, 8, v4
	s_movk_i32 s4, 0x7f
	v_cmp_gt_i16_sdwa s[6:7], v3, s4 src0_sel:BYTE_0 src1_sel:DWORD
	s_mov_b64 s[4:5], 0
                                        ; implicit-def: $sgpr10
	s_and_saveexec_b64 s[8:9], s[6:7]
	s_xor_b64 s[6:7], exec, s[8:9]
	s_cbranch_execz .LBB2_717
; %bb.36557:
	s_getpc_b64 s[14:15]
.Lpost_getpc21862:
	s_add_u32 s14, s14, (.LBB2_15053-.Lpost_getpc21862)&4294967295
	s_addc_u32 s15, s15, (.LBB2_15053-.Lpost_getpc21862)>>32
	s_setpc_b64 s[14:15]
.LBB2_717:
	s_or_saveexec_b64 s[6:7], s[6:7]
	v_mov_b32_e32 v6, s10
	s_xor_b64 exec, exec, s[6:7]
	s_cbranch_execz .LBB2_718
; %bb.36559:
	s_getpc_b64 s[14:15]
.Lpost_getpc21863:
	s_add_u32 s14, s14, (.LBB2_15056-.Lpost_getpc21863)&4294967295
	s_addc_u32 s15, s15, (.LBB2_15056-.Lpost_getpc21863)>>32
	s_setpc_b64 s[14:15]
.LBB2_718:
	s_or_b64 exec, exec, s[6:7]
	s_and_saveexec_b64 s[6:7], s[4:5]
	s_cbranch_execz .LBB2_720
.LBB2_719:
	v_bfe_u32 v6, v4, 8, 3
	v_ffbh_u32_e32 v12, v6
	v_min_u32_e32 v12, 32, v12
	v_lshrrev_b16_e32 v7, 3, v3
	v_subrev_u32_e32 v13, 28, v12
	v_and_b32_e32 v7, 15, v7
	v_lshlrev_b32_e32 v3, v13, v3
	v_sub_u32_e32 v12, 29, v12
	v_and_b32_e32 v3, 7, v3
	v_cmp_eq_u16_e32 vcc, 0, v7
	v_cndmask_b32_e32 v3, v6, v3, vcc
	v_cndmask_b32_e32 v6, v7, v12, vcc
	v_lshlrev_b32_e32 v7, 16, v4
	v_mov_b32_e32 v12, 0x3b800000
	v_lshlrev_b32_e32 v3, 20, v3
	v_and_b32_e32 v7, 0x80000000, v7
	v_lshl_add_u32 v6, v6, 23, v12
	v_or3_b32 v6, v7, v6, v3
.LBB2_720:
	s_or_b64 exec, exec, s[6:7]
	s_nop 0
	v_mfma_f32_16x16x4f32 a[0:3], v2, v6, a[0:3]
	s_movk_i32 s4, 0xff
	v_and_b32_sdwa v3, v8, s4 dst_sel:DWORD dst_unused:UNUSED_PAD src0_sel:WORD_1 src1_sel:DWORD
	s_movk_i32 s4, 0x7f
	v_cmp_lt_i16_e32 vcc, s4, v3
	s_mov_b64 s[4:5], 0
                                        ; implicit-def: $sgpr10
	s_and_saveexec_b64 s[6:7], vcc
	s_xor_b64 s[6:7], exec, s[6:7]
	s_cbranch_execz .LBB2_721
; %bb.36561:
	s_getpc_b64 s[14:15]
.Lpost_getpc21864:
	s_add_u32 s14, s14, (.LBB2_15057-.Lpost_getpc21864)&4294967295
	s_addc_u32 s15, s15, (.LBB2_15057-.Lpost_getpc21864)>>32
	s_setpc_b64 s[14:15]
.LBB2_721:
	s_or_saveexec_b64 s[6:7], s[6:7]
	v_mov_b32_e32 v2, s10
	s_xor_b64 exec, exec, s[6:7]
	s_cbranch_execz .LBB2_722
; %bb.36563:
	s_getpc_b64 s[14:15]
.Lpost_getpc21865:
	s_add_u32 s14, s14, (.LBB2_15060-.Lpost_getpc21865)&4294967295
	s_addc_u32 s15, s15, (.LBB2_15060-.Lpost_getpc21865)>>32
	s_setpc_b64 s[14:15]
.LBB2_722:
	s_or_b64 exec, exec, s[6:7]
	s_and_saveexec_b64 s[6:7], s[4:5]
	s_cbranch_execz .LBB2_724
.LBB2_723:
	v_bfe_u32 v2, v8, 16, 3
	v_ffbh_u32_e32 v7, v2
	v_min_u32_e32 v7, 32, v7
	v_lshrrev_b32_e32 v3, 19, v8
	v_subrev_u32_e32 v12, 28, v7
	v_and_b32_e32 v3, 15, v3
	v_lshlrev_b32_sdwa v12, v12, v8 dst_sel:DWORD dst_unused:UNUSED_PAD src0_sel:DWORD src1_sel:WORD_1
	v_bfe_u32 v6, v8, 19, 4
	v_sub_u32_e32 v7, 29, v7
	v_and_b32_e32 v12, 7, v12
	v_cmp_eq_u16_e32 vcc, 0, v3
	v_cndmask_b32_e32 v2, v2, v12, vcc
	v_cndmask_b32_e32 v3, v6, v7, vcc
	v_lshlrev_b32_e32 v6, 8, v8
	v_mov_b32_e32 v7, 0x3b800000
	v_lshlrev_b32_e32 v2, 20, v2
	v_and_b32_e32 v6, 0x80000000, v6
	v_lshl_add_u32 v3, v3, 23, v7
	v_or3_b32 v2, v6, v3, v2
.LBB2_724:
	s_or_b64 exec, exec, s[6:7]
	s_movk_i32 s4, 0xff
	v_and_b32_sdwa v3, v4, s4 dst_sel:DWORD dst_unused:UNUSED_PAD src0_sel:WORD_1 src1_sel:DWORD
	s_movk_i32 s4, 0x7f
	v_cmp_lt_i16_e32 vcc, s4, v3
	s_mov_b64 s[4:5], 0
                                        ; implicit-def: $sgpr10
	s_and_saveexec_b64 s[6:7], vcc
	s_xor_b64 s[6:7], exec, s[6:7]
	s_cbranch_execz .LBB2_725
; %bb.36565:
	s_getpc_b64 s[14:15]
.Lpost_getpc21866:
	s_add_u32 s14, s14, (.LBB2_15061-.Lpost_getpc21866)&4294967295
	s_addc_u32 s15, s15, (.LBB2_15061-.Lpost_getpc21866)>>32
	s_setpc_b64 s[14:15]
.LBB2_725:
	s_or_saveexec_b64 s[6:7], s[6:7]
	v_mov_b32_e32 v6, s10
	s_xor_b64 exec, exec, s[6:7]
	s_cbranch_execz .LBB2_726
; %bb.36567:
	s_getpc_b64 s[14:15]
.Lpost_getpc21867:
	s_add_u32 s14, s14, (.LBB2_15064-.Lpost_getpc21867)&4294967295
	s_addc_u32 s15, s15, (.LBB2_15064-.Lpost_getpc21867)>>32
	s_setpc_b64 s[14:15]
.LBB2_726:
	s_or_b64 exec, exec, s[6:7]
	s_and_saveexec_b64 s[6:7], s[4:5]
	s_cbranch_execz .LBB2_728
.LBB2_727:
	v_bfe_u32 v3, v4, 16, 3
	v_ffbh_u32_e32 v12, v3
	v_min_u32_e32 v12, 32, v12
	v_lshrrev_b32_e32 v6, 19, v4
	v_subrev_u32_e32 v13, 28, v12
	v_and_b32_e32 v6, 15, v6
	v_lshlrev_b32_sdwa v13, v13, v4 dst_sel:DWORD dst_unused:UNUSED_PAD src0_sel:DWORD src1_sel:WORD_1
	v_bfe_u32 v7, v4, 19, 4
	v_sub_u32_e32 v12, 29, v12
	v_and_b32_e32 v13, 7, v13
	v_cmp_eq_u16_e32 vcc, 0, v6
	v_cndmask_b32_e32 v3, v3, v13, vcc
	v_cndmask_b32_e32 v6, v7, v12, vcc
	v_lshlrev_b32_e32 v7, 8, v4
	v_mov_b32_e32 v12, 0x3b800000
	v_lshlrev_b32_e32 v3, 20, v3
	v_and_b32_e32 v7, 0x80000000, v7
	v_lshl_add_u32 v6, v6, 23, v12
	v_or3_b32 v6, v7, v6, v3
.LBB2_728:
	s_or_b64 exec, exec, s[6:7]
	s_nop 0
	v_mfma_f32_16x16x4f32 a[0:3], v2, v6, a[0:3]
	s_movk_i32 s4, 0x7f
	v_cmp_gt_i16_sdwa s[6:7], v8, s4 src0_sel:BYTE_3 src1_sel:DWORD
	s_mov_b64 s[4:5], 0
                                        ; implicit-def: $sgpr10
	s_and_saveexec_b64 s[8:9], s[6:7]
	s_xor_b64 s[6:7], exec, s[8:9]
	s_cbranch_execz .LBB2_729
; %bb.36569:
	s_getpc_b64 s[14:15]
.Lpost_getpc21868:
	s_add_u32 s14, s14, (.LBB2_15065-.Lpost_getpc21868)&4294967295
	s_addc_u32 s15, s15, (.LBB2_15065-.Lpost_getpc21868)>>32
	s_setpc_b64 s[14:15]
.LBB2_729:
	s_or_saveexec_b64 s[6:7], s[6:7]
	v_mov_b32_e32 v2, s10
	s_xor_b64 exec, exec, s[6:7]
	s_cbranch_execz .LBB2_730
; %bb.36571:
	s_getpc_b64 s[14:15]
.Lpost_getpc21869:
	s_add_u32 s14, s14, (.LBB2_15068-.Lpost_getpc21869)&4294967295
	s_addc_u32 s15, s15, (.LBB2_15068-.Lpost_getpc21869)>>32
	s_setpc_b64 s[14:15]
.LBB2_730:
	s_or_b64 exec, exec, s[6:7]
	s_and_saveexec_b64 s[6:7], s[4:5]
	s_cbranch_execz .LBB2_732
.LBB2_731:
	v_bfe_u32 v2, v8, 24, 3
	v_ffbh_u32_e32 v12, v2
	v_min_u32_e32 v12, 32, v12
	v_lshrrev_b32_e32 v6, 27, v8
	v_subrev_u32_e32 v13, 28, v12
	v_and_b32_e32 v3, 0x80000000, v8
	v_and_b32_e32 v6, 15, v6
	v_bfe_u32 v7, v8, 27, 4
	v_lshlrev_b32_sdwa v8, v13, v8 dst_sel:DWORD dst_unused:UNUSED_PAD src0_sel:DWORD src1_sel:BYTE_3
	v_sub_u32_e32 v12, 29, v12
	v_and_b32_e32 v8, 7, v8
	v_cmp_eq_u16_e32 vcc, 0, v6
	v_cndmask_b32_e32 v2, v2, v8, vcc
	v_cndmask_b32_e32 v6, v7, v12, vcc
	v_mov_b32_e32 v7, 0x3b800000
	v_lshlrev_b32_e32 v2, 20, v2
	v_lshl_add_u32 v6, v6, 23, v7
	v_or3_b32 v2, v3, v6, v2
.LBB2_732:
	s_or_b64 exec, exec, s[6:7]
	s_movk_i32 s4, 0x7f
	v_cmp_gt_i16_sdwa s[6:7], v4, s4 src0_sel:BYTE_3 src1_sel:DWORD
	s_mov_b64 s[4:5], 0
                                        ; implicit-def: $sgpr10
	s_and_saveexec_b64 s[8:9], s[6:7]
	s_xor_b64 s[6:7], exec, s[8:9]
	s_cbranch_execz .LBB2_733
; %bb.36573:
	s_getpc_b64 s[14:15]
.Lpost_getpc21870:
	s_add_u32 s14, s14, (.LBB2_15069-.Lpost_getpc21870)&4294967295
	s_addc_u32 s15, s15, (.LBB2_15069-.Lpost_getpc21870)>>32
	s_setpc_b64 s[14:15]
.LBB2_733:
	s_or_saveexec_b64 s[6:7], s[6:7]
	v_mov_b32_e32 v3, s10
	s_xor_b64 exec, exec, s[6:7]
	s_cbranch_execz .LBB2_734
; %bb.36575:
	s_getpc_b64 s[14:15]
.Lpost_getpc21871:
	s_add_u32 s14, s14, (.LBB2_15072-.Lpost_getpc21871)&4294967295
	s_addc_u32 s15, s15, (.LBB2_15072-.Lpost_getpc21871)>>32
	s_setpc_b64 s[14:15]
.LBB2_734:
	s_or_b64 exec, exec, s[6:7]
	s_and_saveexec_b64 s[6:7], s[4:5]
	s_cbranch_execz .LBB2_736
.LBB2_735:
	v_bfe_u32 v3, v4, 24, 3
	v_ffbh_u32_e32 v12, v3
	v_min_u32_e32 v12, 32, v12
	v_lshrrev_b32_e32 v7, 27, v4
	v_subrev_u32_e32 v13, 28, v12
	v_and_b32_e32 v6, 0x80000000, v4
	v_and_b32_e32 v7, 15, v7
	v_bfe_u32 v8, v4, 27, 4
	v_lshlrev_b32_sdwa v4, v13, v4 dst_sel:DWORD dst_unused:UNUSED_PAD src0_sel:DWORD src1_sel:BYTE_3
	v_sub_u32_e32 v12, 29, v12
	v_and_b32_e32 v4, 7, v4
	v_cmp_eq_u16_e32 vcc, 0, v7
	v_cndmask_b32_e32 v3, v3, v4, vcc
	v_cndmask_b32_e32 v4, v8, v12, vcc
	v_mov_b32_e32 v7, 0x3b800000
	v_lshlrev_b32_e32 v3, 20, v3
	v_lshl_add_u32 v4, v4, 23, v7
	v_or3_b32 v3, v6, v4, v3
.LBB2_736:
	s_or_b64 exec, exec, s[6:7]
	s_nop 0
	v_mfma_f32_16x16x4f32 a[0:3], v2, v3, a[0:3]
	s_movk_i32 s4, 0x7f
	v_cmp_gt_i16_sdwa s[6:7], v9, s4 src0_sel:BYTE_0 src1_sel:DWORD
	s_mov_b64 s[4:5], 0
                                        ; implicit-def: $sgpr10
	s_and_saveexec_b64 s[8:9], s[6:7]
	s_xor_b64 s[6:7], exec, s[8:9]
	s_cbranch_execz .LBB2_737
; %bb.36577:
	s_getpc_b64 s[14:15]
.Lpost_getpc21872:
	s_add_u32 s14, s14, (.LBB2_15073-.Lpost_getpc21872)&4294967295
	s_addc_u32 s15, s15, (.LBB2_15073-.Lpost_getpc21872)>>32
	s_setpc_b64 s[14:15]
.LBB2_737:
	s_or_saveexec_b64 s[6:7], s[6:7]
	v_mov_b32_e32 v2, s10
	s_xor_b64 exec, exec, s[6:7]
	s_cbranch_execz .LBB2_738
; %bb.36579:
	s_getpc_b64 s[14:15]
.Lpost_getpc21873:
	s_add_u32 s14, s14, (.LBB2_15076-.Lpost_getpc21873)&4294967295
	s_addc_u32 s15, s15, (.LBB2_15076-.Lpost_getpc21873)>>32
	s_setpc_b64 s[14:15]
.LBB2_738:
	s_or_b64 exec, exec, s[6:7]
	s_and_saveexec_b64 s[6:7], s[4:5]
	s_cbranch_execz .LBB2_740
.LBB2_739:
	v_mov_b32_e32 v2, 8
	v_and_b32_e32 v3, 7, v9
	v_lshrrev_b32_sdwa v2, v2, v9 dst_sel:BYTE_1 dst_unused:UNUSED_PAD src0_sel:DWORD src1_sel:DWORD
	v_ffbh_u32_e32 v4, v3
	v_or_b32_sdwa v2, v9, v2 dst_sel:DWORD dst_unused:UNUSED_PAD src0_sel:BYTE_0 src1_sel:DWORD
	v_min_u32_e32 v4, 32, v4
	v_lshrrev_b16_e32 v2, 3, v2
	v_subrev_u32_e32 v6, 28, v4
	v_and_b32_e32 v2, 15, v2
	v_lshlrev_b32_e32 v6, v6, v9
	v_sub_u32_e32 v4, 29, v4
	v_and_b32_e32 v6, 7, v6
	v_cmp_eq_u16_e32 vcc, 0, v2
	v_cndmask_b32_e32 v3, v3, v6, vcc
	v_cndmask_b32_e32 v2, v2, v4, vcc
	v_lshlrev_b32_e32 v4, 24, v9
	v_mov_b32_e32 v6, 0x3b800000
	v_lshlrev_b32_e32 v3, 20, v3
	v_and_b32_e32 v4, 0x80000000, v4
	v_lshl_add_u32 v2, v2, 23, v6
	v_or3_b32 v2, v4, v2, v3
.LBB2_740:
	s_or_b64 exec, exec, s[6:7]
	s_movk_i32 s4, 0x7f
	v_cmp_gt_i16_sdwa s[6:7], v5, s4 src0_sel:BYTE_0 src1_sel:DWORD
	s_mov_b64 s[4:5], 0
                                        ; implicit-def: $sgpr10
	s_and_saveexec_b64 s[8:9], s[6:7]
	s_xor_b64 s[6:7], exec, s[8:9]
	s_cbranch_execz .LBB2_741
; %bb.36581:
	s_getpc_b64 s[14:15]
.Lpost_getpc21874:
	s_add_u32 s14, s14, (.LBB2_15077-.Lpost_getpc21874)&4294967295
	s_addc_u32 s15, s15, (.LBB2_15077-.Lpost_getpc21874)>>32
	s_setpc_b64 s[14:15]
.LBB2_741:
	s_or_saveexec_b64 s[6:7], s[6:7]
	v_mov_b32_e32 v3, s10
	s_xor_b64 exec, exec, s[6:7]
	s_cbranch_execz .LBB2_742
; %bb.36583:
	s_getpc_b64 s[14:15]
.Lpost_getpc21875:
	s_add_u32 s14, s14, (.LBB2_15080-.Lpost_getpc21875)&4294967295
	s_addc_u32 s15, s15, (.LBB2_15080-.Lpost_getpc21875)>>32
	s_setpc_b64 s[14:15]
.LBB2_742:
	s_or_b64 exec, exec, s[6:7]
	s_and_saveexec_b64 s[6:7], s[4:5]
	s_cbranch_execz .LBB2_744
.LBB2_743:
	v_mov_b32_e32 v3, 8
	v_and_b32_e32 v4, 7, v5
	v_lshrrev_b32_sdwa v3, v3, v5 dst_sel:BYTE_1 dst_unused:UNUSED_PAD src0_sel:DWORD src1_sel:DWORD
	v_ffbh_u32_e32 v6, v4
	v_or_b32_sdwa v3, v5, v3 dst_sel:DWORD dst_unused:UNUSED_PAD src0_sel:BYTE_0 src1_sel:DWORD
	v_min_u32_e32 v6, 32, v6
	v_lshrrev_b16_e32 v3, 3, v3
	v_subrev_u32_e32 v7, 28, v6
	v_and_b32_e32 v3, 15, v3
	v_lshlrev_b32_e32 v7, v7, v5
	v_sub_u32_e32 v6, 29, v6
	v_and_b32_e32 v7, 7, v7
	v_cmp_eq_u16_e32 vcc, 0, v3
	v_cndmask_b32_e32 v4, v4, v7, vcc
	v_cndmask_b32_e32 v3, v3, v6, vcc
	v_lshlrev_b32_e32 v6, 24, v5
	v_mov_b32_e32 v7, 0x3b800000
	v_lshlrev_b32_e32 v4, 20, v4
	v_and_b32_e32 v6, 0x80000000, v6
	v_lshl_add_u32 v3, v3, 23, v7
	v_or3_b32 v3, v6, v3, v4
.LBB2_744:
	s_or_b64 exec, exec, s[6:7]
	s_nop 0
	v_mfma_f32_16x16x4f32 a[0:3], v2, v3, a[0:3]
	v_lshrrev_b32_e32 v3, 8, v9
	s_movk_i32 s4, 0x7f
	v_cmp_gt_i16_sdwa s[6:7], v3, s4 src0_sel:BYTE_0 src1_sel:DWORD
	s_mov_b64 s[4:5], 0
                                        ; implicit-def: $sgpr10
	s_and_saveexec_b64 s[8:9], s[6:7]
	s_xor_b64 s[6:7], exec, s[8:9]
	s_cbranch_execz .LBB2_745
; %bb.36585:
	s_getpc_b64 s[14:15]
.Lpost_getpc21876:
	s_add_u32 s14, s14, (.LBB2_15081-.Lpost_getpc21876)&4294967295
	s_addc_u32 s15, s15, (.LBB2_15081-.Lpost_getpc21876)>>32
	s_setpc_b64 s[14:15]
.LBB2_745:
	s_or_saveexec_b64 s[6:7], s[6:7]
	v_mov_b32_e32 v2, s10
	s_xor_b64 exec, exec, s[6:7]
	s_cbranch_execz .LBB2_746
; %bb.36587:
	s_getpc_b64 s[14:15]
.Lpost_getpc21877:
	s_add_u32 s14, s14, (.LBB2_15084-.Lpost_getpc21877)&4294967295
	s_addc_u32 s15, s15, (.LBB2_15084-.Lpost_getpc21877)>>32
	s_setpc_b64 s[14:15]
.LBB2_746:
	s_or_b64 exec, exec, s[6:7]
	s_and_saveexec_b64 s[6:7], s[4:5]
	s_cbranch_execz .LBB2_748
.LBB2_747:
	v_bfe_u32 v2, v9, 8, 3
	v_ffbh_u32_e32 v6, v2
	v_min_u32_e32 v6, 32, v6
	v_lshrrev_b16_e32 v4, 3, v3
	v_subrev_u32_e32 v7, 28, v6
	v_and_b32_e32 v4, 15, v4
	v_lshlrev_b32_e32 v3, v7, v3
	v_sub_u32_e32 v6, 29, v6
	v_and_b32_e32 v3, 7, v3
	v_cmp_eq_u16_e32 vcc, 0, v4
	v_cndmask_b32_e32 v2, v2, v3, vcc
	v_cndmask_b32_e32 v3, v4, v6, vcc
	v_lshlrev_b32_e32 v4, 16, v9
	v_mov_b32_e32 v6, 0x3b800000
	v_lshlrev_b32_e32 v2, 20, v2
	v_and_b32_e32 v4, 0x80000000, v4
	v_lshl_add_u32 v3, v3, 23, v6
	v_or3_b32 v2, v4, v3, v2
.LBB2_748:
	s_or_b64 exec, exec, s[6:7]
	v_lshrrev_b32_e32 v3, 8, v5
	s_movk_i32 s4, 0x7f
	v_cmp_gt_i16_sdwa s[6:7], v3, s4 src0_sel:BYTE_0 src1_sel:DWORD
	s_mov_b64 s[4:5], 0
                                        ; implicit-def: $sgpr10
	s_and_saveexec_b64 s[8:9], s[6:7]
	s_xor_b64 s[6:7], exec, s[8:9]
	s_cbranch_execz .LBB2_749
; %bb.36589:
	s_getpc_b64 s[14:15]
.Lpost_getpc21878:
	s_add_u32 s14, s14, (.LBB2_15085-.Lpost_getpc21878)&4294967295
	s_addc_u32 s15, s15, (.LBB2_15085-.Lpost_getpc21878)>>32
	s_setpc_b64 s[14:15]
.LBB2_749:
	s_or_saveexec_b64 s[6:7], s[6:7]
	v_mov_b32_e32 v4, s10
	s_xor_b64 exec, exec, s[6:7]
	s_cbranch_execz .LBB2_750
; %bb.36591:
	s_getpc_b64 s[14:15]
.Lpost_getpc21879:
	s_add_u32 s14, s14, (.LBB2_15088-.Lpost_getpc21879)&4294967295
	s_addc_u32 s15, s15, (.LBB2_15088-.Lpost_getpc21879)>>32
	s_setpc_b64 s[14:15]
.LBB2_750:
	s_or_b64 exec, exec, s[6:7]
	s_and_saveexec_b64 s[6:7], s[4:5]
	s_cbranch_execz .LBB2_752
.LBB2_751:
	v_bfe_u32 v4, v5, 8, 3
	v_ffbh_u32_e32 v7, v4
	v_min_u32_e32 v7, 32, v7
	v_lshrrev_b16_e32 v6, 3, v3
	v_subrev_u32_e32 v8, 28, v7
	v_and_b32_e32 v6, 15, v6
	v_lshlrev_b32_e32 v3, v8, v3
	v_sub_u32_e32 v7, 29, v7
	v_and_b32_e32 v3, 7, v3
	v_cmp_eq_u16_e32 vcc, 0, v6
	v_cndmask_b32_e32 v3, v4, v3, vcc
	v_cndmask_b32_e32 v4, v6, v7, vcc
	v_lshlrev_b32_e32 v6, 16, v5
	v_mov_b32_e32 v7, 0x3b800000
	v_lshlrev_b32_e32 v3, 20, v3
	v_and_b32_e32 v6, 0x80000000, v6
	v_lshl_add_u32 v4, v4, 23, v7
	v_or3_b32 v4, v6, v4, v3
.LBB2_752:
	s_or_b64 exec, exec, s[6:7]
	s_nop 0
	v_mfma_f32_16x16x4f32 a[0:3], v2, v4, a[0:3]
	s_movk_i32 s4, 0xff
	v_and_b32_sdwa v3, v9, s4 dst_sel:DWORD dst_unused:UNUSED_PAD src0_sel:WORD_1 src1_sel:DWORD
	s_movk_i32 s4, 0x7f
	v_cmp_lt_i16_e32 vcc, s4, v3
	s_mov_b64 s[4:5], 0
                                        ; implicit-def: $sgpr10
	s_and_saveexec_b64 s[6:7], vcc
	s_xor_b64 s[6:7], exec, s[6:7]
	s_cbranch_execz .LBB2_753
; %bb.36593:
	s_getpc_b64 s[14:15]
.Lpost_getpc21880:
	s_add_u32 s14, s14, (.LBB2_15089-.Lpost_getpc21880)&4294967295
	s_addc_u32 s15, s15, (.LBB2_15089-.Lpost_getpc21880)>>32
	s_setpc_b64 s[14:15]
.LBB2_753:
	s_or_saveexec_b64 s[6:7], s[6:7]
	v_mov_b32_e32 v2, s10
	s_xor_b64 exec, exec, s[6:7]
	s_cbranch_execz .LBB2_754
; %bb.36595:
	s_getpc_b64 s[14:15]
.Lpost_getpc21881:
	s_add_u32 s14, s14, (.LBB2_15092-.Lpost_getpc21881)&4294967295
	s_addc_u32 s15, s15, (.LBB2_15092-.Lpost_getpc21881)>>32
	s_setpc_b64 s[14:15]
.LBB2_754:
	s_or_b64 exec, exec, s[6:7]
	s_and_saveexec_b64 s[6:7], s[4:5]
	s_cbranch_execz .LBB2_756
.LBB2_755:
	v_bfe_u32 v2, v9, 16, 3
	v_ffbh_u32_e32 v6, v2
	v_min_u32_e32 v6, 32, v6
	v_lshrrev_b32_e32 v3, 19, v9
	v_subrev_u32_e32 v7, 28, v6
	v_and_b32_e32 v3, 15, v3
	v_lshlrev_b32_sdwa v7, v7, v9 dst_sel:DWORD dst_unused:UNUSED_PAD src0_sel:DWORD src1_sel:WORD_1
	v_bfe_u32 v4, v9, 19, 4
	v_sub_u32_e32 v6, 29, v6
	v_and_b32_e32 v7, 7, v7
	v_cmp_eq_u16_e32 vcc, 0, v3
	v_cndmask_b32_e32 v2, v2, v7, vcc
	v_cndmask_b32_e32 v3, v4, v6, vcc
	v_lshlrev_b32_e32 v4, 8, v9
	v_mov_b32_e32 v6, 0x3b800000
	v_lshlrev_b32_e32 v2, 20, v2
	v_and_b32_e32 v4, 0x80000000, v4
	v_lshl_add_u32 v3, v3, 23, v6
	v_or3_b32 v2, v4, v3, v2
.LBB2_756:
	s_or_b64 exec, exec, s[6:7]
	s_movk_i32 s4, 0xff
	v_and_b32_sdwa v3, v5, s4 dst_sel:DWORD dst_unused:UNUSED_PAD src0_sel:WORD_1 src1_sel:DWORD
	s_movk_i32 s4, 0x7f
	v_cmp_lt_i16_e32 vcc, s4, v3
	s_mov_b64 s[4:5], 0
                                        ; implicit-def: $sgpr10
	s_and_saveexec_b64 s[6:7], vcc
	s_xor_b64 s[6:7], exec, s[6:7]
	s_cbranch_execz .LBB2_757
; %bb.36597:
	s_getpc_b64 s[14:15]
.Lpost_getpc21882:
	s_add_u32 s14, s14, (.LBB2_15093-.Lpost_getpc21882)&4294967295
	s_addc_u32 s15, s15, (.LBB2_15093-.Lpost_getpc21882)>>32
	s_setpc_b64 s[14:15]
.LBB2_757:
	s_or_saveexec_b64 s[6:7], s[6:7]
	v_mov_b32_e32 v4, s10
	s_xor_b64 exec, exec, s[6:7]
	s_cbranch_execz .LBB2_758
; %bb.36599:
	s_getpc_b64 s[14:15]
.Lpost_getpc21883:
	s_add_u32 s14, s14, (.LBB2_15096-.Lpost_getpc21883)&4294967295
	s_addc_u32 s15, s15, (.LBB2_15096-.Lpost_getpc21883)>>32
	s_setpc_b64 s[14:15]
.LBB2_758:
	s_or_b64 exec, exec, s[6:7]
	s_and_saveexec_b64 s[6:7], s[4:5]
	s_cbranch_execz .LBB2_760
.LBB2_759:
	v_bfe_u32 v3, v5, 16, 3
	v_ffbh_u32_e32 v7, v3
	v_min_u32_e32 v7, 32, v7
	v_lshrrev_b32_e32 v4, 19, v5
	v_subrev_u32_e32 v8, 28, v7
	v_and_b32_e32 v4, 15, v4
	v_lshlrev_b32_sdwa v8, v8, v5 dst_sel:DWORD dst_unused:UNUSED_PAD src0_sel:DWORD src1_sel:WORD_1
	v_bfe_u32 v6, v5, 19, 4
	v_sub_u32_e32 v7, 29, v7
	v_and_b32_e32 v8, 7, v8
	v_cmp_eq_u16_e32 vcc, 0, v4
	v_cndmask_b32_e32 v3, v3, v8, vcc
	v_cndmask_b32_e32 v4, v6, v7, vcc
	v_lshlrev_b32_e32 v6, 8, v5
	v_mov_b32_e32 v7, 0x3b800000
	v_lshlrev_b32_e32 v3, 20, v3
	v_and_b32_e32 v6, 0x80000000, v6
	v_lshl_add_u32 v4, v4, 23, v7
	v_or3_b32 v4, v6, v4, v3
.LBB2_760:
	s_or_b64 exec, exec, s[6:7]
	s_nop 0
	v_mfma_f32_16x16x4f32 a[0:3], v2, v4, a[0:3]
	s_movk_i32 s4, 0x7f
	v_cmp_gt_i16_sdwa s[6:7], v9, s4 src0_sel:BYTE_3 src1_sel:DWORD
	s_mov_b64 s[4:5], 0
                                        ; implicit-def: $sgpr10
	s_and_saveexec_b64 s[8:9], s[6:7]
	s_xor_b64 s[6:7], exec, s[8:9]
	s_cbranch_execz .LBB2_761
; %bb.36601:
	s_getpc_b64 s[14:15]
.Lpost_getpc21884:
	s_add_u32 s14, s14, (.LBB2_15097-.Lpost_getpc21884)&4294967295
	s_addc_u32 s15, s15, (.LBB2_15097-.Lpost_getpc21884)>>32
	s_setpc_b64 s[14:15]
.LBB2_761:
	s_or_saveexec_b64 s[6:7], s[6:7]
	v_mov_b32_e32 v2, s10
	s_xor_b64 exec, exec, s[6:7]
	s_cbranch_execz .LBB2_762
; %bb.36603:
	s_getpc_b64 s[14:15]
.Lpost_getpc21885:
	s_add_u32 s14, s14, (.LBB2_15100-.Lpost_getpc21885)&4294967295
	s_addc_u32 s15, s15, (.LBB2_15100-.Lpost_getpc21885)>>32
	s_setpc_b64 s[14:15]
.LBB2_762:
	s_or_b64 exec, exec, s[6:7]
	s_and_saveexec_b64 s[6:7], s[4:5]
	s_cbranch_execz .LBB2_764
.LBB2_763:
	v_bfe_u32 v2, v9, 24, 3
	v_ffbh_u32_e32 v7, v2
	v_min_u32_e32 v7, 32, v7
	v_lshrrev_b32_e32 v4, 27, v9
	v_subrev_u32_e32 v8, 28, v7
	v_and_b32_e32 v4, 15, v4
	v_lshlrev_b32_sdwa v8, v8, v9 dst_sel:DWORD dst_unused:UNUSED_PAD src0_sel:DWORD src1_sel:BYTE_3
	v_bfe_u32 v6, v9, 27, 4
	v_sub_u32_e32 v7, 29, v7
	v_and_b32_e32 v8, 7, v8
	v_cmp_eq_u16_e32 vcc, 0, v4
	v_cndmask_b32_e32 v2, v2, v8, vcc
	v_cndmask_b32_e32 v4, v6, v7, vcc
	v_mov_b32_e32 v6, 0x3b800000
	v_and_b32_e32 v3, 0x80000000, v9
	v_lshlrev_b32_e32 v2, 20, v2
	v_lshl_add_u32 v4, v4, 23, v6
	v_or3_b32 v2, v3, v4, v2
.LBB2_764:
	s_or_b64 exec, exec, s[6:7]
	s_movk_i32 s4, 0x7f
	v_cmp_gt_i16_sdwa s[6:7], v5, s4 src0_sel:BYTE_3 src1_sel:DWORD
	s_mov_b64 s[4:5], 0
                                        ; implicit-def: $sgpr10
	s_and_saveexec_b64 s[8:9], s[6:7]
	s_xor_b64 s[6:7], exec, s[8:9]
	s_cbranch_execz .LBB2_765
; %bb.36605:
	s_getpc_b64 s[14:15]
.Lpost_getpc21886:
	s_add_u32 s14, s14, (.LBB2_15101-.Lpost_getpc21886)&4294967295
	s_addc_u32 s15, s15, (.LBB2_15101-.Lpost_getpc21886)>>32
	s_setpc_b64 s[14:15]
.LBB2_765:
	s_or_saveexec_b64 s[6:7], s[6:7]
	v_mov_b32_e32 v3, s10
	s_xor_b64 exec, exec, s[6:7]
	s_cbranch_execz .LBB2_766
; %bb.36607:
	s_getpc_b64 s[14:15]
.Lpost_getpc21887:
	s_add_u32 s14, s14, (.LBB2_15104-.Lpost_getpc21887)&4294967295
	s_addc_u32 s15, s15, (.LBB2_15104-.Lpost_getpc21887)>>32
	s_setpc_b64 s[14:15]
.LBB2_766:
	s_or_b64 exec, exec, s[6:7]
	s_and_saveexec_b64 s[6:7], s[4:5]
	s_cbranch_execz .LBB2_768
.LBB2_767:
	v_bfe_u32 v3, v5, 24, 3
	v_ffbh_u32_e32 v8, v3
	v_min_u32_e32 v8, 32, v8
	v_lshrrev_b32_e32 v6, 27, v5
	v_subrev_u32_e32 v9, 28, v8
	v_and_b32_e32 v4, 0x80000000, v5
	v_and_b32_e32 v6, 15, v6
	v_bfe_u32 v7, v5, 27, 4
	v_lshlrev_b32_sdwa v5, v9, v5 dst_sel:DWORD dst_unused:UNUSED_PAD src0_sel:DWORD src1_sel:BYTE_3
	v_sub_u32_e32 v8, 29, v8
	v_and_b32_e32 v5, 7, v5
	v_cmp_eq_u16_e32 vcc, 0, v6
	v_cndmask_b32_e32 v3, v3, v5, vcc
	v_cndmask_b32_e32 v5, v7, v8, vcc
	v_mov_b32_e32 v6, 0x3b800000
	v_lshlrev_b32_e32 v3, 20, v3
	v_lshl_add_u32 v5, v5, 23, v6
	v_or3_b32 v3, v4, v5, v3
.LBB2_768:
	s_or_b64 exec, exec, s[6:7]
	s_nop 0
	v_mfma_f32_16x16x4f32 a[0:3], v2, v3, a[0:3]
	s_movk_i32 s4, 0x7f
                                        ; implicit-def: $sgpr10
	s_nop 7
	s_nop 1
	flat_store_dwordx4 v[10:11], a[0:3] offset:80
	flat_load_dwordx4 v[12:15], v[0:1]
	s_nop 0
	flat_load_dwordx2 v[10:11], v[0:1] offset:16
	s_waitcnt vmcnt(0) lgkmcnt(0)
	flat_load_dwordx4 v[6:9], v[12:13]
	flat_load_dwordx4 v[2:5], v[14:15] offset:96
	s_waitcnt vmcnt(0) lgkmcnt(0)
	v_cmp_gt_i16_sdwa s[6:7], v6, s4 src0_sel:BYTE_0 src1_sel:DWORD
	s_mov_b64 s[4:5], 0
	s_and_saveexec_b64 s[8:9], s[6:7]
	s_xor_b64 s[6:7], exec, s[8:9]
	s_cbranch_execz .LBB2_769
; %bb.36609:
	s_getpc_b64 s[14:15]
.Lpost_getpc21888:
	s_add_u32 s14, s14, (.LBB2_15105-.Lpost_getpc21888)&4294967295
	s_addc_u32 s15, s15, (.LBB2_15105-.Lpost_getpc21888)>>32
	s_setpc_b64 s[14:15]
.LBB2_769:
	s_or_saveexec_b64 s[6:7], s[6:7]
	v_mov_b32_e32 v12, s10
	s_xor_b64 exec, exec, s[6:7]
	s_cbranch_execz .LBB2_770
; %bb.36611:
	s_getpc_b64 s[14:15]
.Lpost_getpc21889:
	s_add_u32 s14, s14, (.LBB2_15108-.Lpost_getpc21889)&4294967295
	s_addc_u32 s15, s15, (.LBB2_15108-.Lpost_getpc21889)>>32
	s_setpc_b64 s[14:15]
.LBB2_770:
	s_or_b64 exec, exec, s[6:7]
	s_and_saveexec_b64 s[6:7], s[4:5]
	s_cbranch_execz .LBB2_772
.LBB2_771:
	v_and_b32_e32 v12, 7, v6
	v_ffbh_u32_e32 v14, v12
	v_min_u32_e32 v14, 32, v14
	v_lshrrev_b16_e32 v13, 3, v6
	v_subrev_u32_e32 v15, 28, v14
	v_and_b32_e32 v13, 15, v13
	v_lshlrev_b32_e32 v15, v15, v6
	v_sub_u32_e32 v14, 29, v14
	v_and_b32_e32 v15, 7, v15
	v_cmp_eq_u16_e32 vcc, 0, v13
	v_cndmask_b32_e32 v12, v12, v15, vcc
	v_cndmask_b32_e32 v13, v13, v14, vcc
	v_lshlrev_b32_e32 v14, 24, v6
	v_mov_b32_e32 v15, 0x3b800000
	v_lshlrev_b32_e32 v12, 20, v12
	v_and_b32_e32 v14, 0x80000000, v14
	v_lshl_add_u32 v13, v13, 23, v15
	v_or3_b32 v12, v14, v13, v12
.LBB2_772:
	s_or_b64 exec, exec, s[6:7]
	s_movk_i32 s4, 0x7f
	v_cmp_gt_i16_sdwa s[6:7], v2, s4 src0_sel:BYTE_0 src1_sel:DWORD
	s_mov_b64 s[4:5], 0
                                        ; implicit-def: $sgpr10
	s_and_saveexec_b64 s[8:9], s[6:7]
	s_xor_b64 s[6:7], exec, s[8:9]
	s_cbranch_execz .LBB2_773
; %bb.36613:
	s_getpc_b64 s[14:15]
.Lpost_getpc21890:
	s_add_u32 s14, s14, (.LBB2_15109-.Lpost_getpc21890)&4294967295
	s_addc_u32 s15, s15, (.LBB2_15109-.Lpost_getpc21890)>>32
	s_setpc_b64 s[14:15]
.LBB2_773:
	s_or_saveexec_b64 s[6:7], s[6:7]
	v_mov_b32_e32 v13, s10
	s_xor_b64 exec, exec, s[6:7]
	s_cbranch_execz .LBB2_774
; %bb.36615:
	s_getpc_b64 s[14:15]
.Lpost_getpc21891:
	s_add_u32 s14, s14, (.LBB2_15112-.Lpost_getpc21891)&4294967295
	s_addc_u32 s15, s15, (.LBB2_15112-.Lpost_getpc21891)>>32
	s_setpc_b64 s[14:15]
.LBB2_774:
	s_or_b64 exec, exec, s[6:7]
	s_and_saveexec_b64 s[6:7], s[4:5]
	s_cbranch_execz .LBB2_776
.LBB2_775:
	v_and_b32_e32 v13, 7, v2
	v_ffbh_u32_e32 v15, v13
	v_min_u32_e32 v15, 32, v15
	v_lshrrev_b16_e32 v14, 3, v2
	v_subrev_u32_e32 v16, 28, v15
	v_and_b32_e32 v14, 15, v14
	v_lshlrev_b32_e32 v16, v16, v2
	v_sub_u32_e32 v15, 29, v15
	v_and_b32_e32 v16, 7, v16
	v_cmp_eq_u16_e32 vcc, 0, v14
	v_cndmask_b32_e32 v13, v13, v16, vcc
	v_cndmask_b32_e32 v14, v14, v15, vcc
	v_lshlrev_b32_e32 v15, 24, v2
	v_mov_b32_e32 v16, 0x3b800000
	v_lshlrev_b32_e32 v13, 20, v13
	v_and_b32_e32 v15, 0x80000000, v15
	v_lshl_add_u32 v14, v14, 23, v16
	v_or3_b32 v13, v15, v14, v13
.LBB2_776:
	s_or_b64 exec, exec, s[6:7]
	flat_load_dwordx4 a[0:3], v[10:11] offset:96
	s_movk_i32 s4, 0x7f
                                        ; implicit-def: $sgpr10
	s_waitcnt vmcnt(0) lgkmcnt(0)
	v_mfma_f32_16x16x4f32 a[0:3], v12, v13, a[0:3]
	v_lshrrev_b32_e32 v13, 8, v6
	v_cmp_gt_i16_sdwa s[6:7], v13, s4 src0_sel:BYTE_0 src1_sel:DWORD
	s_mov_b64 s[4:5], 0
	s_and_saveexec_b64 s[8:9], s[6:7]
	s_xor_b64 s[6:7], exec, s[8:9]
	s_cbranch_execz .LBB2_777
; %bb.36617:
	s_getpc_b64 s[14:15]
.Lpost_getpc21892:
	s_add_u32 s14, s14, (.LBB2_15113-.Lpost_getpc21892)&4294967295
	s_addc_u32 s15, s15, (.LBB2_15113-.Lpost_getpc21892)>>32
	s_setpc_b64 s[14:15]
.LBB2_777:
	s_or_saveexec_b64 s[6:7], s[6:7]
	v_mov_b32_e32 v12, s10
	s_xor_b64 exec, exec, s[6:7]
	s_cbranch_execz .LBB2_778
; %bb.36619:
	s_getpc_b64 s[14:15]
.Lpost_getpc21893:
	s_add_u32 s14, s14, (.LBB2_15116-.Lpost_getpc21893)&4294967295
	s_addc_u32 s15, s15, (.LBB2_15116-.Lpost_getpc21893)>>32
	s_setpc_b64 s[14:15]
.LBB2_778:
	s_or_b64 exec, exec, s[6:7]
	s_and_saveexec_b64 s[6:7], s[4:5]
	s_cbranch_execz .LBB2_780
.LBB2_779:
	v_bfe_u32 v12, v6, 8, 3
	v_ffbh_u32_e32 v15, v12
	v_min_u32_e32 v15, 32, v15
	v_lshrrev_b16_e32 v14, 3, v13
	v_subrev_u32_e32 v16, 28, v15
	v_and_b32_e32 v14, 15, v14
	v_lshlrev_b32_e32 v13, v16, v13
	v_sub_u32_e32 v15, 29, v15
	v_and_b32_e32 v13, 7, v13
	v_cmp_eq_u16_e32 vcc, 0, v14
	v_cndmask_b32_e32 v12, v12, v13, vcc
	v_cndmask_b32_e32 v13, v14, v15, vcc
	v_lshlrev_b32_e32 v14, 16, v6
	v_mov_b32_e32 v15, 0x3b800000
	v_lshlrev_b32_e32 v12, 20, v12
	v_and_b32_e32 v14, 0x80000000, v14
	v_lshl_add_u32 v13, v13, 23, v15
	v_or3_b32 v12, v14, v13, v12
.LBB2_780:
	s_or_b64 exec, exec, s[6:7]
	v_lshrrev_b32_e32 v13, 8, v2
	s_movk_i32 s4, 0x7f
	v_cmp_gt_i16_sdwa s[6:7], v13, s4 src0_sel:BYTE_0 src1_sel:DWORD
	s_mov_b64 s[4:5], 0
                                        ; implicit-def: $sgpr10
	s_and_saveexec_b64 s[8:9], s[6:7]
	s_xor_b64 s[6:7], exec, s[8:9]
	s_cbranch_execz .LBB2_781
; %bb.36621:
	s_getpc_b64 s[14:15]
.Lpost_getpc21894:
	s_add_u32 s14, s14, (.LBB2_15117-.Lpost_getpc21894)&4294967295
	s_addc_u32 s15, s15, (.LBB2_15117-.Lpost_getpc21894)>>32
	s_setpc_b64 s[14:15]
.LBB2_781:
	s_or_saveexec_b64 s[6:7], s[6:7]
	v_mov_b32_e32 v14, s10
	s_xor_b64 exec, exec, s[6:7]
	s_cbranch_execz .LBB2_782
; %bb.36623:
	s_getpc_b64 s[14:15]
.Lpost_getpc21895:
	s_add_u32 s14, s14, (.LBB2_15120-.Lpost_getpc21895)&4294967295
	s_addc_u32 s15, s15, (.LBB2_15120-.Lpost_getpc21895)>>32
	s_setpc_b64 s[14:15]
.LBB2_782:
	s_or_b64 exec, exec, s[6:7]
	s_and_saveexec_b64 s[6:7], s[4:5]
	s_cbranch_execz .LBB2_784
.LBB2_783:
	v_bfe_u32 v14, v2, 8, 3
	v_ffbh_u32_e32 v16, v14
	v_min_u32_e32 v16, 32, v16
	v_lshrrev_b16_e32 v15, 3, v13
	v_subrev_u32_e32 v17, 28, v16
	v_and_b32_e32 v15, 15, v15
	v_lshlrev_b32_e32 v13, v17, v13
	v_sub_u32_e32 v16, 29, v16
	v_and_b32_e32 v13, 7, v13
	v_cmp_eq_u16_e32 vcc, 0, v15
	v_cndmask_b32_e32 v13, v14, v13, vcc
	v_cndmask_b32_e32 v14, v15, v16, vcc
	v_lshlrev_b32_e32 v15, 16, v2
	v_mov_b32_e32 v16, 0x3b800000
	v_lshlrev_b32_e32 v13, 20, v13
	v_and_b32_e32 v15, 0x80000000, v15
	v_lshl_add_u32 v14, v14, 23, v16
	v_or3_b32 v14, v15, v14, v13
.LBB2_784:
	s_or_b64 exec, exec, s[6:7]
	s_nop 0
	v_mfma_f32_16x16x4f32 a[0:3], v12, v14, a[0:3]
	s_movk_i32 s4, 0xff
	v_and_b32_sdwa v13, v6, s4 dst_sel:DWORD dst_unused:UNUSED_PAD src0_sel:WORD_1 src1_sel:DWORD
	s_movk_i32 s4, 0x7f
	v_cmp_lt_i16_e32 vcc, s4, v13
	s_mov_b64 s[4:5], 0
                                        ; implicit-def: $sgpr10
	s_and_saveexec_b64 s[6:7], vcc
	s_xor_b64 s[6:7], exec, s[6:7]
	s_cbranch_execz .LBB2_785
; %bb.36625:
	s_getpc_b64 s[14:15]
.Lpost_getpc21896:
	s_add_u32 s14, s14, (.LBB2_15121-.Lpost_getpc21896)&4294967295
	s_addc_u32 s15, s15, (.LBB2_15121-.Lpost_getpc21896)>>32
	s_setpc_b64 s[14:15]
.LBB2_785:
	s_or_saveexec_b64 s[6:7], s[6:7]
	v_mov_b32_e32 v12, s10
	s_xor_b64 exec, exec, s[6:7]
	s_cbranch_execz .LBB2_786
; %bb.36627:
	s_getpc_b64 s[14:15]
.Lpost_getpc21897:
	s_add_u32 s14, s14, (.LBB2_15124-.Lpost_getpc21897)&4294967295
	s_addc_u32 s15, s15, (.LBB2_15124-.Lpost_getpc21897)>>32
	s_setpc_b64 s[14:15]
.LBB2_786:
	s_or_b64 exec, exec, s[6:7]
	s_and_saveexec_b64 s[6:7], s[4:5]
	s_cbranch_execz .LBB2_788
.LBB2_787:
	v_bfe_u32 v12, v6, 16, 3
	v_ffbh_u32_e32 v15, v12
	v_min_u32_e32 v15, 32, v15
	v_lshrrev_b32_e32 v13, 19, v6
	v_subrev_u32_e32 v16, 28, v15
	v_and_b32_e32 v13, 15, v13
	v_lshlrev_b32_sdwa v16, v16, v6 dst_sel:DWORD dst_unused:UNUSED_PAD src0_sel:DWORD src1_sel:WORD_1
	v_bfe_u32 v14, v6, 19, 4
	v_sub_u32_e32 v15, 29, v15
	v_and_b32_e32 v16, 7, v16
	v_cmp_eq_u16_e32 vcc, 0, v13
	v_cndmask_b32_e32 v12, v12, v16, vcc
	v_cndmask_b32_e32 v13, v14, v15, vcc
	v_lshlrev_b32_e32 v14, 8, v6
	v_mov_b32_e32 v15, 0x3b800000
	v_lshlrev_b32_e32 v12, 20, v12
	v_and_b32_e32 v14, 0x80000000, v14
	v_lshl_add_u32 v13, v13, 23, v15
	v_or3_b32 v12, v14, v13, v12
.LBB2_788:
	s_or_b64 exec, exec, s[6:7]
	s_movk_i32 s4, 0xff
	v_and_b32_sdwa v13, v2, s4 dst_sel:DWORD dst_unused:UNUSED_PAD src0_sel:WORD_1 src1_sel:DWORD
	s_movk_i32 s4, 0x7f
	v_cmp_lt_i16_e32 vcc, s4, v13
	s_mov_b64 s[4:5], 0
                                        ; implicit-def: $sgpr10
	s_and_saveexec_b64 s[6:7], vcc
	s_xor_b64 s[6:7], exec, s[6:7]
	s_cbranch_execz .LBB2_789
; %bb.36629:
	s_getpc_b64 s[14:15]
.Lpost_getpc21898:
	s_add_u32 s14, s14, (.LBB2_15125-.Lpost_getpc21898)&4294967295
	s_addc_u32 s15, s15, (.LBB2_15125-.Lpost_getpc21898)>>32
	s_setpc_b64 s[14:15]
.LBB2_789:
	s_or_saveexec_b64 s[6:7], s[6:7]
	v_mov_b32_e32 v14, s10
	s_xor_b64 exec, exec, s[6:7]
	s_cbranch_execz .LBB2_790
; %bb.36631:
	s_getpc_b64 s[14:15]
.Lpost_getpc21899:
	s_add_u32 s14, s14, (.LBB2_15128-.Lpost_getpc21899)&4294967295
	s_addc_u32 s15, s15, (.LBB2_15128-.Lpost_getpc21899)>>32
	s_setpc_b64 s[14:15]
.LBB2_790:
	s_or_b64 exec, exec, s[6:7]
	s_and_saveexec_b64 s[6:7], s[4:5]
	s_cbranch_execz .LBB2_792
.LBB2_791:
	v_bfe_u32 v13, v2, 16, 3
	v_ffbh_u32_e32 v16, v13
	v_min_u32_e32 v16, 32, v16
	v_lshrrev_b32_e32 v14, 19, v2
	v_subrev_u32_e32 v17, 28, v16
	v_and_b32_e32 v14, 15, v14
	v_lshlrev_b32_sdwa v17, v17, v2 dst_sel:DWORD dst_unused:UNUSED_PAD src0_sel:DWORD src1_sel:WORD_1
	v_bfe_u32 v15, v2, 19, 4
	v_sub_u32_e32 v16, 29, v16
	v_and_b32_e32 v17, 7, v17
	v_cmp_eq_u16_e32 vcc, 0, v14
	v_cndmask_b32_e32 v13, v13, v17, vcc
	v_cndmask_b32_e32 v14, v15, v16, vcc
	v_lshlrev_b32_e32 v15, 8, v2
	v_mov_b32_e32 v16, 0x3b800000
	v_lshlrev_b32_e32 v13, 20, v13
	v_and_b32_e32 v15, 0x80000000, v15
	v_lshl_add_u32 v14, v14, 23, v16
	v_or3_b32 v14, v15, v14, v13
.LBB2_792:
	s_or_b64 exec, exec, s[6:7]
	s_nop 0
	v_mfma_f32_16x16x4f32 a[0:3], v12, v14, a[0:3]
	s_movk_i32 s4, 0x7f
	v_cmp_gt_i16_sdwa s[6:7], v6, s4 src0_sel:BYTE_3 src1_sel:DWORD
	s_mov_b64 s[4:5], 0
                                        ; implicit-def: $sgpr10
	s_and_saveexec_b64 s[8:9], s[6:7]
	s_xor_b64 s[6:7], exec, s[8:9]
	s_cbranch_execz .LBB2_793
; %bb.36633:
	s_getpc_b64 s[14:15]
.Lpost_getpc21900:
	s_add_u32 s14, s14, (.LBB2_15129-.Lpost_getpc21900)&4294967295
	s_addc_u32 s15, s15, (.LBB2_15129-.Lpost_getpc21900)>>32
	s_setpc_b64 s[14:15]
.LBB2_793:
	s_or_saveexec_b64 s[6:7], s[6:7]
	v_mov_b32_e32 v12, s10
	s_xor_b64 exec, exec, s[6:7]
	s_cbranch_execz .LBB2_794
; %bb.36635:
	s_getpc_b64 s[14:15]
.Lpost_getpc21901:
	s_add_u32 s14, s14, (.LBB2_15132-.Lpost_getpc21901)&4294967295
	s_addc_u32 s15, s15, (.LBB2_15132-.Lpost_getpc21901)>>32
	s_setpc_b64 s[14:15]
.LBB2_794:
	s_or_b64 exec, exec, s[6:7]
	s_and_saveexec_b64 s[6:7], s[4:5]
	s_cbranch_execz .LBB2_796
.LBB2_795:
	v_bfe_u32 v12, v6, 24, 3
	v_ffbh_u32_e32 v16, v12
	v_min_u32_e32 v16, 32, v16
	v_lshrrev_b32_e32 v14, 27, v6
	v_subrev_u32_e32 v17, 28, v16
	v_and_b32_e32 v13, 0x80000000, v6
	v_and_b32_e32 v14, 15, v14
	v_bfe_u32 v15, v6, 27, 4
	v_lshlrev_b32_sdwa v6, v17, v6 dst_sel:DWORD dst_unused:UNUSED_PAD src0_sel:DWORD src1_sel:BYTE_3
	v_sub_u32_e32 v16, 29, v16
	v_and_b32_e32 v6, 7, v6
	v_cmp_eq_u16_e32 vcc, 0, v14
	v_cndmask_b32_e32 v6, v12, v6, vcc
	v_cndmask_b32_e32 v12, v15, v16, vcc
	v_mov_b32_e32 v14, 0x3b800000
	v_lshlrev_b32_e32 v6, 20, v6
	v_lshl_add_u32 v12, v12, 23, v14
	v_or3_b32 v12, v13, v12, v6
.LBB2_796:
	s_or_b64 exec, exec, s[6:7]
	s_movk_i32 s4, 0x7f
	v_cmp_gt_i16_sdwa s[6:7], v2, s4 src0_sel:BYTE_3 src1_sel:DWORD
	s_mov_b64 s[4:5], 0
                                        ; implicit-def: $sgpr10
	s_and_saveexec_b64 s[8:9], s[6:7]
	s_xor_b64 s[6:7], exec, s[8:9]
	s_cbranch_execz .LBB2_797
; %bb.36637:
	s_getpc_b64 s[14:15]
.Lpost_getpc21902:
	s_add_u32 s14, s14, (.LBB2_15133-.Lpost_getpc21902)&4294967295
	s_addc_u32 s15, s15, (.LBB2_15133-.Lpost_getpc21902)>>32
	s_setpc_b64 s[14:15]
.LBB2_797:
	s_or_saveexec_b64 s[6:7], s[6:7]
	v_mov_b32_e32 v6, s10
	s_xor_b64 exec, exec, s[6:7]
	s_cbranch_execz .LBB2_798
; %bb.36639:
	s_getpc_b64 s[14:15]
.Lpost_getpc21903:
	s_add_u32 s14, s14, (.LBB2_15136-.Lpost_getpc21903)&4294967295
	s_addc_u32 s15, s15, (.LBB2_15136-.Lpost_getpc21903)>>32
	s_setpc_b64 s[14:15]
.LBB2_798:
	s_or_b64 exec, exec, s[6:7]
	s_and_saveexec_b64 s[6:7], s[4:5]
	s_cbranch_execz .LBB2_800
.LBB2_799:
	v_bfe_u32 v6, v2, 24, 3
	v_ffbh_u32_e32 v16, v6
	v_min_u32_e32 v16, 32, v16
	v_lshrrev_b32_e32 v14, 27, v2
	v_subrev_u32_e32 v17, 28, v16
	v_and_b32_e32 v13, 0x80000000, v2
	v_and_b32_e32 v14, 15, v14
	v_bfe_u32 v15, v2, 27, 4
	v_lshlrev_b32_sdwa v2, v17, v2 dst_sel:DWORD dst_unused:UNUSED_PAD src0_sel:DWORD src1_sel:BYTE_3
	v_sub_u32_e32 v16, 29, v16
	v_and_b32_e32 v2, 7, v2
	v_cmp_eq_u16_e32 vcc, 0, v14
	v_cndmask_b32_e32 v2, v6, v2, vcc
	v_cndmask_b32_e32 v6, v15, v16, vcc
	v_mov_b32_e32 v14, 0x3b800000
	v_lshlrev_b32_e32 v2, 20, v2
	v_lshl_add_u32 v6, v6, 23, v14
	v_or3_b32 v6, v13, v6, v2
.LBB2_800:
	s_or_b64 exec, exec, s[6:7]
	s_nop 0
	v_mfma_f32_16x16x4f32 a[0:3], v12, v6, a[0:3]
	s_movk_i32 s4, 0x7f
	v_cmp_gt_i16_sdwa s[6:7], v7, s4 src0_sel:BYTE_0 src1_sel:DWORD
	s_mov_b64 s[4:5], 0
                                        ; implicit-def: $sgpr10
	s_and_saveexec_b64 s[8:9], s[6:7]
	s_xor_b64 s[6:7], exec, s[8:9]
	s_cbranch_execz .LBB2_801
; %bb.36641:
	s_getpc_b64 s[14:15]
.Lpost_getpc21904:
	s_add_u32 s14, s14, (.LBB2_15137-.Lpost_getpc21904)&4294967295
	s_addc_u32 s15, s15, (.LBB2_15137-.Lpost_getpc21904)>>32
	s_setpc_b64 s[14:15]
.LBB2_801:
	s_or_saveexec_b64 s[6:7], s[6:7]
	v_mov_b32_e32 v2, s10
	s_xor_b64 exec, exec, s[6:7]
	s_cbranch_execz .LBB2_802
; %bb.36643:
	s_getpc_b64 s[14:15]
.Lpost_getpc21905:
	s_add_u32 s14, s14, (.LBB2_15140-.Lpost_getpc21905)&4294967295
	s_addc_u32 s15, s15, (.LBB2_15140-.Lpost_getpc21905)>>32
	s_setpc_b64 s[14:15]
.LBB2_802:
	s_or_b64 exec, exec, s[6:7]
	s_and_saveexec_b64 s[6:7], s[4:5]
	s_cbranch_execz .LBB2_804
.LBB2_803:
	v_and_b32_e32 v2, 7, v7
	v_ffbh_u32_e32 v12, v2
	v_min_u32_e32 v12, 32, v12
	v_lshrrev_b16_e32 v6, 3, v7
	v_subrev_u32_e32 v13, 28, v12
	v_and_b32_e32 v6, 15, v6
	v_lshlrev_b32_e32 v13, v13, v7
	v_sub_u32_e32 v12, 29, v12
	v_and_b32_e32 v13, 7, v13
	v_cmp_eq_u16_e32 vcc, 0, v6
	v_cndmask_b32_e32 v2, v2, v13, vcc
	v_cndmask_b32_e32 v6, v6, v12, vcc
	v_lshlrev_b32_e32 v12, 24, v7
	v_mov_b32_e32 v13, 0x3b800000
	v_lshlrev_b32_e32 v2, 20, v2
	v_and_b32_e32 v12, 0x80000000, v12
	v_lshl_add_u32 v6, v6, 23, v13
	v_or3_b32 v2, v12, v6, v2
.LBB2_804:
	s_or_b64 exec, exec, s[6:7]
	s_movk_i32 s4, 0x7f
	v_cmp_gt_i16_sdwa s[6:7], v3, s4 src0_sel:BYTE_0 src1_sel:DWORD
	s_mov_b64 s[4:5], 0
                                        ; implicit-def: $sgpr10
	s_and_saveexec_b64 s[8:9], s[6:7]
	s_xor_b64 s[6:7], exec, s[8:9]
	s_cbranch_execz .LBB2_805
; %bb.36645:
	s_getpc_b64 s[14:15]
.Lpost_getpc21906:
	s_add_u32 s14, s14, (.LBB2_15141-.Lpost_getpc21906)&4294967295
	s_addc_u32 s15, s15, (.LBB2_15141-.Lpost_getpc21906)>>32
	s_setpc_b64 s[14:15]
.LBB2_805:
	s_or_saveexec_b64 s[6:7], s[6:7]
	v_mov_b32_e32 v6, s10
	s_xor_b64 exec, exec, s[6:7]
	s_cbranch_execz .LBB2_806
; %bb.36647:
	s_getpc_b64 s[14:15]
.Lpost_getpc21907:
	s_add_u32 s14, s14, (.LBB2_15144-.Lpost_getpc21907)&4294967295
	s_addc_u32 s15, s15, (.LBB2_15144-.Lpost_getpc21907)>>32
	s_setpc_b64 s[14:15]
.LBB2_806:
	s_or_b64 exec, exec, s[6:7]
	s_and_saveexec_b64 s[6:7], s[4:5]
	s_cbranch_execz .LBB2_808
.LBB2_807:
	v_and_b32_e32 v6, 7, v3
	v_ffbh_u32_e32 v13, v6
	v_min_u32_e32 v13, 32, v13
	v_lshrrev_b16_e32 v12, 3, v3
	v_subrev_u32_e32 v14, 28, v13
	v_and_b32_e32 v12, 15, v12
	v_lshlrev_b32_e32 v14, v14, v3
	v_sub_u32_e32 v13, 29, v13
	v_and_b32_e32 v14, 7, v14
	v_cmp_eq_u16_e32 vcc, 0, v12
	v_cndmask_b32_e32 v6, v6, v14, vcc
	v_cndmask_b32_e32 v12, v12, v13, vcc
	v_lshlrev_b32_e32 v13, 24, v3
	v_mov_b32_e32 v14, 0x3b800000
	v_lshlrev_b32_e32 v6, 20, v6
	v_and_b32_e32 v13, 0x80000000, v13
	v_lshl_add_u32 v12, v12, 23, v14
	v_or3_b32 v6, v13, v12, v6
.LBB2_808:
	s_or_b64 exec, exec, s[6:7]
	s_nop 0
	v_mfma_f32_16x16x4f32 a[0:3], v2, v6, a[0:3]
	v_lshrrev_b32_e32 v6, 8, v7
	s_movk_i32 s4, 0x7f
	v_cmp_gt_i16_sdwa s[6:7], v6, s4 src0_sel:BYTE_0 src1_sel:DWORD
	s_mov_b64 s[4:5], 0
                                        ; implicit-def: $sgpr10
	s_and_saveexec_b64 s[8:9], s[6:7]
	s_xor_b64 s[6:7], exec, s[8:9]
	s_cbranch_execz .LBB2_809
; %bb.36649:
	s_getpc_b64 s[14:15]
.Lpost_getpc21908:
	s_add_u32 s14, s14, (.LBB2_15145-.Lpost_getpc21908)&4294967295
	s_addc_u32 s15, s15, (.LBB2_15145-.Lpost_getpc21908)>>32
	s_setpc_b64 s[14:15]
.LBB2_809:
	s_or_saveexec_b64 s[6:7], s[6:7]
	v_mov_b32_e32 v2, s10
	s_xor_b64 exec, exec, s[6:7]
	s_cbranch_execz .LBB2_810
; %bb.36651:
	s_getpc_b64 s[14:15]
.Lpost_getpc21909:
	s_add_u32 s14, s14, (.LBB2_15148-.Lpost_getpc21909)&4294967295
	s_addc_u32 s15, s15, (.LBB2_15148-.Lpost_getpc21909)>>32
	s_setpc_b64 s[14:15]
.LBB2_810:
	s_or_b64 exec, exec, s[6:7]
	s_and_saveexec_b64 s[6:7], s[4:5]
	s_cbranch_execz .LBB2_812
.LBB2_811:
	v_bfe_u32 v2, v7, 8, 3
	v_ffbh_u32_e32 v13, v2
	v_min_u32_e32 v13, 32, v13
	v_lshrrev_b16_e32 v12, 3, v6
	v_subrev_u32_e32 v14, 28, v13
	v_and_b32_e32 v12, 15, v12
	v_lshlrev_b32_e32 v6, v14, v6
	v_sub_u32_e32 v13, 29, v13
	v_and_b32_e32 v6, 7, v6
	v_cmp_eq_u16_e32 vcc, 0, v12
	v_cndmask_b32_e32 v2, v2, v6, vcc
	v_cndmask_b32_e32 v6, v12, v13, vcc
	v_lshlrev_b32_e32 v12, 16, v7
	v_mov_b32_e32 v13, 0x3b800000
	v_lshlrev_b32_e32 v2, 20, v2
	v_and_b32_e32 v12, 0x80000000, v12
	v_lshl_add_u32 v6, v6, 23, v13
	v_or3_b32 v2, v12, v6, v2
.LBB2_812:
	s_or_b64 exec, exec, s[6:7]
	v_lshrrev_b32_e32 v6, 8, v3
	s_movk_i32 s4, 0x7f
	v_cmp_gt_i16_sdwa s[6:7], v6, s4 src0_sel:BYTE_0 src1_sel:DWORD
	s_mov_b64 s[4:5], 0
                                        ; implicit-def: $sgpr10
	s_and_saveexec_b64 s[8:9], s[6:7]
	s_xor_b64 s[6:7], exec, s[8:9]
	s_cbranch_execz .LBB2_813
; %bb.36653:
	s_getpc_b64 s[14:15]
.Lpost_getpc21910:
	s_add_u32 s14, s14, (.LBB2_15149-.Lpost_getpc21910)&4294967295
	s_addc_u32 s15, s15, (.LBB2_15149-.Lpost_getpc21910)>>32
	s_setpc_b64 s[14:15]
.LBB2_813:
	s_or_saveexec_b64 s[6:7], s[6:7]
	v_mov_b32_e32 v12, s10
	s_xor_b64 exec, exec, s[6:7]
	s_cbranch_execz .LBB2_814
; %bb.36655:
	s_getpc_b64 s[14:15]
.Lpost_getpc21911:
	s_add_u32 s14, s14, (.LBB2_15152-.Lpost_getpc21911)&4294967295
	s_addc_u32 s15, s15, (.LBB2_15152-.Lpost_getpc21911)>>32
	s_setpc_b64 s[14:15]
.LBB2_814:
	s_or_b64 exec, exec, s[6:7]
	s_and_saveexec_b64 s[6:7], s[4:5]
	s_cbranch_execz .LBB2_816
.LBB2_815:
	v_bfe_u32 v12, v3, 8, 3
	v_ffbh_u32_e32 v14, v12
	v_min_u32_e32 v14, 32, v14
	v_lshrrev_b16_e32 v13, 3, v6
	v_subrev_u32_e32 v15, 28, v14
	v_and_b32_e32 v13, 15, v13
	v_lshlrev_b32_e32 v6, v15, v6
	v_sub_u32_e32 v14, 29, v14
	v_and_b32_e32 v6, 7, v6
	v_cmp_eq_u16_e32 vcc, 0, v13
	v_cndmask_b32_e32 v6, v12, v6, vcc
	v_cndmask_b32_e32 v12, v13, v14, vcc
	v_lshlrev_b32_e32 v13, 16, v3
	v_mov_b32_e32 v14, 0x3b800000
	v_lshlrev_b32_e32 v6, 20, v6
	v_and_b32_e32 v13, 0x80000000, v13
	v_lshl_add_u32 v12, v12, 23, v14
	v_or3_b32 v12, v13, v12, v6
.LBB2_816:
	s_or_b64 exec, exec, s[6:7]
	s_nop 0
	v_mfma_f32_16x16x4f32 a[0:3], v2, v12, a[0:3]
	s_movk_i32 s4, 0xff
	v_and_b32_sdwa v6, v7, s4 dst_sel:DWORD dst_unused:UNUSED_PAD src0_sel:WORD_1 src1_sel:DWORD
	s_movk_i32 s4, 0x7f
	v_cmp_lt_i16_e32 vcc, s4, v6
	s_mov_b64 s[4:5], 0
                                        ; implicit-def: $sgpr10
	s_and_saveexec_b64 s[6:7], vcc
	s_xor_b64 s[6:7], exec, s[6:7]
	s_cbranch_execz .LBB2_817
; %bb.36657:
	s_getpc_b64 s[14:15]
.Lpost_getpc21912:
	s_add_u32 s14, s14, (.LBB2_15153-.Lpost_getpc21912)&4294967295
	s_addc_u32 s15, s15, (.LBB2_15153-.Lpost_getpc21912)>>32
	s_setpc_b64 s[14:15]
.LBB2_817:
	s_or_saveexec_b64 s[6:7], s[6:7]
	v_mov_b32_e32 v2, s10
	s_xor_b64 exec, exec, s[6:7]
	s_cbranch_execz .LBB2_818
; %bb.36659:
	s_getpc_b64 s[14:15]
.Lpost_getpc21913:
	s_add_u32 s14, s14, (.LBB2_15156-.Lpost_getpc21913)&4294967295
	s_addc_u32 s15, s15, (.LBB2_15156-.Lpost_getpc21913)>>32
	s_setpc_b64 s[14:15]
.LBB2_818:
	s_or_b64 exec, exec, s[6:7]
	s_and_saveexec_b64 s[6:7], s[4:5]
	s_cbranch_execz .LBB2_820
.LBB2_819:
	v_bfe_u32 v2, v7, 16, 3
	v_ffbh_u32_e32 v13, v2
	v_min_u32_e32 v13, 32, v13
	v_lshrrev_b32_e32 v6, 19, v7
	v_subrev_u32_e32 v14, 28, v13
	v_and_b32_e32 v6, 15, v6
	v_lshlrev_b32_sdwa v14, v14, v7 dst_sel:DWORD dst_unused:UNUSED_PAD src0_sel:DWORD src1_sel:WORD_1
	v_bfe_u32 v12, v7, 19, 4
	v_sub_u32_e32 v13, 29, v13
	v_and_b32_e32 v14, 7, v14
	v_cmp_eq_u16_e32 vcc, 0, v6
	v_cndmask_b32_e32 v2, v2, v14, vcc
	v_cndmask_b32_e32 v6, v12, v13, vcc
	v_lshlrev_b32_e32 v12, 8, v7
	v_mov_b32_e32 v13, 0x3b800000
	v_lshlrev_b32_e32 v2, 20, v2
	v_and_b32_e32 v12, 0x80000000, v12
	v_lshl_add_u32 v6, v6, 23, v13
	v_or3_b32 v2, v12, v6, v2
.LBB2_820:
	s_or_b64 exec, exec, s[6:7]
	s_movk_i32 s4, 0xff
	v_and_b32_sdwa v6, v3, s4 dst_sel:DWORD dst_unused:UNUSED_PAD src0_sel:WORD_1 src1_sel:DWORD
	s_movk_i32 s4, 0x7f
	v_cmp_lt_i16_e32 vcc, s4, v6
	s_mov_b64 s[4:5], 0
                                        ; implicit-def: $sgpr10
	s_and_saveexec_b64 s[6:7], vcc
	s_xor_b64 s[6:7], exec, s[6:7]
	s_cbranch_execz .LBB2_821
; %bb.36661:
	s_getpc_b64 s[14:15]
.Lpost_getpc21914:
	s_add_u32 s14, s14, (.LBB2_15157-.Lpost_getpc21914)&4294967295
	s_addc_u32 s15, s15, (.LBB2_15157-.Lpost_getpc21914)>>32
	s_setpc_b64 s[14:15]
.LBB2_821:
	s_or_saveexec_b64 s[6:7], s[6:7]
	v_mov_b32_e32 v12, s10
	s_xor_b64 exec, exec, s[6:7]
	s_cbranch_execz .LBB2_822
; %bb.36663:
	s_getpc_b64 s[14:15]
.Lpost_getpc21915:
	s_add_u32 s14, s14, (.LBB2_15160-.Lpost_getpc21915)&4294967295
	s_addc_u32 s15, s15, (.LBB2_15160-.Lpost_getpc21915)>>32
	s_setpc_b64 s[14:15]
.LBB2_822:
	s_or_b64 exec, exec, s[6:7]
	s_and_saveexec_b64 s[6:7], s[4:5]
	s_cbranch_execz .LBB2_824
.LBB2_823:
	v_bfe_u32 v6, v3, 16, 3
	v_ffbh_u32_e32 v14, v6
	v_min_u32_e32 v14, 32, v14
	v_lshrrev_b32_e32 v12, 19, v3
	v_subrev_u32_e32 v15, 28, v14
	v_and_b32_e32 v12, 15, v12
	v_lshlrev_b32_sdwa v15, v15, v3 dst_sel:DWORD dst_unused:UNUSED_PAD src0_sel:DWORD src1_sel:WORD_1
	v_bfe_u32 v13, v3, 19, 4
	v_sub_u32_e32 v14, 29, v14
	v_and_b32_e32 v15, 7, v15
	v_cmp_eq_u16_e32 vcc, 0, v12
	v_cndmask_b32_e32 v6, v6, v15, vcc
	v_cndmask_b32_e32 v12, v13, v14, vcc
	v_lshlrev_b32_e32 v13, 8, v3
	v_mov_b32_e32 v14, 0x3b800000
	v_lshlrev_b32_e32 v6, 20, v6
	v_and_b32_e32 v13, 0x80000000, v13
	v_lshl_add_u32 v12, v12, 23, v14
	v_or3_b32 v12, v13, v12, v6
.LBB2_824:
	s_or_b64 exec, exec, s[6:7]
	s_nop 0
	v_mfma_f32_16x16x4f32 a[0:3], v2, v12, a[0:3]
	s_movk_i32 s4, 0x7f
	v_cmp_gt_i16_sdwa s[6:7], v7, s4 src0_sel:BYTE_3 src1_sel:DWORD
	s_mov_b64 s[4:5], 0
                                        ; implicit-def: $sgpr10
	s_and_saveexec_b64 s[8:9], s[6:7]
	s_xor_b64 s[6:7], exec, s[8:9]
	s_cbranch_execz .LBB2_825
; %bb.36665:
	s_getpc_b64 s[14:15]
.Lpost_getpc21916:
	s_add_u32 s14, s14, (.LBB2_15161-.Lpost_getpc21916)&4294967295
	s_addc_u32 s15, s15, (.LBB2_15161-.Lpost_getpc21916)>>32
	s_setpc_b64 s[14:15]
.LBB2_825:
	s_or_saveexec_b64 s[6:7], s[6:7]
	v_mov_b32_e32 v2, s10
	s_xor_b64 exec, exec, s[6:7]
	s_cbranch_execz .LBB2_826
; %bb.36667:
	s_getpc_b64 s[14:15]
.Lpost_getpc21917:
	s_add_u32 s14, s14, (.LBB2_15164-.Lpost_getpc21917)&4294967295
	s_addc_u32 s15, s15, (.LBB2_15164-.Lpost_getpc21917)>>32
	s_setpc_b64 s[14:15]
.LBB2_826:
	s_or_b64 exec, exec, s[6:7]
	s_and_saveexec_b64 s[6:7], s[4:5]
	s_cbranch_execz .LBB2_828
.LBB2_827:
	v_bfe_u32 v2, v7, 24, 3
	v_ffbh_u32_e32 v14, v2
	v_min_u32_e32 v14, 32, v14
	v_lshrrev_b32_e32 v12, 27, v7
	v_subrev_u32_e32 v15, 28, v14
	v_and_b32_e32 v6, 0x80000000, v7
	v_and_b32_e32 v12, 15, v12
	v_bfe_u32 v13, v7, 27, 4
	v_lshlrev_b32_sdwa v7, v15, v7 dst_sel:DWORD dst_unused:UNUSED_PAD src0_sel:DWORD src1_sel:BYTE_3
	v_sub_u32_e32 v14, 29, v14
	v_and_b32_e32 v7, 7, v7
	v_cmp_eq_u16_e32 vcc, 0, v12
	v_cndmask_b32_e32 v2, v2, v7, vcc
	v_cndmask_b32_e32 v7, v13, v14, vcc
	v_mov_b32_e32 v12, 0x3b800000
	v_lshlrev_b32_e32 v2, 20, v2
	v_lshl_add_u32 v7, v7, 23, v12
	v_or3_b32 v2, v6, v7, v2
.LBB2_828:
	s_or_b64 exec, exec, s[6:7]
	s_movk_i32 s4, 0x7f
	v_cmp_gt_i16_sdwa s[6:7], v3, s4 src0_sel:BYTE_3 src1_sel:DWORD
	s_mov_b64 s[4:5], 0
                                        ; implicit-def: $sgpr10
	s_and_saveexec_b64 s[8:9], s[6:7]
	s_xor_b64 s[6:7], exec, s[8:9]
	s_cbranch_execz .LBB2_829
; %bb.36669:
	s_getpc_b64 s[14:15]
.Lpost_getpc21918:
	s_add_u32 s14, s14, (.LBB2_15165-.Lpost_getpc21918)&4294967295
	s_addc_u32 s15, s15, (.LBB2_15165-.Lpost_getpc21918)>>32
	s_setpc_b64 s[14:15]
.LBB2_829:
	s_or_saveexec_b64 s[6:7], s[6:7]
	v_mov_b32_e32 v6, s10
	s_xor_b64 exec, exec, s[6:7]
	s_cbranch_execz .LBB2_830
; %bb.36671:
	s_getpc_b64 s[14:15]
.Lpost_getpc21919:
	s_add_u32 s14, s14, (.LBB2_15168-.Lpost_getpc21919)&4294967295
	s_addc_u32 s15, s15, (.LBB2_15168-.Lpost_getpc21919)>>32
	s_setpc_b64 s[14:15]
.LBB2_830:
	s_or_b64 exec, exec, s[6:7]
	s_and_saveexec_b64 s[6:7], s[4:5]
	s_cbranch_execz .LBB2_832
.LBB2_831:
	v_bfe_u32 v6, v3, 24, 3
	v_ffbh_u32_e32 v14, v6
	v_min_u32_e32 v14, 32, v14
	v_lshrrev_b32_e32 v12, 27, v3
	v_subrev_u32_e32 v15, 28, v14
	v_and_b32_e32 v7, 0x80000000, v3
	v_and_b32_e32 v12, 15, v12
	v_bfe_u32 v13, v3, 27, 4
	v_lshlrev_b32_sdwa v3, v15, v3 dst_sel:DWORD dst_unused:UNUSED_PAD src0_sel:DWORD src1_sel:BYTE_3
	v_sub_u32_e32 v14, 29, v14
	v_and_b32_e32 v3, 7, v3
	v_cmp_eq_u16_e32 vcc, 0, v12
	v_cndmask_b32_e32 v3, v6, v3, vcc
	v_cndmask_b32_e32 v6, v13, v14, vcc
	v_mov_b32_e32 v12, 0x3b800000
	v_lshlrev_b32_e32 v3, 20, v3
	v_lshl_add_u32 v6, v6, 23, v12
	v_or3_b32 v6, v7, v6, v3
.LBB2_832:
	s_or_b64 exec, exec, s[6:7]
	s_nop 0
	v_mfma_f32_16x16x4f32 a[0:3], v2, v6, a[0:3]
	s_movk_i32 s4, 0x7f
	v_cmp_gt_i16_sdwa s[6:7], v8, s4 src0_sel:BYTE_0 src1_sel:DWORD
	s_mov_b64 s[4:5], 0
                                        ; implicit-def: $sgpr10
	s_and_saveexec_b64 s[8:9], s[6:7]
	s_xor_b64 s[6:7], exec, s[8:9]
	s_cbranch_execz .LBB2_833
; %bb.36673:
	s_getpc_b64 s[14:15]
.Lpost_getpc21920:
	s_add_u32 s14, s14, (.LBB2_15169-.Lpost_getpc21920)&4294967295
	s_addc_u32 s15, s15, (.LBB2_15169-.Lpost_getpc21920)>>32
	s_setpc_b64 s[14:15]
.LBB2_833:
	s_or_saveexec_b64 s[6:7], s[6:7]
	v_mov_b32_e32 v2, s10
	s_xor_b64 exec, exec, s[6:7]
	s_cbranch_execz .LBB2_834
; %bb.36675:
	s_getpc_b64 s[14:15]
.Lpost_getpc21921:
	s_add_u32 s14, s14, (.LBB2_15172-.Lpost_getpc21921)&4294967295
	s_addc_u32 s15, s15, (.LBB2_15172-.Lpost_getpc21921)>>32
	s_setpc_b64 s[14:15]
.LBB2_834:
	s_or_b64 exec, exec, s[6:7]
	s_and_saveexec_b64 s[6:7], s[4:5]
	s_cbranch_execz .LBB2_836
.LBB2_835:
	v_and_b32_e32 v2, 7, v8
	v_ffbh_u32_e32 v6, v2
	v_min_u32_e32 v6, 32, v6
	v_lshrrev_b16_e32 v3, 3, v8
	v_subrev_u32_e32 v7, 28, v6
	v_and_b32_e32 v3, 15, v3
	v_lshlrev_b32_e32 v7, v7, v8
	v_sub_u32_e32 v6, 29, v6
	v_and_b32_e32 v7, 7, v7
	v_cmp_eq_u16_e32 vcc, 0, v3
	v_cndmask_b32_e32 v2, v2, v7, vcc
	v_cndmask_b32_e32 v3, v3, v6, vcc
	v_lshlrev_b32_e32 v6, 24, v8
	v_mov_b32_e32 v7, 0x3b800000
	v_lshlrev_b32_e32 v2, 20, v2
	v_and_b32_e32 v6, 0x80000000, v6
	v_lshl_add_u32 v3, v3, 23, v7
	v_or3_b32 v2, v6, v3, v2
.LBB2_836:
	s_or_b64 exec, exec, s[6:7]
	s_movk_i32 s4, 0x7f
	v_cmp_gt_i16_sdwa s[6:7], v4, s4 src0_sel:BYTE_0 src1_sel:DWORD
	s_mov_b64 s[4:5], 0
                                        ; implicit-def: $sgpr10
	s_and_saveexec_b64 s[8:9], s[6:7]
	s_xor_b64 s[6:7], exec, s[8:9]
	s_cbranch_execz .LBB2_837
; %bb.36677:
	s_getpc_b64 s[14:15]
.Lpost_getpc21922:
	s_add_u32 s14, s14, (.LBB2_15173-.Lpost_getpc21922)&4294967295
	s_addc_u32 s15, s15, (.LBB2_15173-.Lpost_getpc21922)>>32
	s_setpc_b64 s[14:15]
.LBB2_837:
	s_or_saveexec_b64 s[6:7], s[6:7]
	v_mov_b32_e32 v3, s10
	s_xor_b64 exec, exec, s[6:7]
	s_cbranch_execz .LBB2_838
; %bb.36679:
	s_getpc_b64 s[14:15]
.Lpost_getpc21923:
	s_add_u32 s14, s14, (.LBB2_15176-.Lpost_getpc21923)&4294967295
	s_addc_u32 s15, s15, (.LBB2_15176-.Lpost_getpc21923)>>32
	s_setpc_b64 s[14:15]
.LBB2_838:
	s_or_b64 exec, exec, s[6:7]
	s_and_saveexec_b64 s[6:7], s[4:5]
	s_cbranch_execz .LBB2_840
.LBB2_839:
	v_and_b32_e32 v3, 7, v4
	v_ffbh_u32_e32 v7, v3
	v_min_u32_e32 v7, 32, v7
	v_lshrrev_b16_e32 v6, 3, v4
	v_subrev_u32_e32 v12, 28, v7
	v_and_b32_e32 v6, 15, v6
	v_lshlrev_b32_e32 v12, v12, v4
	v_sub_u32_e32 v7, 29, v7
	v_and_b32_e32 v12, 7, v12
	v_cmp_eq_u16_e32 vcc, 0, v6
	v_cndmask_b32_e32 v3, v3, v12, vcc
	v_cndmask_b32_e32 v6, v6, v7, vcc
	v_lshlrev_b32_e32 v7, 24, v4
	v_mov_b32_e32 v12, 0x3b800000
	v_lshlrev_b32_e32 v3, 20, v3
	v_and_b32_e32 v7, 0x80000000, v7
	v_lshl_add_u32 v6, v6, 23, v12
	v_or3_b32 v3, v7, v6, v3
.LBB2_840:
	s_or_b64 exec, exec, s[6:7]
	s_nop 0
	v_mfma_f32_16x16x4f32 a[0:3], v2, v3, a[0:3]
	v_lshrrev_b32_e32 v3, 8, v8
	s_movk_i32 s4, 0x7f
	v_cmp_gt_i16_sdwa s[6:7], v3, s4 src0_sel:BYTE_0 src1_sel:DWORD
	s_mov_b64 s[4:5], 0
                                        ; implicit-def: $sgpr10
	s_and_saveexec_b64 s[8:9], s[6:7]
	s_xor_b64 s[6:7], exec, s[8:9]
	s_cbranch_execz .LBB2_841
; %bb.36681:
	s_getpc_b64 s[14:15]
.Lpost_getpc21924:
	s_add_u32 s14, s14, (.LBB2_15177-.Lpost_getpc21924)&4294967295
	s_addc_u32 s15, s15, (.LBB2_15177-.Lpost_getpc21924)>>32
	s_setpc_b64 s[14:15]
.LBB2_841:
	s_or_saveexec_b64 s[6:7], s[6:7]
	v_mov_b32_e32 v2, s10
	s_xor_b64 exec, exec, s[6:7]
	s_cbranch_execz .LBB2_842
; %bb.36683:
	s_getpc_b64 s[14:15]
.Lpost_getpc21925:
	s_add_u32 s14, s14, (.LBB2_15180-.Lpost_getpc21925)&4294967295
	s_addc_u32 s15, s15, (.LBB2_15180-.Lpost_getpc21925)>>32
	s_setpc_b64 s[14:15]
.LBB2_842:
	s_or_b64 exec, exec, s[6:7]
	s_and_saveexec_b64 s[6:7], s[4:5]
	s_cbranch_execz .LBB2_844
.LBB2_843:
	v_bfe_u32 v2, v8, 8, 3
	v_ffbh_u32_e32 v7, v2
	v_min_u32_e32 v7, 32, v7
	v_lshrrev_b16_e32 v6, 3, v3
	v_subrev_u32_e32 v12, 28, v7
	v_and_b32_e32 v6, 15, v6
	v_lshlrev_b32_e32 v3, v12, v3
	v_sub_u32_e32 v7, 29, v7
	v_and_b32_e32 v3, 7, v3
	v_cmp_eq_u16_e32 vcc, 0, v6
	v_cndmask_b32_e32 v2, v2, v3, vcc
	v_cndmask_b32_e32 v3, v6, v7, vcc
	v_lshlrev_b32_e32 v6, 16, v8
	v_mov_b32_e32 v7, 0x3b800000
	v_lshlrev_b32_e32 v2, 20, v2
	v_and_b32_e32 v6, 0x80000000, v6
	v_lshl_add_u32 v3, v3, 23, v7
	v_or3_b32 v2, v6, v3, v2
.LBB2_844:
	s_or_b64 exec, exec, s[6:7]
	v_lshrrev_b32_e32 v3, 8, v4
	s_movk_i32 s4, 0x7f
	v_cmp_gt_i16_sdwa s[6:7], v3, s4 src0_sel:BYTE_0 src1_sel:DWORD
	s_mov_b64 s[4:5], 0
                                        ; implicit-def: $sgpr10
	s_and_saveexec_b64 s[8:9], s[6:7]
	s_xor_b64 s[6:7], exec, s[8:9]
	s_cbranch_execz .LBB2_845
; %bb.36685:
	s_getpc_b64 s[14:15]
.Lpost_getpc21926:
	s_add_u32 s14, s14, (.LBB2_15181-.Lpost_getpc21926)&4294967295
	s_addc_u32 s15, s15, (.LBB2_15181-.Lpost_getpc21926)>>32
	s_setpc_b64 s[14:15]
.LBB2_845:
	s_or_saveexec_b64 s[6:7], s[6:7]
	v_mov_b32_e32 v6, s10
	s_xor_b64 exec, exec, s[6:7]
	s_cbranch_execz .LBB2_846
; %bb.36687:
	s_getpc_b64 s[14:15]
.Lpost_getpc21927:
	s_add_u32 s14, s14, (.LBB2_15184-.Lpost_getpc21927)&4294967295
	s_addc_u32 s15, s15, (.LBB2_15184-.Lpost_getpc21927)>>32
	s_setpc_b64 s[14:15]
.LBB2_846:
	s_or_b64 exec, exec, s[6:7]
	s_and_saveexec_b64 s[6:7], s[4:5]
	s_cbranch_execz .LBB2_848
.LBB2_847:
	v_bfe_u32 v6, v4, 8, 3
	v_ffbh_u32_e32 v12, v6
	v_min_u32_e32 v12, 32, v12
	v_lshrrev_b16_e32 v7, 3, v3
	v_subrev_u32_e32 v13, 28, v12
	v_and_b32_e32 v7, 15, v7
	v_lshlrev_b32_e32 v3, v13, v3
	v_sub_u32_e32 v12, 29, v12
	v_and_b32_e32 v3, 7, v3
	v_cmp_eq_u16_e32 vcc, 0, v7
	v_cndmask_b32_e32 v3, v6, v3, vcc
	v_cndmask_b32_e32 v6, v7, v12, vcc
	v_lshlrev_b32_e32 v7, 16, v4
	v_mov_b32_e32 v12, 0x3b800000
	v_lshlrev_b32_e32 v3, 20, v3
	v_and_b32_e32 v7, 0x80000000, v7
	v_lshl_add_u32 v6, v6, 23, v12
	v_or3_b32 v6, v7, v6, v3
.LBB2_848:
	s_or_b64 exec, exec, s[6:7]
	s_nop 0
	v_mfma_f32_16x16x4f32 a[0:3], v2, v6, a[0:3]
	s_movk_i32 s4, 0xff
	v_and_b32_sdwa v3, v8, s4 dst_sel:DWORD dst_unused:UNUSED_PAD src0_sel:WORD_1 src1_sel:DWORD
	s_movk_i32 s4, 0x7f
	v_cmp_lt_i16_e32 vcc, s4, v3
	s_mov_b64 s[4:5], 0
                                        ; implicit-def: $sgpr10
	s_and_saveexec_b64 s[6:7], vcc
	s_xor_b64 s[6:7], exec, s[6:7]
	s_cbranch_execz .LBB2_849
; %bb.36689:
	s_getpc_b64 s[14:15]
.Lpost_getpc21928:
	s_add_u32 s14, s14, (.LBB2_15185-.Lpost_getpc21928)&4294967295
	s_addc_u32 s15, s15, (.LBB2_15185-.Lpost_getpc21928)>>32
	s_setpc_b64 s[14:15]
.LBB2_849:
	s_or_saveexec_b64 s[6:7], s[6:7]
	v_mov_b32_e32 v2, s10
	s_xor_b64 exec, exec, s[6:7]
	s_cbranch_execz .LBB2_850
; %bb.36691:
	s_getpc_b64 s[14:15]
.Lpost_getpc21929:
	s_add_u32 s14, s14, (.LBB2_15188-.Lpost_getpc21929)&4294967295
	s_addc_u32 s15, s15, (.LBB2_15188-.Lpost_getpc21929)>>32
	s_setpc_b64 s[14:15]
.LBB2_850:
	s_or_b64 exec, exec, s[6:7]
	s_and_saveexec_b64 s[6:7], s[4:5]
	s_cbranch_execz .LBB2_852
.LBB2_851:
	v_bfe_u32 v2, v8, 16, 3
	v_ffbh_u32_e32 v7, v2
	v_min_u32_e32 v7, 32, v7
	v_lshrrev_b32_e32 v3, 19, v8
	v_subrev_u32_e32 v12, 28, v7
	v_and_b32_e32 v3, 15, v3
	v_lshlrev_b32_sdwa v12, v12, v8 dst_sel:DWORD dst_unused:UNUSED_PAD src0_sel:DWORD src1_sel:WORD_1
	v_bfe_u32 v6, v8, 19, 4
	v_sub_u32_e32 v7, 29, v7
	v_and_b32_e32 v12, 7, v12
	v_cmp_eq_u16_e32 vcc, 0, v3
	v_cndmask_b32_e32 v2, v2, v12, vcc
	v_cndmask_b32_e32 v3, v6, v7, vcc
	v_lshlrev_b32_e32 v6, 8, v8
	v_mov_b32_e32 v7, 0x3b800000
	v_lshlrev_b32_e32 v2, 20, v2
	v_and_b32_e32 v6, 0x80000000, v6
	v_lshl_add_u32 v3, v3, 23, v7
	v_or3_b32 v2, v6, v3, v2
.LBB2_852:
	s_or_b64 exec, exec, s[6:7]
	s_movk_i32 s4, 0xff
	v_and_b32_sdwa v3, v4, s4 dst_sel:DWORD dst_unused:UNUSED_PAD src0_sel:WORD_1 src1_sel:DWORD
	s_movk_i32 s4, 0x7f
	v_cmp_lt_i16_e32 vcc, s4, v3
	s_mov_b64 s[4:5], 0
                                        ; implicit-def: $sgpr10
	s_and_saveexec_b64 s[6:7], vcc
	s_xor_b64 s[6:7], exec, s[6:7]
	s_cbranch_execz .LBB2_853
; %bb.36693:
	s_getpc_b64 s[14:15]
.Lpost_getpc21930:
	s_add_u32 s14, s14, (.LBB2_15189-.Lpost_getpc21930)&4294967295
	s_addc_u32 s15, s15, (.LBB2_15189-.Lpost_getpc21930)>>32
	s_setpc_b64 s[14:15]
.LBB2_853:
	s_or_saveexec_b64 s[6:7], s[6:7]
	v_mov_b32_e32 v6, s10
	s_xor_b64 exec, exec, s[6:7]
	s_cbranch_execz .LBB2_854
; %bb.36695:
	s_getpc_b64 s[14:15]
.Lpost_getpc21931:
	s_add_u32 s14, s14, (.LBB2_15192-.Lpost_getpc21931)&4294967295
	s_addc_u32 s15, s15, (.LBB2_15192-.Lpost_getpc21931)>>32
	s_setpc_b64 s[14:15]
.LBB2_854:
	s_or_b64 exec, exec, s[6:7]
	s_and_saveexec_b64 s[6:7], s[4:5]
	s_cbranch_execz .LBB2_856
.LBB2_855:
	v_bfe_u32 v3, v4, 16, 3
	v_ffbh_u32_e32 v12, v3
	v_min_u32_e32 v12, 32, v12
	v_lshrrev_b32_e32 v6, 19, v4
	v_subrev_u32_e32 v13, 28, v12
	v_and_b32_e32 v6, 15, v6
	v_lshlrev_b32_sdwa v13, v13, v4 dst_sel:DWORD dst_unused:UNUSED_PAD src0_sel:DWORD src1_sel:WORD_1
	v_bfe_u32 v7, v4, 19, 4
	v_sub_u32_e32 v12, 29, v12
	v_and_b32_e32 v13, 7, v13
	v_cmp_eq_u16_e32 vcc, 0, v6
	v_cndmask_b32_e32 v3, v3, v13, vcc
	v_cndmask_b32_e32 v6, v7, v12, vcc
	v_lshlrev_b32_e32 v7, 8, v4
	v_mov_b32_e32 v12, 0x3b800000
	v_lshlrev_b32_e32 v3, 20, v3
	v_and_b32_e32 v7, 0x80000000, v7
	v_lshl_add_u32 v6, v6, 23, v12
	v_or3_b32 v6, v7, v6, v3
.LBB2_856:
	s_or_b64 exec, exec, s[6:7]
	s_nop 0
	v_mfma_f32_16x16x4f32 a[0:3], v2, v6, a[0:3]
	s_movk_i32 s4, 0x7f
	v_cmp_gt_i16_sdwa s[6:7], v8, s4 src0_sel:BYTE_3 src1_sel:DWORD
	s_mov_b64 s[4:5], 0
                                        ; implicit-def: $sgpr10
	s_and_saveexec_b64 s[8:9], s[6:7]
	s_xor_b64 s[6:7], exec, s[8:9]
	s_cbranch_execz .LBB2_857
; %bb.36697:
	s_getpc_b64 s[14:15]
.Lpost_getpc21932:
	s_add_u32 s14, s14, (.LBB2_15193-.Lpost_getpc21932)&4294967295
	s_addc_u32 s15, s15, (.LBB2_15193-.Lpost_getpc21932)>>32
	s_setpc_b64 s[14:15]
.LBB2_857:
	s_or_saveexec_b64 s[6:7], s[6:7]
	v_mov_b32_e32 v2, s10
	s_xor_b64 exec, exec, s[6:7]
	s_cbranch_execz .LBB2_858
; %bb.36699:
	s_getpc_b64 s[14:15]
.Lpost_getpc21933:
	s_add_u32 s14, s14, (.LBB2_15196-.Lpost_getpc21933)&4294967295
	s_addc_u32 s15, s15, (.LBB2_15196-.Lpost_getpc21933)>>32
	s_setpc_b64 s[14:15]
.LBB2_858:
	s_or_b64 exec, exec, s[6:7]
	s_and_saveexec_b64 s[6:7], s[4:5]
	s_cbranch_execz .LBB2_860
.LBB2_859:
	v_bfe_u32 v2, v8, 24, 3
	v_ffbh_u32_e32 v12, v2
	v_min_u32_e32 v12, 32, v12
	v_lshrrev_b32_e32 v6, 27, v8
	v_subrev_u32_e32 v13, 28, v12
	v_and_b32_e32 v3, 0x80000000, v8
	v_and_b32_e32 v6, 15, v6
	v_bfe_u32 v7, v8, 27, 4
	v_lshlrev_b32_sdwa v8, v13, v8 dst_sel:DWORD dst_unused:UNUSED_PAD src0_sel:DWORD src1_sel:BYTE_3
	v_sub_u32_e32 v12, 29, v12
	v_and_b32_e32 v8, 7, v8
	v_cmp_eq_u16_e32 vcc, 0, v6
	v_cndmask_b32_e32 v2, v2, v8, vcc
	v_cndmask_b32_e32 v6, v7, v12, vcc
	v_mov_b32_e32 v7, 0x3b800000
	v_lshlrev_b32_e32 v2, 20, v2
	v_lshl_add_u32 v6, v6, 23, v7
	v_or3_b32 v2, v3, v6, v2
.LBB2_860:
	s_or_b64 exec, exec, s[6:7]
	s_movk_i32 s4, 0x7f
	v_cmp_gt_i16_sdwa s[6:7], v4, s4 src0_sel:BYTE_3 src1_sel:DWORD
	s_mov_b64 s[4:5], 0
                                        ; implicit-def: $sgpr10
	s_and_saveexec_b64 s[8:9], s[6:7]
	s_xor_b64 s[6:7], exec, s[8:9]
	s_cbranch_execz .LBB2_861
; %bb.36701:
	s_getpc_b64 s[14:15]
.Lpost_getpc21934:
	s_add_u32 s14, s14, (.LBB2_15197-.Lpost_getpc21934)&4294967295
	s_addc_u32 s15, s15, (.LBB2_15197-.Lpost_getpc21934)>>32
	s_setpc_b64 s[14:15]
.LBB2_861:
	s_or_saveexec_b64 s[6:7], s[6:7]
	v_mov_b32_e32 v3, s10
	s_xor_b64 exec, exec, s[6:7]
	s_cbranch_execz .LBB2_862
; %bb.36703:
	s_getpc_b64 s[14:15]
.Lpost_getpc21935:
	s_add_u32 s14, s14, (.LBB2_15200-.Lpost_getpc21935)&4294967295
	s_addc_u32 s15, s15, (.LBB2_15200-.Lpost_getpc21935)>>32
	s_setpc_b64 s[14:15]
.LBB2_862:
	s_or_b64 exec, exec, s[6:7]
	s_and_saveexec_b64 s[6:7], s[4:5]
	s_cbranch_execz .LBB2_864
.LBB2_863:
	v_bfe_u32 v3, v4, 24, 3
	v_ffbh_u32_e32 v12, v3
	v_min_u32_e32 v12, 32, v12
	v_lshrrev_b32_e32 v7, 27, v4
	v_subrev_u32_e32 v13, 28, v12
	v_and_b32_e32 v6, 0x80000000, v4
	v_and_b32_e32 v7, 15, v7
	v_bfe_u32 v8, v4, 27, 4
	v_lshlrev_b32_sdwa v4, v13, v4 dst_sel:DWORD dst_unused:UNUSED_PAD src0_sel:DWORD src1_sel:BYTE_3
	v_sub_u32_e32 v12, 29, v12
	v_and_b32_e32 v4, 7, v4
	v_cmp_eq_u16_e32 vcc, 0, v7
	v_cndmask_b32_e32 v3, v3, v4, vcc
	v_cndmask_b32_e32 v4, v8, v12, vcc
	v_mov_b32_e32 v7, 0x3b800000
	v_lshlrev_b32_e32 v3, 20, v3
	v_lshl_add_u32 v4, v4, 23, v7
	v_or3_b32 v3, v6, v4, v3
.LBB2_864:
	s_or_b64 exec, exec, s[6:7]
	s_nop 0
	v_mfma_f32_16x16x4f32 a[0:3], v2, v3, a[0:3]
	s_movk_i32 s4, 0x7f
	v_cmp_gt_i16_sdwa s[6:7], v9, s4 src0_sel:BYTE_0 src1_sel:DWORD
	s_mov_b64 s[4:5], 0
                                        ; implicit-def: $sgpr10
	s_and_saveexec_b64 s[8:9], s[6:7]
	s_xor_b64 s[6:7], exec, s[8:9]
	s_cbranch_execz .LBB2_865
; %bb.36705:
	s_getpc_b64 s[14:15]
.Lpost_getpc21936:
	s_add_u32 s14, s14, (.LBB2_15201-.Lpost_getpc21936)&4294967295
	s_addc_u32 s15, s15, (.LBB2_15201-.Lpost_getpc21936)>>32
	s_setpc_b64 s[14:15]
.LBB2_865:
	s_or_saveexec_b64 s[6:7], s[6:7]
	v_mov_b32_e32 v2, s10
	s_xor_b64 exec, exec, s[6:7]
	s_cbranch_execz .LBB2_866
; %bb.36707:
	s_getpc_b64 s[14:15]
.Lpost_getpc21937:
	s_add_u32 s14, s14, (.LBB2_15204-.Lpost_getpc21937)&4294967295
	s_addc_u32 s15, s15, (.LBB2_15204-.Lpost_getpc21937)>>32
	s_setpc_b64 s[14:15]
.LBB2_866:
	s_or_b64 exec, exec, s[6:7]
	s_and_saveexec_b64 s[6:7], s[4:5]
	s_cbranch_execz .LBB2_868
.LBB2_867:
	v_mov_b32_e32 v2, 8
	v_and_b32_e32 v3, 7, v9
	v_lshrrev_b32_sdwa v2, v2, v9 dst_sel:BYTE_1 dst_unused:UNUSED_PAD src0_sel:DWORD src1_sel:DWORD
	v_ffbh_u32_e32 v4, v3
	v_or_b32_sdwa v2, v9, v2 dst_sel:DWORD dst_unused:UNUSED_PAD src0_sel:BYTE_0 src1_sel:DWORD
	v_min_u32_e32 v4, 32, v4
	v_lshrrev_b16_e32 v2, 3, v2
	v_subrev_u32_e32 v6, 28, v4
	v_and_b32_e32 v2, 15, v2
	v_lshlrev_b32_e32 v6, v6, v9
	v_sub_u32_e32 v4, 29, v4
	v_and_b32_e32 v6, 7, v6
	v_cmp_eq_u16_e32 vcc, 0, v2
	v_cndmask_b32_e32 v3, v3, v6, vcc
	v_cndmask_b32_e32 v2, v2, v4, vcc
	v_lshlrev_b32_e32 v4, 24, v9
	v_mov_b32_e32 v6, 0x3b800000
	v_lshlrev_b32_e32 v3, 20, v3
	v_and_b32_e32 v4, 0x80000000, v4
	v_lshl_add_u32 v2, v2, 23, v6
	v_or3_b32 v2, v4, v2, v3
.LBB2_868:
	s_or_b64 exec, exec, s[6:7]
	s_movk_i32 s4, 0x7f
	v_cmp_gt_i16_sdwa s[6:7], v5, s4 src0_sel:BYTE_0 src1_sel:DWORD
	s_mov_b64 s[4:5], 0
                                        ; implicit-def: $sgpr10
	s_and_saveexec_b64 s[8:9], s[6:7]
	s_xor_b64 s[6:7], exec, s[8:9]
	s_cbranch_execz .LBB2_869
; %bb.36709:
	s_getpc_b64 s[14:15]
.Lpost_getpc21938:
	s_add_u32 s14, s14, (.LBB2_15205-.Lpost_getpc21938)&4294967295
	s_addc_u32 s15, s15, (.LBB2_15205-.Lpost_getpc21938)>>32
	s_setpc_b64 s[14:15]
.LBB2_869:
	s_or_saveexec_b64 s[6:7], s[6:7]
	v_mov_b32_e32 v3, s10
	s_xor_b64 exec, exec, s[6:7]
	s_cbranch_execz .LBB2_870
; %bb.36711:
	s_getpc_b64 s[14:15]
.Lpost_getpc21939:
	s_add_u32 s14, s14, (.LBB2_15208-.Lpost_getpc21939)&4294967295
	s_addc_u32 s15, s15, (.LBB2_15208-.Lpost_getpc21939)>>32
	s_setpc_b64 s[14:15]
.LBB2_870:
	s_or_b64 exec, exec, s[6:7]
	s_and_saveexec_b64 s[6:7], s[4:5]
	s_cbranch_execz .LBB2_872
.LBB2_871:
	v_mov_b32_e32 v3, 8
	v_and_b32_e32 v4, 7, v5
	v_lshrrev_b32_sdwa v3, v3, v5 dst_sel:BYTE_1 dst_unused:UNUSED_PAD src0_sel:DWORD src1_sel:DWORD
	v_ffbh_u32_e32 v6, v4
	v_or_b32_sdwa v3, v5, v3 dst_sel:DWORD dst_unused:UNUSED_PAD src0_sel:BYTE_0 src1_sel:DWORD
	v_min_u32_e32 v6, 32, v6
	v_lshrrev_b16_e32 v3, 3, v3
	v_subrev_u32_e32 v7, 28, v6
	v_and_b32_e32 v3, 15, v3
	v_lshlrev_b32_e32 v7, v7, v5
	v_sub_u32_e32 v6, 29, v6
	v_and_b32_e32 v7, 7, v7
	v_cmp_eq_u16_e32 vcc, 0, v3
	v_cndmask_b32_e32 v4, v4, v7, vcc
	v_cndmask_b32_e32 v3, v3, v6, vcc
	v_lshlrev_b32_e32 v6, 24, v5
	v_mov_b32_e32 v7, 0x3b800000
	v_lshlrev_b32_e32 v4, 20, v4
	v_and_b32_e32 v6, 0x80000000, v6
	v_lshl_add_u32 v3, v3, 23, v7
	v_or3_b32 v3, v6, v3, v4
.LBB2_872:
	s_or_b64 exec, exec, s[6:7]
	s_nop 0
	v_mfma_f32_16x16x4f32 a[0:3], v2, v3, a[0:3]
	v_lshrrev_b32_e32 v3, 8, v9
	s_movk_i32 s4, 0x7f
	v_cmp_gt_i16_sdwa s[6:7], v3, s4 src0_sel:BYTE_0 src1_sel:DWORD
	s_mov_b64 s[4:5], 0
                                        ; implicit-def: $sgpr10
	s_and_saveexec_b64 s[8:9], s[6:7]
	s_xor_b64 s[6:7], exec, s[8:9]
	s_cbranch_execz .LBB2_873
; %bb.36713:
	s_getpc_b64 s[14:15]
.Lpost_getpc21940:
	s_add_u32 s14, s14, (.LBB2_15209-.Lpost_getpc21940)&4294967295
	s_addc_u32 s15, s15, (.LBB2_15209-.Lpost_getpc21940)>>32
	s_setpc_b64 s[14:15]
.LBB2_873:
	s_or_saveexec_b64 s[6:7], s[6:7]
	v_mov_b32_e32 v2, s10
	s_xor_b64 exec, exec, s[6:7]
	s_cbranch_execz .LBB2_874
; %bb.36715:
	s_getpc_b64 s[14:15]
.Lpost_getpc21941:
	s_add_u32 s14, s14, (.LBB2_15212-.Lpost_getpc21941)&4294967295
	s_addc_u32 s15, s15, (.LBB2_15212-.Lpost_getpc21941)>>32
	s_setpc_b64 s[14:15]
.LBB2_874:
	s_or_b64 exec, exec, s[6:7]
	s_and_saveexec_b64 s[6:7], s[4:5]
	s_cbranch_execz .LBB2_876
.LBB2_875:
	v_bfe_u32 v2, v9, 8, 3
	v_ffbh_u32_e32 v6, v2
	v_min_u32_e32 v6, 32, v6
	v_lshrrev_b16_e32 v4, 3, v3
	v_subrev_u32_e32 v7, 28, v6
	v_and_b32_e32 v4, 15, v4
	v_lshlrev_b32_e32 v3, v7, v3
	v_sub_u32_e32 v6, 29, v6
	v_and_b32_e32 v3, 7, v3
	v_cmp_eq_u16_e32 vcc, 0, v4
	v_cndmask_b32_e32 v2, v2, v3, vcc
	v_cndmask_b32_e32 v3, v4, v6, vcc
	v_lshlrev_b32_e32 v4, 16, v9
	v_mov_b32_e32 v6, 0x3b800000
	v_lshlrev_b32_e32 v2, 20, v2
	v_and_b32_e32 v4, 0x80000000, v4
	v_lshl_add_u32 v3, v3, 23, v6
	v_or3_b32 v2, v4, v3, v2
.LBB2_876:
	s_or_b64 exec, exec, s[6:7]
	v_lshrrev_b32_e32 v3, 8, v5
	s_movk_i32 s4, 0x7f
	v_cmp_gt_i16_sdwa s[6:7], v3, s4 src0_sel:BYTE_0 src1_sel:DWORD
	s_mov_b64 s[4:5], 0
                                        ; implicit-def: $sgpr10
	s_and_saveexec_b64 s[8:9], s[6:7]
	s_xor_b64 s[6:7], exec, s[8:9]
	s_cbranch_execz .LBB2_877
; %bb.36717:
	s_getpc_b64 s[14:15]
.Lpost_getpc21942:
	s_add_u32 s14, s14, (.LBB2_15213-.Lpost_getpc21942)&4294967295
	s_addc_u32 s15, s15, (.LBB2_15213-.Lpost_getpc21942)>>32
	s_setpc_b64 s[14:15]
.LBB2_877:
	s_or_saveexec_b64 s[6:7], s[6:7]
	v_mov_b32_e32 v4, s10
	s_xor_b64 exec, exec, s[6:7]
	s_cbranch_execz .LBB2_878
; %bb.36719:
	s_getpc_b64 s[14:15]
.Lpost_getpc21943:
	s_add_u32 s14, s14, (.LBB2_15216-.Lpost_getpc21943)&4294967295
	s_addc_u32 s15, s15, (.LBB2_15216-.Lpost_getpc21943)>>32
	s_setpc_b64 s[14:15]
.LBB2_878:
	s_or_b64 exec, exec, s[6:7]
	s_and_saveexec_b64 s[6:7], s[4:5]
	s_cbranch_execz .LBB2_880
.LBB2_879:
	v_bfe_u32 v4, v5, 8, 3
	v_ffbh_u32_e32 v7, v4
	v_min_u32_e32 v7, 32, v7
	v_lshrrev_b16_e32 v6, 3, v3
	v_subrev_u32_e32 v8, 28, v7
	v_and_b32_e32 v6, 15, v6
	v_lshlrev_b32_e32 v3, v8, v3
	v_sub_u32_e32 v7, 29, v7
	v_and_b32_e32 v3, 7, v3
	v_cmp_eq_u16_e32 vcc, 0, v6
	v_cndmask_b32_e32 v3, v4, v3, vcc
	v_cndmask_b32_e32 v4, v6, v7, vcc
	v_lshlrev_b32_e32 v6, 16, v5
	v_mov_b32_e32 v7, 0x3b800000
	v_lshlrev_b32_e32 v3, 20, v3
	v_and_b32_e32 v6, 0x80000000, v6
	v_lshl_add_u32 v4, v4, 23, v7
	v_or3_b32 v4, v6, v4, v3
.LBB2_880:
	s_or_b64 exec, exec, s[6:7]
	s_nop 0
	v_mfma_f32_16x16x4f32 a[0:3], v2, v4, a[0:3]
	s_movk_i32 s4, 0xff
	v_and_b32_sdwa v3, v9, s4 dst_sel:DWORD dst_unused:UNUSED_PAD src0_sel:WORD_1 src1_sel:DWORD
	s_movk_i32 s4, 0x7f
	v_cmp_lt_i16_e32 vcc, s4, v3
	s_mov_b64 s[4:5], 0
                                        ; implicit-def: $sgpr10
	s_and_saveexec_b64 s[6:7], vcc
	s_xor_b64 s[6:7], exec, s[6:7]
	s_cbranch_execz .LBB2_881
; %bb.36721:
	s_getpc_b64 s[14:15]
.Lpost_getpc21944:
	s_add_u32 s14, s14, (.LBB2_15217-.Lpost_getpc21944)&4294967295
	s_addc_u32 s15, s15, (.LBB2_15217-.Lpost_getpc21944)>>32
	s_setpc_b64 s[14:15]
.LBB2_881:
	s_or_saveexec_b64 s[6:7], s[6:7]
	v_mov_b32_e32 v2, s10
	s_xor_b64 exec, exec, s[6:7]
	s_cbranch_execz .LBB2_882
; %bb.36723:
	s_getpc_b64 s[14:15]
.Lpost_getpc21945:
	s_add_u32 s14, s14, (.LBB2_15220-.Lpost_getpc21945)&4294967295
	s_addc_u32 s15, s15, (.LBB2_15220-.Lpost_getpc21945)>>32
	s_setpc_b64 s[14:15]
.LBB2_882:
	s_or_b64 exec, exec, s[6:7]
	s_and_saveexec_b64 s[6:7], s[4:5]
	s_cbranch_execz .LBB2_884
.LBB2_883:
	v_bfe_u32 v2, v9, 16, 3
	v_ffbh_u32_e32 v6, v2
	v_min_u32_e32 v6, 32, v6
	v_lshrrev_b32_e32 v3, 19, v9
	v_subrev_u32_e32 v7, 28, v6
	v_and_b32_e32 v3, 15, v3
	v_lshlrev_b32_sdwa v7, v7, v9 dst_sel:DWORD dst_unused:UNUSED_PAD src0_sel:DWORD src1_sel:WORD_1
	v_bfe_u32 v4, v9, 19, 4
	v_sub_u32_e32 v6, 29, v6
	v_and_b32_e32 v7, 7, v7
	v_cmp_eq_u16_e32 vcc, 0, v3
	v_cndmask_b32_e32 v2, v2, v7, vcc
	v_cndmask_b32_e32 v3, v4, v6, vcc
	v_lshlrev_b32_e32 v4, 8, v9
	v_mov_b32_e32 v6, 0x3b800000
	v_lshlrev_b32_e32 v2, 20, v2
	v_and_b32_e32 v4, 0x80000000, v4
	v_lshl_add_u32 v3, v3, 23, v6
	v_or3_b32 v2, v4, v3, v2
.LBB2_884:
	s_or_b64 exec, exec, s[6:7]
	s_movk_i32 s4, 0xff
	v_and_b32_sdwa v3, v5, s4 dst_sel:DWORD dst_unused:UNUSED_PAD src0_sel:WORD_1 src1_sel:DWORD
	s_movk_i32 s4, 0x7f
	v_cmp_lt_i16_e32 vcc, s4, v3
	s_mov_b64 s[4:5], 0
                                        ; implicit-def: $sgpr10
	s_and_saveexec_b64 s[6:7], vcc
	s_xor_b64 s[6:7], exec, s[6:7]
	s_cbranch_execz .LBB2_885
; %bb.36725:
	s_getpc_b64 s[14:15]
.Lpost_getpc21946:
	s_add_u32 s14, s14, (.LBB2_15221-.Lpost_getpc21946)&4294967295
	s_addc_u32 s15, s15, (.LBB2_15221-.Lpost_getpc21946)>>32
	s_setpc_b64 s[14:15]
.LBB2_885:
	s_or_saveexec_b64 s[6:7], s[6:7]
	v_mov_b32_e32 v4, s10
	s_xor_b64 exec, exec, s[6:7]
	s_cbranch_execz .LBB2_886
; %bb.36727:
	s_getpc_b64 s[14:15]
.Lpost_getpc21947:
	s_add_u32 s14, s14, (.LBB2_15224-.Lpost_getpc21947)&4294967295
	s_addc_u32 s15, s15, (.LBB2_15224-.Lpost_getpc21947)>>32
	s_setpc_b64 s[14:15]
.LBB2_886:
	s_or_b64 exec, exec, s[6:7]
	s_and_saveexec_b64 s[6:7], s[4:5]
	s_cbranch_execz .LBB2_888
.LBB2_887:
	v_bfe_u32 v3, v5, 16, 3
	v_ffbh_u32_e32 v7, v3
	v_min_u32_e32 v7, 32, v7
	v_lshrrev_b32_e32 v4, 19, v5
	v_subrev_u32_e32 v8, 28, v7
	v_and_b32_e32 v4, 15, v4
	v_lshlrev_b32_sdwa v8, v8, v5 dst_sel:DWORD dst_unused:UNUSED_PAD src0_sel:DWORD src1_sel:WORD_1
	v_bfe_u32 v6, v5, 19, 4
	v_sub_u32_e32 v7, 29, v7
	v_and_b32_e32 v8, 7, v8
	v_cmp_eq_u16_e32 vcc, 0, v4
	v_cndmask_b32_e32 v3, v3, v8, vcc
	v_cndmask_b32_e32 v4, v6, v7, vcc
	v_lshlrev_b32_e32 v6, 8, v5
	v_mov_b32_e32 v7, 0x3b800000
	v_lshlrev_b32_e32 v3, 20, v3
	v_and_b32_e32 v6, 0x80000000, v6
	v_lshl_add_u32 v4, v4, 23, v7
	v_or3_b32 v4, v6, v4, v3
.LBB2_888:
	s_or_b64 exec, exec, s[6:7]
	s_nop 0
	v_mfma_f32_16x16x4f32 a[0:3], v2, v4, a[0:3]
	s_movk_i32 s4, 0x7f
	v_cmp_gt_i16_sdwa s[6:7], v9, s4 src0_sel:BYTE_3 src1_sel:DWORD
	s_mov_b64 s[4:5], 0
                                        ; implicit-def: $sgpr10
	s_and_saveexec_b64 s[8:9], s[6:7]
	s_xor_b64 s[6:7], exec, s[8:9]
	s_cbranch_execz .LBB2_889
; %bb.36729:
	s_getpc_b64 s[14:15]
.Lpost_getpc21948:
	s_add_u32 s14, s14, (.LBB2_15225-.Lpost_getpc21948)&4294967295
	s_addc_u32 s15, s15, (.LBB2_15225-.Lpost_getpc21948)>>32
	s_setpc_b64 s[14:15]
.LBB2_889:
	s_or_saveexec_b64 s[6:7], s[6:7]
	v_mov_b32_e32 v2, s10
	s_xor_b64 exec, exec, s[6:7]
	s_cbranch_execz .LBB2_890
; %bb.36731:
	s_getpc_b64 s[14:15]
.Lpost_getpc21949:
	s_add_u32 s14, s14, (.LBB2_15228-.Lpost_getpc21949)&4294967295
	s_addc_u32 s15, s15, (.LBB2_15228-.Lpost_getpc21949)>>32
	s_setpc_b64 s[14:15]
.LBB2_890:
	s_or_b64 exec, exec, s[6:7]
	s_and_saveexec_b64 s[6:7], s[4:5]
	s_cbranch_execz .LBB2_892
.LBB2_891:
	v_bfe_u32 v2, v9, 24, 3
	v_ffbh_u32_e32 v7, v2
	v_min_u32_e32 v7, 32, v7
	v_lshrrev_b32_e32 v4, 27, v9
	v_subrev_u32_e32 v8, 28, v7
	v_and_b32_e32 v4, 15, v4
	v_lshlrev_b32_sdwa v8, v8, v9 dst_sel:DWORD dst_unused:UNUSED_PAD src0_sel:DWORD src1_sel:BYTE_3
	v_bfe_u32 v6, v9, 27, 4
	v_sub_u32_e32 v7, 29, v7
	v_and_b32_e32 v8, 7, v8
	v_cmp_eq_u16_e32 vcc, 0, v4
	v_cndmask_b32_e32 v2, v2, v8, vcc
	v_cndmask_b32_e32 v4, v6, v7, vcc
	v_mov_b32_e32 v6, 0x3b800000
	v_and_b32_e32 v3, 0x80000000, v9
	v_lshlrev_b32_e32 v2, 20, v2
	v_lshl_add_u32 v4, v4, 23, v6
	v_or3_b32 v2, v3, v4, v2
.LBB2_892:
	s_or_b64 exec, exec, s[6:7]
	s_movk_i32 s4, 0x7f
	v_cmp_gt_i16_sdwa s[6:7], v5, s4 src0_sel:BYTE_3 src1_sel:DWORD
	s_mov_b64 s[4:5], 0
                                        ; implicit-def: $sgpr10
	s_and_saveexec_b64 s[8:9], s[6:7]
	s_xor_b64 s[6:7], exec, s[8:9]
	s_cbranch_execz .LBB2_893
; %bb.36733:
	s_getpc_b64 s[14:15]
.Lpost_getpc21950:
	s_add_u32 s14, s14, (.LBB2_15229-.Lpost_getpc21950)&4294967295
	s_addc_u32 s15, s15, (.LBB2_15229-.Lpost_getpc21950)>>32
	s_setpc_b64 s[14:15]
.LBB2_893:
	s_or_saveexec_b64 s[6:7], s[6:7]
	v_mov_b32_e32 v3, s10
	s_xor_b64 exec, exec, s[6:7]
	s_cbranch_execz .LBB2_894
; %bb.36735:
	s_getpc_b64 s[14:15]
.Lpost_getpc21951:
	s_add_u32 s14, s14, (.LBB2_15232-.Lpost_getpc21951)&4294967295
	s_addc_u32 s15, s15, (.LBB2_15232-.Lpost_getpc21951)>>32
	s_setpc_b64 s[14:15]
.LBB2_894:
	s_or_b64 exec, exec, s[6:7]
	s_and_saveexec_b64 s[6:7], s[4:5]
	s_cbranch_execz .LBB2_896
.LBB2_895:
	v_bfe_u32 v3, v5, 24, 3
	v_ffbh_u32_e32 v8, v3
	v_min_u32_e32 v8, 32, v8
	v_lshrrev_b32_e32 v6, 27, v5
	v_subrev_u32_e32 v9, 28, v8
	v_and_b32_e32 v4, 0x80000000, v5
	v_and_b32_e32 v6, 15, v6
	v_bfe_u32 v7, v5, 27, 4
	v_lshlrev_b32_sdwa v5, v9, v5 dst_sel:DWORD dst_unused:UNUSED_PAD src0_sel:DWORD src1_sel:BYTE_3
	v_sub_u32_e32 v8, 29, v8
	v_and_b32_e32 v5, 7, v5
	v_cmp_eq_u16_e32 vcc, 0, v6
	v_cndmask_b32_e32 v3, v3, v5, vcc
	v_cndmask_b32_e32 v5, v7, v8, vcc
	v_mov_b32_e32 v6, 0x3b800000
	v_lshlrev_b32_e32 v3, 20, v3
	v_lshl_add_u32 v5, v5, 23, v6
	v_or3_b32 v3, v4, v5, v3
.LBB2_896:
	s_or_b64 exec, exec, s[6:7]
	s_nop 0
	v_mfma_f32_16x16x4f32 a[0:3], v2, v3, a[0:3]
	s_movk_i32 s4, 0x7f
                                        ; implicit-def: $sgpr10
	s_nop 7
	s_nop 1
	flat_store_dwordx4 v[10:11], a[0:3] offset:96
	flat_load_dwordx4 v[12:15], v[0:1]
	s_nop 0
	flat_load_dwordx2 v[10:11], v[0:1] offset:16
	s_waitcnt vmcnt(0) lgkmcnt(0)
	flat_load_dwordx4 v[6:9], v[12:13]
	flat_load_dwordx4 v[2:5], v[14:15] offset:112
	s_waitcnt vmcnt(0) lgkmcnt(0)
	v_cmp_gt_i16_sdwa s[6:7], v6, s4 src0_sel:BYTE_0 src1_sel:DWORD
	s_mov_b64 s[4:5], 0
	s_and_saveexec_b64 s[8:9], s[6:7]
	s_xor_b64 s[6:7], exec, s[8:9]
	s_cbranch_execz .LBB2_897
; %bb.36737:
	s_getpc_b64 s[14:15]
.Lpost_getpc21952:
	s_add_u32 s14, s14, (.LBB2_15233-.Lpost_getpc21952)&4294967295
	s_addc_u32 s15, s15, (.LBB2_15233-.Lpost_getpc21952)>>32
	s_setpc_b64 s[14:15]
.LBB2_897:
	s_or_saveexec_b64 s[6:7], s[6:7]
	v_mov_b32_e32 v12, s10
	s_xor_b64 exec, exec, s[6:7]
	s_cbranch_execz .LBB2_898
; %bb.36739:
	s_getpc_b64 s[14:15]
.Lpost_getpc21953:
	s_add_u32 s14, s14, (.LBB2_15236-.Lpost_getpc21953)&4294967295
	s_addc_u32 s15, s15, (.LBB2_15236-.Lpost_getpc21953)>>32
	s_setpc_b64 s[14:15]
.LBB2_898:
	s_or_b64 exec, exec, s[6:7]
	s_and_saveexec_b64 s[6:7], s[4:5]
	s_cbranch_execz .LBB2_900
.LBB2_899:
	v_and_b32_e32 v12, 7, v6
	v_ffbh_u32_e32 v14, v12
	v_min_u32_e32 v14, 32, v14
	v_lshrrev_b16_e32 v13, 3, v6
	v_subrev_u32_e32 v15, 28, v14
	v_and_b32_e32 v13, 15, v13
	v_lshlrev_b32_e32 v15, v15, v6
	v_sub_u32_e32 v14, 29, v14
	v_and_b32_e32 v15, 7, v15
	v_cmp_eq_u16_e32 vcc, 0, v13
	v_cndmask_b32_e32 v12, v12, v15, vcc
	v_cndmask_b32_e32 v13, v13, v14, vcc
	v_lshlrev_b32_e32 v14, 24, v6
	v_mov_b32_e32 v15, 0x3b800000
	v_lshlrev_b32_e32 v12, 20, v12
	v_and_b32_e32 v14, 0x80000000, v14
	v_lshl_add_u32 v13, v13, 23, v15
	v_or3_b32 v12, v14, v13, v12
.LBB2_900:
	s_or_b64 exec, exec, s[6:7]
	s_movk_i32 s4, 0x7f
	v_cmp_gt_i16_sdwa s[6:7], v2, s4 src0_sel:BYTE_0 src1_sel:DWORD
	s_mov_b64 s[4:5], 0
                                        ; implicit-def: $sgpr10
	s_and_saveexec_b64 s[8:9], s[6:7]
	s_xor_b64 s[6:7], exec, s[8:9]
	s_cbranch_execz .LBB2_901
; %bb.36741:
	s_getpc_b64 s[14:15]
.Lpost_getpc21954:
	s_add_u32 s14, s14, (.LBB2_15237-.Lpost_getpc21954)&4294967295
	s_addc_u32 s15, s15, (.LBB2_15237-.Lpost_getpc21954)>>32
	s_setpc_b64 s[14:15]
.LBB2_901:
	s_or_saveexec_b64 s[6:7], s[6:7]
	v_mov_b32_e32 v13, s10
	s_xor_b64 exec, exec, s[6:7]
	s_cbranch_execz .LBB2_902
; %bb.36743:
	s_getpc_b64 s[14:15]
.Lpost_getpc21955:
	s_add_u32 s14, s14, (.LBB2_15240-.Lpost_getpc21955)&4294967295
	s_addc_u32 s15, s15, (.LBB2_15240-.Lpost_getpc21955)>>32
	s_setpc_b64 s[14:15]
.LBB2_902:
	s_or_b64 exec, exec, s[6:7]
	s_and_saveexec_b64 s[6:7], s[4:5]
	s_cbranch_execz .LBB2_904
.LBB2_903:
	v_and_b32_e32 v13, 7, v2
	v_ffbh_u32_e32 v15, v13
	v_min_u32_e32 v15, 32, v15
	v_lshrrev_b16_e32 v14, 3, v2
	v_subrev_u32_e32 v16, 28, v15
	v_and_b32_e32 v14, 15, v14
	v_lshlrev_b32_e32 v16, v16, v2
	v_sub_u32_e32 v15, 29, v15
	v_and_b32_e32 v16, 7, v16
	v_cmp_eq_u16_e32 vcc, 0, v14
	v_cndmask_b32_e32 v13, v13, v16, vcc
	v_cndmask_b32_e32 v14, v14, v15, vcc
	v_lshlrev_b32_e32 v15, 24, v2
	v_mov_b32_e32 v16, 0x3b800000
	v_lshlrev_b32_e32 v13, 20, v13
	v_and_b32_e32 v15, 0x80000000, v15
	v_lshl_add_u32 v14, v14, 23, v16
	v_or3_b32 v13, v15, v14, v13
.LBB2_904:
	s_or_b64 exec, exec, s[6:7]
	flat_load_dwordx4 a[0:3], v[10:11] offset:112
	s_movk_i32 s4, 0x7f
                                        ; implicit-def: $sgpr10
	s_waitcnt vmcnt(0) lgkmcnt(0)
	v_mfma_f32_16x16x4f32 a[0:3], v12, v13, a[0:3]
	v_lshrrev_b32_e32 v13, 8, v6
	v_cmp_gt_i16_sdwa s[6:7], v13, s4 src0_sel:BYTE_0 src1_sel:DWORD
	s_mov_b64 s[4:5], 0
	s_and_saveexec_b64 s[8:9], s[6:7]
	s_xor_b64 s[6:7], exec, s[8:9]
	s_cbranch_execz .LBB2_905
; %bb.36745:
	s_getpc_b64 s[14:15]
.Lpost_getpc21956:
	s_add_u32 s14, s14, (.LBB2_15241-.Lpost_getpc21956)&4294967295
	s_addc_u32 s15, s15, (.LBB2_15241-.Lpost_getpc21956)>>32
	s_setpc_b64 s[14:15]
.LBB2_905:
	s_or_saveexec_b64 s[6:7], s[6:7]
	v_mov_b32_e32 v12, s10
	s_xor_b64 exec, exec, s[6:7]
	s_cbranch_execz .LBB2_906
; %bb.36747:
	s_getpc_b64 s[14:15]
.Lpost_getpc21957:
	s_add_u32 s14, s14, (.LBB2_15244-.Lpost_getpc21957)&4294967295
	s_addc_u32 s15, s15, (.LBB2_15244-.Lpost_getpc21957)>>32
	s_setpc_b64 s[14:15]
.LBB2_906:
	s_or_b64 exec, exec, s[6:7]
	s_and_saveexec_b64 s[6:7], s[4:5]
	s_cbranch_execz .LBB2_908
.LBB2_907:
	v_bfe_u32 v12, v6, 8, 3
	v_ffbh_u32_e32 v15, v12
	v_min_u32_e32 v15, 32, v15
	v_lshrrev_b16_e32 v14, 3, v13
	v_subrev_u32_e32 v16, 28, v15
	v_and_b32_e32 v14, 15, v14
	v_lshlrev_b32_e32 v13, v16, v13
	v_sub_u32_e32 v15, 29, v15
	v_and_b32_e32 v13, 7, v13
	v_cmp_eq_u16_e32 vcc, 0, v14
	v_cndmask_b32_e32 v12, v12, v13, vcc
	v_cndmask_b32_e32 v13, v14, v15, vcc
	v_lshlrev_b32_e32 v14, 16, v6
	v_mov_b32_e32 v15, 0x3b800000
	v_lshlrev_b32_e32 v12, 20, v12
	v_and_b32_e32 v14, 0x80000000, v14
	v_lshl_add_u32 v13, v13, 23, v15
	v_or3_b32 v12, v14, v13, v12
.LBB2_908:
	s_or_b64 exec, exec, s[6:7]
	v_lshrrev_b32_e32 v13, 8, v2
	s_movk_i32 s4, 0x7f
	v_cmp_gt_i16_sdwa s[6:7], v13, s4 src0_sel:BYTE_0 src1_sel:DWORD
	s_mov_b64 s[4:5], 0
                                        ; implicit-def: $sgpr10
	s_and_saveexec_b64 s[8:9], s[6:7]
	s_xor_b64 s[6:7], exec, s[8:9]
	s_cbranch_execz .LBB2_909
; %bb.36749:
	s_getpc_b64 s[14:15]
.Lpost_getpc21958:
	s_add_u32 s14, s14, (.LBB2_15245-.Lpost_getpc21958)&4294967295
	s_addc_u32 s15, s15, (.LBB2_15245-.Lpost_getpc21958)>>32
	s_setpc_b64 s[14:15]
.LBB2_909:
	s_or_saveexec_b64 s[6:7], s[6:7]
	v_mov_b32_e32 v14, s10
	s_xor_b64 exec, exec, s[6:7]
	s_cbranch_execz .LBB2_910
; %bb.36751:
	s_getpc_b64 s[14:15]
.Lpost_getpc21959:
	s_add_u32 s14, s14, (.LBB2_15248-.Lpost_getpc21959)&4294967295
	s_addc_u32 s15, s15, (.LBB2_15248-.Lpost_getpc21959)>>32
	s_setpc_b64 s[14:15]
.LBB2_910:
	s_or_b64 exec, exec, s[6:7]
	s_and_saveexec_b64 s[6:7], s[4:5]
	s_cbranch_execz .LBB2_912
.LBB2_911:
	v_bfe_u32 v14, v2, 8, 3
	v_ffbh_u32_e32 v16, v14
	v_min_u32_e32 v16, 32, v16
	v_lshrrev_b16_e32 v15, 3, v13
	v_subrev_u32_e32 v17, 28, v16
	v_and_b32_e32 v15, 15, v15
	v_lshlrev_b32_e32 v13, v17, v13
	v_sub_u32_e32 v16, 29, v16
	v_and_b32_e32 v13, 7, v13
	v_cmp_eq_u16_e32 vcc, 0, v15
	v_cndmask_b32_e32 v13, v14, v13, vcc
	v_cndmask_b32_e32 v14, v15, v16, vcc
	v_lshlrev_b32_e32 v15, 16, v2
	v_mov_b32_e32 v16, 0x3b800000
	v_lshlrev_b32_e32 v13, 20, v13
	v_and_b32_e32 v15, 0x80000000, v15
	v_lshl_add_u32 v14, v14, 23, v16
	v_or3_b32 v14, v15, v14, v13
.LBB2_912:
	s_or_b64 exec, exec, s[6:7]
	s_nop 0
	v_mfma_f32_16x16x4f32 a[0:3], v12, v14, a[0:3]
	s_movk_i32 s4, 0xff
	v_and_b32_sdwa v13, v6, s4 dst_sel:DWORD dst_unused:UNUSED_PAD src0_sel:WORD_1 src1_sel:DWORD
	s_movk_i32 s4, 0x7f
	v_cmp_lt_i16_e32 vcc, s4, v13
	s_mov_b64 s[4:5], 0
                                        ; implicit-def: $sgpr10
	s_and_saveexec_b64 s[6:7], vcc
	s_xor_b64 s[6:7], exec, s[6:7]
	s_cbranch_execz .LBB2_913
; %bb.36753:
	s_getpc_b64 s[14:15]
.Lpost_getpc21960:
	s_add_u32 s14, s14, (.LBB2_15249-.Lpost_getpc21960)&4294967295
	s_addc_u32 s15, s15, (.LBB2_15249-.Lpost_getpc21960)>>32
	s_setpc_b64 s[14:15]
.LBB2_913:
	s_or_saveexec_b64 s[6:7], s[6:7]
	v_mov_b32_e32 v12, s10
	s_xor_b64 exec, exec, s[6:7]
	s_cbranch_execz .LBB2_914
; %bb.36755:
	s_getpc_b64 s[14:15]
.Lpost_getpc21961:
	s_add_u32 s14, s14, (.LBB2_15252-.Lpost_getpc21961)&4294967295
	s_addc_u32 s15, s15, (.LBB2_15252-.Lpost_getpc21961)>>32
	s_setpc_b64 s[14:15]
.LBB2_914:
	s_or_b64 exec, exec, s[6:7]
	s_and_saveexec_b64 s[6:7], s[4:5]
	s_cbranch_execz .LBB2_916
.LBB2_915:
	v_bfe_u32 v12, v6, 16, 3
	v_ffbh_u32_e32 v15, v12
	v_min_u32_e32 v15, 32, v15
	v_lshrrev_b32_e32 v13, 19, v6
	v_subrev_u32_e32 v16, 28, v15
	v_and_b32_e32 v13, 15, v13
	v_lshlrev_b32_sdwa v16, v16, v6 dst_sel:DWORD dst_unused:UNUSED_PAD src0_sel:DWORD src1_sel:WORD_1
	v_bfe_u32 v14, v6, 19, 4
	v_sub_u32_e32 v15, 29, v15
	v_and_b32_e32 v16, 7, v16
	v_cmp_eq_u16_e32 vcc, 0, v13
	v_cndmask_b32_e32 v12, v12, v16, vcc
	v_cndmask_b32_e32 v13, v14, v15, vcc
	v_lshlrev_b32_e32 v14, 8, v6
	v_mov_b32_e32 v15, 0x3b800000
	v_lshlrev_b32_e32 v12, 20, v12
	v_and_b32_e32 v14, 0x80000000, v14
	v_lshl_add_u32 v13, v13, 23, v15
	v_or3_b32 v12, v14, v13, v12
.LBB2_916:
	s_or_b64 exec, exec, s[6:7]
	s_movk_i32 s4, 0xff
	v_and_b32_sdwa v13, v2, s4 dst_sel:DWORD dst_unused:UNUSED_PAD src0_sel:WORD_1 src1_sel:DWORD
	s_movk_i32 s4, 0x7f
	v_cmp_lt_i16_e32 vcc, s4, v13
	s_mov_b64 s[4:5], 0
                                        ; implicit-def: $sgpr10
	s_and_saveexec_b64 s[6:7], vcc
	s_xor_b64 s[6:7], exec, s[6:7]
	s_cbranch_execz .LBB2_917
; %bb.36757:
	s_getpc_b64 s[14:15]
.Lpost_getpc21962:
	s_add_u32 s14, s14, (.LBB2_15253-.Lpost_getpc21962)&4294967295
	s_addc_u32 s15, s15, (.LBB2_15253-.Lpost_getpc21962)>>32
	s_setpc_b64 s[14:15]
.LBB2_917:
	s_or_saveexec_b64 s[6:7], s[6:7]
	v_mov_b32_e32 v14, s10
	s_xor_b64 exec, exec, s[6:7]
	s_cbranch_execz .LBB2_918
; %bb.36759:
	s_getpc_b64 s[14:15]
.Lpost_getpc21963:
	s_add_u32 s14, s14, (.LBB2_15256-.Lpost_getpc21963)&4294967295
	s_addc_u32 s15, s15, (.LBB2_15256-.Lpost_getpc21963)>>32
	s_setpc_b64 s[14:15]
.LBB2_918:
	s_or_b64 exec, exec, s[6:7]
	s_and_saveexec_b64 s[6:7], s[4:5]
	s_cbranch_execz .LBB2_920
.LBB2_919:
	v_bfe_u32 v13, v2, 16, 3
	v_ffbh_u32_e32 v16, v13
	v_min_u32_e32 v16, 32, v16
	v_lshrrev_b32_e32 v14, 19, v2
	v_subrev_u32_e32 v17, 28, v16
	v_and_b32_e32 v14, 15, v14
	v_lshlrev_b32_sdwa v17, v17, v2 dst_sel:DWORD dst_unused:UNUSED_PAD src0_sel:DWORD src1_sel:WORD_1
	v_bfe_u32 v15, v2, 19, 4
	v_sub_u32_e32 v16, 29, v16
	v_and_b32_e32 v17, 7, v17
	v_cmp_eq_u16_e32 vcc, 0, v14
	v_cndmask_b32_e32 v13, v13, v17, vcc
	v_cndmask_b32_e32 v14, v15, v16, vcc
	v_lshlrev_b32_e32 v15, 8, v2
	v_mov_b32_e32 v16, 0x3b800000
	v_lshlrev_b32_e32 v13, 20, v13
	v_and_b32_e32 v15, 0x80000000, v15
	v_lshl_add_u32 v14, v14, 23, v16
	v_or3_b32 v14, v15, v14, v13
.LBB2_920:
	s_or_b64 exec, exec, s[6:7]
	s_nop 0
	v_mfma_f32_16x16x4f32 a[0:3], v12, v14, a[0:3]
	s_movk_i32 s4, 0x7f
	v_cmp_gt_i16_sdwa s[6:7], v6, s4 src0_sel:BYTE_3 src1_sel:DWORD
	s_mov_b64 s[4:5], 0
                                        ; implicit-def: $sgpr10
	s_and_saveexec_b64 s[8:9], s[6:7]
	s_xor_b64 s[6:7], exec, s[8:9]
	s_cbranch_execz .LBB2_921
; %bb.36761:
	s_getpc_b64 s[14:15]
.Lpost_getpc21964:
	s_add_u32 s14, s14, (.LBB2_15257-.Lpost_getpc21964)&4294967295
	s_addc_u32 s15, s15, (.LBB2_15257-.Lpost_getpc21964)>>32
	s_setpc_b64 s[14:15]
.LBB2_921:
	s_or_saveexec_b64 s[6:7], s[6:7]
	v_mov_b32_e32 v12, s10
	s_xor_b64 exec, exec, s[6:7]
	s_cbranch_execz .LBB2_922
; %bb.36763:
	s_getpc_b64 s[14:15]
.Lpost_getpc21965:
	s_add_u32 s14, s14, (.LBB2_15260-.Lpost_getpc21965)&4294967295
	s_addc_u32 s15, s15, (.LBB2_15260-.Lpost_getpc21965)>>32
	s_setpc_b64 s[14:15]
.LBB2_922:
	s_or_b64 exec, exec, s[6:7]
	s_and_saveexec_b64 s[6:7], s[4:5]
	s_cbranch_execz .LBB2_924
.LBB2_923:
	v_bfe_u32 v12, v6, 24, 3
	v_ffbh_u32_e32 v16, v12
	v_min_u32_e32 v16, 32, v16
	v_lshrrev_b32_e32 v14, 27, v6
	v_subrev_u32_e32 v17, 28, v16
	v_and_b32_e32 v13, 0x80000000, v6
	v_and_b32_e32 v14, 15, v14
	v_bfe_u32 v15, v6, 27, 4
	v_lshlrev_b32_sdwa v6, v17, v6 dst_sel:DWORD dst_unused:UNUSED_PAD src0_sel:DWORD src1_sel:BYTE_3
	v_sub_u32_e32 v16, 29, v16
	v_and_b32_e32 v6, 7, v6
	v_cmp_eq_u16_e32 vcc, 0, v14
	v_cndmask_b32_e32 v6, v12, v6, vcc
	v_cndmask_b32_e32 v12, v15, v16, vcc
	v_mov_b32_e32 v14, 0x3b800000
	v_lshlrev_b32_e32 v6, 20, v6
	v_lshl_add_u32 v12, v12, 23, v14
	v_or3_b32 v12, v13, v12, v6
.LBB2_924:
	s_or_b64 exec, exec, s[6:7]
	s_movk_i32 s4, 0x7f
	v_cmp_gt_i16_sdwa s[6:7], v2, s4 src0_sel:BYTE_3 src1_sel:DWORD
	s_mov_b64 s[4:5], 0
                                        ; implicit-def: $sgpr10
	s_and_saveexec_b64 s[8:9], s[6:7]
	s_xor_b64 s[6:7], exec, s[8:9]
	s_cbranch_execz .LBB2_925
; %bb.36765:
	s_getpc_b64 s[14:15]
.Lpost_getpc21966:
	s_add_u32 s14, s14, (.LBB2_15261-.Lpost_getpc21966)&4294967295
	s_addc_u32 s15, s15, (.LBB2_15261-.Lpost_getpc21966)>>32
	s_setpc_b64 s[14:15]
.LBB2_925:
	s_or_saveexec_b64 s[6:7], s[6:7]
	v_mov_b32_e32 v6, s10
	s_xor_b64 exec, exec, s[6:7]
	s_cbranch_execz .LBB2_926
; %bb.36767:
	s_getpc_b64 s[14:15]
.Lpost_getpc21967:
	s_add_u32 s14, s14, (.LBB2_15264-.Lpost_getpc21967)&4294967295
	s_addc_u32 s15, s15, (.LBB2_15264-.Lpost_getpc21967)>>32
	s_setpc_b64 s[14:15]
.LBB2_926:
	s_or_b64 exec, exec, s[6:7]
	s_and_saveexec_b64 s[6:7], s[4:5]
	s_cbranch_execz .LBB2_928
.LBB2_927:
	v_bfe_u32 v6, v2, 24, 3
	v_ffbh_u32_e32 v16, v6
	v_min_u32_e32 v16, 32, v16
	v_lshrrev_b32_e32 v14, 27, v2
	v_subrev_u32_e32 v17, 28, v16
	v_and_b32_e32 v13, 0x80000000, v2
	v_and_b32_e32 v14, 15, v14
	v_bfe_u32 v15, v2, 27, 4
	v_lshlrev_b32_sdwa v2, v17, v2 dst_sel:DWORD dst_unused:UNUSED_PAD src0_sel:DWORD src1_sel:BYTE_3
	v_sub_u32_e32 v16, 29, v16
	v_and_b32_e32 v2, 7, v2
	v_cmp_eq_u16_e32 vcc, 0, v14
	v_cndmask_b32_e32 v2, v6, v2, vcc
	v_cndmask_b32_e32 v6, v15, v16, vcc
	v_mov_b32_e32 v14, 0x3b800000
	v_lshlrev_b32_e32 v2, 20, v2
	v_lshl_add_u32 v6, v6, 23, v14
	v_or3_b32 v6, v13, v6, v2
.LBB2_928:
	s_or_b64 exec, exec, s[6:7]
	s_nop 0
	v_mfma_f32_16x16x4f32 a[0:3], v12, v6, a[0:3]
	s_movk_i32 s4, 0x7f
	v_cmp_gt_i16_sdwa s[6:7], v7, s4 src0_sel:BYTE_0 src1_sel:DWORD
	s_mov_b64 s[4:5], 0
                                        ; implicit-def: $sgpr10
	s_and_saveexec_b64 s[8:9], s[6:7]
	s_xor_b64 s[6:7], exec, s[8:9]
	s_cbranch_execz .LBB2_929
; %bb.36769:
	s_getpc_b64 s[14:15]
.Lpost_getpc21968:
	s_add_u32 s14, s14, (.LBB2_15265-.Lpost_getpc21968)&4294967295
	s_addc_u32 s15, s15, (.LBB2_15265-.Lpost_getpc21968)>>32
	s_setpc_b64 s[14:15]
.LBB2_929:
	s_or_saveexec_b64 s[6:7], s[6:7]
	v_mov_b32_e32 v2, s10
	s_xor_b64 exec, exec, s[6:7]
	s_cbranch_execz .LBB2_930
; %bb.36771:
	s_getpc_b64 s[14:15]
.Lpost_getpc21969:
	s_add_u32 s14, s14, (.LBB2_15268-.Lpost_getpc21969)&4294967295
	s_addc_u32 s15, s15, (.LBB2_15268-.Lpost_getpc21969)>>32
	s_setpc_b64 s[14:15]
.LBB2_930:
	s_or_b64 exec, exec, s[6:7]
	s_and_saveexec_b64 s[6:7], s[4:5]
	s_cbranch_execz .LBB2_932
.LBB2_931:
	v_and_b32_e32 v2, 7, v7
	v_ffbh_u32_e32 v12, v2
	v_min_u32_e32 v12, 32, v12
	v_lshrrev_b16_e32 v6, 3, v7
	v_subrev_u32_e32 v13, 28, v12
	v_and_b32_e32 v6, 15, v6
	v_lshlrev_b32_e32 v13, v13, v7
	v_sub_u32_e32 v12, 29, v12
	v_and_b32_e32 v13, 7, v13
	v_cmp_eq_u16_e32 vcc, 0, v6
	v_cndmask_b32_e32 v2, v2, v13, vcc
	v_cndmask_b32_e32 v6, v6, v12, vcc
	v_lshlrev_b32_e32 v12, 24, v7
	v_mov_b32_e32 v13, 0x3b800000
	v_lshlrev_b32_e32 v2, 20, v2
	v_and_b32_e32 v12, 0x80000000, v12
	v_lshl_add_u32 v6, v6, 23, v13
	v_or3_b32 v2, v12, v6, v2
.LBB2_932:
	s_or_b64 exec, exec, s[6:7]
	s_movk_i32 s4, 0x7f
	v_cmp_gt_i16_sdwa s[6:7], v3, s4 src0_sel:BYTE_0 src1_sel:DWORD
	s_mov_b64 s[4:5], 0
                                        ; implicit-def: $sgpr10
	s_and_saveexec_b64 s[8:9], s[6:7]
	s_xor_b64 s[6:7], exec, s[8:9]
	s_cbranch_execz .LBB2_933
; %bb.36773:
	s_getpc_b64 s[14:15]
.Lpost_getpc21970:
	s_add_u32 s14, s14, (.LBB2_15269-.Lpost_getpc21970)&4294967295
	s_addc_u32 s15, s15, (.LBB2_15269-.Lpost_getpc21970)>>32
	s_setpc_b64 s[14:15]
.LBB2_933:
	s_or_saveexec_b64 s[6:7], s[6:7]
	v_mov_b32_e32 v6, s10
	s_xor_b64 exec, exec, s[6:7]
	s_cbranch_execz .LBB2_934
; %bb.36775:
	s_getpc_b64 s[14:15]
.Lpost_getpc21971:
	s_add_u32 s14, s14, (.LBB2_15272-.Lpost_getpc21971)&4294967295
	s_addc_u32 s15, s15, (.LBB2_15272-.Lpost_getpc21971)>>32
	s_setpc_b64 s[14:15]
.LBB2_934:
	s_or_b64 exec, exec, s[6:7]
	s_and_saveexec_b64 s[6:7], s[4:5]
	s_cbranch_execz .LBB2_936
.LBB2_935:
	v_and_b32_e32 v6, 7, v3
	v_ffbh_u32_e32 v13, v6
	v_min_u32_e32 v13, 32, v13
	v_lshrrev_b16_e32 v12, 3, v3
	v_subrev_u32_e32 v14, 28, v13
	v_and_b32_e32 v12, 15, v12
	v_lshlrev_b32_e32 v14, v14, v3
	v_sub_u32_e32 v13, 29, v13
	v_and_b32_e32 v14, 7, v14
	v_cmp_eq_u16_e32 vcc, 0, v12
	v_cndmask_b32_e32 v6, v6, v14, vcc
	v_cndmask_b32_e32 v12, v12, v13, vcc
	v_lshlrev_b32_e32 v13, 24, v3
	v_mov_b32_e32 v14, 0x3b800000
	v_lshlrev_b32_e32 v6, 20, v6
	v_and_b32_e32 v13, 0x80000000, v13
	v_lshl_add_u32 v12, v12, 23, v14
	v_or3_b32 v6, v13, v12, v6
.LBB2_936:
	s_or_b64 exec, exec, s[6:7]
	s_nop 0
	v_mfma_f32_16x16x4f32 a[0:3], v2, v6, a[0:3]
	v_lshrrev_b32_e32 v6, 8, v7
	s_movk_i32 s4, 0x7f
	v_cmp_gt_i16_sdwa s[6:7], v6, s4 src0_sel:BYTE_0 src1_sel:DWORD
	s_mov_b64 s[4:5], 0
                                        ; implicit-def: $sgpr10
	s_and_saveexec_b64 s[8:9], s[6:7]
	s_xor_b64 s[6:7], exec, s[8:9]
	s_cbranch_execz .LBB2_937
; %bb.36777:
	s_getpc_b64 s[14:15]
.Lpost_getpc21972:
	s_add_u32 s14, s14, (.LBB2_15273-.Lpost_getpc21972)&4294967295
	s_addc_u32 s15, s15, (.LBB2_15273-.Lpost_getpc21972)>>32
	s_setpc_b64 s[14:15]
.LBB2_937:
	s_or_saveexec_b64 s[6:7], s[6:7]
	v_mov_b32_e32 v2, s10
	s_xor_b64 exec, exec, s[6:7]
	s_cbranch_execz .LBB2_938
; %bb.36779:
	s_getpc_b64 s[14:15]
.Lpost_getpc21973:
	s_add_u32 s14, s14, (.LBB2_15276-.Lpost_getpc21973)&4294967295
	s_addc_u32 s15, s15, (.LBB2_15276-.Lpost_getpc21973)>>32
	s_setpc_b64 s[14:15]
.LBB2_938:
	s_or_b64 exec, exec, s[6:7]
	s_and_saveexec_b64 s[6:7], s[4:5]
	s_cbranch_execz .LBB2_940
.LBB2_939:
	v_bfe_u32 v2, v7, 8, 3
	v_ffbh_u32_e32 v13, v2
	v_min_u32_e32 v13, 32, v13
	v_lshrrev_b16_e32 v12, 3, v6
	v_subrev_u32_e32 v14, 28, v13
	v_and_b32_e32 v12, 15, v12
	v_lshlrev_b32_e32 v6, v14, v6
	v_sub_u32_e32 v13, 29, v13
	v_and_b32_e32 v6, 7, v6
	v_cmp_eq_u16_e32 vcc, 0, v12
	v_cndmask_b32_e32 v2, v2, v6, vcc
	v_cndmask_b32_e32 v6, v12, v13, vcc
	v_lshlrev_b32_e32 v12, 16, v7
	v_mov_b32_e32 v13, 0x3b800000
	v_lshlrev_b32_e32 v2, 20, v2
	v_and_b32_e32 v12, 0x80000000, v12
	v_lshl_add_u32 v6, v6, 23, v13
	v_or3_b32 v2, v12, v6, v2
.LBB2_940:
	s_or_b64 exec, exec, s[6:7]
	v_lshrrev_b32_e32 v6, 8, v3
	s_movk_i32 s4, 0x7f
	v_cmp_gt_i16_sdwa s[6:7], v6, s4 src0_sel:BYTE_0 src1_sel:DWORD
	s_mov_b64 s[4:5], 0
                                        ; implicit-def: $sgpr10
	s_and_saveexec_b64 s[8:9], s[6:7]
	s_xor_b64 s[6:7], exec, s[8:9]
	s_cbranch_execz .LBB2_941
; %bb.36781:
	s_getpc_b64 s[14:15]
.Lpost_getpc21974:
	s_add_u32 s14, s14, (.LBB2_15277-.Lpost_getpc21974)&4294967295
	s_addc_u32 s15, s15, (.LBB2_15277-.Lpost_getpc21974)>>32
	s_setpc_b64 s[14:15]
.LBB2_941:
	s_or_saveexec_b64 s[6:7], s[6:7]
	v_mov_b32_e32 v12, s10
	s_xor_b64 exec, exec, s[6:7]
	s_cbranch_execz .LBB2_942
; %bb.36783:
	s_getpc_b64 s[14:15]
.Lpost_getpc21975:
	s_add_u32 s14, s14, (.LBB2_15280-.Lpost_getpc21975)&4294967295
	s_addc_u32 s15, s15, (.LBB2_15280-.Lpost_getpc21975)>>32
	s_setpc_b64 s[14:15]
.LBB2_942:
	s_or_b64 exec, exec, s[6:7]
	s_and_saveexec_b64 s[6:7], s[4:5]
	s_cbranch_execz .LBB2_944
.LBB2_943:
	v_bfe_u32 v12, v3, 8, 3
	v_ffbh_u32_e32 v14, v12
	v_min_u32_e32 v14, 32, v14
	v_lshrrev_b16_e32 v13, 3, v6
	v_subrev_u32_e32 v15, 28, v14
	v_and_b32_e32 v13, 15, v13
	v_lshlrev_b32_e32 v6, v15, v6
	v_sub_u32_e32 v14, 29, v14
	v_and_b32_e32 v6, 7, v6
	v_cmp_eq_u16_e32 vcc, 0, v13
	v_cndmask_b32_e32 v6, v12, v6, vcc
	v_cndmask_b32_e32 v12, v13, v14, vcc
	v_lshlrev_b32_e32 v13, 16, v3
	v_mov_b32_e32 v14, 0x3b800000
	v_lshlrev_b32_e32 v6, 20, v6
	v_and_b32_e32 v13, 0x80000000, v13
	v_lshl_add_u32 v12, v12, 23, v14
	v_or3_b32 v12, v13, v12, v6
.LBB2_944:
	s_or_b64 exec, exec, s[6:7]
	s_nop 0
	v_mfma_f32_16x16x4f32 a[0:3], v2, v12, a[0:3]
	s_movk_i32 s4, 0xff
	v_and_b32_sdwa v6, v7, s4 dst_sel:DWORD dst_unused:UNUSED_PAD src0_sel:WORD_1 src1_sel:DWORD
	s_movk_i32 s4, 0x7f
	v_cmp_lt_i16_e32 vcc, s4, v6
	s_mov_b64 s[4:5], 0
                                        ; implicit-def: $sgpr10
	s_and_saveexec_b64 s[6:7], vcc
	s_xor_b64 s[6:7], exec, s[6:7]
	s_cbranch_execz .LBB2_945
; %bb.36785:
	s_getpc_b64 s[14:15]
.Lpost_getpc21976:
	s_add_u32 s14, s14, (.LBB2_15281-.Lpost_getpc21976)&4294967295
	s_addc_u32 s15, s15, (.LBB2_15281-.Lpost_getpc21976)>>32
	s_setpc_b64 s[14:15]
.LBB2_945:
	s_or_saveexec_b64 s[6:7], s[6:7]
	v_mov_b32_e32 v2, s10
	s_xor_b64 exec, exec, s[6:7]
	s_cbranch_execz .LBB2_946
; %bb.36787:
	s_getpc_b64 s[14:15]
.Lpost_getpc21977:
	s_add_u32 s14, s14, (.LBB2_15284-.Lpost_getpc21977)&4294967295
	s_addc_u32 s15, s15, (.LBB2_15284-.Lpost_getpc21977)>>32
	s_setpc_b64 s[14:15]
.LBB2_946:
	s_or_b64 exec, exec, s[6:7]
	s_and_saveexec_b64 s[6:7], s[4:5]
	s_cbranch_execz .LBB2_948
.LBB2_947:
	v_bfe_u32 v2, v7, 16, 3
	v_ffbh_u32_e32 v13, v2
	v_min_u32_e32 v13, 32, v13
	v_lshrrev_b32_e32 v6, 19, v7
	v_subrev_u32_e32 v14, 28, v13
	v_and_b32_e32 v6, 15, v6
	v_lshlrev_b32_sdwa v14, v14, v7 dst_sel:DWORD dst_unused:UNUSED_PAD src0_sel:DWORD src1_sel:WORD_1
	v_bfe_u32 v12, v7, 19, 4
	v_sub_u32_e32 v13, 29, v13
	v_and_b32_e32 v14, 7, v14
	v_cmp_eq_u16_e32 vcc, 0, v6
	v_cndmask_b32_e32 v2, v2, v14, vcc
	v_cndmask_b32_e32 v6, v12, v13, vcc
	v_lshlrev_b32_e32 v12, 8, v7
	v_mov_b32_e32 v13, 0x3b800000
	v_lshlrev_b32_e32 v2, 20, v2
	v_and_b32_e32 v12, 0x80000000, v12
	v_lshl_add_u32 v6, v6, 23, v13
	v_or3_b32 v2, v12, v6, v2
.LBB2_948:
	s_or_b64 exec, exec, s[6:7]
	s_movk_i32 s4, 0xff
	v_and_b32_sdwa v6, v3, s4 dst_sel:DWORD dst_unused:UNUSED_PAD src0_sel:WORD_1 src1_sel:DWORD
	s_movk_i32 s4, 0x7f
	v_cmp_lt_i16_e32 vcc, s4, v6
	s_mov_b64 s[4:5], 0
                                        ; implicit-def: $sgpr10
	s_and_saveexec_b64 s[6:7], vcc
	s_xor_b64 s[6:7], exec, s[6:7]
	s_cbranch_execz .LBB2_949
; %bb.36789:
	s_getpc_b64 s[14:15]
.Lpost_getpc21978:
	s_add_u32 s14, s14, (.LBB2_15285-.Lpost_getpc21978)&4294967295
	s_addc_u32 s15, s15, (.LBB2_15285-.Lpost_getpc21978)>>32
	s_setpc_b64 s[14:15]
.LBB2_949:
	s_or_saveexec_b64 s[6:7], s[6:7]
	v_mov_b32_e32 v12, s10
	s_xor_b64 exec, exec, s[6:7]
	s_cbranch_execz .LBB2_950
; %bb.36791:
	s_getpc_b64 s[14:15]
.Lpost_getpc21979:
	s_add_u32 s14, s14, (.LBB2_15288-.Lpost_getpc21979)&4294967295
	s_addc_u32 s15, s15, (.LBB2_15288-.Lpost_getpc21979)>>32
	s_setpc_b64 s[14:15]
.LBB2_950:
	s_or_b64 exec, exec, s[6:7]
	s_and_saveexec_b64 s[6:7], s[4:5]
	s_cbranch_execz .LBB2_952
.LBB2_951:
	v_bfe_u32 v6, v3, 16, 3
	v_ffbh_u32_e32 v14, v6
	v_min_u32_e32 v14, 32, v14
	v_lshrrev_b32_e32 v12, 19, v3
	v_subrev_u32_e32 v15, 28, v14
	v_and_b32_e32 v12, 15, v12
	v_lshlrev_b32_sdwa v15, v15, v3 dst_sel:DWORD dst_unused:UNUSED_PAD src0_sel:DWORD src1_sel:WORD_1
	v_bfe_u32 v13, v3, 19, 4
	v_sub_u32_e32 v14, 29, v14
	v_and_b32_e32 v15, 7, v15
	v_cmp_eq_u16_e32 vcc, 0, v12
	v_cndmask_b32_e32 v6, v6, v15, vcc
	v_cndmask_b32_e32 v12, v13, v14, vcc
	v_lshlrev_b32_e32 v13, 8, v3
	v_mov_b32_e32 v14, 0x3b800000
	v_lshlrev_b32_e32 v6, 20, v6
	v_and_b32_e32 v13, 0x80000000, v13
	v_lshl_add_u32 v12, v12, 23, v14
	v_or3_b32 v12, v13, v12, v6
.LBB2_952:
	s_or_b64 exec, exec, s[6:7]
	s_nop 0
	v_mfma_f32_16x16x4f32 a[0:3], v2, v12, a[0:3]
	s_movk_i32 s4, 0x7f
	v_cmp_gt_i16_sdwa s[6:7], v7, s4 src0_sel:BYTE_3 src1_sel:DWORD
	s_mov_b64 s[4:5], 0
                                        ; implicit-def: $sgpr10
	s_and_saveexec_b64 s[8:9], s[6:7]
	s_xor_b64 s[6:7], exec, s[8:9]
	s_cbranch_execz .LBB2_953
; %bb.36793:
	s_getpc_b64 s[14:15]
.Lpost_getpc21980:
	s_add_u32 s14, s14, (.LBB2_15289-.Lpost_getpc21980)&4294967295
	s_addc_u32 s15, s15, (.LBB2_15289-.Lpost_getpc21980)>>32
	s_setpc_b64 s[14:15]
.LBB2_953:
	s_or_saveexec_b64 s[6:7], s[6:7]
	v_mov_b32_e32 v2, s10
	s_xor_b64 exec, exec, s[6:7]
	s_cbranch_execz .LBB2_954
; %bb.36795:
	s_getpc_b64 s[14:15]
.Lpost_getpc21981:
	s_add_u32 s14, s14, (.LBB2_15292-.Lpost_getpc21981)&4294967295
	s_addc_u32 s15, s15, (.LBB2_15292-.Lpost_getpc21981)>>32
	s_setpc_b64 s[14:15]
.LBB2_954:
	s_or_b64 exec, exec, s[6:7]
	s_and_saveexec_b64 s[6:7], s[4:5]
	s_cbranch_execz .LBB2_956
.LBB2_955:
	v_bfe_u32 v2, v7, 24, 3
	v_ffbh_u32_e32 v14, v2
	v_min_u32_e32 v14, 32, v14
	v_lshrrev_b32_e32 v12, 27, v7
	v_subrev_u32_e32 v15, 28, v14
	v_and_b32_e32 v6, 0x80000000, v7
	v_and_b32_e32 v12, 15, v12
	v_bfe_u32 v13, v7, 27, 4
	v_lshlrev_b32_sdwa v7, v15, v7 dst_sel:DWORD dst_unused:UNUSED_PAD src0_sel:DWORD src1_sel:BYTE_3
	v_sub_u32_e32 v14, 29, v14
	v_and_b32_e32 v7, 7, v7
	v_cmp_eq_u16_e32 vcc, 0, v12
	v_cndmask_b32_e32 v2, v2, v7, vcc
	v_cndmask_b32_e32 v7, v13, v14, vcc
	v_mov_b32_e32 v12, 0x3b800000
	v_lshlrev_b32_e32 v2, 20, v2
	v_lshl_add_u32 v7, v7, 23, v12
	v_or3_b32 v2, v6, v7, v2
.LBB2_956:
	s_or_b64 exec, exec, s[6:7]
	s_movk_i32 s4, 0x7f
	v_cmp_gt_i16_sdwa s[6:7], v3, s4 src0_sel:BYTE_3 src1_sel:DWORD
	s_mov_b64 s[4:5], 0
                                        ; implicit-def: $sgpr10
	s_and_saveexec_b64 s[8:9], s[6:7]
	s_xor_b64 s[6:7], exec, s[8:9]
	s_cbranch_execz .LBB2_957
; %bb.36797:
	s_getpc_b64 s[14:15]
.Lpost_getpc21982:
	s_add_u32 s14, s14, (.LBB2_15293-.Lpost_getpc21982)&4294967295
	s_addc_u32 s15, s15, (.LBB2_15293-.Lpost_getpc21982)>>32
	s_setpc_b64 s[14:15]
.LBB2_957:
	s_or_saveexec_b64 s[6:7], s[6:7]
	v_mov_b32_e32 v6, s10
	s_xor_b64 exec, exec, s[6:7]
	s_cbranch_execz .LBB2_958
; %bb.36799:
	s_getpc_b64 s[14:15]
.Lpost_getpc21983:
	s_add_u32 s14, s14, (.LBB2_15296-.Lpost_getpc21983)&4294967295
	s_addc_u32 s15, s15, (.LBB2_15296-.Lpost_getpc21983)>>32
	s_setpc_b64 s[14:15]
.LBB2_958:
	s_or_b64 exec, exec, s[6:7]
	s_and_saveexec_b64 s[6:7], s[4:5]
	s_cbranch_execz .LBB2_960
.LBB2_959:
	v_bfe_u32 v6, v3, 24, 3
	v_ffbh_u32_e32 v14, v6
	v_min_u32_e32 v14, 32, v14
	v_lshrrev_b32_e32 v12, 27, v3
	v_subrev_u32_e32 v15, 28, v14
	v_and_b32_e32 v7, 0x80000000, v3
	v_and_b32_e32 v12, 15, v12
	v_bfe_u32 v13, v3, 27, 4
	v_lshlrev_b32_sdwa v3, v15, v3 dst_sel:DWORD dst_unused:UNUSED_PAD src0_sel:DWORD src1_sel:BYTE_3
	v_sub_u32_e32 v14, 29, v14
	v_and_b32_e32 v3, 7, v3
	v_cmp_eq_u16_e32 vcc, 0, v12
	v_cndmask_b32_e32 v3, v6, v3, vcc
	v_cndmask_b32_e32 v6, v13, v14, vcc
	v_mov_b32_e32 v12, 0x3b800000
	v_lshlrev_b32_e32 v3, 20, v3
	v_lshl_add_u32 v6, v6, 23, v12
	v_or3_b32 v6, v7, v6, v3
.LBB2_960:
	s_or_b64 exec, exec, s[6:7]
	s_nop 0
	v_mfma_f32_16x16x4f32 a[0:3], v2, v6, a[0:3]
	s_movk_i32 s4, 0x7f
	v_cmp_gt_i16_sdwa s[6:7], v8, s4 src0_sel:BYTE_0 src1_sel:DWORD
	s_mov_b64 s[4:5], 0
                                        ; implicit-def: $sgpr10
	s_and_saveexec_b64 s[8:9], s[6:7]
	s_xor_b64 s[6:7], exec, s[8:9]
	s_cbranch_execz .LBB2_961
; %bb.36801:
	s_getpc_b64 s[14:15]
.Lpost_getpc21984:
	s_add_u32 s14, s14, (.LBB2_15297-.Lpost_getpc21984)&4294967295
	s_addc_u32 s15, s15, (.LBB2_15297-.Lpost_getpc21984)>>32
	s_setpc_b64 s[14:15]
.LBB2_961:
	s_or_saveexec_b64 s[6:7], s[6:7]
	v_mov_b32_e32 v2, s10
	s_xor_b64 exec, exec, s[6:7]
	s_cbranch_execz .LBB2_962
; %bb.36803:
	s_getpc_b64 s[14:15]
.Lpost_getpc21985:
	s_add_u32 s14, s14, (.LBB2_15300-.Lpost_getpc21985)&4294967295
	s_addc_u32 s15, s15, (.LBB2_15300-.Lpost_getpc21985)>>32
	s_setpc_b64 s[14:15]
.LBB2_962:
	s_or_b64 exec, exec, s[6:7]
	s_and_saveexec_b64 s[6:7], s[4:5]
	s_cbranch_execz .LBB2_964
.LBB2_963:
	v_and_b32_e32 v2, 7, v8
	v_ffbh_u32_e32 v6, v2
	v_min_u32_e32 v6, 32, v6
	v_lshrrev_b16_e32 v3, 3, v8
	v_subrev_u32_e32 v7, 28, v6
	v_and_b32_e32 v3, 15, v3
	v_lshlrev_b32_e32 v7, v7, v8
	v_sub_u32_e32 v6, 29, v6
	v_and_b32_e32 v7, 7, v7
	v_cmp_eq_u16_e32 vcc, 0, v3
	v_cndmask_b32_e32 v2, v2, v7, vcc
	v_cndmask_b32_e32 v3, v3, v6, vcc
	v_lshlrev_b32_e32 v6, 24, v8
	v_mov_b32_e32 v7, 0x3b800000
	v_lshlrev_b32_e32 v2, 20, v2
	v_and_b32_e32 v6, 0x80000000, v6
	v_lshl_add_u32 v3, v3, 23, v7
	v_or3_b32 v2, v6, v3, v2
.LBB2_964:
	s_or_b64 exec, exec, s[6:7]
	s_movk_i32 s4, 0x7f
	v_cmp_gt_i16_sdwa s[6:7], v4, s4 src0_sel:BYTE_0 src1_sel:DWORD
	s_mov_b64 s[4:5], 0
                                        ; implicit-def: $sgpr10
	s_and_saveexec_b64 s[8:9], s[6:7]
	s_xor_b64 s[6:7], exec, s[8:9]
	s_cbranch_execz .LBB2_965
; %bb.36805:
	s_getpc_b64 s[14:15]
.Lpost_getpc21986:
	s_add_u32 s14, s14, (.LBB2_15301-.Lpost_getpc21986)&4294967295
	s_addc_u32 s15, s15, (.LBB2_15301-.Lpost_getpc21986)>>32
	s_setpc_b64 s[14:15]
.LBB2_965:
	s_or_saveexec_b64 s[6:7], s[6:7]
	v_mov_b32_e32 v3, s10
	s_xor_b64 exec, exec, s[6:7]
	s_cbranch_execz .LBB2_966
; %bb.36807:
	s_getpc_b64 s[14:15]
.Lpost_getpc21987:
	s_add_u32 s14, s14, (.LBB2_15304-.Lpost_getpc21987)&4294967295
	s_addc_u32 s15, s15, (.LBB2_15304-.Lpost_getpc21987)>>32
	s_setpc_b64 s[14:15]
.LBB2_966:
	s_or_b64 exec, exec, s[6:7]
	s_and_saveexec_b64 s[6:7], s[4:5]
	s_cbranch_execz .LBB2_968
.LBB2_967:
	v_and_b32_e32 v3, 7, v4
	v_ffbh_u32_e32 v7, v3
	v_min_u32_e32 v7, 32, v7
	v_lshrrev_b16_e32 v6, 3, v4
	v_subrev_u32_e32 v12, 28, v7
	v_and_b32_e32 v6, 15, v6
	v_lshlrev_b32_e32 v12, v12, v4
	v_sub_u32_e32 v7, 29, v7
	v_and_b32_e32 v12, 7, v12
	v_cmp_eq_u16_e32 vcc, 0, v6
	v_cndmask_b32_e32 v3, v3, v12, vcc
	v_cndmask_b32_e32 v6, v6, v7, vcc
	v_lshlrev_b32_e32 v7, 24, v4
	v_mov_b32_e32 v12, 0x3b800000
	v_lshlrev_b32_e32 v3, 20, v3
	v_and_b32_e32 v7, 0x80000000, v7
	v_lshl_add_u32 v6, v6, 23, v12
	v_or3_b32 v3, v7, v6, v3
.LBB2_968:
	s_or_b64 exec, exec, s[6:7]
	s_nop 0
	v_mfma_f32_16x16x4f32 a[0:3], v2, v3, a[0:3]
	v_lshrrev_b32_e32 v3, 8, v8
	s_movk_i32 s4, 0x7f
	v_cmp_gt_i16_sdwa s[6:7], v3, s4 src0_sel:BYTE_0 src1_sel:DWORD
	s_mov_b64 s[4:5], 0
                                        ; implicit-def: $sgpr10
	s_and_saveexec_b64 s[8:9], s[6:7]
	s_xor_b64 s[6:7], exec, s[8:9]
	s_cbranch_execz .LBB2_969
; %bb.36809:
	s_getpc_b64 s[14:15]
.Lpost_getpc21988:
	s_add_u32 s14, s14, (.LBB2_15305-.Lpost_getpc21988)&4294967295
	s_addc_u32 s15, s15, (.LBB2_15305-.Lpost_getpc21988)>>32
	s_setpc_b64 s[14:15]
.LBB2_969:
	s_or_saveexec_b64 s[6:7], s[6:7]
	v_mov_b32_e32 v2, s10
	s_xor_b64 exec, exec, s[6:7]
	s_cbranch_execz .LBB2_970
; %bb.36811:
	s_getpc_b64 s[14:15]
.Lpost_getpc21989:
	s_add_u32 s14, s14, (.LBB2_15308-.Lpost_getpc21989)&4294967295
	s_addc_u32 s15, s15, (.LBB2_15308-.Lpost_getpc21989)>>32
	s_setpc_b64 s[14:15]
.LBB2_970:
	s_or_b64 exec, exec, s[6:7]
	s_and_saveexec_b64 s[6:7], s[4:5]
	s_cbranch_execz .LBB2_972
.LBB2_971:
	v_bfe_u32 v2, v8, 8, 3
	v_ffbh_u32_e32 v7, v2
	v_min_u32_e32 v7, 32, v7
	v_lshrrev_b16_e32 v6, 3, v3
	v_subrev_u32_e32 v12, 28, v7
	v_and_b32_e32 v6, 15, v6
	v_lshlrev_b32_e32 v3, v12, v3
	v_sub_u32_e32 v7, 29, v7
	v_and_b32_e32 v3, 7, v3
	v_cmp_eq_u16_e32 vcc, 0, v6
	v_cndmask_b32_e32 v2, v2, v3, vcc
	v_cndmask_b32_e32 v3, v6, v7, vcc
	v_lshlrev_b32_e32 v6, 16, v8
	v_mov_b32_e32 v7, 0x3b800000
	v_lshlrev_b32_e32 v2, 20, v2
	v_and_b32_e32 v6, 0x80000000, v6
	v_lshl_add_u32 v3, v3, 23, v7
	v_or3_b32 v2, v6, v3, v2
.LBB2_972:
	s_or_b64 exec, exec, s[6:7]
	v_lshrrev_b32_e32 v3, 8, v4
	s_movk_i32 s4, 0x7f
	v_cmp_gt_i16_sdwa s[6:7], v3, s4 src0_sel:BYTE_0 src1_sel:DWORD
	s_mov_b64 s[4:5], 0
                                        ; implicit-def: $sgpr10
	s_and_saveexec_b64 s[8:9], s[6:7]
	s_xor_b64 s[6:7], exec, s[8:9]
	s_cbranch_execz .LBB2_973
; %bb.36813:
	s_getpc_b64 s[14:15]
.Lpost_getpc21990:
	s_add_u32 s14, s14, (.LBB2_15309-.Lpost_getpc21990)&4294967295
	s_addc_u32 s15, s15, (.LBB2_15309-.Lpost_getpc21990)>>32
	s_setpc_b64 s[14:15]
.LBB2_973:
	s_or_saveexec_b64 s[6:7], s[6:7]
	v_mov_b32_e32 v6, s10
	s_xor_b64 exec, exec, s[6:7]
	s_cbranch_execz .LBB2_974
; %bb.36815:
	s_getpc_b64 s[14:15]
.Lpost_getpc21991:
	s_add_u32 s14, s14, (.LBB2_15312-.Lpost_getpc21991)&4294967295
	s_addc_u32 s15, s15, (.LBB2_15312-.Lpost_getpc21991)>>32
	s_setpc_b64 s[14:15]
.LBB2_974:
	s_or_b64 exec, exec, s[6:7]
	s_and_saveexec_b64 s[6:7], s[4:5]
	s_cbranch_execz .LBB2_976
.LBB2_975:
	v_bfe_u32 v6, v4, 8, 3
	v_ffbh_u32_e32 v12, v6
	v_min_u32_e32 v12, 32, v12
	v_lshrrev_b16_e32 v7, 3, v3
	v_subrev_u32_e32 v13, 28, v12
	v_and_b32_e32 v7, 15, v7
	v_lshlrev_b32_e32 v3, v13, v3
	v_sub_u32_e32 v12, 29, v12
	v_and_b32_e32 v3, 7, v3
	v_cmp_eq_u16_e32 vcc, 0, v7
	v_cndmask_b32_e32 v3, v6, v3, vcc
	v_cndmask_b32_e32 v6, v7, v12, vcc
	v_lshlrev_b32_e32 v7, 16, v4
	v_mov_b32_e32 v12, 0x3b800000
	v_lshlrev_b32_e32 v3, 20, v3
	v_and_b32_e32 v7, 0x80000000, v7
	v_lshl_add_u32 v6, v6, 23, v12
	v_or3_b32 v6, v7, v6, v3
.LBB2_976:
	s_or_b64 exec, exec, s[6:7]
	s_nop 0
	v_mfma_f32_16x16x4f32 a[0:3], v2, v6, a[0:3]
	s_movk_i32 s4, 0xff
	v_and_b32_sdwa v3, v8, s4 dst_sel:DWORD dst_unused:UNUSED_PAD src0_sel:WORD_1 src1_sel:DWORD
	s_movk_i32 s4, 0x7f
	v_cmp_lt_i16_e32 vcc, s4, v3
	s_mov_b64 s[4:5], 0
                                        ; implicit-def: $sgpr10
	s_and_saveexec_b64 s[6:7], vcc
	s_xor_b64 s[6:7], exec, s[6:7]
	s_cbranch_execz .LBB2_977
; %bb.36817:
	s_getpc_b64 s[14:15]
.Lpost_getpc21992:
	s_add_u32 s14, s14, (.LBB2_15313-.Lpost_getpc21992)&4294967295
	s_addc_u32 s15, s15, (.LBB2_15313-.Lpost_getpc21992)>>32
	s_setpc_b64 s[14:15]
.LBB2_977:
	s_or_saveexec_b64 s[6:7], s[6:7]
	v_mov_b32_e32 v2, s10
	s_xor_b64 exec, exec, s[6:7]
	s_cbranch_execz .LBB2_978
; %bb.36819:
	s_getpc_b64 s[14:15]
.Lpost_getpc21993:
	s_add_u32 s14, s14, (.LBB2_15316-.Lpost_getpc21993)&4294967295
	s_addc_u32 s15, s15, (.LBB2_15316-.Lpost_getpc21993)>>32
	s_setpc_b64 s[14:15]
.LBB2_978:
	s_or_b64 exec, exec, s[6:7]
	s_and_saveexec_b64 s[6:7], s[4:5]
	s_cbranch_execz .LBB2_980
.LBB2_979:
	v_bfe_u32 v2, v8, 16, 3
	v_ffbh_u32_e32 v7, v2
	v_min_u32_e32 v7, 32, v7
	v_lshrrev_b32_e32 v3, 19, v8
	v_subrev_u32_e32 v12, 28, v7
	v_and_b32_e32 v3, 15, v3
	v_lshlrev_b32_sdwa v12, v12, v8 dst_sel:DWORD dst_unused:UNUSED_PAD src0_sel:DWORD src1_sel:WORD_1
	v_bfe_u32 v6, v8, 19, 4
	v_sub_u32_e32 v7, 29, v7
	v_and_b32_e32 v12, 7, v12
	v_cmp_eq_u16_e32 vcc, 0, v3
	v_cndmask_b32_e32 v2, v2, v12, vcc
	v_cndmask_b32_e32 v3, v6, v7, vcc
	v_lshlrev_b32_e32 v6, 8, v8
	v_mov_b32_e32 v7, 0x3b800000
	v_lshlrev_b32_e32 v2, 20, v2
	v_and_b32_e32 v6, 0x80000000, v6
	v_lshl_add_u32 v3, v3, 23, v7
	v_or3_b32 v2, v6, v3, v2
.LBB2_980:
	s_or_b64 exec, exec, s[6:7]
	s_movk_i32 s4, 0xff
	v_and_b32_sdwa v3, v4, s4 dst_sel:DWORD dst_unused:UNUSED_PAD src0_sel:WORD_1 src1_sel:DWORD
	s_movk_i32 s4, 0x7f
	v_cmp_lt_i16_e32 vcc, s4, v3
	s_mov_b64 s[4:5], 0
                                        ; implicit-def: $sgpr10
	s_and_saveexec_b64 s[6:7], vcc
	s_xor_b64 s[6:7], exec, s[6:7]
	s_cbranch_execz .LBB2_981
; %bb.36821:
	s_getpc_b64 s[14:15]
.Lpost_getpc21994:
	s_add_u32 s14, s14, (.LBB2_15317-.Lpost_getpc21994)&4294967295
	s_addc_u32 s15, s15, (.LBB2_15317-.Lpost_getpc21994)>>32
	s_setpc_b64 s[14:15]
.LBB2_981:
	s_or_saveexec_b64 s[6:7], s[6:7]
	v_mov_b32_e32 v6, s10
	s_xor_b64 exec, exec, s[6:7]
	s_cbranch_execz .LBB2_982
; %bb.36823:
	s_getpc_b64 s[14:15]
.Lpost_getpc21995:
	s_add_u32 s14, s14, (.LBB2_15320-.Lpost_getpc21995)&4294967295
	s_addc_u32 s15, s15, (.LBB2_15320-.Lpost_getpc21995)>>32
	s_setpc_b64 s[14:15]
.LBB2_982:
	s_or_b64 exec, exec, s[6:7]
	s_and_saveexec_b64 s[6:7], s[4:5]
	s_cbranch_execz .LBB2_984
.LBB2_983:
	v_bfe_u32 v3, v4, 16, 3
	v_ffbh_u32_e32 v12, v3
	v_min_u32_e32 v12, 32, v12
	v_lshrrev_b32_e32 v6, 19, v4
	v_subrev_u32_e32 v13, 28, v12
	v_and_b32_e32 v6, 15, v6
	v_lshlrev_b32_sdwa v13, v13, v4 dst_sel:DWORD dst_unused:UNUSED_PAD src0_sel:DWORD src1_sel:WORD_1
	v_bfe_u32 v7, v4, 19, 4
	v_sub_u32_e32 v12, 29, v12
	v_and_b32_e32 v13, 7, v13
	v_cmp_eq_u16_e32 vcc, 0, v6
	v_cndmask_b32_e32 v3, v3, v13, vcc
	v_cndmask_b32_e32 v6, v7, v12, vcc
	v_lshlrev_b32_e32 v7, 8, v4
	v_mov_b32_e32 v12, 0x3b800000
	v_lshlrev_b32_e32 v3, 20, v3
	v_and_b32_e32 v7, 0x80000000, v7
	v_lshl_add_u32 v6, v6, 23, v12
	v_or3_b32 v6, v7, v6, v3
.LBB2_984:
	s_or_b64 exec, exec, s[6:7]
	s_nop 0
	v_mfma_f32_16x16x4f32 a[0:3], v2, v6, a[0:3]
	s_movk_i32 s4, 0x7f
	v_cmp_gt_i16_sdwa s[6:7], v8, s4 src0_sel:BYTE_3 src1_sel:DWORD
	s_mov_b64 s[4:5], 0
                                        ; implicit-def: $sgpr10
	s_and_saveexec_b64 s[8:9], s[6:7]
	s_xor_b64 s[6:7], exec, s[8:9]
	s_cbranch_execz .LBB2_985
; %bb.36825:
	s_getpc_b64 s[14:15]
.Lpost_getpc21996:
	s_add_u32 s14, s14, (.LBB2_15321-.Lpost_getpc21996)&4294967295
	s_addc_u32 s15, s15, (.LBB2_15321-.Lpost_getpc21996)>>32
	s_setpc_b64 s[14:15]
.LBB2_985:
	s_or_saveexec_b64 s[6:7], s[6:7]
	v_mov_b32_e32 v2, s10
	s_xor_b64 exec, exec, s[6:7]
	s_cbranch_execz .LBB2_986
; %bb.36827:
	s_getpc_b64 s[14:15]
.Lpost_getpc21997:
	s_add_u32 s14, s14, (.LBB2_15324-.Lpost_getpc21997)&4294967295
	s_addc_u32 s15, s15, (.LBB2_15324-.Lpost_getpc21997)>>32
	s_setpc_b64 s[14:15]
.LBB2_986:
	s_or_b64 exec, exec, s[6:7]
	s_and_saveexec_b64 s[6:7], s[4:5]
	s_cbranch_execz .LBB2_988
.LBB2_987:
	v_bfe_u32 v2, v8, 24, 3
	v_ffbh_u32_e32 v12, v2
	v_min_u32_e32 v12, 32, v12
	v_lshrrev_b32_e32 v6, 27, v8
	v_subrev_u32_e32 v13, 28, v12
	v_and_b32_e32 v3, 0x80000000, v8
	v_and_b32_e32 v6, 15, v6
	v_bfe_u32 v7, v8, 27, 4
	v_lshlrev_b32_sdwa v8, v13, v8 dst_sel:DWORD dst_unused:UNUSED_PAD src0_sel:DWORD src1_sel:BYTE_3
	v_sub_u32_e32 v12, 29, v12
	v_and_b32_e32 v8, 7, v8
	v_cmp_eq_u16_e32 vcc, 0, v6
	v_cndmask_b32_e32 v2, v2, v8, vcc
	v_cndmask_b32_e32 v6, v7, v12, vcc
	v_mov_b32_e32 v7, 0x3b800000
	v_lshlrev_b32_e32 v2, 20, v2
	v_lshl_add_u32 v6, v6, 23, v7
	v_or3_b32 v2, v3, v6, v2
.LBB2_988:
	s_or_b64 exec, exec, s[6:7]
	s_movk_i32 s4, 0x7f
	v_cmp_gt_i16_sdwa s[6:7], v4, s4 src0_sel:BYTE_3 src1_sel:DWORD
	s_mov_b64 s[4:5], 0
                                        ; implicit-def: $sgpr10
	s_and_saveexec_b64 s[8:9], s[6:7]
	s_xor_b64 s[6:7], exec, s[8:9]
	s_cbranch_execz .LBB2_989
; %bb.36829:
	s_getpc_b64 s[14:15]
.Lpost_getpc21998:
	s_add_u32 s14, s14, (.LBB2_15325-.Lpost_getpc21998)&4294967295
	s_addc_u32 s15, s15, (.LBB2_15325-.Lpost_getpc21998)>>32
	s_setpc_b64 s[14:15]
.LBB2_989:
	s_or_saveexec_b64 s[6:7], s[6:7]
	v_mov_b32_e32 v3, s10
	s_xor_b64 exec, exec, s[6:7]
	s_cbranch_execz .LBB2_990
; %bb.36831:
	s_getpc_b64 s[14:15]
.Lpost_getpc21999:
	s_add_u32 s14, s14, (.LBB2_15328-.Lpost_getpc21999)&4294967295
	s_addc_u32 s15, s15, (.LBB2_15328-.Lpost_getpc21999)>>32
	s_setpc_b64 s[14:15]
.LBB2_990:
	s_or_b64 exec, exec, s[6:7]
	s_and_saveexec_b64 s[6:7], s[4:5]
	s_cbranch_execz .LBB2_992
.LBB2_991:
	v_bfe_u32 v3, v4, 24, 3
	v_ffbh_u32_e32 v12, v3
	v_min_u32_e32 v12, 32, v12
	v_lshrrev_b32_e32 v7, 27, v4
	v_subrev_u32_e32 v13, 28, v12
	v_and_b32_e32 v6, 0x80000000, v4
	v_and_b32_e32 v7, 15, v7
	v_bfe_u32 v8, v4, 27, 4
	v_lshlrev_b32_sdwa v4, v13, v4 dst_sel:DWORD dst_unused:UNUSED_PAD src0_sel:DWORD src1_sel:BYTE_3
	v_sub_u32_e32 v12, 29, v12
	v_and_b32_e32 v4, 7, v4
	v_cmp_eq_u16_e32 vcc, 0, v7
	v_cndmask_b32_e32 v3, v3, v4, vcc
	v_cndmask_b32_e32 v4, v8, v12, vcc
	v_mov_b32_e32 v7, 0x3b800000
	v_lshlrev_b32_e32 v3, 20, v3
	v_lshl_add_u32 v4, v4, 23, v7
	v_or3_b32 v3, v6, v4, v3
.LBB2_992:
	s_or_b64 exec, exec, s[6:7]
	s_nop 0
	v_mfma_f32_16x16x4f32 a[0:3], v2, v3, a[0:3]
	s_movk_i32 s4, 0x7f
	v_cmp_gt_i16_sdwa s[6:7], v9, s4 src0_sel:BYTE_0 src1_sel:DWORD
	s_mov_b64 s[4:5], 0
                                        ; implicit-def: $sgpr10
	s_and_saveexec_b64 s[8:9], s[6:7]
	s_xor_b64 s[6:7], exec, s[8:9]
	s_cbranch_execz .LBB2_993
; %bb.36833:
	s_getpc_b64 s[14:15]
.Lpost_getpc22000:
	s_add_u32 s14, s14, (.LBB2_15329-.Lpost_getpc22000)&4294967295
	s_addc_u32 s15, s15, (.LBB2_15329-.Lpost_getpc22000)>>32
	s_setpc_b64 s[14:15]
.LBB2_993:
	s_or_saveexec_b64 s[6:7], s[6:7]
	v_mov_b32_e32 v2, s10
	s_xor_b64 exec, exec, s[6:7]
	s_cbranch_execz .LBB2_994
; %bb.36835:
	s_getpc_b64 s[14:15]
.Lpost_getpc22001:
	s_add_u32 s14, s14, (.LBB2_15332-.Lpost_getpc22001)&4294967295
	s_addc_u32 s15, s15, (.LBB2_15332-.Lpost_getpc22001)>>32
	s_setpc_b64 s[14:15]
.LBB2_994:
	s_or_b64 exec, exec, s[6:7]
	s_and_saveexec_b64 s[6:7], s[4:5]
	s_cbranch_execz .LBB2_996
.LBB2_995:
	v_mov_b32_e32 v2, 8
	v_and_b32_e32 v3, 7, v9
	v_lshrrev_b32_sdwa v2, v2, v9 dst_sel:BYTE_1 dst_unused:UNUSED_PAD src0_sel:DWORD src1_sel:DWORD
	v_ffbh_u32_e32 v4, v3
	v_or_b32_sdwa v2, v9, v2 dst_sel:DWORD dst_unused:UNUSED_PAD src0_sel:BYTE_0 src1_sel:DWORD
	v_min_u32_e32 v4, 32, v4
	v_lshrrev_b16_e32 v2, 3, v2
	v_subrev_u32_e32 v6, 28, v4
	v_and_b32_e32 v2, 15, v2
	v_lshlrev_b32_e32 v6, v6, v9
	v_sub_u32_e32 v4, 29, v4
	v_and_b32_e32 v6, 7, v6
	v_cmp_eq_u16_e32 vcc, 0, v2
	v_cndmask_b32_e32 v3, v3, v6, vcc
	v_cndmask_b32_e32 v2, v2, v4, vcc
	v_lshlrev_b32_e32 v4, 24, v9
	v_mov_b32_e32 v6, 0x3b800000
	v_lshlrev_b32_e32 v3, 20, v3
	v_and_b32_e32 v4, 0x80000000, v4
	v_lshl_add_u32 v2, v2, 23, v6
	v_or3_b32 v2, v4, v2, v3
.LBB2_996:
	s_or_b64 exec, exec, s[6:7]
	s_movk_i32 s4, 0x7f
	v_cmp_gt_i16_sdwa s[6:7], v5, s4 src0_sel:BYTE_0 src1_sel:DWORD
	s_mov_b64 s[4:5], 0
                                        ; implicit-def: $sgpr10
	s_and_saveexec_b64 s[8:9], s[6:7]
	s_xor_b64 s[6:7], exec, s[8:9]
	s_cbranch_execz .LBB2_997
; %bb.36837:
	s_getpc_b64 s[14:15]
.Lpost_getpc22002:
	s_add_u32 s14, s14, (.LBB2_15333-.Lpost_getpc22002)&4294967295
	s_addc_u32 s15, s15, (.LBB2_15333-.Lpost_getpc22002)>>32
	s_setpc_b64 s[14:15]
.LBB2_997:
	s_or_saveexec_b64 s[6:7], s[6:7]
	v_mov_b32_e32 v3, s10
	s_xor_b64 exec, exec, s[6:7]
	s_cbranch_execz .LBB2_998
; %bb.36839:
	s_getpc_b64 s[14:15]
.Lpost_getpc22003:
	s_add_u32 s14, s14, (.LBB2_15336-.Lpost_getpc22003)&4294967295
	s_addc_u32 s15, s15, (.LBB2_15336-.Lpost_getpc22003)>>32
	s_setpc_b64 s[14:15]
.LBB2_998:
	s_or_b64 exec, exec, s[6:7]
	s_and_saveexec_b64 s[6:7], s[4:5]
	s_cbranch_execz .LBB2_1000
.LBB2_999:
	v_mov_b32_e32 v3, 8
	v_and_b32_e32 v4, 7, v5
	v_lshrrev_b32_sdwa v3, v3, v5 dst_sel:BYTE_1 dst_unused:UNUSED_PAD src0_sel:DWORD src1_sel:DWORD
	v_ffbh_u32_e32 v6, v4
	v_or_b32_sdwa v3, v5, v3 dst_sel:DWORD dst_unused:UNUSED_PAD src0_sel:BYTE_0 src1_sel:DWORD
	v_min_u32_e32 v6, 32, v6
	v_lshrrev_b16_e32 v3, 3, v3
	v_subrev_u32_e32 v7, 28, v6
	v_and_b32_e32 v3, 15, v3
	v_lshlrev_b32_e32 v7, v7, v5
	v_sub_u32_e32 v6, 29, v6
	v_and_b32_e32 v7, 7, v7
	v_cmp_eq_u16_e32 vcc, 0, v3
	v_cndmask_b32_e32 v4, v4, v7, vcc
	v_cndmask_b32_e32 v3, v3, v6, vcc
	v_lshlrev_b32_e32 v6, 24, v5
	v_mov_b32_e32 v7, 0x3b800000
	v_lshlrev_b32_e32 v4, 20, v4
	v_and_b32_e32 v6, 0x80000000, v6
	v_lshl_add_u32 v3, v3, 23, v7
	v_or3_b32 v3, v6, v3, v4
.LBB2_1000:
	s_or_b64 exec, exec, s[6:7]
	s_nop 0
	v_mfma_f32_16x16x4f32 a[0:3], v2, v3, a[0:3]
	v_lshrrev_b32_e32 v3, 8, v9
	s_movk_i32 s4, 0x7f
	v_cmp_gt_i16_sdwa s[6:7], v3, s4 src0_sel:BYTE_0 src1_sel:DWORD
	s_mov_b64 s[4:5], 0
                                        ; implicit-def: $sgpr10
	s_and_saveexec_b64 s[8:9], s[6:7]
	s_xor_b64 s[6:7], exec, s[8:9]
	s_cbranch_execz .LBB2_1001
; %bb.36841:
	s_getpc_b64 s[14:15]
.Lpost_getpc22004:
	s_add_u32 s14, s14, (.LBB2_15337-.Lpost_getpc22004)&4294967295
	s_addc_u32 s15, s15, (.LBB2_15337-.Lpost_getpc22004)>>32
	s_setpc_b64 s[14:15]
.LBB2_1001:
	s_or_saveexec_b64 s[6:7], s[6:7]
	v_mov_b32_e32 v2, s10
	s_xor_b64 exec, exec, s[6:7]
	s_cbranch_execz .LBB2_1002
; %bb.36843:
	s_getpc_b64 s[14:15]
.Lpost_getpc22005:
	s_add_u32 s14, s14, (.LBB2_15340-.Lpost_getpc22005)&4294967295
	s_addc_u32 s15, s15, (.LBB2_15340-.Lpost_getpc22005)>>32
	s_setpc_b64 s[14:15]
.LBB2_1002:
	s_or_b64 exec, exec, s[6:7]
	s_and_saveexec_b64 s[6:7], s[4:5]
	s_cbranch_execz .LBB2_1004
.LBB2_1003:
	v_bfe_u32 v2, v9, 8, 3
	v_ffbh_u32_e32 v6, v2
	v_min_u32_e32 v6, 32, v6
	v_lshrrev_b16_e32 v4, 3, v3
	v_subrev_u32_e32 v7, 28, v6
	v_and_b32_e32 v4, 15, v4
	v_lshlrev_b32_e32 v3, v7, v3
	v_sub_u32_e32 v6, 29, v6
	v_and_b32_e32 v3, 7, v3
	v_cmp_eq_u16_e32 vcc, 0, v4
	v_cndmask_b32_e32 v2, v2, v3, vcc
	v_cndmask_b32_e32 v3, v4, v6, vcc
	v_lshlrev_b32_e32 v4, 16, v9
	v_mov_b32_e32 v6, 0x3b800000
	v_lshlrev_b32_e32 v2, 20, v2
	v_and_b32_e32 v4, 0x80000000, v4
	v_lshl_add_u32 v3, v3, 23, v6
	v_or3_b32 v2, v4, v3, v2
.LBB2_1004:
	s_or_b64 exec, exec, s[6:7]
	v_lshrrev_b32_e32 v3, 8, v5
	s_movk_i32 s4, 0x7f
	v_cmp_gt_i16_sdwa s[6:7], v3, s4 src0_sel:BYTE_0 src1_sel:DWORD
	s_mov_b64 s[4:5], 0
                                        ; implicit-def: $sgpr10
	s_and_saveexec_b64 s[8:9], s[6:7]
	s_xor_b64 s[6:7], exec, s[8:9]
	s_cbranch_execz .LBB2_1005
; %bb.36845:
	s_getpc_b64 s[14:15]
.Lpost_getpc22006:
	s_add_u32 s14, s14, (.LBB2_15341-.Lpost_getpc22006)&4294967295
	s_addc_u32 s15, s15, (.LBB2_15341-.Lpost_getpc22006)>>32
	s_setpc_b64 s[14:15]
.LBB2_1005:
	s_or_saveexec_b64 s[6:7], s[6:7]
	v_mov_b32_e32 v4, s10
	s_xor_b64 exec, exec, s[6:7]
	s_cbranch_execz .LBB2_1006
; %bb.36847:
	s_getpc_b64 s[14:15]
.Lpost_getpc22007:
	s_add_u32 s14, s14, (.LBB2_15344-.Lpost_getpc22007)&4294967295
	s_addc_u32 s15, s15, (.LBB2_15344-.Lpost_getpc22007)>>32
	s_setpc_b64 s[14:15]
.LBB2_1006:
	s_or_b64 exec, exec, s[6:7]
	s_and_saveexec_b64 s[6:7], s[4:5]
	s_cbranch_execz .LBB2_1008
.LBB2_1007:
	v_bfe_u32 v4, v5, 8, 3
	v_ffbh_u32_e32 v7, v4
	v_min_u32_e32 v7, 32, v7
	v_lshrrev_b16_e32 v6, 3, v3
	v_subrev_u32_e32 v8, 28, v7
	v_and_b32_e32 v6, 15, v6
	v_lshlrev_b32_e32 v3, v8, v3
	v_sub_u32_e32 v7, 29, v7
	v_and_b32_e32 v3, 7, v3
	v_cmp_eq_u16_e32 vcc, 0, v6
	v_cndmask_b32_e32 v3, v4, v3, vcc
	v_cndmask_b32_e32 v4, v6, v7, vcc
	v_lshlrev_b32_e32 v6, 16, v5
	v_mov_b32_e32 v7, 0x3b800000
	v_lshlrev_b32_e32 v3, 20, v3
	v_and_b32_e32 v6, 0x80000000, v6
	v_lshl_add_u32 v4, v4, 23, v7
	v_or3_b32 v4, v6, v4, v3
.LBB2_1008:
	s_or_b64 exec, exec, s[6:7]
	s_nop 0
	v_mfma_f32_16x16x4f32 a[0:3], v2, v4, a[0:3]
	s_movk_i32 s4, 0xff
	v_and_b32_sdwa v3, v9, s4 dst_sel:DWORD dst_unused:UNUSED_PAD src0_sel:WORD_1 src1_sel:DWORD
	s_movk_i32 s4, 0x7f
	v_cmp_lt_i16_e32 vcc, s4, v3
	s_mov_b64 s[4:5], 0
                                        ; implicit-def: $sgpr10
	s_and_saveexec_b64 s[6:7], vcc
	s_xor_b64 s[6:7], exec, s[6:7]
	s_cbranch_execz .LBB2_1009
; %bb.36849:
	s_getpc_b64 s[14:15]
.Lpost_getpc22008:
	s_add_u32 s14, s14, (.LBB2_15345-.Lpost_getpc22008)&4294967295
	s_addc_u32 s15, s15, (.LBB2_15345-.Lpost_getpc22008)>>32
	s_setpc_b64 s[14:15]
.LBB2_1009:
	s_or_saveexec_b64 s[6:7], s[6:7]
	v_mov_b32_e32 v2, s10
	s_xor_b64 exec, exec, s[6:7]
	s_cbranch_execz .LBB2_1010
; %bb.36851:
	s_getpc_b64 s[14:15]
.Lpost_getpc22009:
	s_add_u32 s14, s14, (.LBB2_15348-.Lpost_getpc22009)&4294967295
	s_addc_u32 s15, s15, (.LBB2_15348-.Lpost_getpc22009)>>32
	s_setpc_b64 s[14:15]
.LBB2_1010:
	s_or_b64 exec, exec, s[6:7]
	s_and_saveexec_b64 s[6:7], s[4:5]
	s_cbranch_execz .LBB2_1012
.LBB2_1011:
	v_bfe_u32 v2, v9, 16, 3
	v_ffbh_u32_e32 v6, v2
	v_min_u32_e32 v6, 32, v6
	v_lshrrev_b32_e32 v3, 19, v9
	v_subrev_u32_e32 v7, 28, v6
	v_and_b32_e32 v3, 15, v3
	v_lshlrev_b32_sdwa v7, v7, v9 dst_sel:DWORD dst_unused:UNUSED_PAD src0_sel:DWORD src1_sel:WORD_1
	v_bfe_u32 v4, v9, 19, 4
	v_sub_u32_e32 v6, 29, v6
	v_and_b32_e32 v7, 7, v7
	v_cmp_eq_u16_e32 vcc, 0, v3
	v_cndmask_b32_e32 v2, v2, v7, vcc
	v_cndmask_b32_e32 v3, v4, v6, vcc
	v_lshlrev_b32_e32 v4, 8, v9
	v_mov_b32_e32 v6, 0x3b800000
	v_lshlrev_b32_e32 v2, 20, v2
	v_and_b32_e32 v4, 0x80000000, v4
	v_lshl_add_u32 v3, v3, 23, v6
	v_or3_b32 v2, v4, v3, v2
.LBB2_1012:
	s_or_b64 exec, exec, s[6:7]
	s_movk_i32 s4, 0xff
	v_and_b32_sdwa v3, v5, s4 dst_sel:DWORD dst_unused:UNUSED_PAD src0_sel:WORD_1 src1_sel:DWORD
	s_movk_i32 s4, 0x7f
	v_cmp_lt_i16_e32 vcc, s4, v3
	s_mov_b64 s[4:5], 0
                                        ; implicit-def: $sgpr10
	s_and_saveexec_b64 s[6:7], vcc
	s_xor_b64 s[6:7], exec, s[6:7]
	s_cbranch_execz .LBB2_1013
; %bb.36853:
	s_getpc_b64 s[14:15]
.Lpost_getpc22010:
	s_add_u32 s14, s14, (.LBB2_15349-.Lpost_getpc22010)&4294967295
	s_addc_u32 s15, s15, (.LBB2_15349-.Lpost_getpc22010)>>32
	s_setpc_b64 s[14:15]
.LBB2_1013:
	s_or_saveexec_b64 s[6:7], s[6:7]
	v_mov_b32_e32 v4, s10
	s_xor_b64 exec, exec, s[6:7]
	s_cbranch_execz .LBB2_1014
; %bb.36855:
	s_getpc_b64 s[14:15]
.Lpost_getpc22011:
	s_add_u32 s14, s14, (.LBB2_15352-.Lpost_getpc22011)&4294967295
	s_addc_u32 s15, s15, (.LBB2_15352-.Lpost_getpc22011)>>32
	s_setpc_b64 s[14:15]
.LBB2_1014:
	s_or_b64 exec, exec, s[6:7]
	s_and_saveexec_b64 s[6:7], s[4:5]
	s_cbranch_execz .LBB2_1016
.LBB2_1015:
	v_bfe_u32 v3, v5, 16, 3
	v_ffbh_u32_e32 v7, v3
	v_min_u32_e32 v7, 32, v7
	v_lshrrev_b32_e32 v4, 19, v5
	v_subrev_u32_e32 v8, 28, v7
	v_and_b32_e32 v4, 15, v4
	v_lshlrev_b32_sdwa v8, v8, v5 dst_sel:DWORD dst_unused:UNUSED_PAD src0_sel:DWORD src1_sel:WORD_1
	v_bfe_u32 v6, v5, 19, 4
	v_sub_u32_e32 v7, 29, v7
	v_and_b32_e32 v8, 7, v8
	v_cmp_eq_u16_e32 vcc, 0, v4
	v_cndmask_b32_e32 v3, v3, v8, vcc
	v_cndmask_b32_e32 v4, v6, v7, vcc
	v_lshlrev_b32_e32 v6, 8, v5
	v_mov_b32_e32 v7, 0x3b800000
	v_lshlrev_b32_e32 v3, 20, v3
	v_and_b32_e32 v6, 0x80000000, v6
	v_lshl_add_u32 v4, v4, 23, v7
	v_or3_b32 v4, v6, v4, v3
.LBB2_1016:
	s_or_b64 exec, exec, s[6:7]
	s_nop 0
	v_mfma_f32_16x16x4f32 a[0:3], v2, v4, a[0:3]
	s_movk_i32 s4, 0x7f
	v_cmp_gt_i16_sdwa s[6:7], v9, s4 src0_sel:BYTE_3 src1_sel:DWORD
	s_mov_b64 s[4:5], 0
                                        ; implicit-def: $sgpr10
	s_and_saveexec_b64 s[8:9], s[6:7]
	s_xor_b64 s[6:7], exec, s[8:9]
	s_cbranch_execz .LBB2_1017
; %bb.36857:
	s_getpc_b64 s[14:15]
.Lpost_getpc22012:
	s_add_u32 s14, s14, (.LBB2_15353-.Lpost_getpc22012)&4294967295
	s_addc_u32 s15, s15, (.LBB2_15353-.Lpost_getpc22012)>>32
	s_setpc_b64 s[14:15]
.LBB2_1017:
	s_or_saveexec_b64 s[6:7], s[6:7]
	v_mov_b32_e32 v2, s10
	s_xor_b64 exec, exec, s[6:7]
	s_cbranch_execz .LBB2_1018
; %bb.36859:
	s_getpc_b64 s[14:15]
.Lpost_getpc22013:
	s_add_u32 s14, s14, (.LBB2_15356-.Lpost_getpc22013)&4294967295
	s_addc_u32 s15, s15, (.LBB2_15356-.Lpost_getpc22013)>>32
	s_setpc_b64 s[14:15]
.LBB2_1018:
	s_or_b64 exec, exec, s[6:7]
	s_and_saveexec_b64 s[6:7], s[4:5]
	s_cbranch_execz .LBB2_1020
.LBB2_1019:
	v_bfe_u32 v2, v9, 24, 3
	v_ffbh_u32_e32 v7, v2
	v_min_u32_e32 v7, 32, v7
	v_lshrrev_b32_e32 v4, 27, v9
	v_subrev_u32_e32 v8, 28, v7
	v_and_b32_e32 v4, 15, v4
	v_lshlrev_b32_sdwa v8, v8, v9 dst_sel:DWORD dst_unused:UNUSED_PAD src0_sel:DWORD src1_sel:BYTE_3
	v_bfe_u32 v6, v9, 27, 4
	v_sub_u32_e32 v7, 29, v7
	v_and_b32_e32 v8, 7, v8
	v_cmp_eq_u16_e32 vcc, 0, v4
	v_cndmask_b32_e32 v2, v2, v8, vcc
	v_cndmask_b32_e32 v4, v6, v7, vcc
	v_mov_b32_e32 v6, 0x3b800000
	v_and_b32_e32 v3, 0x80000000, v9
	v_lshlrev_b32_e32 v2, 20, v2
	v_lshl_add_u32 v4, v4, 23, v6
	v_or3_b32 v2, v3, v4, v2
.LBB2_1020:
	s_or_b64 exec, exec, s[6:7]
	s_movk_i32 s4, 0x7f
	v_cmp_gt_i16_sdwa s[6:7], v5, s4 src0_sel:BYTE_3 src1_sel:DWORD
	s_mov_b64 s[4:5], 0
                                        ; implicit-def: $sgpr10
	s_and_saveexec_b64 s[8:9], s[6:7]
	s_xor_b64 s[6:7], exec, s[8:9]
	s_cbranch_execz .LBB2_1021
; %bb.36861:
	s_getpc_b64 s[14:15]
.Lpost_getpc22014:
	s_add_u32 s14, s14, (.LBB2_15357-.Lpost_getpc22014)&4294967295
	s_addc_u32 s15, s15, (.LBB2_15357-.Lpost_getpc22014)>>32
	s_setpc_b64 s[14:15]
.LBB2_1021:
	s_or_saveexec_b64 s[6:7], s[6:7]
	v_mov_b32_e32 v3, s10
	s_xor_b64 exec, exec, s[6:7]
	s_cbranch_execz .LBB2_1022
; %bb.36863:
	s_getpc_b64 s[14:15]
.Lpost_getpc22015:
	s_add_u32 s14, s14, (.LBB2_15360-.Lpost_getpc22015)&4294967295
	s_addc_u32 s15, s15, (.LBB2_15360-.Lpost_getpc22015)>>32
	s_setpc_b64 s[14:15]
.LBB2_1022:
	s_or_b64 exec, exec, s[6:7]
	s_and_saveexec_b64 s[6:7], s[4:5]
	s_cbranch_execz .LBB2_1024
.LBB2_1023:
	v_bfe_u32 v3, v5, 24, 3
	v_ffbh_u32_e32 v8, v3
	v_min_u32_e32 v8, 32, v8
	v_lshrrev_b32_e32 v6, 27, v5
	v_subrev_u32_e32 v9, 28, v8
	v_and_b32_e32 v4, 0x80000000, v5
	v_and_b32_e32 v6, 15, v6
	v_bfe_u32 v7, v5, 27, 4
	v_lshlrev_b32_sdwa v5, v9, v5 dst_sel:DWORD dst_unused:UNUSED_PAD src0_sel:DWORD src1_sel:BYTE_3
	v_sub_u32_e32 v8, 29, v8
	v_and_b32_e32 v5, 7, v5
	v_cmp_eq_u16_e32 vcc, 0, v6
	v_cndmask_b32_e32 v3, v3, v5, vcc
	v_cndmask_b32_e32 v5, v7, v8, vcc
	v_mov_b32_e32 v6, 0x3b800000
	v_lshlrev_b32_e32 v3, 20, v3
	v_lshl_add_u32 v5, v5, 23, v6
	v_or3_b32 v3, v4, v5, v3
.LBB2_1024:
	s_or_b64 exec, exec, s[6:7]
	s_nop 0
	v_mfma_f32_16x16x4f32 a[0:3], v2, v3, a[0:3]
	s_movk_i32 s4, 0x7f
                                        ; implicit-def: $sgpr10
	s_nop 7
	s_nop 1
	flat_store_dwordx4 v[10:11], a[0:3] offset:112
	flat_load_dwordx4 v[12:15], v[0:1]
	s_nop 0
	flat_load_dwordx2 v[10:11], v[0:1] offset:16
	s_waitcnt vmcnt(0) lgkmcnt(0)
	flat_load_dwordx4 v[6:9], v[12:13] offset:16
	flat_load_dwordx4 v[2:5], v[14:15]
	s_waitcnt vmcnt(0) lgkmcnt(0)
	v_cmp_gt_i16_sdwa s[6:7], v6, s4 src0_sel:BYTE_0 src1_sel:DWORD
	s_mov_b64 s[4:5], 0
	s_and_saveexec_b64 s[8:9], s[6:7]
	s_xor_b64 s[6:7], exec, s[8:9]
	s_cbranch_execz .LBB2_1025
; %bb.36865:
	s_getpc_b64 s[14:15]
.Lpost_getpc22016:
	s_add_u32 s14, s14, (.LBB2_15361-.Lpost_getpc22016)&4294967295
	s_addc_u32 s15, s15, (.LBB2_15361-.Lpost_getpc22016)>>32
	s_setpc_b64 s[14:15]
.LBB2_1025:
	s_or_saveexec_b64 s[6:7], s[6:7]
	v_mov_b32_e32 v12, s10
	s_xor_b64 exec, exec, s[6:7]
	s_cbranch_execz .LBB2_1026
; %bb.36867:
	s_getpc_b64 s[14:15]
.Lpost_getpc22017:
	s_add_u32 s14, s14, (.LBB2_15364-.Lpost_getpc22017)&4294967295
	s_addc_u32 s15, s15, (.LBB2_15364-.Lpost_getpc22017)>>32
	s_setpc_b64 s[14:15]
.LBB2_1026:
	s_or_b64 exec, exec, s[6:7]
	s_and_saveexec_b64 s[6:7], s[4:5]
	s_cbranch_execz .LBB2_1028
.LBB2_1027:
	v_and_b32_e32 v12, 7, v6
	v_ffbh_u32_e32 v14, v12
	v_min_u32_e32 v14, 32, v14
	v_lshrrev_b16_e32 v13, 3, v6
	v_subrev_u32_e32 v15, 28, v14
	v_and_b32_e32 v13, 15, v13
	v_lshlrev_b32_e32 v15, v15, v6
	v_sub_u32_e32 v14, 29, v14
	v_and_b32_e32 v15, 7, v15
	v_cmp_eq_u16_e32 vcc, 0, v13
	v_cndmask_b32_e32 v12, v12, v15, vcc
	v_cndmask_b32_e32 v13, v13, v14, vcc
	v_lshlrev_b32_e32 v14, 24, v6
	v_mov_b32_e32 v15, 0x3b800000
	v_lshlrev_b32_e32 v12, 20, v12
	v_and_b32_e32 v14, 0x80000000, v14
	v_lshl_add_u32 v13, v13, 23, v15
	v_or3_b32 v12, v14, v13, v12
.LBB2_1028:
	s_or_b64 exec, exec, s[6:7]
	s_movk_i32 s4, 0x7f
	v_cmp_gt_i16_sdwa s[6:7], v2, s4 src0_sel:BYTE_0 src1_sel:DWORD
	s_mov_b64 s[4:5], 0
                                        ; implicit-def: $sgpr10
	s_and_saveexec_b64 s[8:9], s[6:7]
	s_xor_b64 s[6:7], exec, s[8:9]
	s_cbranch_execz .LBB2_1029
; %bb.36869:
	s_getpc_b64 s[14:15]
.Lpost_getpc22018:
	s_add_u32 s14, s14, (.LBB2_15365-.Lpost_getpc22018)&4294967295
	s_addc_u32 s15, s15, (.LBB2_15365-.Lpost_getpc22018)>>32
	s_setpc_b64 s[14:15]
.LBB2_1029:
	s_or_saveexec_b64 s[6:7], s[6:7]
	v_mov_b32_e32 v13, s10
	s_xor_b64 exec, exec, s[6:7]
	s_cbranch_execz .LBB2_1030
; %bb.36871:
	s_getpc_b64 s[14:15]
.Lpost_getpc22019:
	s_add_u32 s14, s14, (.LBB2_15368-.Lpost_getpc22019)&4294967295
	s_addc_u32 s15, s15, (.LBB2_15368-.Lpost_getpc22019)>>32
	s_setpc_b64 s[14:15]
.LBB2_1030:
	s_or_b64 exec, exec, s[6:7]
	s_and_saveexec_b64 s[6:7], s[4:5]
	s_cbranch_execz .LBB2_1032
.LBB2_1031:
	v_and_b32_e32 v13, 7, v2
	v_ffbh_u32_e32 v15, v13
	v_min_u32_e32 v15, 32, v15
	v_lshrrev_b16_e32 v14, 3, v2
	v_subrev_u32_e32 v16, 28, v15
	v_and_b32_e32 v14, 15, v14
	v_lshlrev_b32_e32 v16, v16, v2
	v_sub_u32_e32 v15, 29, v15
	v_and_b32_e32 v16, 7, v16
	v_cmp_eq_u16_e32 vcc, 0, v14
	v_cndmask_b32_e32 v13, v13, v16, vcc
	v_cndmask_b32_e32 v14, v14, v15, vcc
	v_lshlrev_b32_e32 v15, 24, v2
	v_mov_b32_e32 v16, 0x3b800000
	v_lshlrev_b32_e32 v13, 20, v13
	v_and_b32_e32 v15, 0x80000000, v15
	v_lshl_add_u32 v14, v14, 23, v16
	v_or3_b32 v13, v15, v14, v13
.LBB2_1032:
	s_or_b64 exec, exec, s[6:7]
	flat_load_dwordx4 a[0:3], v[10:11] offset:128
	s_movk_i32 s4, 0x7f
                                        ; implicit-def: $sgpr10
	s_waitcnt vmcnt(0) lgkmcnt(0)
	v_mfma_f32_16x16x4f32 a[0:3], v12, v13, a[0:3]
	v_lshrrev_b32_e32 v13, 8, v6
	v_cmp_gt_i16_sdwa s[6:7], v13, s4 src0_sel:BYTE_0 src1_sel:DWORD
	s_mov_b64 s[4:5], 0
	s_and_saveexec_b64 s[8:9], s[6:7]
	s_xor_b64 s[6:7], exec, s[8:9]
	s_cbranch_execz .LBB2_1033
; %bb.36873:
	s_getpc_b64 s[14:15]
.Lpost_getpc22020:
	s_add_u32 s14, s14, (.LBB2_15369-.Lpost_getpc22020)&4294967295
	s_addc_u32 s15, s15, (.LBB2_15369-.Lpost_getpc22020)>>32
	s_setpc_b64 s[14:15]
.LBB2_1033:
	s_or_saveexec_b64 s[6:7], s[6:7]
	v_mov_b32_e32 v12, s10
	s_xor_b64 exec, exec, s[6:7]
	s_cbranch_execz .LBB2_1034
; %bb.36875:
	s_getpc_b64 s[14:15]
.Lpost_getpc22021:
	s_add_u32 s14, s14, (.LBB2_15372-.Lpost_getpc22021)&4294967295
	s_addc_u32 s15, s15, (.LBB2_15372-.Lpost_getpc22021)>>32
	s_setpc_b64 s[14:15]
.LBB2_1034:
	s_or_b64 exec, exec, s[6:7]
	s_and_saveexec_b64 s[6:7], s[4:5]
	s_cbranch_execz .LBB2_1036
.LBB2_1035:
	v_bfe_u32 v12, v6, 8, 3
	v_ffbh_u32_e32 v15, v12
	v_min_u32_e32 v15, 32, v15
	v_lshrrev_b16_e32 v14, 3, v13
	v_subrev_u32_e32 v16, 28, v15
	v_and_b32_e32 v14, 15, v14
	v_lshlrev_b32_e32 v13, v16, v13
	v_sub_u32_e32 v15, 29, v15
	v_and_b32_e32 v13, 7, v13
	v_cmp_eq_u16_e32 vcc, 0, v14
	v_cndmask_b32_e32 v12, v12, v13, vcc
	v_cndmask_b32_e32 v13, v14, v15, vcc
	v_lshlrev_b32_e32 v14, 16, v6
	v_mov_b32_e32 v15, 0x3b800000
	v_lshlrev_b32_e32 v12, 20, v12
	v_and_b32_e32 v14, 0x80000000, v14
	v_lshl_add_u32 v13, v13, 23, v15
	v_or3_b32 v12, v14, v13, v12
.LBB2_1036:
	s_or_b64 exec, exec, s[6:7]
	v_lshrrev_b32_e32 v13, 8, v2
	s_movk_i32 s4, 0x7f
	v_cmp_gt_i16_sdwa s[6:7], v13, s4 src0_sel:BYTE_0 src1_sel:DWORD
	s_mov_b64 s[4:5], 0
                                        ; implicit-def: $sgpr10
	s_and_saveexec_b64 s[8:9], s[6:7]
	s_xor_b64 s[6:7], exec, s[8:9]
	s_cbranch_execz .LBB2_1037
; %bb.36877:
	s_getpc_b64 s[14:15]
.Lpost_getpc22022:
	s_add_u32 s14, s14, (.LBB2_15373-.Lpost_getpc22022)&4294967295
	s_addc_u32 s15, s15, (.LBB2_15373-.Lpost_getpc22022)>>32
	s_setpc_b64 s[14:15]
.LBB2_1037:
	s_or_saveexec_b64 s[6:7], s[6:7]
	v_mov_b32_e32 v14, s10
	s_xor_b64 exec, exec, s[6:7]
	s_cbranch_execz .LBB2_1038
; %bb.36879:
	s_getpc_b64 s[14:15]
.Lpost_getpc22023:
	s_add_u32 s14, s14, (.LBB2_15376-.Lpost_getpc22023)&4294967295
	s_addc_u32 s15, s15, (.LBB2_15376-.Lpost_getpc22023)>>32
	s_setpc_b64 s[14:15]
.LBB2_1038:
	s_or_b64 exec, exec, s[6:7]
	s_and_saveexec_b64 s[6:7], s[4:5]
	s_cbranch_execz .LBB2_1040
.LBB2_1039:
	v_bfe_u32 v14, v2, 8, 3
	v_ffbh_u32_e32 v16, v14
	v_min_u32_e32 v16, 32, v16
	v_lshrrev_b16_e32 v15, 3, v13
	v_subrev_u32_e32 v17, 28, v16
	v_and_b32_e32 v15, 15, v15
	v_lshlrev_b32_e32 v13, v17, v13
	v_sub_u32_e32 v16, 29, v16
	v_and_b32_e32 v13, 7, v13
	v_cmp_eq_u16_e32 vcc, 0, v15
	v_cndmask_b32_e32 v13, v14, v13, vcc
	v_cndmask_b32_e32 v14, v15, v16, vcc
	v_lshlrev_b32_e32 v15, 16, v2
	v_mov_b32_e32 v16, 0x3b800000
	v_lshlrev_b32_e32 v13, 20, v13
	v_and_b32_e32 v15, 0x80000000, v15
	v_lshl_add_u32 v14, v14, 23, v16
	v_or3_b32 v14, v15, v14, v13
.LBB2_1040:
	s_or_b64 exec, exec, s[6:7]
	s_nop 0
	v_mfma_f32_16x16x4f32 a[0:3], v12, v14, a[0:3]
	s_movk_i32 s4, 0xff
	v_and_b32_sdwa v13, v6, s4 dst_sel:DWORD dst_unused:UNUSED_PAD src0_sel:WORD_1 src1_sel:DWORD
	s_movk_i32 s4, 0x7f
	v_cmp_lt_i16_e32 vcc, s4, v13
	s_mov_b64 s[4:5], 0
                                        ; implicit-def: $sgpr10
	s_and_saveexec_b64 s[6:7], vcc
	s_xor_b64 s[6:7], exec, s[6:7]
	s_cbranch_execz .LBB2_1041
; %bb.36881:
	s_getpc_b64 s[14:15]
.Lpost_getpc22024:
	s_add_u32 s14, s14, (.LBB2_15377-.Lpost_getpc22024)&4294967295
	s_addc_u32 s15, s15, (.LBB2_15377-.Lpost_getpc22024)>>32
	s_setpc_b64 s[14:15]
.LBB2_1041:
	s_or_saveexec_b64 s[6:7], s[6:7]
	v_mov_b32_e32 v12, s10
	s_xor_b64 exec, exec, s[6:7]
	s_cbranch_execz .LBB2_1042
; %bb.36883:
	s_getpc_b64 s[14:15]
.Lpost_getpc22025:
	s_add_u32 s14, s14, (.LBB2_15380-.Lpost_getpc22025)&4294967295
	s_addc_u32 s15, s15, (.LBB2_15380-.Lpost_getpc22025)>>32
	s_setpc_b64 s[14:15]
.LBB2_1042:
	s_or_b64 exec, exec, s[6:7]
	s_and_saveexec_b64 s[6:7], s[4:5]
	s_cbranch_execz .LBB2_1044
.LBB2_1043:
	v_bfe_u32 v12, v6, 16, 3
	v_ffbh_u32_e32 v15, v12
	v_min_u32_e32 v15, 32, v15
	v_lshrrev_b32_e32 v13, 19, v6
	v_subrev_u32_e32 v16, 28, v15
	v_and_b32_e32 v13, 15, v13
	v_lshlrev_b32_sdwa v16, v16, v6 dst_sel:DWORD dst_unused:UNUSED_PAD src0_sel:DWORD src1_sel:WORD_1
	v_bfe_u32 v14, v6, 19, 4
	v_sub_u32_e32 v15, 29, v15
	v_and_b32_e32 v16, 7, v16
	v_cmp_eq_u16_e32 vcc, 0, v13
	v_cndmask_b32_e32 v12, v12, v16, vcc
	v_cndmask_b32_e32 v13, v14, v15, vcc
	v_lshlrev_b32_e32 v14, 8, v6
	v_mov_b32_e32 v15, 0x3b800000
	v_lshlrev_b32_e32 v12, 20, v12
	v_and_b32_e32 v14, 0x80000000, v14
	v_lshl_add_u32 v13, v13, 23, v15
	v_or3_b32 v12, v14, v13, v12
.LBB2_1044:
	s_or_b64 exec, exec, s[6:7]
	s_movk_i32 s4, 0xff
	v_and_b32_sdwa v13, v2, s4 dst_sel:DWORD dst_unused:UNUSED_PAD src0_sel:WORD_1 src1_sel:DWORD
	s_movk_i32 s4, 0x7f
	v_cmp_lt_i16_e32 vcc, s4, v13
	s_mov_b64 s[4:5], 0
                                        ; implicit-def: $sgpr10
	s_and_saveexec_b64 s[6:7], vcc
	s_xor_b64 s[6:7], exec, s[6:7]
	s_cbranch_execz .LBB2_1045
; %bb.36885:
	s_getpc_b64 s[14:15]
.Lpost_getpc22026:
	s_add_u32 s14, s14, (.LBB2_15381-.Lpost_getpc22026)&4294967295
	s_addc_u32 s15, s15, (.LBB2_15381-.Lpost_getpc22026)>>32
	s_setpc_b64 s[14:15]
.LBB2_1045:
	s_or_saveexec_b64 s[6:7], s[6:7]
	v_mov_b32_e32 v14, s10
	s_xor_b64 exec, exec, s[6:7]
	s_cbranch_execz .LBB2_1046
; %bb.36887:
	s_getpc_b64 s[14:15]
.Lpost_getpc22027:
	s_add_u32 s14, s14, (.LBB2_15384-.Lpost_getpc22027)&4294967295
	s_addc_u32 s15, s15, (.LBB2_15384-.Lpost_getpc22027)>>32
	s_setpc_b64 s[14:15]
.LBB2_1046:
	s_or_b64 exec, exec, s[6:7]
	s_and_saveexec_b64 s[6:7], s[4:5]
	s_cbranch_execz .LBB2_1048
.LBB2_1047:
	v_bfe_u32 v13, v2, 16, 3
	v_ffbh_u32_e32 v16, v13
	v_min_u32_e32 v16, 32, v16
	v_lshrrev_b32_e32 v14, 19, v2
	v_subrev_u32_e32 v17, 28, v16
	v_and_b32_e32 v14, 15, v14
	v_lshlrev_b32_sdwa v17, v17, v2 dst_sel:DWORD dst_unused:UNUSED_PAD src0_sel:DWORD src1_sel:WORD_1
	v_bfe_u32 v15, v2, 19, 4
	v_sub_u32_e32 v16, 29, v16
	v_and_b32_e32 v17, 7, v17
	v_cmp_eq_u16_e32 vcc, 0, v14
	v_cndmask_b32_e32 v13, v13, v17, vcc
	v_cndmask_b32_e32 v14, v15, v16, vcc
	v_lshlrev_b32_e32 v15, 8, v2
	v_mov_b32_e32 v16, 0x3b800000
	v_lshlrev_b32_e32 v13, 20, v13
	v_and_b32_e32 v15, 0x80000000, v15
	v_lshl_add_u32 v14, v14, 23, v16
	v_or3_b32 v14, v15, v14, v13
.LBB2_1048:
	s_or_b64 exec, exec, s[6:7]
	s_nop 0
	v_mfma_f32_16x16x4f32 a[0:3], v12, v14, a[0:3]
	s_movk_i32 s4, 0x7f
	v_cmp_gt_i16_sdwa s[6:7], v6, s4 src0_sel:BYTE_3 src1_sel:DWORD
	s_mov_b64 s[4:5], 0
                                        ; implicit-def: $sgpr10
	s_and_saveexec_b64 s[8:9], s[6:7]
	s_xor_b64 s[6:7], exec, s[8:9]
	s_cbranch_execz .LBB2_1049
; %bb.36889:
	s_getpc_b64 s[14:15]
.Lpost_getpc22028:
	s_add_u32 s14, s14, (.LBB2_15385-.Lpost_getpc22028)&4294967295
	s_addc_u32 s15, s15, (.LBB2_15385-.Lpost_getpc22028)>>32
	s_setpc_b64 s[14:15]
.LBB2_1049:
	s_or_saveexec_b64 s[6:7], s[6:7]
	v_mov_b32_e32 v12, s10
	s_xor_b64 exec, exec, s[6:7]
	s_cbranch_execz .LBB2_1050
; %bb.36891:
	s_getpc_b64 s[14:15]
.Lpost_getpc22029:
	s_add_u32 s14, s14, (.LBB2_15388-.Lpost_getpc22029)&4294967295
	s_addc_u32 s15, s15, (.LBB2_15388-.Lpost_getpc22029)>>32
	s_setpc_b64 s[14:15]
.LBB2_1050:
	s_or_b64 exec, exec, s[6:7]
	s_and_saveexec_b64 s[6:7], s[4:5]
	s_cbranch_execz .LBB2_1052
.LBB2_1051:
	v_bfe_u32 v12, v6, 24, 3
	v_ffbh_u32_e32 v16, v12
	v_min_u32_e32 v16, 32, v16
	v_lshrrev_b32_e32 v14, 27, v6
	v_subrev_u32_e32 v17, 28, v16
	v_and_b32_e32 v13, 0x80000000, v6
	v_and_b32_e32 v14, 15, v14
	v_bfe_u32 v15, v6, 27, 4
	v_lshlrev_b32_sdwa v6, v17, v6 dst_sel:DWORD dst_unused:UNUSED_PAD src0_sel:DWORD src1_sel:BYTE_3
	v_sub_u32_e32 v16, 29, v16
	v_and_b32_e32 v6, 7, v6
	v_cmp_eq_u16_e32 vcc, 0, v14
	v_cndmask_b32_e32 v6, v12, v6, vcc
	v_cndmask_b32_e32 v12, v15, v16, vcc
	v_mov_b32_e32 v14, 0x3b800000
	v_lshlrev_b32_e32 v6, 20, v6
	v_lshl_add_u32 v12, v12, 23, v14
	v_or3_b32 v12, v13, v12, v6
.LBB2_1052:
	s_or_b64 exec, exec, s[6:7]
	s_movk_i32 s4, 0x7f
	v_cmp_gt_i16_sdwa s[6:7], v2, s4 src0_sel:BYTE_3 src1_sel:DWORD
	s_mov_b64 s[4:5], 0
                                        ; implicit-def: $sgpr10
	s_and_saveexec_b64 s[8:9], s[6:7]
	s_xor_b64 s[6:7], exec, s[8:9]
	s_cbranch_execz .LBB2_1053
; %bb.36893:
	s_getpc_b64 s[14:15]
.Lpost_getpc22030:
	s_add_u32 s14, s14, (.LBB2_15389-.Lpost_getpc22030)&4294967295
	s_addc_u32 s15, s15, (.LBB2_15389-.Lpost_getpc22030)>>32
	s_setpc_b64 s[14:15]
.LBB2_1053:
	s_or_saveexec_b64 s[6:7], s[6:7]
	v_mov_b32_e32 v6, s10
	s_xor_b64 exec, exec, s[6:7]
	s_cbranch_execz .LBB2_1054
; %bb.36895:
	s_getpc_b64 s[14:15]
.Lpost_getpc22031:
	s_add_u32 s14, s14, (.LBB2_15392-.Lpost_getpc22031)&4294967295
	s_addc_u32 s15, s15, (.LBB2_15392-.Lpost_getpc22031)>>32
	s_setpc_b64 s[14:15]
.LBB2_1054:
	s_or_b64 exec, exec, s[6:7]
	s_and_saveexec_b64 s[6:7], s[4:5]
	s_cbranch_execz .LBB2_1056
.LBB2_1055:
	v_bfe_u32 v6, v2, 24, 3
	v_ffbh_u32_e32 v16, v6
	v_min_u32_e32 v16, 32, v16
	v_lshrrev_b32_e32 v14, 27, v2
	v_subrev_u32_e32 v17, 28, v16
	v_and_b32_e32 v13, 0x80000000, v2
	v_and_b32_e32 v14, 15, v14
	v_bfe_u32 v15, v2, 27, 4
	v_lshlrev_b32_sdwa v2, v17, v2 dst_sel:DWORD dst_unused:UNUSED_PAD src0_sel:DWORD src1_sel:BYTE_3
	v_sub_u32_e32 v16, 29, v16
	v_and_b32_e32 v2, 7, v2
	v_cmp_eq_u16_e32 vcc, 0, v14
	v_cndmask_b32_e32 v2, v6, v2, vcc
	v_cndmask_b32_e32 v6, v15, v16, vcc
	v_mov_b32_e32 v14, 0x3b800000
	v_lshlrev_b32_e32 v2, 20, v2
	v_lshl_add_u32 v6, v6, 23, v14
	v_or3_b32 v6, v13, v6, v2
.LBB2_1056:
	s_or_b64 exec, exec, s[6:7]
	s_nop 0
	v_mfma_f32_16x16x4f32 a[0:3], v12, v6, a[0:3]
	s_movk_i32 s4, 0x7f
	v_cmp_gt_i16_sdwa s[6:7], v7, s4 src0_sel:BYTE_0 src1_sel:DWORD
	s_mov_b64 s[4:5], 0
                                        ; implicit-def: $sgpr10
	s_and_saveexec_b64 s[8:9], s[6:7]
	s_xor_b64 s[6:7], exec, s[8:9]
	s_cbranch_execz .LBB2_1057
; %bb.36897:
	s_getpc_b64 s[14:15]
.Lpost_getpc22032:
	s_add_u32 s14, s14, (.LBB2_15393-.Lpost_getpc22032)&4294967295
	s_addc_u32 s15, s15, (.LBB2_15393-.Lpost_getpc22032)>>32
	s_setpc_b64 s[14:15]
.LBB2_1057:
	s_or_saveexec_b64 s[6:7], s[6:7]
	v_mov_b32_e32 v2, s10
	s_xor_b64 exec, exec, s[6:7]
	s_cbranch_execz .LBB2_1058
; %bb.36899:
	s_getpc_b64 s[14:15]
.Lpost_getpc22033:
	s_add_u32 s14, s14, (.LBB2_15396-.Lpost_getpc22033)&4294967295
	s_addc_u32 s15, s15, (.LBB2_15396-.Lpost_getpc22033)>>32
	s_setpc_b64 s[14:15]
.LBB2_1058:
	s_or_b64 exec, exec, s[6:7]
	s_and_saveexec_b64 s[6:7], s[4:5]
	s_cbranch_execz .LBB2_1060
.LBB2_1059:
	v_and_b32_e32 v2, 7, v7
	v_ffbh_u32_e32 v12, v2
	v_min_u32_e32 v12, 32, v12
	v_lshrrev_b16_e32 v6, 3, v7
	v_subrev_u32_e32 v13, 28, v12
	v_and_b32_e32 v6, 15, v6
	v_lshlrev_b32_e32 v13, v13, v7
	v_sub_u32_e32 v12, 29, v12
	v_and_b32_e32 v13, 7, v13
	v_cmp_eq_u16_e32 vcc, 0, v6
	v_cndmask_b32_e32 v2, v2, v13, vcc
	v_cndmask_b32_e32 v6, v6, v12, vcc
	v_lshlrev_b32_e32 v12, 24, v7
	v_mov_b32_e32 v13, 0x3b800000
	v_lshlrev_b32_e32 v2, 20, v2
	v_and_b32_e32 v12, 0x80000000, v12
	v_lshl_add_u32 v6, v6, 23, v13
	v_or3_b32 v2, v12, v6, v2
.LBB2_1060:
	s_or_b64 exec, exec, s[6:7]
	s_movk_i32 s4, 0x7f
	v_cmp_gt_i16_sdwa s[6:7], v3, s4 src0_sel:BYTE_0 src1_sel:DWORD
	s_mov_b64 s[4:5], 0
                                        ; implicit-def: $sgpr10
	s_and_saveexec_b64 s[8:9], s[6:7]
	s_xor_b64 s[6:7], exec, s[8:9]
	s_cbranch_execz .LBB2_1061
; %bb.36901:
	s_getpc_b64 s[14:15]
.Lpost_getpc22034:
	s_add_u32 s14, s14, (.LBB2_15397-.Lpost_getpc22034)&4294967295
	s_addc_u32 s15, s15, (.LBB2_15397-.Lpost_getpc22034)>>32
	s_setpc_b64 s[14:15]
.LBB2_1061:
	s_or_saveexec_b64 s[6:7], s[6:7]
	v_mov_b32_e32 v6, s10
	s_xor_b64 exec, exec, s[6:7]
	s_cbranch_execz .LBB2_1062
; %bb.36903:
	s_getpc_b64 s[14:15]
.Lpost_getpc22035:
	s_add_u32 s14, s14, (.LBB2_15400-.Lpost_getpc22035)&4294967295
	s_addc_u32 s15, s15, (.LBB2_15400-.Lpost_getpc22035)>>32
	s_setpc_b64 s[14:15]
.LBB2_1062:
	s_or_b64 exec, exec, s[6:7]
	s_and_saveexec_b64 s[6:7], s[4:5]
	s_cbranch_execz .LBB2_1064
.LBB2_1063:
	v_and_b32_e32 v6, 7, v3
	v_ffbh_u32_e32 v13, v6
	v_min_u32_e32 v13, 32, v13
	v_lshrrev_b16_e32 v12, 3, v3
	v_subrev_u32_e32 v14, 28, v13
	v_and_b32_e32 v12, 15, v12
	v_lshlrev_b32_e32 v14, v14, v3
	v_sub_u32_e32 v13, 29, v13
	v_and_b32_e32 v14, 7, v14
	v_cmp_eq_u16_e32 vcc, 0, v12
	v_cndmask_b32_e32 v6, v6, v14, vcc
	v_cndmask_b32_e32 v12, v12, v13, vcc
	v_lshlrev_b32_e32 v13, 24, v3
	v_mov_b32_e32 v14, 0x3b800000
	v_lshlrev_b32_e32 v6, 20, v6
	v_and_b32_e32 v13, 0x80000000, v13
	v_lshl_add_u32 v12, v12, 23, v14
	v_or3_b32 v6, v13, v12, v6
.LBB2_1064:
	s_or_b64 exec, exec, s[6:7]
	s_nop 0
	v_mfma_f32_16x16x4f32 a[0:3], v2, v6, a[0:3]
	v_lshrrev_b32_e32 v6, 8, v7
	s_movk_i32 s4, 0x7f
	v_cmp_gt_i16_sdwa s[6:7], v6, s4 src0_sel:BYTE_0 src1_sel:DWORD
	s_mov_b64 s[4:5], 0
                                        ; implicit-def: $sgpr10
	s_and_saveexec_b64 s[8:9], s[6:7]
	s_xor_b64 s[6:7], exec, s[8:9]
	s_cbranch_execz .LBB2_1065
; %bb.36905:
	s_getpc_b64 s[14:15]
.Lpost_getpc22036:
	s_add_u32 s14, s14, (.LBB2_15401-.Lpost_getpc22036)&4294967295
	s_addc_u32 s15, s15, (.LBB2_15401-.Lpost_getpc22036)>>32
	s_setpc_b64 s[14:15]
.LBB2_1065:
	s_or_saveexec_b64 s[6:7], s[6:7]
	v_mov_b32_e32 v2, s10
	s_xor_b64 exec, exec, s[6:7]
	s_cbranch_execz .LBB2_1066
; %bb.36907:
	s_getpc_b64 s[14:15]
.Lpost_getpc22037:
	s_add_u32 s14, s14, (.LBB2_15404-.Lpost_getpc22037)&4294967295
	s_addc_u32 s15, s15, (.LBB2_15404-.Lpost_getpc22037)>>32
	s_setpc_b64 s[14:15]
.LBB2_1066:
	s_or_b64 exec, exec, s[6:7]
	s_and_saveexec_b64 s[6:7], s[4:5]
	s_cbranch_execz .LBB2_1068
.LBB2_1067:
	v_bfe_u32 v2, v7, 8, 3
	v_ffbh_u32_e32 v13, v2
	v_min_u32_e32 v13, 32, v13
	v_lshrrev_b16_e32 v12, 3, v6
	v_subrev_u32_e32 v14, 28, v13
	v_and_b32_e32 v12, 15, v12
	v_lshlrev_b32_e32 v6, v14, v6
	v_sub_u32_e32 v13, 29, v13
	v_and_b32_e32 v6, 7, v6
	v_cmp_eq_u16_e32 vcc, 0, v12
	v_cndmask_b32_e32 v2, v2, v6, vcc
	v_cndmask_b32_e32 v6, v12, v13, vcc
	v_lshlrev_b32_e32 v12, 16, v7
	v_mov_b32_e32 v13, 0x3b800000
	v_lshlrev_b32_e32 v2, 20, v2
	v_and_b32_e32 v12, 0x80000000, v12
	v_lshl_add_u32 v6, v6, 23, v13
	v_or3_b32 v2, v12, v6, v2
.LBB2_1068:
	s_or_b64 exec, exec, s[6:7]
	v_lshrrev_b32_e32 v6, 8, v3
	s_movk_i32 s4, 0x7f
	v_cmp_gt_i16_sdwa s[6:7], v6, s4 src0_sel:BYTE_0 src1_sel:DWORD
	s_mov_b64 s[4:5], 0
                                        ; implicit-def: $sgpr10
	s_and_saveexec_b64 s[8:9], s[6:7]
	s_xor_b64 s[6:7], exec, s[8:9]
	s_cbranch_execz .LBB2_1069
; %bb.36909:
	s_getpc_b64 s[14:15]
.Lpost_getpc22038:
	s_add_u32 s14, s14, (.LBB2_15405-.Lpost_getpc22038)&4294967295
	s_addc_u32 s15, s15, (.LBB2_15405-.Lpost_getpc22038)>>32
	s_setpc_b64 s[14:15]
.LBB2_1069:
	s_or_saveexec_b64 s[6:7], s[6:7]
	v_mov_b32_e32 v12, s10
	s_xor_b64 exec, exec, s[6:7]
	s_cbranch_execz .LBB2_1070
; %bb.36911:
	s_getpc_b64 s[14:15]
.Lpost_getpc22039:
	s_add_u32 s14, s14, (.LBB2_15408-.Lpost_getpc22039)&4294967295
	s_addc_u32 s15, s15, (.LBB2_15408-.Lpost_getpc22039)>>32
	s_setpc_b64 s[14:15]
.LBB2_1070:
	s_or_b64 exec, exec, s[6:7]
	s_and_saveexec_b64 s[6:7], s[4:5]
	s_cbranch_execz .LBB2_1072
.LBB2_1071:
	v_bfe_u32 v12, v3, 8, 3
	v_ffbh_u32_e32 v14, v12
	v_min_u32_e32 v14, 32, v14
	v_lshrrev_b16_e32 v13, 3, v6
	v_subrev_u32_e32 v15, 28, v14
	v_and_b32_e32 v13, 15, v13
	v_lshlrev_b32_e32 v6, v15, v6
	v_sub_u32_e32 v14, 29, v14
	v_and_b32_e32 v6, 7, v6
	v_cmp_eq_u16_e32 vcc, 0, v13
	v_cndmask_b32_e32 v6, v12, v6, vcc
	v_cndmask_b32_e32 v12, v13, v14, vcc
	v_lshlrev_b32_e32 v13, 16, v3
	v_mov_b32_e32 v14, 0x3b800000
	v_lshlrev_b32_e32 v6, 20, v6
	v_and_b32_e32 v13, 0x80000000, v13
	v_lshl_add_u32 v12, v12, 23, v14
	v_or3_b32 v12, v13, v12, v6
.LBB2_1072:
	s_or_b64 exec, exec, s[6:7]
	s_nop 0
	v_mfma_f32_16x16x4f32 a[0:3], v2, v12, a[0:3]
	s_movk_i32 s4, 0xff
	v_and_b32_sdwa v6, v7, s4 dst_sel:DWORD dst_unused:UNUSED_PAD src0_sel:WORD_1 src1_sel:DWORD
	s_movk_i32 s4, 0x7f
	v_cmp_lt_i16_e32 vcc, s4, v6
	s_mov_b64 s[4:5], 0
                                        ; implicit-def: $sgpr10
	s_and_saveexec_b64 s[6:7], vcc
	s_xor_b64 s[6:7], exec, s[6:7]
	s_cbranch_execz .LBB2_1073
; %bb.36913:
	s_getpc_b64 s[14:15]
.Lpost_getpc22040:
	s_add_u32 s14, s14, (.LBB2_15409-.Lpost_getpc22040)&4294967295
	s_addc_u32 s15, s15, (.LBB2_15409-.Lpost_getpc22040)>>32
	s_setpc_b64 s[14:15]
.LBB2_1073:
	s_or_saveexec_b64 s[6:7], s[6:7]
	v_mov_b32_e32 v2, s10
	s_xor_b64 exec, exec, s[6:7]
	s_cbranch_execz .LBB2_1074
; %bb.36915:
	s_getpc_b64 s[14:15]
.Lpost_getpc22041:
	s_add_u32 s14, s14, (.LBB2_15412-.Lpost_getpc22041)&4294967295
	s_addc_u32 s15, s15, (.LBB2_15412-.Lpost_getpc22041)>>32
	s_setpc_b64 s[14:15]
.LBB2_1074:
	s_or_b64 exec, exec, s[6:7]
	s_and_saveexec_b64 s[6:7], s[4:5]
	s_cbranch_execz .LBB2_1076
.LBB2_1075:
	v_bfe_u32 v2, v7, 16, 3
	v_ffbh_u32_e32 v13, v2
	v_min_u32_e32 v13, 32, v13
	v_lshrrev_b32_e32 v6, 19, v7
	v_subrev_u32_e32 v14, 28, v13
	v_and_b32_e32 v6, 15, v6
	v_lshlrev_b32_sdwa v14, v14, v7 dst_sel:DWORD dst_unused:UNUSED_PAD src0_sel:DWORD src1_sel:WORD_1
	v_bfe_u32 v12, v7, 19, 4
	v_sub_u32_e32 v13, 29, v13
	v_and_b32_e32 v14, 7, v14
	v_cmp_eq_u16_e32 vcc, 0, v6
	v_cndmask_b32_e32 v2, v2, v14, vcc
	v_cndmask_b32_e32 v6, v12, v13, vcc
	v_lshlrev_b32_e32 v12, 8, v7
	v_mov_b32_e32 v13, 0x3b800000
	v_lshlrev_b32_e32 v2, 20, v2
	v_and_b32_e32 v12, 0x80000000, v12
	v_lshl_add_u32 v6, v6, 23, v13
	v_or3_b32 v2, v12, v6, v2
.LBB2_1076:
	s_or_b64 exec, exec, s[6:7]
	s_movk_i32 s4, 0xff
	v_and_b32_sdwa v6, v3, s4 dst_sel:DWORD dst_unused:UNUSED_PAD src0_sel:WORD_1 src1_sel:DWORD
	s_movk_i32 s4, 0x7f
	v_cmp_lt_i16_e32 vcc, s4, v6
	s_mov_b64 s[4:5], 0
                                        ; implicit-def: $sgpr10
	s_and_saveexec_b64 s[6:7], vcc
	s_xor_b64 s[6:7], exec, s[6:7]
	s_cbranch_execz .LBB2_1077
; %bb.36917:
	s_getpc_b64 s[14:15]
.Lpost_getpc22042:
	s_add_u32 s14, s14, (.LBB2_15413-.Lpost_getpc22042)&4294967295
	s_addc_u32 s15, s15, (.LBB2_15413-.Lpost_getpc22042)>>32
	s_setpc_b64 s[14:15]
.LBB2_1077:
	s_or_saveexec_b64 s[6:7], s[6:7]
	v_mov_b32_e32 v12, s10
	s_xor_b64 exec, exec, s[6:7]
	s_cbranch_execz .LBB2_1078
; %bb.36919:
	s_getpc_b64 s[14:15]
.Lpost_getpc22043:
	s_add_u32 s14, s14, (.LBB2_15416-.Lpost_getpc22043)&4294967295
	s_addc_u32 s15, s15, (.LBB2_15416-.Lpost_getpc22043)>>32
	s_setpc_b64 s[14:15]
.LBB2_1078:
	s_or_b64 exec, exec, s[6:7]
	s_and_saveexec_b64 s[6:7], s[4:5]
	s_cbranch_execz .LBB2_1080
.LBB2_1079:
	v_bfe_u32 v6, v3, 16, 3
	v_ffbh_u32_e32 v14, v6
	v_min_u32_e32 v14, 32, v14
	v_lshrrev_b32_e32 v12, 19, v3
	v_subrev_u32_e32 v15, 28, v14
	v_and_b32_e32 v12, 15, v12
	v_lshlrev_b32_sdwa v15, v15, v3 dst_sel:DWORD dst_unused:UNUSED_PAD src0_sel:DWORD src1_sel:WORD_1
	v_bfe_u32 v13, v3, 19, 4
	v_sub_u32_e32 v14, 29, v14
	v_and_b32_e32 v15, 7, v15
	v_cmp_eq_u16_e32 vcc, 0, v12
	v_cndmask_b32_e32 v6, v6, v15, vcc
	v_cndmask_b32_e32 v12, v13, v14, vcc
	v_lshlrev_b32_e32 v13, 8, v3
	v_mov_b32_e32 v14, 0x3b800000
	v_lshlrev_b32_e32 v6, 20, v6
	v_and_b32_e32 v13, 0x80000000, v13
	v_lshl_add_u32 v12, v12, 23, v14
	v_or3_b32 v12, v13, v12, v6
.LBB2_1080:
	s_or_b64 exec, exec, s[6:7]
	s_nop 0
	v_mfma_f32_16x16x4f32 a[0:3], v2, v12, a[0:3]
	s_movk_i32 s4, 0x7f
	v_cmp_gt_i16_sdwa s[6:7], v7, s4 src0_sel:BYTE_3 src1_sel:DWORD
	s_mov_b64 s[4:5], 0
                                        ; implicit-def: $sgpr10
	s_and_saveexec_b64 s[8:9], s[6:7]
	s_xor_b64 s[6:7], exec, s[8:9]
	s_cbranch_execz .LBB2_1081
; %bb.36921:
	s_getpc_b64 s[14:15]
.Lpost_getpc22044:
	s_add_u32 s14, s14, (.LBB2_15417-.Lpost_getpc22044)&4294967295
	s_addc_u32 s15, s15, (.LBB2_15417-.Lpost_getpc22044)>>32
	s_setpc_b64 s[14:15]
.LBB2_1081:
	s_or_saveexec_b64 s[6:7], s[6:7]
	v_mov_b32_e32 v2, s10
	s_xor_b64 exec, exec, s[6:7]
	s_cbranch_execz .LBB2_1082
; %bb.36923:
	s_getpc_b64 s[14:15]
.Lpost_getpc22045:
	s_add_u32 s14, s14, (.LBB2_15420-.Lpost_getpc22045)&4294967295
	s_addc_u32 s15, s15, (.LBB2_15420-.Lpost_getpc22045)>>32
	s_setpc_b64 s[14:15]
.LBB2_1082:
	s_or_b64 exec, exec, s[6:7]
	s_and_saveexec_b64 s[6:7], s[4:5]
	s_cbranch_execz .LBB2_1084
.LBB2_1083:
	v_bfe_u32 v2, v7, 24, 3
	v_ffbh_u32_e32 v14, v2
	v_min_u32_e32 v14, 32, v14
	v_lshrrev_b32_e32 v12, 27, v7
	v_subrev_u32_e32 v15, 28, v14
	v_and_b32_e32 v6, 0x80000000, v7
	v_and_b32_e32 v12, 15, v12
	v_bfe_u32 v13, v7, 27, 4
	v_lshlrev_b32_sdwa v7, v15, v7 dst_sel:DWORD dst_unused:UNUSED_PAD src0_sel:DWORD src1_sel:BYTE_3
	v_sub_u32_e32 v14, 29, v14
	v_and_b32_e32 v7, 7, v7
	v_cmp_eq_u16_e32 vcc, 0, v12
	v_cndmask_b32_e32 v2, v2, v7, vcc
	v_cndmask_b32_e32 v7, v13, v14, vcc
	v_mov_b32_e32 v12, 0x3b800000
	v_lshlrev_b32_e32 v2, 20, v2
	v_lshl_add_u32 v7, v7, 23, v12
	v_or3_b32 v2, v6, v7, v2
.LBB2_1084:
	s_or_b64 exec, exec, s[6:7]
	s_movk_i32 s4, 0x7f
	v_cmp_gt_i16_sdwa s[6:7], v3, s4 src0_sel:BYTE_3 src1_sel:DWORD
	s_mov_b64 s[4:5], 0
                                        ; implicit-def: $sgpr10
	s_and_saveexec_b64 s[8:9], s[6:7]
	s_xor_b64 s[6:7], exec, s[8:9]
	s_cbranch_execz .LBB2_1085
; %bb.36925:
	s_getpc_b64 s[14:15]
.Lpost_getpc22046:
	s_add_u32 s14, s14, (.LBB2_15421-.Lpost_getpc22046)&4294967295
	s_addc_u32 s15, s15, (.LBB2_15421-.Lpost_getpc22046)>>32
	s_setpc_b64 s[14:15]
.LBB2_1085:
	s_or_saveexec_b64 s[6:7], s[6:7]
	v_mov_b32_e32 v6, s10
	s_xor_b64 exec, exec, s[6:7]
	s_cbranch_execz .LBB2_1086
; %bb.36927:
	s_getpc_b64 s[14:15]
.Lpost_getpc22047:
	s_add_u32 s14, s14, (.LBB2_15424-.Lpost_getpc22047)&4294967295
	s_addc_u32 s15, s15, (.LBB2_15424-.Lpost_getpc22047)>>32
	s_setpc_b64 s[14:15]
.LBB2_1086:
	s_or_b64 exec, exec, s[6:7]
	s_and_saveexec_b64 s[6:7], s[4:5]
	s_cbranch_execz .LBB2_1088
.LBB2_1087:
	v_bfe_u32 v6, v3, 24, 3
	v_ffbh_u32_e32 v14, v6
	v_min_u32_e32 v14, 32, v14
	v_lshrrev_b32_e32 v12, 27, v3
	v_subrev_u32_e32 v15, 28, v14
	v_and_b32_e32 v7, 0x80000000, v3
	v_and_b32_e32 v12, 15, v12
	v_bfe_u32 v13, v3, 27, 4
	v_lshlrev_b32_sdwa v3, v15, v3 dst_sel:DWORD dst_unused:UNUSED_PAD src0_sel:DWORD src1_sel:BYTE_3
	v_sub_u32_e32 v14, 29, v14
	v_and_b32_e32 v3, 7, v3
	v_cmp_eq_u16_e32 vcc, 0, v12
	v_cndmask_b32_e32 v3, v6, v3, vcc
	v_cndmask_b32_e32 v6, v13, v14, vcc
	v_mov_b32_e32 v12, 0x3b800000
	v_lshlrev_b32_e32 v3, 20, v3
	v_lshl_add_u32 v6, v6, 23, v12
	v_or3_b32 v6, v7, v6, v3
.LBB2_1088:
	s_or_b64 exec, exec, s[6:7]
	s_nop 0
	v_mfma_f32_16x16x4f32 a[0:3], v2, v6, a[0:3]
	s_movk_i32 s4, 0x7f
	v_cmp_gt_i16_sdwa s[6:7], v8, s4 src0_sel:BYTE_0 src1_sel:DWORD
	s_mov_b64 s[4:5], 0
                                        ; implicit-def: $sgpr10
	s_and_saveexec_b64 s[8:9], s[6:7]
	s_xor_b64 s[6:7], exec, s[8:9]
	s_cbranch_execz .LBB2_1089
; %bb.36929:
	s_getpc_b64 s[14:15]
.Lpost_getpc22048:
	s_add_u32 s14, s14, (.LBB2_15425-.Lpost_getpc22048)&4294967295
	s_addc_u32 s15, s15, (.LBB2_15425-.Lpost_getpc22048)>>32
	s_setpc_b64 s[14:15]
.LBB2_1089:
	s_or_saveexec_b64 s[6:7], s[6:7]
	v_mov_b32_e32 v2, s10
	s_xor_b64 exec, exec, s[6:7]
	s_cbranch_execz .LBB2_1090
; %bb.36931:
	s_getpc_b64 s[14:15]
.Lpost_getpc22049:
	s_add_u32 s14, s14, (.LBB2_15428-.Lpost_getpc22049)&4294967295
	s_addc_u32 s15, s15, (.LBB2_15428-.Lpost_getpc22049)>>32
	s_setpc_b64 s[14:15]
.LBB2_1090:
	s_or_b64 exec, exec, s[6:7]
	s_and_saveexec_b64 s[6:7], s[4:5]
	s_cbranch_execz .LBB2_1092
.LBB2_1091:
	v_and_b32_e32 v2, 7, v8
	v_ffbh_u32_e32 v6, v2
	v_min_u32_e32 v6, 32, v6
	v_lshrrev_b16_e32 v3, 3, v8
	v_subrev_u32_e32 v7, 28, v6
	v_and_b32_e32 v3, 15, v3
	v_lshlrev_b32_e32 v7, v7, v8
	v_sub_u32_e32 v6, 29, v6
	v_and_b32_e32 v7, 7, v7
	v_cmp_eq_u16_e32 vcc, 0, v3
	v_cndmask_b32_e32 v2, v2, v7, vcc
	v_cndmask_b32_e32 v3, v3, v6, vcc
	v_lshlrev_b32_e32 v6, 24, v8
	v_mov_b32_e32 v7, 0x3b800000
	v_lshlrev_b32_e32 v2, 20, v2
	v_and_b32_e32 v6, 0x80000000, v6
	v_lshl_add_u32 v3, v3, 23, v7
	v_or3_b32 v2, v6, v3, v2
.LBB2_1092:
	s_or_b64 exec, exec, s[6:7]
	s_movk_i32 s4, 0x7f
	v_cmp_gt_i16_sdwa s[6:7], v4, s4 src0_sel:BYTE_0 src1_sel:DWORD
	s_mov_b64 s[4:5], 0
                                        ; implicit-def: $sgpr10
	s_and_saveexec_b64 s[8:9], s[6:7]
	s_xor_b64 s[6:7], exec, s[8:9]
	s_cbranch_execz .LBB2_1093
; %bb.36933:
	s_getpc_b64 s[14:15]
.Lpost_getpc22050:
	s_add_u32 s14, s14, (.LBB2_15429-.Lpost_getpc22050)&4294967295
	s_addc_u32 s15, s15, (.LBB2_15429-.Lpost_getpc22050)>>32
	s_setpc_b64 s[14:15]
.LBB2_1093:
	s_or_saveexec_b64 s[6:7], s[6:7]
	v_mov_b32_e32 v3, s10
	s_xor_b64 exec, exec, s[6:7]
	s_cbranch_execz .LBB2_1094
; %bb.36935:
	s_getpc_b64 s[14:15]
.Lpost_getpc22051:
	s_add_u32 s14, s14, (.LBB2_15432-.Lpost_getpc22051)&4294967295
	s_addc_u32 s15, s15, (.LBB2_15432-.Lpost_getpc22051)>>32
	s_setpc_b64 s[14:15]
.LBB2_1094:
	s_or_b64 exec, exec, s[6:7]
	s_and_saveexec_b64 s[6:7], s[4:5]
	s_cbranch_execz .LBB2_1096
.LBB2_1095:
	v_and_b32_e32 v3, 7, v4
	v_ffbh_u32_e32 v7, v3
	v_min_u32_e32 v7, 32, v7
	v_lshrrev_b16_e32 v6, 3, v4
	v_subrev_u32_e32 v12, 28, v7
	v_and_b32_e32 v6, 15, v6
	v_lshlrev_b32_e32 v12, v12, v4
	v_sub_u32_e32 v7, 29, v7
	v_and_b32_e32 v12, 7, v12
	v_cmp_eq_u16_e32 vcc, 0, v6
	v_cndmask_b32_e32 v3, v3, v12, vcc
	v_cndmask_b32_e32 v6, v6, v7, vcc
	v_lshlrev_b32_e32 v7, 24, v4
	v_mov_b32_e32 v12, 0x3b800000
	v_lshlrev_b32_e32 v3, 20, v3
	v_and_b32_e32 v7, 0x80000000, v7
	v_lshl_add_u32 v6, v6, 23, v12
	v_or3_b32 v3, v7, v6, v3
.LBB2_1096:
	s_or_b64 exec, exec, s[6:7]
	s_nop 0
	v_mfma_f32_16x16x4f32 a[0:3], v2, v3, a[0:3]
	v_lshrrev_b32_e32 v3, 8, v8
	s_movk_i32 s4, 0x7f
	v_cmp_gt_i16_sdwa s[6:7], v3, s4 src0_sel:BYTE_0 src1_sel:DWORD
	s_mov_b64 s[4:5], 0
                                        ; implicit-def: $sgpr10
	s_and_saveexec_b64 s[8:9], s[6:7]
	s_xor_b64 s[6:7], exec, s[8:9]
	s_cbranch_execz .LBB2_1097
; %bb.36937:
	s_getpc_b64 s[14:15]
.Lpost_getpc22052:
	s_add_u32 s14, s14, (.LBB2_15433-.Lpost_getpc22052)&4294967295
	s_addc_u32 s15, s15, (.LBB2_15433-.Lpost_getpc22052)>>32
	s_setpc_b64 s[14:15]
.LBB2_1097:
	s_or_saveexec_b64 s[6:7], s[6:7]
	v_mov_b32_e32 v2, s10
	s_xor_b64 exec, exec, s[6:7]
	s_cbranch_execz .LBB2_1098
; %bb.36939:
	s_getpc_b64 s[14:15]
.Lpost_getpc22053:
	s_add_u32 s14, s14, (.LBB2_15436-.Lpost_getpc22053)&4294967295
	s_addc_u32 s15, s15, (.LBB2_15436-.Lpost_getpc22053)>>32
	s_setpc_b64 s[14:15]
.LBB2_1098:
	s_or_b64 exec, exec, s[6:7]
	s_and_saveexec_b64 s[6:7], s[4:5]
	s_cbranch_execz .LBB2_1100
.LBB2_1099:
	v_bfe_u32 v2, v8, 8, 3
	v_ffbh_u32_e32 v7, v2
	v_min_u32_e32 v7, 32, v7
	v_lshrrev_b16_e32 v6, 3, v3
	v_subrev_u32_e32 v12, 28, v7
	v_and_b32_e32 v6, 15, v6
	v_lshlrev_b32_e32 v3, v12, v3
	v_sub_u32_e32 v7, 29, v7
	v_and_b32_e32 v3, 7, v3
	v_cmp_eq_u16_e32 vcc, 0, v6
	v_cndmask_b32_e32 v2, v2, v3, vcc
	v_cndmask_b32_e32 v3, v6, v7, vcc
	v_lshlrev_b32_e32 v6, 16, v8
	v_mov_b32_e32 v7, 0x3b800000
	v_lshlrev_b32_e32 v2, 20, v2
	v_and_b32_e32 v6, 0x80000000, v6
	v_lshl_add_u32 v3, v3, 23, v7
	v_or3_b32 v2, v6, v3, v2
.LBB2_1100:
	s_or_b64 exec, exec, s[6:7]
	v_lshrrev_b32_e32 v3, 8, v4
	s_movk_i32 s4, 0x7f
	v_cmp_gt_i16_sdwa s[6:7], v3, s4 src0_sel:BYTE_0 src1_sel:DWORD
	s_mov_b64 s[4:5], 0
                                        ; implicit-def: $sgpr10
	s_and_saveexec_b64 s[8:9], s[6:7]
	s_xor_b64 s[6:7], exec, s[8:9]
	s_cbranch_execz .LBB2_1101
; %bb.36941:
	s_getpc_b64 s[14:15]
.Lpost_getpc22054:
	s_add_u32 s14, s14, (.LBB2_15437-.Lpost_getpc22054)&4294967295
	s_addc_u32 s15, s15, (.LBB2_15437-.Lpost_getpc22054)>>32
	s_setpc_b64 s[14:15]
.LBB2_1101:
	s_or_saveexec_b64 s[6:7], s[6:7]
	v_mov_b32_e32 v6, s10
	s_xor_b64 exec, exec, s[6:7]
	s_cbranch_execz .LBB2_1102
; %bb.36943:
	s_getpc_b64 s[14:15]
.Lpost_getpc22055:
	s_add_u32 s14, s14, (.LBB2_15440-.Lpost_getpc22055)&4294967295
	s_addc_u32 s15, s15, (.LBB2_15440-.Lpost_getpc22055)>>32
	s_setpc_b64 s[14:15]
.LBB2_1102:
	s_or_b64 exec, exec, s[6:7]
	s_and_saveexec_b64 s[6:7], s[4:5]
	s_cbranch_execz .LBB2_1104
.LBB2_1103:
	v_bfe_u32 v6, v4, 8, 3
	v_ffbh_u32_e32 v12, v6
	v_min_u32_e32 v12, 32, v12
	v_lshrrev_b16_e32 v7, 3, v3
	v_subrev_u32_e32 v13, 28, v12
	v_and_b32_e32 v7, 15, v7
	v_lshlrev_b32_e32 v3, v13, v3
	v_sub_u32_e32 v12, 29, v12
	v_and_b32_e32 v3, 7, v3
	v_cmp_eq_u16_e32 vcc, 0, v7
	v_cndmask_b32_e32 v3, v6, v3, vcc
	v_cndmask_b32_e32 v6, v7, v12, vcc
	v_lshlrev_b32_e32 v7, 16, v4
	v_mov_b32_e32 v12, 0x3b800000
	v_lshlrev_b32_e32 v3, 20, v3
	v_and_b32_e32 v7, 0x80000000, v7
	v_lshl_add_u32 v6, v6, 23, v12
	v_or3_b32 v6, v7, v6, v3
.LBB2_1104:
	s_or_b64 exec, exec, s[6:7]
	s_nop 0
	v_mfma_f32_16x16x4f32 a[0:3], v2, v6, a[0:3]
	s_movk_i32 s4, 0xff
	v_and_b32_sdwa v3, v8, s4 dst_sel:DWORD dst_unused:UNUSED_PAD src0_sel:WORD_1 src1_sel:DWORD
	s_movk_i32 s4, 0x7f
	v_cmp_lt_i16_e32 vcc, s4, v3
	s_mov_b64 s[4:5], 0
                                        ; implicit-def: $sgpr10
	s_and_saveexec_b64 s[6:7], vcc
	s_xor_b64 s[6:7], exec, s[6:7]
	s_cbranch_execz .LBB2_1105
; %bb.36945:
	s_getpc_b64 s[14:15]
.Lpost_getpc22056:
	s_add_u32 s14, s14, (.LBB2_15441-.Lpost_getpc22056)&4294967295
	s_addc_u32 s15, s15, (.LBB2_15441-.Lpost_getpc22056)>>32
	s_setpc_b64 s[14:15]
.LBB2_1105:
	s_or_saveexec_b64 s[6:7], s[6:7]
	v_mov_b32_e32 v2, s10
	s_xor_b64 exec, exec, s[6:7]
	s_cbranch_execz .LBB2_1106
; %bb.36947:
	s_getpc_b64 s[14:15]
.Lpost_getpc22057:
	s_add_u32 s14, s14, (.LBB2_15444-.Lpost_getpc22057)&4294967295
	s_addc_u32 s15, s15, (.LBB2_15444-.Lpost_getpc22057)>>32
	s_setpc_b64 s[14:15]
.LBB2_1106:
	s_or_b64 exec, exec, s[6:7]
	s_and_saveexec_b64 s[6:7], s[4:5]
	s_cbranch_execz .LBB2_1108
.LBB2_1107:
	v_bfe_u32 v2, v8, 16, 3
	v_ffbh_u32_e32 v7, v2
	v_min_u32_e32 v7, 32, v7
	v_lshrrev_b32_e32 v3, 19, v8
	v_subrev_u32_e32 v12, 28, v7
	v_and_b32_e32 v3, 15, v3
	v_lshlrev_b32_sdwa v12, v12, v8 dst_sel:DWORD dst_unused:UNUSED_PAD src0_sel:DWORD src1_sel:WORD_1
	v_bfe_u32 v6, v8, 19, 4
	v_sub_u32_e32 v7, 29, v7
	v_and_b32_e32 v12, 7, v12
	v_cmp_eq_u16_e32 vcc, 0, v3
	v_cndmask_b32_e32 v2, v2, v12, vcc
	v_cndmask_b32_e32 v3, v6, v7, vcc
	v_lshlrev_b32_e32 v6, 8, v8
	v_mov_b32_e32 v7, 0x3b800000
	v_lshlrev_b32_e32 v2, 20, v2
	v_and_b32_e32 v6, 0x80000000, v6
	v_lshl_add_u32 v3, v3, 23, v7
	v_or3_b32 v2, v6, v3, v2
.LBB2_1108:
	s_or_b64 exec, exec, s[6:7]
	s_movk_i32 s4, 0xff
	v_and_b32_sdwa v3, v4, s4 dst_sel:DWORD dst_unused:UNUSED_PAD src0_sel:WORD_1 src1_sel:DWORD
	s_movk_i32 s4, 0x7f
	v_cmp_lt_i16_e32 vcc, s4, v3
	s_mov_b64 s[4:5], 0
                                        ; implicit-def: $sgpr10
	s_and_saveexec_b64 s[6:7], vcc
	s_xor_b64 s[6:7], exec, s[6:7]
	s_cbranch_execz .LBB2_1109
; %bb.36949:
	s_getpc_b64 s[14:15]
.Lpost_getpc22058:
	s_add_u32 s14, s14, (.LBB2_15445-.Lpost_getpc22058)&4294967295
	s_addc_u32 s15, s15, (.LBB2_15445-.Lpost_getpc22058)>>32
	s_setpc_b64 s[14:15]
.LBB2_1109:
	s_or_saveexec_b64 s[6:7], s[6:7]
	v_mov_b32_e32 v6, s10
	s_xor_b64 exec, exec, s[6:7]
	s_cbranch_execz .LBB2_1110
; %bb.36951:
	s_getpc_b64 s[14:15]
.Lpost_getpc22059:
	s_add_u32 s14, s14, (.LBB2_15448-.Lpost_getpc22059)&4294967295
	s_addc_u32 s15, s15, (.LBB2_15448-.Lpost_getpc22059)>>32
	s_setpc_b64 s[14:15]
.LBB2_1110:
	s_or_b64 exec, exec, s[6:7]
	s_and_saveexec_b64 s[6:7], s[4:5]
	s_cbranch_execz .LBB2_1112
.LBB2_1111:
	v_bfe_u32 v3, v4, 16, 3
	v_ffbh_u32_e32 v12, v3
	v_min_u32_e32 v12, 32, v12
	v_lshrrev_b32_e32 v6, 19, v4
	v_subrev_u32_e32 v13, 28, v12
	v_and_b32_e32 v6, 15, v6
	v_lshlrev_b32_sdwa v13, v13, v4 dst_sel:DWORD dst_unused:UNUSED_PAD src0_sel:DWORD src1_sel:WORD_1
	v_bfe_u32 v7, v4, 19, 4
	v_sub_u32_e32 v12, 29, v12
	v_and_b32_e32 v13, 7, v13
	v_cmp_eq_u16_e32 vcc, 0, v6
	v_cndmask_b32_e32 v3, v3, v13, vcc
	v_cndmask_b32_e32 v6, v7, v12, vcc
	v_lshlrev_b32_e32 v7, 8, v4
	v_mov_b32_e32 v12, 0x3b800000
	v_lshlrev_b32_e32 v3, 20, v3
	v_and_b32_e32 v7, 0x80000000, v7
	v_lshl_add_u32 v6, v6, 23, v12
	v_or3_b32 v6, v7, v6, v3
.LBB2_1112:
	s_or_b64 exec, exec, s[6:7]
	s_nop 0
	v_mfma_f32_16x16x4f32 a[0:3], v2, v6, a[0:3]
	s_movk_i32 s4, 0x7f
	v_cmp_gt_i16_sdwa s[6:7], v8, s4 src0_sel:BYTE_3 src1_sel:DWORD
	s_mov_b64 s[4:5], 0
                                        ; implicit-def: $sgpr10
	s_and_saveexec_b64 s[8:9], s[6:7]
	s_xor_b64 s[6:7], exec, s[8:9]
	s_cbranch_execz .LBB2_1113
; %bb.36953:
	s_getpc_b64 s[14:15]
.Lpost_getpc22060:
	s_add_u32 s14, s14, (.LBB2_15449-.Lpost_getpc22060)&4294967295
	s_addc_u32 s15, s15, (.LBB2_15449-.Lpost_getpc22060)>>32
	s_setpc_b64 s[14:15]
.LBB2_1113:
	s_or_saveexec_b64 s[6:7], s[6:7]
	v_mov_b32_e32 v2, s10
	s_xor_b64 exec, exec, s[6:7]
	s_cbranch_execz .LBB2_1114
; %bb.36955:
	s_getpc_b64 s[14:15]
.Lpost_getpc22061:
	s_add_u32 s14, s14, (.LBB2_15452-.Lpost_getpc22061)&4294967295
	s_addc_u32 s15, s15, (.LBB2_15452-.Lpost_getpc22061)>>32
	s_setpc_b64 s[14:15]
.LBB2_1114:
	s_or_b64 exec, exec, s[6:7]
	s_and_saveexec_b64 s[6:7], s[4:5]
	s_cbranch_execz .LBB2_1116
.LBB2_1115:
	v_bfe_u32 v2, v8, 24, 3
	v_ffbh_u32_e32 v12, v2
	v_min_u32_e32 v12, 32, v12
	v_lshrrev_b32_e32 v6, 27, v8
	v_subrev_u32_e32 v13, 28, v12
	v_and_b32_e32 v3, 0x80000000, v8
	v_and_b32_e32 v6, 15, v6
	v_bfe_u32 v7, v8, 27, 4
	v_lshlrev_b32_sdwa v8, v13, v8 dst_sel:DWORD dst_unused:UNUSED_PAD src0_sel:DWORD src1_sel:BYTE_3
	v_sub_u32_e32 v12, 29, v12
	v_and_b32_e32 v8, 7, v8
	v_cmp_eq_u16_e32 vcc, 0, v6
	v_cndmask_b32_e32 v2, v2, v8, vcc
	v_cndmask_b32_e32 v6, v7, v12, vcc
	v_mov_b32_e32 v7, 0x3b800000
	v_lshlrev_b32_e32 v2, 20, v2
	v_lshl_add_u32 v6, v6, 23, v7
	v_or3_b32 v2, v3, v6, v2
.LBB2_1116:
	s_or_b64 exec, exec, s[6:7]
	s_movk_i32 s4, 0x7f
	v_cmp_gt_i16_sdwa s[6:7], v4, s4 src0_sel:BYTE_3 src1_sel:DWORD
	s_mov_b64 s[4:5], 0
                                        ; implicit-def: $sgpr10
	s_and_saveexec_b64 s[8:9], s[6:7]
	s_xor_b64 s[6:7], exec, s[8:9]
	s_cbranch_execz .LBB2_1117
; %bb.36957:
	s_getpc_b64 s[14:15]
.Lpost_getpc22062:
	s_add_u32 s14, s14, (.LBB2_15453-.Lpost_getpc22062)&4294967295
	s_addc_u32 s15, s15, (.LBB2_15453-.Lpost_getpc22062)>>32
	s_setpc_b64 s[14:15]
.LBB2_1117:
	s_or_saveexec_b64 s[6:7], s[6:7]
	v_mov_b32_e32 v3, s10
	s_xor_b64 exec, exec, s[6:7]
	s_cbranch_execz .LBB2_1118
; %bb.36959:
	s_getpc_b64 s[14:15]
.Lpost_getpc22063:
	s_add_u32 s14, s14, (.LBB2_15456-.Lpost_getpc22063)&4294967295
	s_addc_u32 s15, s15, (.LBB2_15456-.Lpost_getpc22063)>>32
	s_setpc_b64 s[14:15]
.LBB2_1118:
	s_or_b64 exec, exec, s[6:7]
	s_and_saveexec_b64 s[6:7], s[4:5]
	s_cbranch_execz .LBB2_1120
.LBB2_1119:
	v_bfe_u32 v3, v4, 24, 3
	v_ffbh_u32_e32 v12, v3
	v_min_u32_e32 v12, 32, v12
	v_lshrrev_b32_e32 v7, 27, v4
	v_subrev_u32_e32 v13, 28, v12
	v_and_b32_e32 v6, 0x80000000, v4
	v_and_b32_e32 v7, 15, v7
	v_bfe_u32 v8, v4, 27, 4
	v_lshlrev_b32_sdwa v4, v13, v4 dst_sel:DWORD dst_unused:UNUSED_PAD src0_sel:DWORD src1_sel:BYTE_3
	v_sub_u32_e32 v12, 29, v12
	v_and_b32_e32 v4, 7, v4
	v_cmp_eq_u16_e32 vcc, 0, v7
	v_cndmask_b32_e32 v3, v3, v4, vcc
	v_cndmask_b32_e32 v4, v8, v12, vcc
	v_mov_b32_e32 v7, 0x3b800000
	v_lshlrev_b32_e32 v3, 20, v3
	v_lshl_add_u32 v4, v4, 23, v7
	v_or3_b32 v3, v6, v4, v3
.LBB2_1120:
	s_or_b64 exec, exec, s[6:7]
	s_nop 0
	v_mfma_f32_16x16x4f32 a[0:3], v2, v3, a[0:3]
	s_movk_i32 s4, 0x7f
	v_cmp_gt_i16_sdwa s[6:7], v9, s4 src0_sel:BYTE_0 src1_sel:DWORD
	s_mov_b64 s[4:5], 0
                                        ; implicit-def: $sgpr10
	s_and_saveexec_b64 s[8:9], s[6:7]
	s_xor_b64 s[6:7], exec, s[8:9]
	s_cbranch_execz .LBB2_1121
; %bb.36961:
	s_getpc_b64 s[14:15]
.Lpost_getpc22064:
	s_add_u32 s14, s14, (.LBB2_15457-.Lpost_getpc22064)&4294967295
	s_addc_u32 s15, s15, (.LBB2_15457-.Lpost_getpc22064)>>32
	s_setpc_b64 s[14:15]
.LBB2_1121:
	s_or_saveexec_b64 s[6:7], s[6:7]
	v_mov_b32_e32 v2, s10
	s_xor_b64 exec, exec, s[6:7]
	s_cbranch_execz .LBB2_1122
; %bb.36963:
	s_getpc_b64 s[14:15]
.Lpost_getpc22065:
	s_add_u32 s14, s14, (.LBB2_15460-.Lpost_getpc22065)&4294967295
	s_addc_u32 s15, s15, (.LBB2_15460-.Lpost_getpc22065)>>32
	s_setpc_b64 s[14:15]
.LBB2_1122:
	s_or_b64 exec, exec, s[6:7]
	s_and_saveexec_b64 s[6:7], s[4:5]
	s_cbranch_execz .LBB2_1124
.LBB2_1123:
	v_mov_b32_e32 v2, 8
	v_and_b32_e32 v3, 7, v9
	v_lshrrev_b32_sdwa v2, v2, v9 dst_sel:BYTE_1 dst_unused:UNUSED_PAD src0_sel:DWORD src1_sel:DWORD
	v_ffbh_u32_e32 v4, v3
	v_or_b32_sdwa v2, v9, v2 dst_sel:DWORD dst_unused:UNUSED_PAD src0_sel:BYTE_0 src1_sel:DWORD
	v_min_u32_e32 v4, 32, v4
	v_lshrrev_b16_e32 v2, 3, v2
	v_subrev_u32_e32 v6, 28, v4
	v_and_b32_e32 v2, 15, v2
	v_lshlrev_b32_e32 v6, v6, v9
	v_sub_u32_e32 v4, 29, v4
	v_and_b32_e32 v6, 7, v6
	v_cmp_eq_u16_e32 vcc, 0, v2
	v_cndmask_b32_e32 v3, v3, v6, vcc
	v_cndmask_b32_e32 v2, v2, v4, vcc
	v_lshlrev_b32_e32 v4, 24, v9
	v_mov_b32_e32 v6, 0x3b800000
	v_lshlrev_b32_e32 v3, 20, v3
	v_and_b32_e32 v4, 0x80000000, v4
	v_lshl_add_u32 v2, v2, 23, v6
	v_or3_b32 v2, v4, v2, v3
.LBB2_1124:
	s_or_b64 exec, exec, s[6:7]
	s_movk_i32 s4, 0x7f
	v_cmp_gt_i16_sdwa s[6:7], v5, s4 src0_sel:BYTE_0 src1_sel:DWORD
	s_mov_b64 s[4:5], 0
                                        ; implicit-def: $sgpr10
	s_and_saveexec_b64 s[8:9], s[6:7]
	s_xor_b64 s[6:7], exec, s[8:9]
	s_cbranch_execz .LBB2_1125
; %bb.36965:
	s_getpc_b64 s[14:15]
.Lpost_getpc22066:
	s_add_u32 s14, s14, (.LBB2_15461-.Lpost_getpc22066)&4294967295
	s_addc_u32 s15, s15, (.LBB2_15461-.Lpost_getpc22066)>>32
	s_setpc_b64 s[14:15]
.LBB2_1125:
	s_or_saveexec_b64 s[6:7], s[6:7]
	v_mov_b32_e32 v3, s10
	s_xor_b64 exec, exec, s[6:7]
	s_cbranch_execz .LBB2_1126
; %bb.36967:
	s_getpc_b64 s[14:15]
.Lpost_getpc22067:
	s_add_u32 s14, s14, (.LBB2_15464-.Lpost_getpc22067)&4294967295
	s_addc_u32 s15, s15, (.LBB2_15464-.Lpost_getpc22067)>>32
	s_setpc_b64 s[14:15]
.LBB2_1126:
	s_or_b64 exec, exec, s[6:7]
	s_and_saveexec_b64 s[6:7], s[4:5]
	s_cbranch_execz .LBB2_1128
.LBB2_1127:
	v_mov_b32_e32 v3, 8
	v_and_b32_e32 v4, 7, v5
	v_lshrrev_b32_sdwa v3, v3, v5 dst_sel:BYTE_1 dst_unused:UNUSED_PAD src0_sel:DWORD src1_sel:DWORD
	v_ffbh_u32_e32 v6, v4
	v_or_b32_sdwa v3, v5, v3 dst_sel:DWORD dst_unused:UNUSED_PAD src0_sel:BYTE_0 src1_sel:DWORD
	v_min_u32_e32 v6, 32, v6
	v_lshrrev_b16_e32 v3, 3, v3
	v_subrev_u32_e32 v7, 28, v6
	v_and_b32_e32 v3, 15, v3
	v_lshlrev_b32_e32 v7, v7, v5
	v_sub_u32_e32 v6, 29, v6
	v_and_b32_e32 v7, 7, v7
	v_cmp_eq_u16_e32 vcc, 0, v3
	v_cndmask_b32_e32 v4, v4, v7, vcc
	v_cndmask_b32_e32 v3, v3, v6, vcc
	v_lshlrev_b32_e32 v6, 24, v5
	v_mov_b32_e32 v7, 0x3b800000
	v_lshlrev_b32_e32 v4, 20, v4
	v_and_b32_e32 v6, 0x80000000, v6
	v_lshl_add_u32 v3, v3, 23, v7
	v_or3_b32 v3, v6, v3, v4
.LBB2_1128:
	s_or_b64 exec, exec, s[6:7]
	s_nop 0
	v_mfma_f32_16x16x4f32 a[0:3], v2, v3, a[0:3]
	v_lshrrev_b32_e32 v3, 8, v9
	s_movk_i32 s4, 0x7f
	v_cmp_gt_i16_sdwa s[6:7], v3, s4 src0_sel:BYTE_0 src1_sel:DWORD
	s_mov_b64 s[4:5], 0
                                        ; implicit-def: $sgpr10
	s_and_saveexec_b64 s[8:9], s[6:7]
	s_xor_b64 s[6:7], exec, s[8:9]
	s_cbranch_execz .LBB2_1129
; %bb.36969:
	s_getpc_b64 s[14:15]
.Lpost_getpc22068:
	s_add_u32 s14, s14, (.LBB2_15465-.Lpost_getpc22068)&4294967295
	s_addc_u32 s15, s15, (.LBB2_15465-.Lpost_getpc22068)>>32
	s_setpc_b64 s[14:15]
.LBB2_1129:
	s_or_saveexec_b64 s[6:7], s[6:7]
	v_mov_b32_e32 v2, s10
	s_xor_b64 exec, exec, s[6:7]
	s_cbranch_execz .LBB2_1130
; %bb.36971:
	s_getpc_b64 s[14:15]
.Lpost_getpc22069:
	s_add_u32 s14, s14, (.LBB2_15468-.Lpost_getpc22069)&4294967295
	s_addc_u32 s15, s15, (.LBB2_15468-.Lpost_getpc22069)>>32
	s_setpc_b64 s[14:15]
.LBB2_1130:
	s_or_b64 exec, exec, s[6:7]
	s_and_saveexec_b64 s[6:7], s[4:5]
	s_cbranch_execz .LBB2_1132
.LBB2_1131:
	v_bfe_u32 v2, v9, 8, 3
	v_ffbh_u32_e32 v6, v2
	v_min_u32_e32 v6, 32, v6
	v_lshrrev_b16_e32 v4, 3, v3
	v_subrev_u32_e32 v7, 28, v6
	v_and_b32_e32 v4, 15, v4
	v_lshlrev_b32_e32 v3, v7, v3
	v_sub_u32_e32 v6, 29, v6
	v_and_b32_e32 v3, 7, v3
	v_cmp_eq_u16_e32 vcc, 0, v4
	v_cndmask_b32_e32 v2, v2, v3, vcc
	v_cndmask_b32_e32 v3, v4, v6, vcc
	v_lshlrev_b32_e32 v4, 16, v9
	v_mov_b32_e32 v6, 0x3b800000
	v_lshlrev_b32_e32 v2, 20, v2
	v_and_b32_e32 v4, 0x80000000, v4
	v_lshl_add_u32 v3, v3, 23, v6
	v_or3_b32 v2, v4, v3, v2
.LBB2_1132:
	s_or_b64 exec, exec, s[6:7]
	v_lshrrev_b32_e32 v3, 8, v5
	s_movk_i32 s4, 0x7f
	v_cmp_gt_i16_sdwa s[6:7], v3, s4 src0_sel:BYTE_0 src1_sel:DWORD
	s_mov_b64 s[4:5], 0
                                        ; implicit-def: $sgpr10
	s_and_saveexec_b64 s[8:9], s[6:7]
	s_xor_b64 s[6:7], exec, s[8:9]
	s_cbranch_execz .LBB2_1133
; %bb.36973:
	s_getpc_b64 s[14:15]
.Lpost_getpc22070:
	s_add_u32 s14, s14, (.LBB2_15469-.Lpost_getpc22070)&4294967295
	s_addc_u32 s15, s15, (.LBB2_15469-.Lpost_getpc22070)>>32
	s_setpc_b64 s[14:15]
.LBB2_1133:
	s_or_saveexec_b64 s[6:7], s[6:7]
	v_mov_b32_e32 v4, s10
	s_xor_b64 exec, exec, s[6:7]
	s_cbranch_execz .LBB2_1134
; %bb.36975:
	s_getpc_b64 s[14:15]
.Lpost_getpc22071:
	s_add_u32 s14, s14, (.LBB2_15472-.Lpost_getpc22071)&4294967295
	s_addc_u32 s15, s15, (.LBB2_15472-.Lpost_getpc22071)>>32
	s_setpc_b64 s[14:15]
.LBB2_1134:
	s_or_b64 exec, exec, s[6:7]
	s_and_saveexec_b64 s[6:7], s[4:5]
	s_cbranch_execz .LBB2_1136
.LBB2_1135:
	v_bfe_u32 v4, v5, 8, 3
	v_ffbh_u32_e32 v7, v4
	v_min_u32_e32 v7, 32, v7
	v_lshrrev_b16_e32 v6, 3, v3
	v_subrev_u32_e32 v8, 28, v7
	v_and_b32_e32 v6, 15, v6
	v_lshlrev_b32_e32 v3, v8, v3
	v_sub_u32_e32 v7, 29, v7
	v_and_b32_e32 v3, 7, v3
	v_cmp_eq_u16_e32 vcc, 0, v6
	v_cndmask_b32_e32 v3, v4, v3, vcc
	v_cndmask_b32_e32 v4, v6, v7, vcc
	v_lshlrev_b32_e32 v6, 16, v5
	v_mov_b32_e32 v7, 0x3b800000
	v_lshlrev_b32_e32 v3, 20, v3
	v_and_b32_e32 v6, 0x80000000, v6
	v_lshl_add_u32 v4, v4, 23, v7
	v_or3_b32 v4, v6, v4, v3
.LBB2_1136:
	s_or_b64 exec, exec, s[6:7]
	s_nop 0
	v_mfma_f32_16x16x4f32 a[0:3], v2, v4, a[0:3]
	s_movk_i32 s4, 0xff
	v_and_b32_sdwa v3, v9, s4 dst_sel:DWORD dst_unused:UNUSED_PAD src0_sel:WORD_1 src1_sel:DWORD
	s_movk_i32 s4, 0x7f
	v_cmp_lt_i16_e32 vcc, s4, v3
	s_mov_b64 s[4:5], 0
                                        ; implicit-def: $sgpr10
	s_and_saveexec_b64 s[6:7], vcc
	s_xor_b64 s[6:7], exec, s[6:7]
	s_cbranch_execz .LBB2_1137
; %bb.36977:
	s_getpc_b64 s[14:15]
.Lpost_getpc22072:
	s_add_u32 s14, s14, (.LBB2_15473-.Lpost_getpc22072)&4294967295
	s_addc_u32 s15, s15, (.LBB2_15473-.Lpost_getpc22072)>>32
	s_setpc_b64 s[14:15]
.LBB2_1137:
	s_or_saveexec_b64 s[6:7], s[6:7]
	v_mov_b32_e32 v2, s10
	s_xor_b64 exec, exec, s[6:7]
	s_cbranch_execz .LBB2_1138
; %bb.36979:
	s_getpc_b64 s[14:15]
.Lpost_getpc22073:
	s_add_u32 s14, s14, (.LBB2_15476-.Lpost_getpc22073)&4294967295
	s_addc_u32 s15, s15, (.LBB2_15476-.Lpost_getpc22073)>>32
	s_setpc_b64 s[14:15]
.LBB2_1138:
	s_or_b64 exec, exec, s[6:7]
	s_and_saveexec_b64 s[6:7], s[4:5]
	s_cbranch_execz .LBB2_1140
.LBB2_1139:
	v_bfe_u32 v2, v9, 16, 3
	v_ffbh_u32_e32 v6, v2
	v_min_u32_e32 v6, 32, v6
	v_lshrrev_b32_e32 v3, 19, v9
	v_subrev_u32_e32 v7, 28, v6
	v_and_b32_e32 v3, 15, v3
	v_lshlrev_b32_sdwa v7, v7, v9 dst_sel:DWORD dst_unused:UNUSED_PAD src0_sel:DWORD src1_sel:WORD_1
	v_bfe_u32 v4, v9, 19, 4
	v_sub_u32_e32 v6, 29, v6
	v_and_b32_e32 v7, 7, v7
	v_cmp_eq_u16_e32 vcc, 0, v3
	v_cndmask_b32_e32 v2, v2, v7, vcc
	v_cndmask_b32_e32 v3, v4, v6, vcc
	v_lshlrev_b32_e32 v4, 8, v9
	v_mov_b32_e32 v6, 0x3b800000
	v_lshlrev_b32_e32 v2, 20, v2
	v_and_b32_e32 v4, 0x80000000, v4
	v_lshl_add_u32 v3, v3, 23, v6
	v_or3_b32 v2, v4, v3, v2
.LBB2_1140:
	s_or_b64 exec, exec, s[6:7]
	s_movk_i32 s4, 0xff
	v_and_b32_sdwa v3, v5, s4 dst_sel:DWORD dst_unused:UNUSED_PAD src0_sel:WORD_1 src1_sel:DWORD
	s_movk_i32 s4, 0x7f
	v_cmp_lt_i16_e32 vcc, s4, v3
	s_mov_b64 s[4:5], 0
                                        ; implicit-def: $sgpr10
	s_and_saveexec_b64 s[6:7], vcc
	s_xor_b64 s[6:7], exec, s[6:7]
	s_cbranch_execz .LBB2_1141
; %bb.36981:
	s_getpc_b64 s[14:15]
.Lpost_getpc22074:
	s_add_u32 s14, s14, (.LBB2_15477-.Lpost_getpc22074)&4294967295
	s_addc_u32 s15, s15, (.LBB2_15477-.Lpost_getpc22074)>>32
	s_setpc_b64 s[14:15]
.LBB2_1141:
	s_or_saveexec_b64 s[6:7], s[6:7]
	v_mov_b32_e32 v4, s10
	s_xor_b64 exec, exec, s[6:7]
	s_cbranch_execz .LBB2_1142
; %bb.36983:
	s_getpc_b64 s[14:15]
.Lpost_getpc22075:
	s_add_u32 s14, s14, (.LBB2_15480-.Lpost_getpc22075)&4294967295
	s_addc_u32 s15, s15, (.LBB2_15480-.Lpost_getpc22075)>>32
	s_setpc_b64 s[14:15]
.LBB2_1142:
	s_or_b64 exec, exec, s[6:7]
	s_and_saveexec_b64 s[6:7], s[4:5]
	s_cbranch_execz .LBB2_1144
.LBB2_1143:
	v_bfe_u32 v3, v5, 16, 3
	v_ffbh_u32_e32 v7, v3
	v_min_u32_e32 v7, 32, v7
	v_lshrrev_b32_e32 v4, 19, v5
	v_subrev_u32_e32 v8, 28, v7
	v_and_b32_e32 v4, 15, v4
	v_lshlrev_b32_sdwa v8, v8, v5 dst_sel:DWORD dst_unused:UNUSED_PAD src0_sel:DWORD src1_sel:WORD_1
	v_bfe_u32 v6, v5, 19, 4
	v_sub_u32_e32 v7, 29, v7
	v_and_b32_e32 v8, 7, v8
	v_cmp_eq_u16_e32 vcc, 0, v4
	v_cndmask_b32_e32 v3, v3, v8, vcc
	v_cndmask_b32_e32 v4, v6, v7, vcc
	v_lshlrev_b32_e32 v6, 8, v5
	v_mov_b32_e32 v7, 0x3b800000
	v_lshlrev_b32_e32 v3, 20, v3
	v_and_b32_e32 v6, 0x80000000, v6
	v_lshl_add_u32 v4, v4, 23, v7
	v_or3_b32 v4, v6, v4, v3
.LBB2_1144:
	s_or_b64 exec, exec, s[6:7]
	s_nop 0
	v_mfma_f32_16x16x4f32 a[0:3], v2, v4, a[0:3]
	s_movk_i32 s4, 0x7f
	v_cmp_gt_i16_sdwa s[6:7], v9, s4 src0_sel:BYTE_3 src1_sel:DWORD
	s_mov_b64 s[4:5], 0
                                        ; implicit-def: $sgpr10
	s_and_saveexec_b64 s[8:9], s[6:7]
	s_xor_b64 s[6:7], exec, s[8:9]
	s_cbranch_execz .LBB2_1145
; %bb.36985:
	s_getpc_b64 s[14:15]
.Lpost_getpc22076:
	s_add_u32 s14, s14, (.LBB2_15481-.Lpost_getpc22076)&4294967295
	s_addc_u32 s15, s15, (.LBB2_15481-.Lpost_getpc22076)>>32
	s_setpc_b64 s[14:15]
.LBB2_1145:
	s_or_saveexec_b64 s[6:7], s[6:7]
	v_mov_b32_e32 v2, s10
	s_xor_b64 exec, exec, s[6:7]
	s_cbranch_execz .LBB2_1146
; %bb.36987:
	s_getpc_b64 s[14:15]
.Lpost_getpc22077:
	s_add_u32 s14, s14, (.LBB2_15484-.Lpost_getpc22077)&4294967295
	s_addc_u32 s15, s15, (.LBB2_15484-.Lpost_getpc22077)>>32
	s_setpc_b64 s[14:15]
.LBB2_1146:
	s_or_b64 exec, exec, s[6:7]
	s_and_saveexec_b64 s[6:7], s[4:5]
	s_cbranch_execz .LBB2_1148
.LBB2_1147:
	v_bfe_u32 v2, v9, 24, 3
	v_ffbh_u32_e32 v7, v2
	v_min_u32_e32 v7, 32, v7
	v_lshrrev_b32_e32 v4, 27, v9
	v_subrev_u32_e32 v8, 28, v7
	v_and_b32_e32 v4, 15, v4
	v_lshlrev_b32_sdwa v8, v8, v9 dst_sel:DWORD dst_unused:UNUSED_PAD src0_sel:DWORD src1_sel:BYTE_3
	v_bfe_u32 v6, v9, 27, 4
	v_sub_u32_e32 v7, 29, v7
	v_and_b32_e32 v8, 7, v8
	v_cmp_eq_u16_e32 vcc, 0, v4
	v_cndmask_b32_e32 v2, v2, v8, vcc
	v_cndmask_b32_e32 v4, v6, v7, vcc
	v_mov_b32_e32 v6, 0x3b800000
	v_and_b32_e32 v3, 0x80000000, v9
	v_lshlrev_b32_e32 v2, 20, v2
	v_lshl_add_u32 v4, v4, 23, v6
	v_or3_b32 v2, v3, v4, v2
.LBB2_1148:
	s_or_b64 exec, exec, s[6:7]
	s_movk_i32 s4, 0x7f
	v_cmp_gt_i16_sdwa s[6:7], v5, s4 src0_sel:BYTE_3 src1_sel:DWORD
	s_mov_b64 s[4:5], 0
                                        ; implicit-def: $sgpr10
	s_and_saveexec_b64 s[8:9], s[6:7]
	s_xor_b64 s[6:7], exec, s[8:9]
	s_cbranch_execz .LBB2_1149
; %bb.36989:
	s_getpc_b64 s[14:15]
.Lpost_getpc22078:
	s_add_u32 s14, s14, (.LBB2_15485-.Lpost_getpc22078)&4294967295
	s_addc_u32 s15, s15, (.LBB2_15485-.Lpost_getpc22078)>>32
	s_setpc_b64 s[14:15]
.LBB2_1149:
	s_or_saveexec_b64 s[6:7], s[6:7]
	v_mov_b32_e32 v3, s10
	s_xor_b64 exec, exec, s[6:7]
	s_cbranch_execz .LBB2_1150
; %bb.36991:
	s_getpc_b64 s[14:15]
.Lpost_getpc22079:
	s_add_u32 s14, s14, (.LBB2_15488-.Lpost_getpc22079)&4294967295
	s_addc_u32 s15, s15, (.LBB2_15488-.Lpost_getpc22079)>>32
	s_setpc_b64 s[14:15]
.LBB2_1150:
	s_or_b64 exec, exec, s[6:7]
	s_and_saveexec_b64 s[6:7], s[4:5]
	s_cbranch_execz .LBB2_1152
.LBB2_1151:
	v_bfe_u32 v3, v5, 24, 3
	v_ffbh_u32_e32 v8, v3
	v_min_u32_e32 v8, 32, v8
	v_lshrrev_b32_e32 v6, 27, v5
	v_subrev_u32_e32 v9, 28, v8
	v_and_b32_e32 v4, 0x80000000, v5
	v_and_b32_e32 v6, 15, v6
	v_bfe_u32 v7, v5, 27, 4
	v_lshlrev_b32_sdwa v5, v9, v5 dst_sel:DWORD dst_unused:UNUSED_PAD src0_sel:DWORD src1_sel:BYTE_3
	v_sub_u32_e32 v8, 29, v8
	v_and_b32_e32 v5, 7, v5
	v_cmp_eq_u16_e32 vcc, 0, v6
	v_cndmask_b32_e32 v3, v3, v5, vcc
	v_cndmask_b32_e32 v5, v7, v8, vcc
	v_mov_b32_e32 v6, 0x3b800000
	v_lshlrev_b32_e32 v3, 20, v3
	v_lshl_add_u32 v5, v5, 23, v6
	v_or3_b32 v3, v4, v5, v3
.LBB2_1152:
	s_or_b64 exec, exec, s[6:7]
	s_nop 0
	v_mfma_f32_16x16x4f32 a[0:3], v2, v3, a[0:3]
	s_movk_i32 s4, 0x7f
                                        ; implicit-def: $sgpr10
	s_nop 7
	s_nop 1
	flat_store_dwordx4 v[10:11], a[0:3] offset:128
	flat_load_dwordx4 v[12:15], v[0:1]
	s_nop 0
	flat_load_dwordx2 v[10:11], v[0:1] offset:16
	s_waitcnt vmcnt(0) lgkmcnt(0)
	flat_load_dwordx4 v[6:9], v[12:13] offset:16
	flat_load_dwordx4 v[2:5], v[14:15] offset:16
	s_waitcnt vmcnt(0) lgkmcnt(0)
	v_cmp_gt_i16_sdwa s[6:7], v6, s4 src0_sel:BYTE_0 src1_sel:DWORD
	s_mov_b64 s[4:5], 0
	s_and_saveexec_b64 s[8:9], s[6:7]
	s_xor_b64 s[6:7], exec, s[8:9]
	s_cbranch_execz .LBB2_1153
; %bb.36993:
	s_getpc_b64 s[14:15]
.Lpost_getpc22080:
	s_add_u32 s14, s14, (.LBB2_15489-.Lpost_getpc22080)&4294967295
	s_addc_u32 s15, s15, (.LBB2_15489-.Lpost_getpc22080)>>32
	s_setpc_b64 s[14:15]
.LBB2_1153:
	s_or_saveexec_b64 s[6:7], s[6:7]
	v_mov_b32_e32 v12, s10
	s_xor_b64 exec, exec, s[6:7]
	s_cbranch_execz .LBB2_1154
; %bb.36995:
	s_getpc_b64 s[14:15]
.Lpost_getpc22081:
	s_add_u32 s14, s14, (.LBB2_15492-.Lpost_getpc22081)&4294967295
	s_addc_u32 s15, s15, (.LBB2_15492-.Lpost_getpc22081)>>32
	s_setpc_b64 s[14:15]
.LBB2_1154:
	s_or_b64 exec, exec, s[6:7]
	s_and_saveexec_b64 s[6:7], s[4:5]
	s_cbranch_execz .LBB2_1156
.LBB2_1155:
	v_and_b32_e32 v12, 7, v6
	v_ffbh_u32_e32 v14, v12
	v_min_u32_e32 v14, 32, v14
	v_lshrrev_b16_e32 v13, 3, v6
	v_subrev_u32_e32 v15, 28, v14
	v_and_b32_e32 v13, 15, v13
	v_lshlrev_b32_e32 v15, v15, v6
	v_sub_u32_e32 v14, 29, v14
	v_and_b32_e32 v15, 7, v15
	v_cmp_eq_u16_e32 vcc, 0, v13
	v_cndmask_b32_e32 v12, v12, v15, vcc
	v_cndmask_b32_e32 v13, v13, v14, vcc
	v_lshlrev_b32_e32 v14, 24, v6
	v_mov_b32_e32 v15, 0x3b800000
	v_lshlrev_b32_e32 v12, 20, v12
	v_and_b32_e32 v14, 0x80000000, v14
	v_lshl_add_u32 v13, v13, 23, v15
	v_or3_b32 v12, v14, v13, v12
.LBB2_1156:
	s_or_b64 exec, exec, s[6:7]
	s_movk_i32 s4, 0x7f
	v_cmp_gt_i16_sdwa s[6:7], v2, s4 src0_sel:BYTE_0 src1_sel:DWORD
	s_mov_b64 s[4:5], 0
                                        ; implicit-def: $sgpr10
	s_and_saveexec_b64 s[8:9], s[6:7]
	s_xor_b64 s[6:7], exec, s[8:9]
	s_cbranch_execz .LBB2_1157
; %bb.36997:
	s_getpc_b64 s[14:15]
.Lpost_getpc22082:
	s_add_u32 s14, s14, (.LBB2_15493-.Lpost_getpc22082)&4294967295
	s_addc_u32 s15, s15, (.LBB2_15493-.Lpost_getpc22082)>>32
	s_setpc_b64 s[14:15]
.LBB2_1157:
	s_or_saveexec_b64 s[6:7], s[6:7]
	v_mov_b32_e32 v13, s10
	s_xor_b64 exec, exec, s[6:7]
	s_cbranch_execz .LBB2_1158
; %bb.36999:
	s_getpc_b64 s[14:15]
.Lpost_getpc22083:
	s_add_u32 s14, s14, (.LBB2_15496-.Lpost_getpc22083)&4294967295
	s_addc_u32 s15, s15, (.LBB2_15496-.Lpost_getpc22083)>>32
	s_setpc_b64 s[14:15]
.LBB2_1158:
	s_or_b64 exec, exec, s[6:7]
	s_and_saveexec_b64 s[6:7], s[4:5]
	s_cbranch_execz .LBB2_1160
.LBB2_1159:
	v_and_b32_e32 v13, 7, v2
	v_ffbh_u32_e32 v15, v13
	v_min_u32_e32 v15, 32, v15
	v_lshrrev_b16_e32 v14, 3, v2
	v_subrev_u32_e32 v16, 28, v15
	v_and_b32_e32 v14, 15, v14
	v_lshlrev_b32_e32 v16, v16, v2
	v_sub_u32_e32 v15, 29, v15
	v_and_b32_e32 v16, 7, v16
	v_cmp_eq_u16_e32 vcc, 0, v14
	v_cndmask_b32_e32 v13, v13, v16, vcc
	v_cndmask_b32_e32 v14, v14, v15, vcc
	v_lshlrev_b32_e32 v15, 24, v2
	v_mov_b32_e32 v16, 0x3b800000
	v_lshlrev_b32_e32 v13, 20, v13
	v_and_b32_e32 v15, 0x80000000, v15
	v_lshl_add_u32 v14, v14, 23, v16
	v_or3_b32 v13, v15, v14, v13
.LBB2_1160:
	s_or_b64 exec, exec, s[6:7]
	flat_load_dwordx4 a[0:3], v[10:11] offset:144
	s_movk_i32 s4, 0x7f
                                        ; implicit-def: $sgpr10
	s_waitcnt vmcnt(0) lgkmcnt(0)
	v_mfma_f32_16x16x4f32 a[0:3], v12, v13, a[0:3]
	v_lshrrev_b32_e32 v13, 8, v6
	v_cmp_gt_i16_sdwa s[6:7], v13, s4 src0_sel:BYTE_0 src1_sel:DWORD
	s_mov_b64 s[4:5], 0
	s_and_saveexec_b64 s[8:9], s[6:7]
	s_xor_b64 s[6:7], exec, s[8:9]
	s_cbranch_execz .LBB2_1161
; %bb.37001:
	s_getpc_b64 s[14:15]
.Lpost_getpc22084:
	s_add_u32 s14, s14, (.LBB2_15497-.Lpost_getpc22084)&4294967295
	s_addc_u32 s15, s15, (.LBB2_15497-.Lpost_getpc22084)>>32
	s_setpc_b64 s[14:15]
.LBB2_1161:
	s_or_saveexec_b64 s[6:7], s[6:7]
	v_mov_b32_e32 v12, s10
	s_xor_b64 exec, exec, s[6:7]
	s_cbranch_execz .LBB2_1162
; %bb.37003:
	s_getpc_b64 s[14:15]
.Lpost_getpc22085:
	s_add_u32 s14, s14, (.LBB2_15500-.Lpost_getpc22085)&4294967295
	s_addc_u32 s15, s15, (.LBB2_15500-.Lpost_getpc22085)>>32
	s_setpc_b64 s[14:15]
.LBB2_1162:
	s_or_b64 exec, exec, s[6:7]
	s_and_saveexec_b64 s[6:7], s[4:5]
	s_cbranch_execz .LBB2_1164
.LBB2_1163:
	v_bfe_u32 v12, v6, 8, 3
	v_ffbh_u32_e32 v15, v12
	v_min_u32_e32 v15, 32, v15
	v_lshrrev_b16_e32 v14, 3, v13
	v_subrev_u32_e32 v16, 28, v15
	v_and_b32_e32 v14, 15, v14
	v_lshlrev_b32_e32 v13, v16, v13
	v_sub_u32_e32 v15, 29, v15
	v_and_b32_e32 v13, 7, v13
	v_cmp_eq_u16_e32 vcc, 0, v14
	v_cndmask_b32_e32 v12, v12, v13, vcc
	v_cndmask_b32_e32 v13, v14, v15, vcc
	v_lshlrev_b32_e32 v14, 16, v6
	v_mov_b32_e32 v15, 0x3b800000
	v_lshlrev_b32_e32 v12, 20, v12
	v_and_b32_e32 v14, 0x80000000, v14
	v_lshl_add_u32 v13, v13, 23, v15
	v_or3_b32 v12, v14, v13, v12
.LBB2_1164:
	s_or_b64 exec, exec, s[6:7]
	v_lshrrev_b32_e32 v13, 8, v2
	s_movk_i32 s4, 0x7f
	v_cmp_gt_i16_sdwa s[6:7], v13, s4 src0_sel:BYTE_0 src1_sel:DWORD
	s_mov_b64 s[4:5], 0
                                        ; implicit-def: $sgpr10
	s_and_saveexec_b64 s[8:9], s[6:7]
	s_xor_b64 s[6:7], exec, s[8:9]
	s_cbranch_execz .LBB2_1165
; %bb.37005:
	s_getpc_b64 s[14:15]
.Lpost_getpc22086:
	s_add_u32 s14, s14, (.LBB2_15501-.Lpost_getpc22086)&4294967295
	s_addc_u32 s15, s15, (.LBB2_15501-.Lpost_getpc22086)>>32
	s_setpc_b64 s[14:15]
.LBB2_1165:
	s_or_saveexec_b64 s[6:7], s[6:7]
	v_mov_b32_e32 v14, s10
	s_xor_b64 exec, exec, s[6:7]
	s_cbranch_execz .LBB2_1166
; %bb.37007:
	s_getpc_b64 s[14:15]
.Lpost_getpc22087:
	s_add_u32 s14, s14, (.LBB2_15504-.Lpost_getpc22087)&4294967295
	s_addc_u32 s15, s15, (.LBB2_15504-.Lpost_getpc22087)>>32
	s_setpc_b64 s[14:15]
.LBB2_1166:
	s_or_b64 exec, exec, s[6:7]
	s_and_saveexec_b64 s[6:7], s[4:5]
	s_cbranch_execz .LBB2_1168
.LBB2_1167:
	v_bfe_u32 v14, v2, 8, 3
	v_ffbh_u32_e32 v16, v14
	v_min_u32_e32 v16, 32, v16
	v_lshrrev_b16_e32 v15, 3, v13
	v_subrev_u32_e32 v17, 28, v16
	v_and_b32_e32 v15, 15, v15
	v_lshlrev_b32_e32 v13, v17, v13
	v_sub_u32_e32 v16, 29, v16
	v_and_b32_e32 v13, 7, v13
	v_cmp_eq_u16_e32 vcc, 0, v15
	v_cndmask_b32_e32 v13, v14, v13, vcc
	v_cndmask_b32_e32 v14, v15, v16, vcc
	v_lshlrev_b32_e32 v15, 16, v2
	v_mov_b32_e32 v16, 0x3b800000
	v_lshlrev_b32_e32 v13, 20, v13
	v_and_b32_e32 v15, 0x80000000, v15
	v_lshl_add_u32 v14, v14, 23, v16
	v_or3_b32 v14, v15, v14, v13
.LBB2_1168:
	s_or_b64 exec, exec, s[6:7]
	s_nop 0
	v_mfma_f32_16x16x4f32 a[0:3], v12, v14, a[0:3]
	s_movk_i32 s4, 0xff
	v_and_b32_sdwa v13, v6, s4 dst_sel:DWORD dst_unused:UNUSED_PAD src0_sel:WORD_1 src1_sel:DWORD
	s_movk_i32 s4, 0x7f
	v_cmp_lt_i16_e32 vcc, s4, v13
	s_mov_b64 s[4:5], 0
                                        ; implicit-def: $sgpr10
	s_and_saveexec_b64 s[6:7], vcc
	s_xor_b64 s[6:7], exec, s[6:7]
	s_cbranch_execz .LBB2_1169
; %bb.37009:
	s_getpc_b64 s[14:15]
.Lpost_getpc22088:
	s_add_u32 s14, s14, (.LBB2_15505-.Lpost_getpc22088)&4294967295
	s_addc_u32 s15, s15, (.LBB2_15505-.Lpost_getpc22088)>>32
	s_setpc_b64 s[14:15]
.LBB2_1169:
	s_or_saveexec_b64 s[6:7], s[6:7]
	v_mov_b32_e32 v12, s10
	s_xor_b64 exec, exec, s[6:7]
	s_cbranch_execz .LBB2_1170
; %bb.37011:
	s_getpc_b64 s[14:15]
.Lpost_getpc22089:
	s_add_u32 s14, s14, (.LBB2_15508-.Lpost_getpc22089)&4294967295
	s_addc_u32 s15, s15, (.LBB2_15508-.Lpost_getpc22089)>>32
	s_setpc_b64 s[14:15]
.LBB2_1170:
	s_or_b64 exec, exec, s[6:7]
	s_and_saveexec_b64 s[6:7], s[4:5]
	s_cbranch_execz .LBB2_1172
.LBB2_1171:
	v_bfe_u32 v12, v6, 16, 3
	v_ffbh_u32_e32 v15, v12
	v_min_u32_e32 v15, 32, v15
	v_lshrrev_b32_e32 v13, 19, v6
	v_subrev_u32_e32 v16, 28, v15
	v_and_b32_e32 v13, 15, v13
	v_lshlrev_b32_sdwa v16, v16, v6 dst_sel:DWORD dst_unused:UNUSED_PAD src0_sel:DWORD src1_sel:WORD_1
	v_bfe_u32 v14, v6, 19, 4
	v_sub_u32_e32 v15, 29, v15
	v_and_b32_e32 v16, 7, v16
	v_cmp_eq_u16_e32 vcc, 0, v13
	v_cndmask_b32_e32 v12, v12, v16, vcc
	v_cndmask_b32_e32 v13, v14, v15, vcc
	v_lshlrev_b32_e32 v14, 8, v6
	v_mov_b32_e32 v15, 0x3b800000
	v_lshlrev_b32_e32 v12, 20, v12
	v_and_b32_e32 v14, 0x80000000, v14
	v_lshl_add_u32 v13, v13, 23, v15
	v_or3_b32 v12, v14, v13, v12
.LBB2_1172:
	s_or_b64 exec, exec, s[6:7]
	s_movk_i32 s4, 0xff
	v_and_b32_sdwa v13, v2, s4 dst_sel:DWORD dst_unused:UNUSED_PAD src0_sel:WORD_1 src1_sel:DWORD
	s_movk_i32 s4, 0x7f
	v_cmp_lt_i16_e32 vcc, s4, v13
	s_mov_b64 s[4:5], 0
                                        ; implicit-def: $sgpr10
	s_and_saveexec_b64 s[6:7], vcc
	s_xor_b64 s[6:7], exec, s[6:7]
	s_cbranch_execz .LBB2_1173
; %bb.37013:
	s_getpc_b64 s[14:15]
.Lpost_getpc22090:
	s_add_u32 s14, s14, (.LBB2_15509-.Lpost_getpc22090)&4294967295
	s_addc_u32 s15, s15, (.LBB2_15509-.Lpost_getpc22090)>>32
	s_setpc_b64 s[14:15]
.LBB2_1173:
	s_or_saveexec_b64 s[6:7], s[6:7]
	v_mov_b32_e32 v14, s10
	s_xor_b64 exec, exec, s[6:7]
	s_cbranch_execz .LBB2_1174
; %bb.37015:
	s_getpc_b64 s[14:15]
.Lpost_getpc22091:
	s_add_u32 s14, s14, (.LBB2_15512-.Lpost_getpc22091)&4294967295
	s_addc_u32 s15, s15, (.LBB2_15512-.Lpost_getpc22091)>>32
	s_setpc_b64 s[14:15]
.LBB2_1174:
	s_or_b64 exec, exec, s[6:7]
	s_and_saveexec_b64 s[6:7], s[4:5]
	s_cbranch_execz .LBB2_1176
.LBB2_1175:
	v_bfe_u32 v13, v2, 16, 3
	v_ffbh_u32_e32 v16, v13
	v_min_u32_e32 v16, 32, v16
	v_lshrrev_b32_e32 v14, 19, v2
	v_subrev_u32_e32 v17, 28, v16
	v_and_b32_e32 v14, 15, v14
	v_lshlrev_b32_sdwa v17, v17, v2 dst_sel:DWORD dst_unused:UNUSED_PAD src0_sel:DWORD src1_sel:WORD_1
	v_bfe_u32 v15, v2, 19, 4
	v_sub_u32_e32 v16, 29, v16
	v_and_b32_e32 v17, 7, v17
	v_cmp_eq_u16_e32 vcc, 0, v14
	v_cndmask_b32_e32 v13, v13, v17, vcc
	v_cndmask_b32_e32 v14, v15, v16, vcc
	v_lshlrev_b32_e32 v15, 8, v2
	v_mov_b32_e32 v16, 0x3b800000
	v_lshlrev_b32_e32 v13, 20, v13
	v_and_b32_e32 v15, 0x80000000, v15
	v_lshl_add_u32 v14, v14, 23, v16
	v_or3_b32 v14, v15, v14, v13
.LBB2_1176:
	s_or_b64 exec, exec, s[6:7]
	s_nop 0
	v_mfma_f32_16x16x4f32 a[0:3], v12, v14, a[0:3]
	s_movk_i32 s4, 0x7f
	v_cmp_gt_i16_sdwa s[6:7], v6, s4 src0_sel:BYTE_3 src1_sel:DWORD
	s_mov_b64 s[4:5], 0
                                        ; implicit-def: $sgpr10
	s_and_saveexec_b64 s[8:9], s[6:7]
	s_xor_b64 s[6:7], exec, s[8:9]
	s_cbranch_execz .LBB2_1177
; %bb.37017:
	s_getpc_b64 s[14:15]
.Lpost_getpc22092:
	s_add_u32 s14, s14, (.LBB2_15513-.Lpost_getpc22092)&4294967295
	s_addc_u32 s15, s15, (.LBB2_15513-.Lpost_getpc22092)>>32
	s_setpc_b64 s[14:15]
.LBB2_1177:
	s_or_saveexec_b64 s[6:7], s[6:7]
	v_mov_b32_e32 v12, s10
	s_xor_b64 exec, exec, s[6:7]
	s_cbranch_execz .LBB2_1178
; %bb.37019:
	s_getpc_b64 s[14:15]
.Lpost_getpc22093:
	s_add_u32 s14, s14, (.LBB2_15516-.Lpost_getpc22093)&4294967295
	s_addc_u32 s15, s15, (.LBB2_15516-.Lpost_getpc22093)>>32
	s_setpc_b64 s[14:15]
.LBB2_1178:
	s_or_b64 exec, exec, s[6:7]
	s_and_saveexec_b64 s[6:7], s[4:5]
	s_cbranch_execz .LBB2_1180
.LBB2_1179:
	v_bfe_u32 v12, v6, 24, 3
	v_ffbh_u32_e32 v16, v12
	v_min_u32_e32 v16, 32, v16
	v_lshrrev_b32_e32 v14, 27, v6
	v_subrev_u32_e32 v17, 28, v16
	v_and_b32_e32 v13, 0x80000000, v6
	v_and_b32_e32 v14, 15, v14
	v_bfe_u32 v15, v6, 27, 4
	v_lshlrev_b32_sdwa v6, v17, v6 dst_sel:DWORD dst_unused:UNUSED_PAD src0_sel:DWORD src1_sel:BYTE_3
	v_sub_u32_e32 v16, 29, v16
	v_and_b32_e32 v6, 7, v6
	v_cmp_eq_u16_e32 vcc, 0, v14
	v_cndmask_b32_e32 v6, v12, v6, vcc
	v_cndmask_b32_e32 v12, v15, v16, vcc
	v_mov_b32_e32 v14, 0x3b800000
	v_lshlrev_b32_e32 v6, 20, v6
	v_lshl_add_u32 v12, v12, 23, v14
	v_or3_b32 v12, v13, v12, v6
.LBB2_1180:
	s_or_b64 exec, exec, s[6:7]
	s_movk_i32 s4, 0x7f
	v_cmp_gt_i16_sdwa s[6:7], v2, s4 src0_sel:BYTE_3 src1_sel:DWORD
	s_mov_b64 s[4:5], 0
                                        ; implicit-def: $sgpr10
	s_and_saveexec_b64 s[8:9], s[6:7]
	s_xor_b64 s[6:7], exec, s[8:9]
	s_cbranch_execz .LBB2_1181
; %bb.37021:
	s_getpc_b64 s[14:15]
.Lpost_getpc22094:
	s_add_u32 s14, s14, (.LBB2_15517-.Lpost_getpc22094)&4294967295
	s_addc_u32 s15, s15, (.LBB2_15517-.Lpost_getpc22094)>>32
	s_setpc_b64 s[14:15]
.LBB2_1181:
	s_or_saveexec_b64 s[6:7], s[6:7]
	v_mov_b32_e32 v6, s10
	s_xor_b64 exec, exec, s[6:7]
	s_cbranch_execz .LBB2_1182
; %bb.37023:
	s_getpc_b64 s[14:15]
.Lpost_getpc22095:
	s_add_u32 s14, s14, (.LBB2_15520-.Lpost_getpc22095)&4294967295
	s_addc_u32 s15, s15, (.LBB2_15520-.Lpost_getpc22095)>>32
	s_setpc_b64 s[14:15]
.LBB2_1182:
	s_or_b64 exec, exec, s[6:7]
	s_and_saveexec_b64 s[6:7], s[4:5]
	s_cbranch_execz .LBB2_1184
.LBB2_1183:
	v_bfe_u32 v6, v2, 24, 3
	v_ffbh_u32_e32 v16, v6
	v_min_u32_e32 v16, 32, v16
	v_lshrrev_b32_e32 v14, 27, v2
	v_subrev_u32_e32 v17, 28, v16
	v_and_b32_e32 v13, 0x80000000, v2
	v_and_b32_e32 v14, 15, v14
	v_bfe_u32 v15, v2, 27, 4
	v_lshlrev_b32_sdwa v2, v17, v2 dst_sel:DWORD dst_unused:UNUSED_PAD src0_sel:DWORD src1_sel:BYTE_3
	v_sub_u32_e32 v16, 29, v16
	v_and_b32_e32 v2, 7, v2
	v_cmp_eq_u16_e32 vcc, 0, v14
	v_cndmask_b32_e32 v2, v6, v2, vcc
	v_cndmask_b32_e32 v6, v15, v16, vcc
	v_mov_b32_e32 v14, 0x3b800000
	v_lshlrev_b32_e32 v2, 20, v2
	v_lshl_add_u32 v6, v6, 23, v14
	v_or3_b32 v6, v13, v6, v2
.LBB2_1184:
	s_or_b64 exec, exec, s[6:7]
	s_nop 0
	v_mfma_f32_16x16x4f32 a[0:3], v12, v6, a[0:3]
	s_movk_i32 s4, 0x7f
	v_cmp_gt_i16_sdwa s[6:7], v7, s4 src0_sel:BYTE_0 src1_sel:DWORD
	s_mov_b64 s[4:5], 0
                                        ; implicit-def: $sgpr10
	s_and_saveexec_b64 s[8:9], s[6:7]
	s_xor_b64 s[6:7], exec, s[8:9]
	s_cbranch_execz .LBB2_1185
; %bb.37025:
	s_getpc_b64 s[14:15]
.Lpost_getpc22096:
	s_add_u32 s14, s14, (.LBB2_15521-.Lpost_getpc22096)&4294967295
	s_addc_u32 s15, s15, (.LBB2_15521-.Lpost_getpc22096)>>32
	s_setpc_b64 s[14:15]
.LBB2_1185:
	s_or_saveexec_b64 s[6:7], s[6:7]
	v_mov_b32_e32 v2, s10
	s_xor_b64 exec, exec, s[6:7]
	s_cbranch_execz .LBB2_1186
; %bb.37027:
	s_getpc_b64 s[14:15]
.Lpost_getpc22097:
	s_add_u32 s14, s14, (.LBB2_15524-.Lpost_getpc22097)&4294967295
	s_addc_u32 s15, s15, (.LBB2_15524-.Lpost_getpc22097)>>32
	s_setpc_b64 s[14:15]
.LBB2_1186:
	s_or_b64 exec, exec, s[6:7]
	s_and_saveexec_b64 s[6:7], s[4:5]
	s_cbranch_execz .LBB2_1188
.LBB2_1187:
	v_and_b32_e32 v2, 7, v7
	v_ffbh_u32_e32 v12, v2
	v_min_u32_e32 v12, 32, v12
	v_lshrrev_b16_e32 v6, 3, v7
	v_subrev_u32_e32 v13, 28, v12
	v_and_b32_e32 v6, 15, v6
	v_lshlrev_b32_e32 v13, v13, v7
	v_sub_u32_e32 v12, 29, v12
	v_and_b32_e32 v13, 7, v13
	v_cmp_eq_u16_e32 vcc, 0, v6
	v_cndmask_b32_e32 v2, v2, v13, vcc
	v_cndmask_b32_e32 v6, v6, v12, vcc
	v_lshlrev_b32_e32 v12, 24, v7
	v_mov_b32_e32 v13, 0x3b800000
	v_lshlrev_b32_e32 v2, 20, v2
	v_and_b32_e32 v12, 0x80000000, v12
	v_lshl_add_u32 v6, v6, 23, v13
	v_or3_b32 v2, v12, v6, v2
.LBB2_1188:
	s_or_b64 exec, exec, s[6:7]
	s_movk_i32 s4, 0x7f
	v_cmp_gt_i16_sdwa s[6:7], v3, s4 src0_sel:BYTE_0 src1_sel:DWORD
	s_mov_b64 s[4:5], 0
                                        ; implicit-def: $sgpr10
	s_and_saveexec_b64 s[8:9], s[6:7]
	s_xor_b64 s[6:7], exec, s[8:9]
	s_cbranch_execz .LBB2_1189
; %bb.37029:
	s_getpc_b64 s[14:15]
.Lpost_getpc22098:
	s_add_u32 s14, s14, (.LBB2_15525-.Lpost_getpc22098)&4294967295
	s_addc_u32 s15, s15, (.LBB2_15525-.Lpost_getpc22098)>>32
	s_setpc_b64 s[14:15]
.LBB2_1189:
	s_or_saveexec_b64 s[6:7], s[6:7]
	v_mov_b32_e32 v6, s10
	s_xor_b64 exec, exec, s[6:7]
	s_cbranch_execz .LBB2_1190
; %bb.37031:
	s_getpc_b64 s[14:15]
.Lpost_getpc22099:
	s_add_u32 s14, s14, (.LBB2_15528-.Lpost_getpc22099)&4294967295
	s_addc_u32 s15, s15, (.LBB2_15528-.Lpost_getpc22099)>>32
	s_setpc_b64 s[14:15]
.LBB2_1190:
	s_or_b64 exec, exec, s[6:7]
	s_and_saveexec_b64 s[6:7], s[4:5]
	s_cbranch_execz .LBB2_1192
.LBB2_1191:
	v_and_b32_e32 v6, 7, v3
	v_ffbh_u32_e32 v13, v6
	v_min_u32_e32 v13, 32, v13
	v_lshrrev_b16_e32 v12, 3, v3
	v_subrev_u32_e32 v14, 28, v13
	v_and_b32_e32 v12, 15, v12
	v_lshlrev_b32_e32 v14, v14, v3
	v_sub_u32_e32 v13, 29, v13
	v_and_b32_e32 v14, 7, v14
	v_cmp_eq_u16_e32 vcc, 0, v12
	v_cndmask_b32_e32 v6, v6, v14, vcc
	v_cndmask_b32_e32 v12, v12, v13, vcc
	v_lshlrev_b32_e32 v13, 24, v3
	v_mov_b32_e32 v14, 0x3b800000
	v_lshlrev_b32_e32 v6, 20, v6
	v_and_b32_e32 v13, 0x80000000, v13
	v_lshl_add_u32 v12, v12, 23, v14
	v_or3_b32 v6, v13, v12, v6
.LBB2_1192:
	s_or_b64 exec, exec, s[6:7]
	s_nop 0
	v_mfma_f32_16x16x4f32 a[0:3], v2, v6, a[0:3]
	v_lshrrev_b32_e32 v6, 8, v7
	s_movk_i32 s4, 0x7f
	v_cmp_gt_i16_sdwa s[6:7], v6, s4 src0_sel:BYTE_0 src1_sel:DWORD
	s_mov_b64 s[4:5], 0
                                        ; implicit-def: $sgpr10
	s_and_saveexec_b64 s[8:9], s[6:7]
	s_xor_b64 s[6:7], exec, s[8:9]
	s_cbranch_execz .LBB2_1193
; %bb.37033:
	s_getpc_b64 s[14:15]
.Lpost_getpc22100:
	s_add_u32 s14, s14, (.LBB2_15529-.Lpost_getpc22100)&4294967295
	s_addc_u32 s15, s15, (.LBB2_15529-.Lpost_getpc22100)>>32
	s_setpc_b64 s[14:15]
.LBB2_1193:
	s_or_saveexec_b64 s[6:7], s[6:7]
	v_mov_b32_e32 v2, s10
	s_xor_b64 exec, exec, s[6:7]
	s_cbranch_execz .LBB2_1194
; %bb.37035:
	s_getpc_b64 s[14:15]
.Lpost_getpc22101:
	s_add_u32 s14, s14, (.LBB2_15532-.Lpost_getpc22101)&4294967295
	s_addc_u32 s15, s15, (.LBB2_15532-.Lpost_getpc22101)>>32
	s_setpc_b64 s[14:15]
.LBB2_1194:
	s_or_b64 exec, exec, s[6:7]
	s_and_saveexec_b64 s[6:7], s[4:5]
	s_cbranch_execz .LBB2_1196
.LBB2_1195:
	v_bfe_u32 v2, v7, 8, 3
	v_ffbh_u32_e32 v13, v2
	v_min_u32_e32 v13, 32, v13
	v_lshrrev_b16_e32 v12, 3, v6
	v_subrev_u32_e32 v14, 28, v13
	v_and_b32_e32 v12, 15, v12
	v_lshlrev_b32_e32 v6, v14, v6
	v_sub_u32_e32 v13, 29, v13
	v_and_b32_e32 v6, 7, v6
	v_cmp_eq_u16_e32 vcc, 0, v12
	v_cndmask_b32_e32 v2, v2, v6, vcc
	v_cndmask_b32_e32 v6, v12, v13, vcc
	v_lshlrev_b32_e32 v12, 16, v7
	v_mov_b32_e32 v13, 0x3b800000
	v_lshlrev_b32_e32 v2, 20, v2
	v_and_b32_e32 v12, 0x80000000, v12
	v_lshl_add_u32 v6, v6, 23, v13
	v_or3_b32 v2, v12, v6, v2
.LBB2_1196:
	s_or_b64 exec, exec, s[6:7]
	v_lshrrev_b32_e32 v6, 8, v3
	s_movk_i32 s4, 0x7f
	v_cmp_gt_i16_sdwa s[6:7], v6, s4 src0_sel:BYTE_0 src1_sel:DWORD
	s_mov_b64 s[4:5], 0
                                        ; implicit-def: $sgpr10
	s_and_saveexec_b64 s[8:9], s[6:7]
	s_xor_b64 s[6:7], exec, s[8:9]
	s_cbranch_execz .LBB2_1197
; %bb.37037:
	s_getpc_b64 s[14:15]
.Lpost_getpc22102:
	s_add_u32 s14, s14, (.LBB2_15533-.Lpost_getpc22102)&4294967295
	s_addc_u32 s15, s15, (.LBB2_15533-.Lpost_getpc22102)>>32
	s_setpc_b64 s[14:15]
.LBB2_1197:
	s_or_saveexec_b64 s[6:7], s[6:7]
	v_mov_b32_e32 v12, s10
	s_xor_b64 exec, exec, s[6:7]
	s_cbranch_execz .LBB2_1198
; %bb.37039:
	s_getpc_b64 s[14:15]
.Lpost_getpc22103:
	s_add_u32 s14, s14, (.LBB2_15536-.Lpost_getpc22103)&4294967295
	s_addc_u32 s15, s15, (.LBB2_15536-.Lpost_getpc22103)>>32
	s_setpc_b64 s[14:15]
.LBB2_1198:
	s_or_b64 exec, exec, s[6:7]
	s_and_saveexec_b64 s[6:7], s[4:5]
	s_cbranch_execz .LBB2_1200
.LBB2_1199:
	v_bfe_u32 v12, v3, 8, 3
	v_ffbh_u32_e32 v14, v12
	v_min_u32_e32 v14, 32, v14
	v_lshrrev_b16_e32 v13, 3, v6
	v_subrev_u32_e32 v15, 28, v14
	v_and_b32_e32 v13, 15, v13
	v_lshlrev_b32_e32 v6, v15, v6
	v_sub_u32_e32 v14, 29, v14
	v_and_b32_e32 v6, 7, v6
	v_cmp_eq_u16_e32 vcc, 0, v13
	v_cndmask_b32_e32 v6, v12, v6, vcc
	v_cndmask_b32_e32 v12, v13, v14, vcc
	v_lshlrev_b32_e32 v13, 16, v3
	v_mov_b32_e32 v14, 0x3b800000
	v_lshlrev_b32_e32 v6, 20, v6
	v_and_b32_e32 v13, 0x80000000, v13
	v_lshl_add_u32 v12, v12, 23, v14
	v_or3_b32 v12, v13, v12, v6
.LBB2_1200:
	s_or_b64 exec, exec, s[6:7]
	s_nop 0
	v_mfma_f32_16x16x4f32 a[0:3], v2, v12, a[0:3]
	s_movk_i32 s4, 0xff
	v_and_b32_sdwa v6, v7, s4 dst_sel:DWORD dst_unused:UNUSED_PAD src0_sel:WORD_1 src1_sel:DWORD
	s_movk_i32 s4, 0x7f
	v_cmp_lt_i16_e32 vcc, s4, v6
	s_mov_b64 s[4:5], 0
                                        ; implicit-def: $sgpr10
	s_and_saveexec_b64 s[6:7], vcc
	s_xor_b64 s[6:7], exec, s[6:7]
	s_cbranch_execz .LBB2_1201
; %bb.37041:
	s_getpc_b64 s[14:15]
.Lpost_getpc22104:
	s_add_u32 s14, s14, (.LBB2_15537-.Lpost_getpc22104)&4294967295
	s_addc_u32 s15, s15, (.LBB2_15537-.Lpost_getpc22104)>>32
	s_setpc_b64 s[14:15]
.LBB2_1201:
	s_or_saveexec_b64 s[6:7], s[6:7]
	v_mov_b32_e32 v2, s10
	s_xor_b64 exec, exec, s[6:7]
	s_cbranch_execz .LBB2_1202
; %bb.37043:
	s_getpc_b64 s[14:15]
.Lpost_getpc22105:
	s_add_u32 s14, s14, (.LBB2_15540-.Lpost_getpc22105)&4294967295
	s_addc_u32 s15, s15, (.LBB2_15540-.Lpost_getpc22105)>>32
	s_setpc_b64 s[14:15]
.LBB2_1202:
	s_or_b64 exec, exec, s[6:7]
	s_and_saveexec_b64 s[6:7], s[4:5]
	s_cbranch_execz .LBB2_1204
.LBB2_1203:
	v_bfe_u32 v2, v7, 16, 3
	v_ffbh_u32_e32 v13, v2
	v_min_u32_e32 v13, 32, v13
	v_lshrrev_b32_e32 v6, 19, v7
	v_subrev_u32_e32 v14, 28, v13
	v_and_b32_e32 v6, 15, v6
	v_lshlrev_b32_sdwa v14, v14, v7 dst_sel:DWORD dst_unused:UNUSED_PAD src0_sel:DWORD src1_sel:WORD_1
	v_bfe_u32 v12, v7, 19, 4
	v_sub_u32_e32 v13, 29, v13
	v_and_b32_e32 v14, 7, v14
	v_cmp_eq_u16_e32 vcc, 0, v6
	v_cndmask_b32_e32 v2, v2, v14, vcc
	v_cndmask_b32_e32 v6, v12, v13, vcc
	v_lshlrev_b32_e32 v12, 8, v7
	v_mov_b32_e32 v13, 0x3b800000
	v_lshlrev_b32_e32 v2, 20, v2
	v_and_b32_e32 v12, 0x80000000, v12
	v_lshl_add_u32 v6, v6, 23, v13
	v_or3_b32 v2, v12, v6, v2
.LBB2_1204:
	s_or_b64 exec, exec, s[6:7]
	s_movk_i32 s4, 0xff
	v_and_b32_sdwa v6, v3, s4 dst_sel:DWORD dst_unused:UNUSED_PAD src0_sel:WORD_1 src1_sel:DWORD
	s_movk_i32 s4, 0x7f
	v_cmp_lt_i16_e32 vcc, s4, v6
	s_mov_b64 s[4:5], 0
                                        ; implicit-def: $sgpr10
	s_and_saveexec_b64 s[6:7], vcc
	s_xor_b64 s[6:7], exec, s[6:7]
	s_cbranch_execz .LBB2_1205
; %bb.37045:
	s_getpc_b64 s[14:15]
.Lpost_getpc22106:
	s_add_u32 s14, s14, (.LBB2_15541-.Lpost_getpc22106)&4294967295
	s_addc_u32 s15, s15, (.LBB2_15541-.Lpost_getpc22106)>>32
	s_setpc_b64 s[14:15]
.LBB2_1205:
	s_or_saveexec_b64 s[6:7], s[6:7]
	v_mov_b32_e32 v12, s10
	s_xor_b64 exec, exec, s[6:7]
	s_cbranch_execz .LBB2_1206
; %bb.37047:
	s_getpc_b64 s[14:15]
.Lpost_getpc22107:
	s_add_u32 s14, s14, (.LBB2_15544-.Lpost_getpc22107)&4294967295
	s_addc_u32 s15, s15, (.LBB2_15544-.Lpost_getpc22107)>>32
	s_setpc_b64 s[14:15]
.LBB2_1206:
	s_or_b64 exec, exec, s[6:7]
	s_and_saveexec_b64 s[6:7], s[4:5]
	s_cbranch_execz .LBB2_1208
.LBB2_1207:
	v_bfe_u32 v6, v3, 16, 3
	v_ffbh_u32_e32 v14, v6
	v_min_u32_e32 v14, 32, v14
	v_lshrrev_b32_e32 v12, 19, v3
	v_subrev_u32_e32 v15, 28, v14
	v_and_b32_e32 v12, 15, v12
	v_lshlrev_b32_sdwa v15, v15, v3 dst_sel:DWORD dst_unused:UNUSED_PAD src0_sel:DWORD src1_sel:WORD_1
	v_bfe_u32 v13, v3, 19, 4
	v_sub_u32_e32 v14, 29, v14
	v_and_b32_e32 v15, 7, v15
	v_cmp_eq_u16_e32 vcc, 0, v12
	v_cndmask_b32_e32 v6, v6, v15, vcc
	v_cndmask_b32_e32 v12, v13, v14, vcc
	v_lshlrev_b32_e32 v13, 8, v3
	v_mov_b32_e32 v14, 0x3b800000
	v_lshlrev_b32_e32 v6, 20, v6
	v_and_b32_e32 v13, 0x80000000, v13
	v_lshl_add_u32 v12, v12, 23, v14
	v_or3_b32 v12, v13, v12, v6
.LBB2_1208:
	s_or_b64 exec, exec, s[6:7]
	s_nop 0
	v_mfma_f32_16x16x4f32 a[0:3], v2, v12, a[0:3]
	s_movk_i32 s4, 0x7f
	v_cmp_gt_i16_sdwa s[6:7], v7, s4 src0_sel:BYTE_3 src1_sel:DWORD
	s_mov_b64 s[4:5], 0
                                        ; implicit-def: $sgpr10
	s_and_saveexec_b64 s[8:9], s[6:7]
	s_xor_b64 s[6:7], exec, s[8:9]
	s_cbranch_execz .LBB2_1209
; %bb.37049:
	s_getpc_b64 s[14:15]
.Lpost_getpc22108:
	s_add_u32 s14, s14, (.LBB2_15545-.Lpost_getpc22108)&4294967295
	s_addc_u32 s15, s15, (.LBB2_15545-.Lpost_getpc22108)>>32
	s_setpc_b64 s[14:15]
.LBB2_1209:
	s_or_saveexec_b64 s[6:7], s[6:7]
	v_mov_b32_e32 v2, s10
	s_xor_b64 exec, exec, s[6:7]
	s_cbranch_execz .LBB2_1210
; %bb.37051:
	s_getpc_b64 s[14:15]
.Lpost_getpc22109:
	s_add_u32 s14, s14, (.LBB2_15548-.Lpost_getpc22109)&4294967295
	s_addc_u32 s15, s15, (.LBB2_15548-.Lpost_getpc22109)>>32
	s_setpc_b64 s[14:15]
.LBB2_1210:
	s_or_b64 exec, exec, s[6:7]
	s_and_saveexec_b64 s[6:7], s[4:5]
	s_cbranch_execz .LBB2_1212
.LBB2_1211:
	v_bfe_u32 v2, v7, 24, 3
	v_ffbh_u32_e32 v14, v2
	v_min_u32_e32 v14, 32, v14
	v_lshrrev_b32_e32 v12, 27, v7
	v_subrev_u32_e32 v15, 28, v14
	v_and_b32_e32 v6, 0x80000000, v7
	v_and_b32_e32 v12, 15, v12
	v_bfe_u32 v13, v7, 27, 4
	v_lshlrev_b32_sdwa v7, v15, v7 dst_sel:DWORD dst_unused:UNUSED_PAD src0_sel:DWORD src1_sel:BYTE_3
	v_sub_u32_e32 v14, 29, v14
	v_and_b32_e32 v7, 7, v7
	v_cmp_eq_u16_e32 vcc, 0, v12
	v_cndmask_b32_e32 v2, v2, v7, vcc
	v_cndmask_b32_e32 v7, v13, v14, vcc
	v_mov_b32_e32 v12, 0x3b800000
	v_lshlrev_b32_e32 v2, 20, v2
	v_lshl_add_u32 v7, v7, 23, v12
	v_or3_b32 v2, v6, v7, v2
.LBB2_1212:
	s_or_b64 exec, exec, s[6:7]
	s_movk_i32 s4, 0x7f
	v_cmp_gt_i16_sdwa s[6:7], v3, s4 src0_sel:BYTE_3 src1_sel:DWORD
	s_mov_b64 s[4:5], 0
                                        ; implicit-def: $sgpr10
	s_and_saveexec_b64 s[8:9], s[6:7]
	s_xor_b64 s[6:7], exec, s[8:9]
	s_cbranch_execz .LBB2_1213
; %bb.37053:
	s_getpc_b64 s[14:15]
.Lpost_getpc22110:
	s_add_u32 s14, s14, (.LBB2_15549-.Lpost_getpc22110)&4294967295
	s_addc_u32 s15, s15, (.LBB2_15549-.Lpost_getpc22110)>>32
	s_setpc_b64 s[14:15]
.LBB2_1213:
	s_or_saveexec_b64 s[6:7], s[6:7]
	v_mov_b32_e32 v6, s10
	s_xor_b64 exec, exec, s[6:7]
	s_cbranch_execz .LBB2_1214
; %bb.37055:
	s_getpc_b64 s[14:15]
.Lpost_getpc22111:
	s_add_u32 s14, s14, (.LBB2_15552-.Lpost_getpc22111)&4294967295
	s_addc_u32 s15, s15, (.LBB2_15552-.Lpost_getpc22111)>>32
	s_setpc_b64 s[14:15]
.LBB2_1214:
	s_or_b64 exec, exec, s[6:7]
	s_and_saveexec_b64 s[6:7], s[4:5]
	s_cbranch_execz .LBB2_1216
.LBB2_1215:
	v_bfe_u32 v6, v3, 24, 3
	v_ffbh_u32_e32 v14, v6
	v_min_u32_e32 v14, 32, v14
	v_lshrrev_b32_e32 v12, 27, v3
	v_subrev_u32_e32 v15, 28, v14
	v_and_b32_e32 v7, 0x80000000, v3
	v_and_b32_e32 v12, 15, v12
	v_bfe_u32 v13, v3, 27, 4
	v_lshlrev_b32_sdwa v3, v15, v3 dst_sel:DWORD dst_unused:UNUSED_PAD src0_sel:DWORD src1_sel:BYTE_3
	v_sub_u32_e32 v14, 29, v14
	v_and_b32_e32 v3, 7, v3
	v_cmp_eq_u16_e32 vcc, 0, v12
	v_cndmask_b32_e32 v3, v6, v3, vcc
	v_cndmask_b32_e32 v6, v13, v14, vcc
	v_mov_b32_e32 v12, 0x3b800000
	v_lshlrev_b32_e32 v3, 20, v3
	v_lshl_add_u32 v6, v6, 23, v12
	v_or3_b32 v6, v7, v6, v3
.LBB2_1216:
	s_or_b64 exec, exec, s[6:7]
	s_nop 0
	v_mfma_f32_16x16x4f32 a[0:3], v2, v6, a[0:3]
	s_movk_i32 s4, 0x7f
	v_cmp_gt_i16_sdwa s[6:7], v8, s4 src0_sel:BYTE_0 src1_sel:DWORD
	s_mov_b64 s[4:5], 0
                                        ; implicit-def: $sgpr10
	s_and_saveexec_b64 s[8:9], s[6:7]
	s_xor_b64 s[6:7], exec, s[8:9]
	s_cbranch_execz .LBB2_1217
; %bb.37057:
	s_getpc_b64 s[14:15]
.Lpost_getpc22112:
	s_add_u32 s14, s14, (.LBB2_15553-.Lpost_getpc22112)&4294967295
	s_addc_u32 s15, s15, (.LBB2_15553-.Lpost_getpc22112)>>32
	s_setpc_b64 s[14:15]
.LBB2_1217:
	s_or_saveexec_b64 s[6:7], s[6:7]
	v_mov_b32_e32 v2, s10
	s_xor_b64 exec, exec, s[6:7]
	s_cbranch_execz .LBB2_1218
; %bb.37059:
	s_getpc_b64 s[14:15]
.Lpost_getpc22113:
	s_add_u32 s14, s14, (.LBB2_15556-.Lpost_getpc22113)&4294967295
	s_addc_u32 s15, s15, (.LBB2_15556-.Lpost_getpc22113)>>32
	s_setpc_b64 s[14:15]
.LBB2_1218:
	s_or_b64 exec, exec, s[6:7]
	s_and_saveexec_b64 s[6:7], s[4:5]
	s_cbranch_execz .LBB2_1220
.LBB2_1219:
	v_and_b32_e32 v2, 7, v8
	v_ffbh_u32_e32 v6, v2
	v_min_u32_e32 v6, 32, v6
	v_lshrrev_b16_e32 v3, 3, v8
	v_subrev_u32_e32 v7, 28, v6
	v_and_b32_e32 v3, 15, v3
	v_lshlrev_b32_e32 v7, v7, v8
	v_sub_u32_e32 v6, 29, v6
	v_and_b32_e32 v7, 7, v7
	v_cmp_eq_u16_e32 vcc, 0, v3
	v_cndmask_b32_e32 v2, v2, v7, vcc
	v_cndmask_b32_e32 v3, v3, v6, vcc
	v_lshlrev_b32_e32 v6, 24, v8
	v_mov_b32_e32 v7, 0x3b800000
	v_lshlrev_b32_e32 v2, 20, v2
	v_and_b32_e32 v6, 0x80000000, v6
	v_lshl_add_u32 v3, v3, 23, v7
	v_or3_b32 v2, v6, v3, v2
.LBB2_1220:
	s_or_b64 exec, exec, s[6:7]
	s_movk_i32 s4, 0x7f
	v_cmp_gt_i16_sdwa s[6:7], v4, s4 src0_sel:BYTE_0 src1_sel:DWORD
	s_mov_b64 s[4:5], 0
                                        ; implicit-def: $sgpr10
	s_and_saveexec_b64 s[8:9], s[6:7]
	s_xor_b64 s[6:7], exec, s[8:9]
	s_cbranch_execz .LBB2_1221
; %bb.37061:
	s_getpc_b64 s[14:15]
.Lpost_getpc22114:
	s_add_u32 s14, s14, (.LBB2_15557-.Lpost_getpc22114)&4294967295
	s_addc_u32 s15, s15, (.LBB2_15557-.Lpost_getpc22114)>>32
	s_setpc_b64 s[14:15]
.LBB2_1221:
	s_or_saveexec_b64 s[6:7], s[6:7]
	v_mov_b32_e32 v3, s10
	s_xor_b64 exec, exec, s[6:7]
	s_cbranch_execz .LBB2_1222
; %bb.37063:
	s_getpc_b64 s[14:15]
.Lpost_getpc22115:
	s_add_u32 s14, s14, (.LBB2_15560-.Lpost_getpc22115)&4294967295
	s_addc_u32 s15, s15, (.LBB2_15560-.Lpost_getpc22115)>>32
	s_setpc_b64 s[14:15]
.LBB2_1222:
	s_or_b64 exec, exec, s[6:7]
	s_and_saveexec_b64 s[6:7], s[4:5]
	s_cbranch_execz .LBB2_1224
.LBB2_1223:
	v_and_b32_e32 v3, 7, v4
	v_ffbh_u32_e32 v7, v3
	v_min_u32_e32 v7, 32, v7
	v_lshrrev_b16_e32 v6, 3, v4
	v_subrev_u32_e32 v12, 28, v7
	v_and_b32_e32 v6, 15, v6
	v_lshlrev_b32_e32 v12, v12, v4
	v_sub_u32_e32 v7, 29, v7
	v_and_b32_e32 v12, 7, v12
	v_cmp_eq_u16_e32 vcc, 0, v6
	v_cndmask_b32_e32 v3, v3, v12, vcc
	v_cndmask_b32_e32 v6, v6, v7, vcc
	v_lshlrev_b32_e32 v7, 24, v4
	v_mov_b32_e32 v12, 0x3b800000
	v_lshlrev_b32_e32 v3, 20, v3
	v_and_b32_e32 v7, 0x80000000, v7
	v_lshl_add_u32 v6, v6, 23, v12
	v_or3_b32 v3, v7, v6, v3
.LBB2_1224:
	s_or_b64 exec, exec, s[6:7]
	s_nop 0
	v_mfma_f32_16x16x4f32 a[0:3], v2, v3, a[0:3]
	v_lshrrev_b32_e32 v3, 8, v8
	s_movk_i32 s4, 0x7f
	v_cmp_gt_i16_sdwa s[6:7], v3, s4 src0_sel:BYTE_0 src1_sel:DWORD
	s_mov_b64 s[4:5], 0
                                        ; implicit-def: $sgpr10
	s_and_saveexec_b64 s[8:9], s[6:7]
	s_xor_b64 s[6:7], exec, s[8:9]
	s_cbranch_execz .LBB2_1225
; %bb.37065:
	s_getpc_b64 s[14:15]
.Lpost_getpc22116:
	s_add_u32 s14, s14, (.LBB2_15561-.Lpost_getpc22116)&4294967295
	s_addc_u32 s15, s15, (.LBB2_15561-.Lpost_getpc22116)>>32
	s_setpc_b64 s[14:15]
.LBB2_1225:
	s_or_saveexec_b64 s[6:7], s[6:7]
	v_mov_b32_e32 v2, s10
	s_xor_b64 exec, exec, s[6:7]
	s_cbranch_execz .LBB2_1226
; %bb.37067:
	s_getpc_b64 s[14:15]
.Lpost_getpc22117:
	s_add_u32 s14, s14, (.LBB2_15564-.Lpost_getpc22117)&4294967295
	s_addc_u32 s15, s15, (.LBB2_15564-.Lpost_getpc22117)>>32
	s_setpc_b64 s[14:15]
.LBB2_1226:
	s_or_b64 exec, exec, s[6:7]
	s_and_saveexec_b64 s[6:7], s[4:5]
	s_cbranch_execz .LBB2_1228
.LBB2_1227:
	v_bfe_u32 v2, v8, 8, 3
	v_ffbh_u32_e32 v7, v2
	v_min_u32_e32 v7, 32, v7
	v_lshrrev_b16_e32 v6, 3, v3
	v_subrev_u32_e32 v12, 28, v7
	v_and_b32_e32 v6, 15, v6
	v_lshlrev_b32_e32 v3, v12, v3
	v_sub_u32_e32 v7, 29, v7
	v_and_b32_e32 v3, 7, v3
	v_cmp_eq_u16_e32 vcc, 0, v6
	v_cndmask_b32_e32 v2, v2, v3, vcc
	v_cndmask_b32_e32 v3, v6, v7, vcc
	v_lshlrev_b32_e32 v6, 16, v8
	v_mov_b32_e32 v7, 0x3b800000
	v_lshlrev_b32_e32 v2, 20, v2
	v_and_b32_e32 v6, 0x80000000, v6
	v_lshl_add_u32 v3, v3, 23, v7
	v_or3_b32 v2, v6, v3, v2
.LBB2_1228:
	s_or_b64 exec, exec, s[6:7]
	v_lshrrev_b32_e32 v3, 8, v4
	s_movk_i32 s4, 0x7f
	v_cmp_gt_i16_sdwa s[6:7], v3, s4 src0_sel:BYTE_0 src1_sel:DWORD
	s_mov_b64 s[4:5], 0
                                        ; implicit-def: $sgpr10
	s_and_saveexec_b64 s[8:9], s[6:7]
	s_xor_b64 s[6:7], exec, s[8:9]
	s_cbranch_execz .LBB2_1229
; %bb.37069:
	s_getpc_b64 s[14:15]
.Lpost_getpc22118:
	s_add_u32 s14, s14, (.LBB2_15565-.Lpost_getpc22118)&4294967295
	s_addc_u32 s15, s15, (.LBB2_15565-.Lpost_getpc22118)>>32
	s_setpc_b64 s[14:15]
.LBB2_1229:
	s_or_saveexec_b64 s[6:7], s[6:7]
	v_mov_b32_e32 v6, s10
	s_xor_b64 exec, exec, s[6:7]
	s_cbranch_execz .LBB2_1230
; %bb.37071:
	s_getpc_b64 s[14:15]
.Lpost_getpc22119:
	s_add_u32 s14, s14, (.LBB2_15568-.Lpost_getpc22119)&4294967295
	s_addc_u32 s15, s15, (.LBB2_15568-.Lpost_getpc22119)>>32
	s_setpc_b64 s[14:15]
.LBB2_1230:
	s_or_b64 exec, exec, s[6:7]
	s_and_saveexec_b64 s[6:7], s[4:5]
	s_cbranch_execz .LBB2_1232
.LBB2_1231:
	v_bfe_u32 v6, v4, 8, 3
	v_ffbh_u32_e32 v12, v6
	v_min_u32_e32 v12, 32, v12
	v_lshrrev_b16_e32 v7, 3, v3
	v_subrev_u32_e32 v13, 28, v12
	v_and_b32_e32 v7, 15, v7
	v_lshlrev_b32_e32 v3, v13, v3
	v_sub_u32_e32 v12, 29, v12
	v_and_b32_e32 v3, 7, v3
	v_cmp_eq_u16_e32 vcc, 0, v7
	v_cndmask_b32_e32 v3, v6, v3, vcc
	v_cndmask_b32_e32 v6, v7, v12, vcc
	v_lshlrev_b32_e32 v7, 16, v4
	v_mov_b32_e32 v12, 0x3b800000
	v_lshlrev_b32_e32 v3, 20, v3
	v_and_b32_e32 v7, 0x80000000, v7
	v_lshl_add_u32 v6, v6, 23, v12
	v_or3_b32 v6, v7, v6, v3
.LBB2_1232:
	s_or_b64 exec, exec, s[6:7]
	s_nop 0
	v_mfma_f32_16x16x4f32 a[0:3], v2, v6, a[0:3]
	s_movk_i32 s4, 0xff
	v_and_b32_sdwa v3, v8, s4 dst_sel:DWORD dst_unused:UNUSED_PAD src0_sel:WORD_1 src1_sel:DWORD
	s_movk_i32 s4, 0x7f
	v_cmp_lt_i16_e32 vcc, s4, v3
	s_mov_b64 s[4:5], 0
                                        ; implicit-def: $sgpr10
	s_and_saveexec_b64 s[6:7], vcc
	s_xor_b64 s[6:7], exec, s[6:7]
	s_cbranch_execz .LBB2_1233
; %bb.37073:
	s_getpc_b64 s[14:15]
.Lpost_getpc22120:
	s_add_u32 s14, s14, (.LBB2_15569-.Lpost_getpc22120)&4294967295
	s_addc_u32 s15, s15, (.LBB2_15569-.Lpost_getpc22120)>>32
	s_setpc_b64 s[14:15]
.LBB2_1233:
	s_or_saveexec_b64 s[6:7], s[6:7]
	v_mov_b32_e32 v2, s10
	s_xor_b64 exec, exec, s[6:7]
	s_cbranch_execz .LBB2_1234
; %bb.37075:
	s_getpc_b64 s[14:15]
.Lpost_getpc22121:
	s_add_u32 s14, s14, (.LBB2_15572-.Lpost_getpc22121)&4294967295
	s_addc_u32 s15, s15, (.LBB2_15572-.Lpost_getpc22121)>>32
	s_setpc_b64 s[14:15]
.LBB2_1234:
	s_or_b64 exec, exec, s[6:7]
	s_and_saveexec_b64 s[6:7], s[4:5]
	s_cbranch_execz .LBB2_1236
.LBB2_1235:
	v_bfe_u32 v2, v8, 16, 3
	v_ffbh_u32_e32 v7, v2
	v_min_u32_e32 v7, 32, v7
	v_lshrrev_b32_e32 v3, 19, v8
	v_subrev_u32_e32 v12, 28, v7
	v_and_b32_e32 v3, 15, v3
	v_lshlrev_b32_sdwa v12, v12, v8 dst_sel:DWORD dst_unused:UNUSED_PAD src0_sel:DWORD src1_sel:WORD_1
	v_bfe_u32 v6, v8, 19, 4
	v_sub_u32_e32 v7, 29, v7
	v_and_b32_e32 v12, 7, v12
	v_cmp_eq_u16_e32 vcc, 0, v3
	v_cndmask_b32_e32 v2, v2, v12, vcc
	v_cndmask_b32_e32 v3, v6, v7, vcc
	v_lshlrev_b32_e32 v6, 8, v8
	v_mov_b32_e32 v7, 0x3b800000
	v_lshlrev_b32_e32 v2, 20, v2
	v_and_b32_e32 v6, 0x80000000, v6
	v_lshl_add_u32 v3, v3, 23, v7
	v_or3_b32 v2, v6, v3, v2
.LBB2_1236:
	s_or_b64 exec, exec, s[6:7]
	s_movk_i32 s4, 0xff
	v_and_b32_sdwa v3, v4, s4 dst_sel:DWORD dst_unused:UNUSED_PAD src0_sel:WORD_1 src1_sel:DWORD
	s_movk_i32 s4, 0x7f
	v_cmp_lt_i16_e32 vcc, s4, v3
	s_mov_b64 s[4:5], 0
                                        ; implicit-def: $sgpr10
	s_and_saveexec_b64 s[6:7], vcc
	s_xor_b64 s[6:7], exec, s[6:7]
	s_cbranch_execz .LBB2_1237
; %bb.37077:
	s_getpc_b64 s[14:15]
.Lpost_getpc22122:
	s_add_u32 s14, s14, (.LBB2_15573-.Lpost_getpc22122)&4294967295
	s_addc_u32 s15, s15, (.LBB2_15573-.Lpost_getpc22122)>>32
	s_setpc_b64 s[14:15]
.LBB2_1237:
	s_or_saveexec_b64 s[6:7], s[6:7]
	v_mov_b32_e32 v6, s10
	s_xor_b64 exec, exec, s[6:7]
	s_cbranch_execz .LBB2_1238
; %bb.37079:
	s_getpc_b64 s[14:15]
.Lpost_getpc22123:
	s_add_u32 s14, s14, (.LBB2_15576-.Lpost_getpc22123)&4294967295
	s_addc_u32 s15, s15, (.LBB2_15576-.Lpost_getpc22123)>>32
	s_setpc_b64 s[14:15]
.LBB2_1238:
	s_or_b64 exec, exec, s[6:7]
	s_and_saveexec_b64 s[6:7], s[4:5]
	s_cbranch_execz .LBB2_1240
.LBB2_1239:
	v_bfe_u32 v3, v4, 16, 3
	v_ffbh_u32_e32 v12, v3
	v_min_u32_e32 v12, 32, v12
	v_lshrrev_b32_e32 v6, 19, v4
	v_subrev_u32_e32 v13, 28, v12
	v_and_b32_e32 v6, 15, v6
	v_lshlrev_b32_sdwa v13, v13, v4 dst_sel:DWORD dst_unused:UNUSED_PAD src0_sel:DWORD src1_sel:WORD_1
	v_bfe_u32 v7, v4, 19, 4
	v_sub_u32_e32 v12, 29, v12
	v_and_b32_e32 v13, 7, v13
	v_cmp_eq_u16_e32 vcc, 0, v6
	v_cndmask_b32_e32 v3, v3, v13, vcc
	v_cndmask_b32_e32 v6, v7, v12, vcc
	v_lshlrev_b32_e32 v7, 8, v4
	v_mov_b32_e32 v12, 0x3b800000
	v_lshlrev_b32_e32 v3, 20, v3
	v_and_b32_e32 v7, 0x80000000, v7
	v_lshl_add_u32 v6, v6, 23, v12
	v_or3_b32 v6, v7, v6, v3
.LBB2_1240:
	s_or_b64 exec, exec, s[6:7]
	s_nop 0
	v_mfma_f32_16x16x4f32 a[0:3], v2, v6, a[0:3]
	s_movk_i32 s4, 0x7f
	v_cmp_gt_i16_sdwa s[6:7], v8, s4 src0_sel:BYTE_3 src1_sel:DWORD
	s_mov_b64 s[4:5], 0
                                        ; implicit-def: $sgpr10
	s_and_saveexec_b64 s[8:9], s[6:7]
	s_xor_b64 s[6:7], exec, s[8:9]
	s_cbranch_execz .LBB2_1241
; %bb.37081:
	s_getpc_b64 s[14:15]
.Lpost_getpc22124:
	s_add_u32 s14, s14, (.LBB2_15577-.Lpost_getpc22124)&4294967295
	s_addc_u32 s15, s15, (.LBB2_15577-.Lpost_getpc22124)>>32
	s_setpc_b64 s[14:15]
.LBB2_1241:
	s_or_saveexec_b64 s[6:7], s[6:7]
	v_mov_b32_e32 v2, s10
	s_xor_b64 exec, exec, s[6:7]
	s_cbranch_execz .LBB2_1242
; %bb.37083:
	s_getpc_b64 s[14:15]
.Lpost_getpc22125:
	s_add_u32 s14, s14, (.LBB2_15580-.Lpost_getpc22125)&4294967295
	s_addc_u32 s15, s15, (.LBB2_15580-.Lpost_getpc22125)>>32
	s_setpc_b64 s[14:15]
.LBB2_1242:
	s_or_b64 exec, exec, s[6:7]
	s_and_saveexec_b64 s[6:7], s[4:5]
	s_cbranch_execz .LBB2_1244
.LBB2_1243:
	v_bfe_u32 v2, v8, 24, 3
	v_ffbh_u32_e32 v12, v2
	v_min_u32_e32 v12, 32, v12
	v_lshrrev_b32_e32 v6, 27, v8
	v_subrev_u32_e32 v13, 28, v12
	v_and_b32_e32 v3, 0x80000000, v8
	v_and_b32_e32 v6, 15, v6
	v_bfe_u32 v7, v8, 27, 4
	v_lshlrev_b32_sdwa v8, v13, v8 dst_sel:DWORD dst_unused:UNUSED_PAD src0_sel:DWORD src1_sel:BYTE_3
	v_sub_u32_e32 v12, 29, v12
	v_and_b32_e32 v8, 7, v8
	v_cmp_eq_u16_e32 vcc, 0, v6
	v_cndmask_b32_e32 v2, v2, v8, vcc
	v_cndmask_b32_e32 v6, v7, v12, vcc
	v_mov_b32_e32 v7, 0x3b800000
	v_lshlrev_b32_e32 v2, 20, v2
	v_lshl_add_u32 v6, v6, 23, v7
	v_or3_b32 v2, v3, v6, v2
.LBB2_1244:
	s_or_b64 exec, exec, s[6:7]
	s_movk_i32 s4, 0x7f
	v_cmp_gt_i16_sdwa s[6:7], v4, s4 src0_sel:BYTE_3 src1_sel:DWORD
	s_mov_b64 s[4:5], 0
                                        ; implicit-def: $sgpr10
	s_and_saveexec_b64 s[8:9], s[6:7]
	s_xor_b64 s[6:7], exec, s[8:9]
	s_cbranch_execz .LBB2_1245
; %bb.37085:
	s_getpc_b64 s[14:15]
.Lpost_getpc22126:
	s_add_u32 s14, s14, (.LBB2_15581-.Lpost_getpc22126)&4294967295
	s_addc_u32 s15, s15, (.LBB2_15581-.Lpost_getpc22126)>>32
	s_setpc_b64 s[14:15]
.LBB2_1245:
	s_or_saveexec_b64 s[6:7], s[6:7]
	v_mov_b32_e32 v3, s10
	s_xor_b64 exec, exec, s[6:7]
	s_cbranch_execz .LBB2_1246
; %bb.37087:
	s_getpc_b64 s[14:15]
.Lpost_getpc22127:
	s_add_u32 s14, s14, (.LBB2_15584-.Lpost_getpc22127)&4294967295
	s_addc_u32 s15, s15, (.LBB2_15584-.Lpost_getpc22127)>>32
	s_setpc_b64 s[14:15]
.LBB2_1246:
	s_or_b64 exec, exec, s[6:7]
	s_and_saveexec_b64 s[6:7], s[4:5]
	s_cbranch_execz .LBB2_1248
.LBB2_1247:
	v_bfe_u32 v3, v4, 24, 3
	v_ffbh_u32_e32 v12, v3
	v_min_u32_e32 v12, 32, v12
	v_lshrrev_b32_e32 v7, 27, v4
	v_subrev_u32_e32 v13, 28, v12
	v_and_b32_e32 v6, 0x80000000, v4
	v_and_b32_e32 v7, 15, v7
	v_bfe_u32 v8, v4, 27, 4
	v_lshlrev_b32_sdwa v4, v13, v4 dst_sel:DWORD dst_unused:UNUSED_PAD src0_sel:DWORD src1_sel:BYTE_3
	v_sub_u32_e32 v12, 29, v12
	v_and_b32_e32 v4, 7, v4
	v_cmp_eq_u16_e32 vcc, 0, v7
	v_cndmask_b32_e32 v3, v3, v4, vcc
	v_cndmask_b32_e32 v4, v8, v12, vcc
	v_mov_b32_e32 v7, 0x3b800000
	v_lshlrev_b32_e32 v3, 20, v3
	v_lshl_add_u32 v4, v4, 23, v7
	v_or3_b32 v3, v6, v4, v3
.LBB2_1248:
	s_or_b64 exec, exec, s[6:7]
	s_nop 0
	v_mfma_f32_16x16x4f32 a[0:3], v2, v3, a[0:3]
	s_movk_i32 s4, 0x7f
	v_cmp_gt_i16_sdwa s[6:7], v9, s4 src0_sel:BYTE_0 src1_sel:DWORD
	s_mov_b64 s[4:5], 0
                                        ; implicit-def: $sgpr10
	s_and_saveexec_b64 s[8:9], s[6:7]
	s_xor_b64 s[6:7], exec, s[8:9]
	s_cbranch_execz .LBB2_1249
; %bb.37089:
	s_getpc_b64 s[14:15]
.Lpost_getpc22128:
	s_add_u32 s14, s14, (.LBB2_15585-.Lpost_getpc22128)&4294967295
	s_addc_u32 s15, s15, (.LBB2_15585-.Lpost_getpc22128)>>32
	s_setpc_b64 s[14:15]
.LBB2_1249:
	s_or_saveexec_b64 s[6:7], s[6:7]
	v_mov_b32_e32 v2, s10
	s_xor_b64 exec, exec, s[6:7]
	s_cbranch_execz .LBB2_1250
; %bb.37091:
	s_getpc_b64 s[14:15]
.Lpost_getpc22129:
	s_add_u32 s14, s14, (.LBB2_15588-.Lpost_getpc22129)&4294967295
	s_addc_u32 s15, s15, (.LBB2_15588-.Lpost_getpc22129)>>32
	s_setpc_b64 s[14:15]
.LBB2_1250:
	s_or_b64 exec, exec, s[6:7]
	s_and_saveexec_b64 s[6:7], s[4:5]
	s_cbranch_execz .LBB2_1252
.LBB2_1251:
	v_mov_b32_e32 v2, 8
	v_and_b32_e32 v3, 7, v9
	v_lshrrev_b32_sdwa v2, v2, v9 dst_sel:BYTE_1 dst_unused:UNUSED_PAD src0_sel:DWORD src1_sel:DWORD
	v_ffbh_u32_e32 v4, v3
	v_or_b32_sdwa v2, v9, v2 dst_sel:DWORD dst_unused:UNUSED_PAD src0_sel:BYTE_0 src1_sel:DWORD
	v_min_u32_e32 v4, 32, v4
	v_lshrrev_b16_e32 v2, 3, v2
	v_subrev_u32_e32 v6, 28, v4
	v_and_b32_e32 v2, 15, v2
	v_lshlrev_b32_e32 v6, v6, v9
	v_sub_u32_e32 v4, 29, v4
	v_and_b32_e32 v6, 7, v6
	v_cmp_eq_u16_e32 vcc, 0, v2
	v_cndmask_b32_e32 v3, v3, v6, vcc
	v_cndmask_b32_e32 v2, v2, v4, vcc
	v_lshlrev_b32_e32 v4, 24, v9
	v_mov_b32_e32 v6, 0x3b800000
	v_lshlrev_b32_e32 v3, 20, v3
	v_and_b32_e32 v4, 0x80000000, v4
	v_lshl_add_u32 v2, v2, 23, v6
	v_or3_b32 v2, v4, v2, v3
.LBB2_1252:
	s_or_b64 exec, exec, s[6:7]
	s_movk_i32 s4, 0x7f
	v_cmp_gt_i16_sdwa s[6:7], v5, s4 src0_sel:BYTE_0 src1_sel:DWORD
	s_mov_b64 s[4:5], 0
                                        ; implicit-def: $sgpr10
	s_and_saveexec_b64 s[8:9], s[6:7]
	s_xor_b64 s[6:7], exec, s[8:9]
	s_cbranch_execz .LBB2_1253
; %bb.37093:
	s_getpc_b64 s[14:15]
.Lpost_getpc22130:
	s_add_u32 s14, s14, (.LBB2_15589-.Lpost_getpc22130)&4294967295
	s_addc_u32 s15, s15, (.LBB2_15589-.Lpost_getpc22130)>>32
	s_setpc_b64 s[14:15]
.LBB2_1253:
	s_or_saveexec_b64 s[6:7], s[6:7]
	v_mov_b32_e32 v3, s10
	s_xor_b64 exec, exec, s[6:7]
	s_cbranch_execz .LBB2_1254
; %bb.37095:
	s_getpc_b64 s[14:15]
.Lpost_getpc22131:
	s_add_u32 s14, s14, (.LBB2_15592-.Lpost_getpc22131)&4294967295
	s_addc_u32 s15, s15, (.LBB2_15592-.Lpost_getpc22131)>>32
	s_setpc_b64 s[14:15]
.LBB2_1254:
	s_or_b64 exec, exec, s[6:7]
	s_and_saveexec_b64 s[6:7], s[4:5]
	s_cbranch_execz .LBB2_1256
.LBB2_1255:
	v_mov_b32_e32 v3, 8
	v_and_b32_e32 v4, 7, v5
	v_lshrrev_b32_sdwa v3, v3, v5 dst_sel:BYTE_1 dst_unused:UNUSED_PAD src0_sel:DWORD src1_sel:DWORD
	v_ffbh_u32_e32 v6, v4
	v_or_b32_sdwa v3, v5, v3 dst_sel:DWORD dst_unused:UNUSED_PAD src0_sel:BYTE_0 src1_sel:DWORD
	v_min_u32_e32 v6, 32, v6
	v_lshrrev_b16_e32 v3, 3, v3
	v_subrev_u32_e32 v7, 28, v6
	v_and_b32_e32 v3, 15, v3
	v_lshlrev_b32_e32 v7, v7, v5
	v_sub_u32_e32 v6, 29, v6
	v_and_b32_e32 v7, 7, v7
	v_cmp_eq_u16_e32 vcc, 0, v3
	v_cndmask_b32_e32 v4, v4, v7, vcc
	v_cndmask_b32_e32 v3, v3, v6, vcc
	v_lshlrev_b32_e32 v6, 24, v5
	v_mov_b32_e32 v7, 0x3b800000
	v_lshlrev_b32_e32 v4, 20, v4
	v_and_b32_e32 v6, 0x80000000, v6
	v_lshl_add_u32 v3, v3, 23, v7
	v_or3_b32 v3, v6, v3, v4
.LBB2_1256:
	s_or_b64 exec, exec, s[6:7]
	s_nop 0
	v_mfma_f32_16x16x4f32 a[0:3], v2, v3, a[0:3]
	v_lshrrev_b32_e32 v3, 8, v9
	s_movk_i32 s4, 0x7f
	v_cmp_gt_i16_sdwa s[6:7], v3, s4 src0_sel:BYTE_0 src1_sel:DWORD
	s_mov_b64 s[4:5], 0
                                        ; implicit-def: $sgpr10
	s_and_saveexec_b64 s[8:9], s[6:7]
	s_xor_b64 s[6:7], exec, s[8:9]
	s_cbranch_execz .LBB2_1257
; %bb.37097:
	s_getpc_b64 s[14:15]
.Lpost_getpc22132:
	s_add_u32 s14, s14, (.LBB2_15593-.Lpost_getpc22132)&4294967295
	s_addc_u32 s15, s15, (.LBB2_15593-.Lpost_getpc22132)>>32
	s_setpc_b64 s[14:15]
.LBB2_1257:
	s_or_saveexec_b64 s[6:7], s[6:7]
	v_mov_b32_e32 v2, s10
	s_xor_b64 exec, exec, s[6:7]
	s_cbranch_execz .LBB2_1258
; %bb.37099:
	s_getpc_b64 s[14:15]
.Lpost_getpc22133:
	s_add_u32 s14, s14, (.LBB2_15596-.Lpost_getpc22133)&4294967295
	s_addc_u32 s15, s15, (.LBB2_15596-.Lpost_getpc22133)>>32
	s_setpc_b64 s[14:15]
.LBB2_1258:
	s_or_b64 exec, exec, s[6:7]
	s_and_saveexec_b64 s[6:7], s[4:5]
	s_cbranch_execz .LBB2_1260
.LBB2_1259:
	v_bfe_u32 v2, v9, 8, 3
	v_ffbh_u32_e32 v6, v2
	v_min_u32_e32 v6, 32, v6
	v_lshrrev_b16_e32 v4, 3, v3
	v_subrev_u32_e32 v7, 28, v6
	v_and_b32_e32 v4, 15, v4
	v_lshlrev_b32_e32 v3, v7, v3
	v_sub_u32_e32 v6, 29, v6
	v_and_b32_e32 v3, 7, v3
	v_cmp_eq_u16_e32 vcc, 0, v4
	v_cndmask_b32_e32 v2, v2, v3, vcc
	v_cndmask_b32_e32 v3, v4, v6, vcc
	v_lshlrev_b32_e32 v4, 16, v9
	v_mov_b32_e32 v6, 0x3b800000
	v_lshlrev_b32_e32 v2, 20, v2
	v_and_b32_e32 v4, 0x80000000, v4
	v_lshl_add_u32 v3, v3, 23, v6
	v_or3_b32 v2, v4, v3, v2
.LBB2_1260:
	s_or_b64 exec, exec, s[6:7]
	v_lshrrev_b32_e32 v3, 8, v5
	s_movk_i32 s4, 0x7f
	v_cmp_gt_i16_sdwa s[6:7], v3, s4 src0_sel:BYTE_0 src1_sel:DWORD
	s_mov_b64 s[4:5], 0
                                        ; implicit-def: $sgpr10
	s_and_saveexec_b64 s[8:9], s[6:7]
	s_xor_b64 s[6:7], exec, s[8:9]
	s_cbranch_execz .LBB2_1261
; %bb.37101:
	s_getpc_b64 s[14:15]
.Lpost_getpc22134:
	s_add_u32 s14, s14, (.LBB2_15597-.Lpost_getpc22134)&4294967295
	s_addc_u32 s15, s15, (.LBB2_15597-.Lpost_getpc22134)>>32
	s_setpc_b64 s[14:15]
.LBB2_1261:
	s_or_saveexec_b64 s[6:7], s[6:7]
	v_mov_b32_e32 v4, s10
	s_xor_b64 exec, exec, s[6:7]
	s_cbranch_execz .LBB2_1262
; %bb.37103:
	s_getpc_b64 s[14:15]
.Lpost_getpc22135:
	s_add_u32 s14, s14, (.LBB2_15600-.Lpost_getpc22135)&4294967295
	s_addc_u32 s15, s15, (.LBB2_15600-.Lpost_getpc22135)>>32
	s_setpc_b64 s[14:15]
.LBB2_1262:
	s_or_b64 exec, exec, s[6:7]
	s_and_saveexec_b64 s[6:7], s[4:5]
	s_cbranch_execz .LBB2_1264
.LBB2_1263:
	v_bfe_u32 v4, v5, 8, 3
	v_ffbh_u32_e32 v7, v4
	v_min_u32_e32 v7, 32, v7
	v_lshrrev_b16_e32 v6, 3, v3
	v_subrev_u32_e32 v8, 28, v7
	v_and_b32_e32 v6, 15, v6
	v_lshlrev_b32_e32 v3, v8, v3
	v_sub_u32_e32 v7, 29, v7
	v_and_b32_e32 v3, 7, v3
	v_cmp_eq_u16_e32 vcc, 0, v6
	v_cndmask_b32_e32 v3, v4, v3, vcc
	v_cndmask_b32_e32 v4, v6, v7, vcc
	v_lshlrev_b32_e32 v6, 16, v5
	v_mov_b32_e32 v7, 0x3b800000
	v_lshlrev_b32_e32 v3, 20, v3
	v_and_b32_e32 v6, 0x80000000, v6
	v_lshl_add_u32 v4, v4, 23, v7
	v_or3_b32 v4, v6, v4, v3
.LBB2_1264:
	s_or_b64 exec, exec, s[6:7]
	s_nop 0
	v_mfma_f32_16x16x4f32 a[0:3], v2, v4, a[0:3]
	s_movk_i32 s4, 0xff
	v_and_b32_sdwa v3, v9, s4 dst_sel:DWORD dst_unused:UNUSED_PAD src0_sel:WORD_1 src1_sel:DWORD
	s_movk_i32 s4, 0x7f
	v_cmp_lt_i16_e32 vcc, s4, v3
	s_mov_b64 s[4:5], 0
                                        ; implicit-def: $sgpr10
	s_and_saveexec_b64 s[6:7], vcc
	s_xor_b64 s[6:7], exec, s[6:7]
	s_cbranch_execz .LBB2_1265
; %bb.37105:
	s_getpc_b64 s[14:15]
.Lpost_getpc22136:
	s_add_u32 s14, s14, (.LBB2_15601-.Lpost_getpc22136)&4294967295
	s_addc_u32 s15, s15, (.LBB2_15601-.Lpost_getpc22136)>>32
	s_setpc_b64 s[14:15]
.LBB2_1265:
	s_or_saveexec_b64 s[6:7], s[6:7]
	v_mov_b32_e32 v2, s10
	s_xor_b64 exec, exec, s[6:7]
	s_cbranch_execz .LBB2_1266
; %bb.37107:
	s_getpc_b64 s[14:15]
.Lpost_getpc22137:
	s_add_u32 s14, s14, (.LBB2_15604-.Lpost_getpc22137)&4294967295
	s_addc_u32 s15, s15, (.LBB2_15604-.Lpost_getpc22137)>>32
	s_setpc_b64 s[14:15]
.LBB2_1266:
	s_or_b64 exec, exec, s[6:7]
	s_and_saveexec_b64 s[6:7], s[4:5]
	s_cbranch_execz .LBB2_1268
.LBB2_1267:
	v_bfe_u32 v2, v9, 16, 3
	v_ffbh_u32_e32 v6, v2
	v_min_u32_e32 v6, 32, v6
	v_lshrrev_b32_e32 v3, 19, v9
	v_subrev_u32_e32 v7, 28, v6
	v_and_b32_e32 v3, 15, v3
	v_lshlrev_b32_sdwa v7, v7, v9 dst_sel:DWORD dst_unused:UNUSED_PAD src0_sel:DWORD src1_sel:WORD_1
	v_bfe_u32 v4, v9, 19, 4
	v_sub_u32_e32 v6, 29, v6
	v_and_b32_e32 v7, 7, v7
	v_cmp_eq_u16_e32 vcc, 0, v3
	v_cndmask_b32_e32 v2, v2, v7, vcc
	v_cndmask_b32_e32 v3, v4, v6, vcc
	v_lshlrev_b32_e32 v4, 8, v9
	v_mov_b32_e32 v6, 0x3b800000
	v_lshlrev_b32_e32 v2, 20, v2
	v_and_b32_e32 v4, 0x80000000, v4
	v_lshl_add_u32 v3, v3, 23, v6
	v_or3_b32 v2, v4, v3, v2
.LBB2_1268:
	s_or_b64 exec, exec, s[6:7]
	s_movk_i32 s4, 0xff
	v_and_b32_sdwa v3, v5, s4 dst_sel:DWORD dst_unused:UNUSED_PAD src0_sel:WORD_1 src1_sel:DWORD
	s_movk_i32 s4, 0x7f
	v_cmp_lt_i16_e32 vcc, s4, v3
	s_mov_b64 s[4:5], 0
                                        ; implicit-def: $sgpr10
	s_and_saveexec_b64 s[6:7], vcc
	s_xor_b64 s[6:7], exec, s[6:7]
	s_cbranch_execz .LBB2_1269
; %bb.37109:
	s_getpc_b64 s[14:15]
.Lpost_getpc22138:
	s_add_u32 s14, s14, (.LBB2_15605-.Lpost_getpc22138)&4294967295
	s_addc_u32 s15, s15, (.LBB2_15605-.Lpost_getpc22138)>>32
	s_setpc_b64 s[14:15]
.LBB2_1269:
	s_or_saveexec_b64 s[6:7], s[6:7]
	v_mov_b32_e32 v4, s10
	s_xor_b64 exec, exec, s[6:7]
	s_cbranch_execz .LBB2_1270
; %bb.37111:
	s_getpc_b64 s[14:15]
.Lpost_getpc22139:
	s_add_u32 s14, s14, (.LBB2_15608-.Lpost_getpc22139)&4294967295
	s_addc_u32 s15, s15, (.LBB2_15608-.Lpost_getpc22139)>>32
	s_setpc_b64 s[14:15]
.LBB2_1270:
	s_or_b64 exec, exec, s[6:7]
	s_and_saveexec_b64 s[6:7], s[4:5]
	s_cbranch_execz .LBB2_1272
.LBB2_1271:
	v_bfe_u32 v3, v5, 16, 3
	v_ffbh_u32_e32 v7, v3
	v_min_u32_e32 v7, 32, v7
	v_lshrrev_b32_e32 v4, 19, v5
	v_subrev_u32_e32 v8, 28, v7
	v_and_b32_e32 v4, 15, v4
	v_lshlrev_b32_sdwa v8, v8, v5 dst_sel:DWORD dst_unused:UNUSED_PAD src0_sel:DWORD src1_sel:WORD_1
	v_bfe_u32 v6, v5, 19, 4
	v_sub_u32_e32 v7, 29, v7
	v_and_b32_e32 v8, 7, v8
	v_cmp_eq_u16_e32 vcc, 0, v4
	v_cndmask_b32_e32 v3, v3, v8, vcc
	v_cndmask_b32_e32 v4, v6, v7, vcc
	v_lshlrev_b32_e32 v6, 8, v5
	v_mov_b32_e32 v7, 0x3b800000
	v_lshlrev_b32_e32 v3, 20, v3
	v_and_b32_e32 v6, 0x80000000, v6
	v_lshl_add_u32 v4, v4, 23, v7
	v_or3_b32 v4, v6, v4, v3
.LBB2_1272:
	s_or_b64 exec, exec, s[6:7]
	s_nop 0
	v_mfma_f32_16x16x4f32 a[0:3], v2, v4, a[0:3]
	s_movk_i32 s4, 0x7f
	v_cmp_gt_i16_sdwa s[6:7], v9, s4 src0_sel:BYTE_3 src1_sel:DWORD
	s_mov_b64 s[4:5], 0
                                        ; implicit-def: $sgpr10
	s_and_saveexec_b64 s[8:9], s[6:7]
	s_xor_b64 s[6:7], exec, s[8:9]
	s_cbranch_execz .LBB2_1273
; %bb.37113:
	s_getpc_b64 s[14:15]
.Lpost_getpc22140:
	s_add_u32 s14, s14, (.LBB2_15609-.Lpost_getpc22140)&4294967295
	s_addc_u32 s15, s15, (.LBB2_15609-.Lpost_getpc22140)>>32
	s_setpc_b64 s[14:15]
.LBB2_1273:
	s_or_saveexec_b64 s[6:7], s[6:7]
	v_mov_b32_e32 v2, s10
	s_xor_b64 exec, exec, s[6:7]
	s_cbranch_execz .LBB2_1274
; %bb.37115:
	s_getpc_b64 s[14:15]
.Lpost_getpc22141:
	s_add_u32 s14, s14, (.LBB2_15612-.Lpost_getpc22141)&4294967295
	s_addc_u32 s15, s15, (.LBB2_15612-.Lpost_getpc22141)>>32
	s_setpc_b64 s[14:15]
.LBB2_1274:
	s_or_b64 exec, exec, s[6:7]
	s_and_saveexec_b64 s[6:7], s[4:5]
	s_cbranch_execz .LBB2_1276
.LBB2_1275:
	v_bfe_u32 v2, v9, 24, 3
	v_ffbh_u32_e32 v7, v2
	v_min_u32_e32 v7, 32, v7
	v_lshrrev_b32_e32 v4, 27, v9
	v_subrev_u32_e32 v8, 28, v7
	v_and_b32_e32 v4, 15, v4
	v_lshlrev_b32_sdwa v8, v8, v9 dst_sel:DWORD dst_unused:UNUSED_PAD src0_sel:DWORD src1_sel:BYTE_3
	v_bfe_u32 v6, v9, 27, 4
	v_sub_u32_e32 v7, 29, v7
	v_and_b32_e32 v8, 7, v8
	v_cmp_eq_u16_e32 vcc, 0, v4
	v_cndmask_b32_e32 v2, v2, v8, vcc
	v_cndmask_b32_e32 v4, v6, v7, vcc
	v_mov_b32_e32 v6, 0x3b800000
	v_and_b32_e32 v3, 0x80000000, v9
	v_lshlrev_b32_e32 v2, 20, v2
	v_lshl_add_u32 v4, v4, 23, v6
	v_or3_b32 v2, v3, v4, v2
.LBB2_1276:
	s_or_b64 exec, exec, s[6:7]
	s_movk_i32 s4, 0x7f
	v_cmp_gt_i16_sdwa s[6:7], v5, s4 src0_sel:BYTE_3 src1_sel:DWORD
	s_mov_b64 s[4:5], 0
                                        ; implicit-def: $sgpr10
	s_and_saveexec_b64 s[8:9], s[6:7]
	s_xor_b64 s[6:7], exec, s[8:9]
	s_cbranch_execz .LBB2_1277
; %bb.37117:
	s_getpc_b64 s[14:15]
.Lpost_getpc22142:
	s_add_u32 s14, s14, (.LBB2_15613-.Lpost_getpc22142)&4294967295
	s_addc_u32 s15, s15, (.LBB2_15613-.Lpost_getpc22142)>>32
	s_setpc_b64 s[14:15]
.LBB2_1277:
	s_or_saveexec_b64 s[6:7], s[6:7]
	v_mov_b32_e32 v3, s10
	s_xor_b64 exec, exec, s[6:7]
	s_cbranch_execz .LBB2_1278
; %bb.37119:
	s_getpc_b64 s[14:15]
.Lpost_getpc22143:
	s_add_u32 s14, s14, (.LBB2_15616-.Lpost_getpc22143)&4294967295
	s_addc_u32 s15, s15, (.LBB2_15616-.Lpost_getpc22143)>>32
	s_setpc_b64 s[14:15]
.LBB2_1278:
	s_or_b64 exec, exec, s[6:7]
	s_and_saveexec_b64 s[6:7], s[4:5]
	s_cbranch_execz .LBB2_1280
.LBB2_1279:
	v_bfe_u32 v3, v5, 24, 3
	v_ffbh_u32_e32 v8, v3
	v_min_u32_e32 v8, 32, v8
	v_lshrrev_b32_e32 v6, 27, v5
	v_subrev_u32_e32 v9, 28, v8
	v_and_b32_e32 v4, 0x80000000, v5
	v_and_b32_e32 v6, 15, v6
	v_bfe_u32 v7, v5, 27, 4
	v_lshlrev_b32_sdwa v5, v9, v5 dst_sel:DWORD dst_unused:UNUSED_PAD src0_sel:DWORD src1_sel:BYTE_3
	v_sub_u32_e32 v8, 29, v8
	v_and_b32_e32 v5, 7, v5
	v_cmp_eq_u16_e32 vcc, 0, v6
	v_cndmask_b32_e32 v3, v3, v5, vcc
	v_cndmask_b32_e32 v5, v7, v8, vcc
	v_mov_b32_e32 v6, 0x3b800000
	v_lshlrev_b32_e32 v3, 20, v3
	v_lshl_add_u32 v5, v5, 23, v6
	v_or3_b32 v3, v4, v5, v3
.LBB2_1280:
	s_or_b64 exec, exec, s[6:7]
	s_nop 0
	v_mfma_f32_16x16x4f32 a[0:3], v2, v3, a[0:3]
	s_movk_i32 s4, 0x7f
                                        ; implicit-def: $sgpr10
	s_nop 7
	s_nop 1
	flat_store_dwordx4 v[10:11], a[0:3] offset:144
	flat_load_dwordx4 v[12:15], v[0:1]
	s_nop 0
	flat_load_dwordx2 v[10:11], v[0:1] offset:16
	s_waitcnt vmcnt(0) lgkmcnt(0)
	flat_load_dwordx4 v[6:9], v[12:13] offset:16
	flat_load_dwordx4 v[2:5], v[14:15] offset:32
	s_waitcnt vmcnt(0) lgkmcnt(0)
	v_cmp_gt_i16_sdwa s[6:7], v6, s4 src0_sel:BYTE_0 src1_sel:DWORD
	s_mov_b64 s[4:5], 0
	s_and_saveexec_b64 s[8:9], s[6:7]
	s_xor_b64 s[6:7], exec, s[8:9]
	s_cbranch_execz .LBB2_1281
; %bb.37121:
	s_getpc_b64 s[14:15]
.Lpost_getpc22144:
	s_add_u32 s14, s14, (.LBB2_15617-.Lpost_getpc22144)&4294967295
	s_addc_u32 s15, s15, (.LBB2_15617-.Lpost_getpc22144)>>32
	s_setpc_b64 s[14:15]
.LBB2_1281:
	s_or_saveexec_b64 s[6:7], s[6:7]
	v_mov_b32_e32 v12, s10
	s_xor_b64 exec, exec, s[6:7]
	s_cbranch_execz .LBB2_1282
; %bb.37123:
	s_getpc_b64 s[14:15]
.Lpost_getpc22145:
	s_add_u32 s14, s14, (.LBB2_15620-.Lpost_getpc22145)&4294967295
	s_addc_u32 s15, s15, (.LBB2_15620-.Lpost_getpc22145)>>32
	s_setpc_b64 s[14:15]
.LBB2_1282:
	s_or_b64 exec, exec, s[6:7]
	s_and_saveexec_b64 s[6:7], s[4:5]
	s_cbranch_execz .LBB2_1284
.LBB2_1283:
	v_and_b32_e32 v12, 7, v6
	v_ffbh_u32_e32 v14, v12
	v_min_u32_e32 v14, 32, v14
	v_lshrrev_b16_e32 v13, 3, v6
	v_subrev_u32_e32 v15, 28, v14
	v_and_b32_e32 v13, 15, v13
	v_lshlrev_b32_e32 v15, v15, v6
	v_sub_u32_e32 v14, 29, v14
	v_and_b32_e32 v15, 7, v15
	v_cmp_eq_u16_e32 vcc, 0, v13
	v_cndmask_b32_e32 v12, v12, v15, vcc
	v_cndmask_b32_e32 v13, v13, v14, vcc
	v_lshlrev_b32_e32 v14, 24, v6
	v_mov_b32_e32 v15, 0x3b800000
	v_lshlrev_b32_e32 v12, 20, v12
	v_and_b32_e32 v14, 0x80000000, v14
	v_lshl_add_u32 v13, v13, 23, v15
	v_or3_b32 v12, v14, v13, v12
.LBB2_1284:
	s_or_b64 exec, exec, s[6:7]
	s_movk_i32 s4, 0x7f
	v_cmp_gt_i16_sdwa s[6:7], v2, s4 src0_sel:BYTE_0 src1_sel:DWORD
	s_mov_b64 s[4:5], 0
                                        ; implicit-def: $sgpr10
	s_and_saveexec_b64 s[8:9], s[6:7]
	s_xor_b64 s[6:7], exec, s[8:9]
	s_cbranch_execz .LBB2_1285
; %bb.37125:
	s_getpc_b64 s[14:15]
.Lpost_getpc22146:
	s_add_u32 s14, s14, (.LBB2_15621-.Lpost_getpc22146)&4294967295
	s_addc_u32 s15, s15, (.LBB2_15621-.Lpost_getpc22146)>>32
	s_setpc_b64 s[14:15]
.LBB2_1285:
	s_or_saveexec_b64 s[6:7], s[6:7]
	v_mov_b32_e32 v13, s10
	s_xor_b64 exec, exec, s[6:7]
	s_cbranch_execz .LBB2_1286
; %bb.37127:
	s_getpc_b64 s[14:15]
.Lpost_getpc22147:
	s_add_u32 s14, s14, (.LBB2_15624-.Lpost_getpc22147)&4294967295
	s_addc_u32 s15, s15, (.LBB2_15624-.Lpost_getpc22147)>>32
	s_setpc_b64 s[14:15]
.LBB2_1286:
	s_or_b64 exec, exec, s[6:7]
	s_and_saveexec_b64 s[6:7], s[4:5]
	s_cbranch_execz .LBB2_1288
.LBB2_1287:
	v_and_b32_e32 v13, 7, v2
	v_ffbh_u32_e32 v15, v13
	v_min_u32_e32 v15, 32, v15
	v_lshrrev_b16_e32 v14, 3, v2
	v_subrev_u32_e32 v16, 28, v15
	v_and_b32_e32 v14, 15, v14
	v_lshlrev_b32_e32 v16, v16, v2
	v_sub_u32_e32 v15, 29, v15
	v_and_b32_e32 v16, 7, v16
	v_cmp_eq_u16_e32 vcc, 0, v14
	v_cndmask_b32_e32 v13, v13, v16, vcc
	v_cndmask_b32_e32 v14, v14, v15, vcc
	v_lshlrev_b32_e32 v15, 24, v2
	v_mov_b32_e32 v16, 0x3b800000
	v_lshlrev_b32_e32 v13, 20, v13
	v_and_b32_e32 v15, 0x80000000, v15
	v_lshl_add_u32 v14, v14, 23, v16
	v_or3_b32 v13, v15, v14, v13
.LBB2_1288:
	s_or_b64 exec, exec, s[6:7]
	flat_load_dwordx4 a[0:3], v[10:11] offset:160
	s_movk_i32 s4, 0x7f
                                        ; implicit-def: $sgpr10
	s_waitcnt vmcnt(0) lgkmcnt(0)
	v_mfma_f32_16x16x4f32 a[0:3], v12, v13, a[0:3]
	v_lshrrev_b32_e32 v13, 8, v6
	v_cmp_gt_i16_sdwa s[6:7], v13, s4 src0_sel:BYTE_0 src1_sel:DWORD
	s_mov_b64 s[4:5], 0
	s_and_saveexec_b64 s[8:9], s[6:7]
	s_xor_b64 s[6:7], exec, s[8:9]
	s_cbranch_execz .LBB2_1289
; %bb.37129:
	s_getpc_b64 s[14:15]
.Lpost_getpc22148:
	s_add_u32 s14, s14, (.LBB2_15625-.Lpost_getpc22148)&4294967295
	s_addc_u32 s15, s15, (.LBB2_15625-.Lpost_getpc22148)>>32
	s_setpc_b64 s[14:15]
.LBB2_1289:
	s_or_saveexec_b64 s[6:7], s[6:7]
	v_mov_b32_e32 v12, s10
	s_xor_b64 exec, exec, s[6:7]
	s_cbranch_execz .LBB2_1290
; %bb.37131:
	s_getpc_b64 s[14:15]
.Lpost_getpc22149:
	s_add_u32 s14, s14, (.LBB2_15628-.Lpost_getpc22149)&4294967295
	s_addc_u32 s15, s15, (.LBB2_15628-.Lpost_getpc22149)>>32
	s_setpc_b64 s[14:15]
.LBB2_1290:
	s_or_b64 exec, exec, s[6:7]
	s_and_saveexec_b64 s[6:7], s[4:5]
	s_cbranch_execz .LBB2_1292
.LBB2_1291:
	v_bfe_u32 v12, v6, 8, 3
	v_ffbh_u32_e32 v15, v12
	v_min_u32_e32 v15, 32, v15
	v_lshrrev_b16_e32 v14, 3, v13
	v_subrev_u32_e32 v16, 28, v15
	v_and_b32_e32 v14, 15, v14
	v_lshlrev_b32_e32 v13, v16, v13
	v_sub_u32_e32 v15, 29, v15
	v_and_b32_e32 v13, 7, v13
	v_cmp_eq_u16_e32 vcc, 0, v14
	v_cndmask_b32_e32 v12, v12, v13, vcc
	v_cndmask_b32_e32 v13, v14, v15, vcc
	v_lshlrev_b32_e32 v14, 16, v6
	v_mov_b32_e32 v15, 0x3b800000
	v_lshlrev_b32_e32 v12, 20, v12
	v_and_b32_e32 v14, 0x80000000, v14
	v_lshl_add_u32 v13, v13, 23, v15
	v_or3_b32 v12, v14, v13, v12
.LBB2_1292:
	s_or_b64 exec, exec, s[6:7]
	v_lshrrev_b32_e32 v13, 8, v2
	s_movk_i32 s4, 0x7f
	v_cmp_gt_i16_sdwa s[6:7], v13, s4 src0_sel:BYTE_0 src1_sel:DWORD
	s_mov_b64 s[4:5], 0
                                        ; implicit-def: $sgpr10
	s_and_saveexec_b64 s[8:9], s[6:7]
	s_xor_b64 s[6:7], exec, s[8:9]
	s_cbranch_execz .LBB2_1293
; %bb.37133:
	s_getpc_b64 s[14:15]
.Lpost_getpc22150:
	s_add_u32 s14, s14, (.LBB2_15629-.Lpost_getpc22150)&4294967295
	s_addc_u32 s15, s15, (.LBB2_15629-.Lpost_getpc22150)>>32
	s_setpc_b64 s[14:15]
.LBB2_1293:
	s_or_saveexec_b64 s[6:7], s[6:7]
	v_mov_b32_e32 v14, s10
	s_xor_b64 exec, exec, s[6:7]
	s_cbranch_execz .LBB2_1294
; %bb.37135:
	s_getpc_b64 s[14:15]
.Lpost_getpc22151:
	s_add_u32 s14, s14, (.LBB2_15632-.Lpost_getpc22151)&4294967295
	s_addc_u32 s15, s15, (.LBB2_15632-.Lpost_getpc22151)>>32
	s_setpc_b64 s[14:15]
.LBB2_1294:
	s_or_b64 exec, exec, s[6:7]
	s_and_saveexec_b64 s[6:7], s[4:5]
	s_cbranch_execz .LBB2_1296
.LBB2_1295:
	v_bfe_u32 v14, v2, 8, 3
	v_ffbh_u32_e32 v16, v14
	v_min_u32_e32 v16, 32, v16
	v_lshrrev_b16_e32 v15, 3, v13
	v_subrev_u32_e32 v17, 28, v16
	v_and_b32_e32 v15, 15, v15
	v_lshlrev_b32_e32 v13, v17, v13
	v_sub_u32_e32 v16, 29, v16
	v_and_b32_e32 v13, 7, v13
	v_cmp_eq_u16_e32 vcc, 0, v15
	v_cndmask_b32_e32 v13, v14, v13, vcc
	v_cndmask_b32_e32 v14, v15, v16, vcc
	v_lshlrev_b32_e32 v15, 16, v2
	v_mov_b32_e32 v16, 0x3b800000
	v_lshlrev_b32_e32 v13, 20, v13
	v_and_b32_e32 v15, 0x80000000, v15
	v_lshl_add_u32 v14, v14, 23, v16
	v_or3_b32 v14, v15, v14, v13
.LBB2_1296:
	s_or_b64 exec, exec, s[6:7]
	s_nop 0
	v_mfma_f32_16x16x4f32 a[0:3], v12, v14, a[0:3]
	s_movk_i32 s4, 0xff
	v_and_b32_sdwa v13, v6, s4 dst_sel:DWORD dst_unused:UNUSED_PAD src0_sel:WORD_1 src1_sel:DWORD
	s_movk_i32 s4, 0x7f
	v_cmp_lt_i16_e32 vcc, s4, v13
	s_mov_b64 s[4:5], 0
                                        ; implicit-def: $sgpr10
	s_and_saveexec_b64 s[6:7], vcc
	s_xor_b64 s[6:7], exec, s[6:7]
	s_cbranch_execz .LBB2_1297
; %bb.37137:
	s_getpc_b64 s[14:15]
.Lpost_getpc22152:
	s_add_u32 s14, s14, (.LBB2_15633-.Lpost_getpc22152)&4294967295
	s_addc_u32 s15, s15, (.LBB2_15633-.Lpost_getpc22152)>>32
	s_setpc_b64 s[14:15]
.LBB2_1297:
	s_or_saveexec_b64 s[6:7], s[6:7]
	v_mov_b32_e32 v12, s10
	s_xor_b64 exec, exec, s[6:7]
	s_cbranch_execz .LBB2_1298
; %bb.37139:
	s_getpc_b64 s[14:15]
.Lpost_getpc22153:
	s_add_u32 s14, s14, (.LBB2_15636-.Lpost_getpc22153)&4294967295
	s_addc_u32 s15, s15, (.LBB2_15636-.Lpost_getpc22153)>>32
	s_setpc_b64 s[14:15]
.LBB2_1298:
	s_or_b64 exec, exec, s[6:7]
	s_and_saveexec_b64 s[6:7], s[4:5]
	s_cbranch_execz .LBB2_1300
.LBB2_1299:
	v_bfe_u32 v12, v6, 16, 3
	v_ffbh_u32_e32 v15, v12
	v_min_u32_e32 v15, 32, v15
	v_lshrrev_b32_e32 v13, 19, v6
	v_subrev_u32_e32 v16, 28, v15
	v_and_b32_e32 v13, 15, v13
	v_lshlrev_b32_sdwa v16, v16, v6 dst_sel:DWORD dst_unused:UNUSED_PAD src0_sel:DWORD src1_sel:WORD_1
	v_bfe_u32 v14, v6, 19, 4
	v_sub_u32_e32 v15, 29, v15
	v_and_b32_e32 v16, 7, v16
	v_cmp_eq_u16_e32 vcc, 0, v13
	v_cndmask_b32_e32 v12, v12, v16, vcc
	v_cndmask_b32_e32 v13, v14, v15, vcc
	v_lshlrev_b32_e32 v14, 8, v6
	v_mov_b32_e32 v15, 0x3b800000
	v_lshlrev_b32_e32 v12, 20, v12
	v_and_b32_e32 v14, 0x80000000, v14
	v_lshl_add_u32 v13, v13, 23, v15
	v_or3_b32 v12, v14, v13, v12
.LBB2_1300:
	s_or_b64 exec, exec, s[6:7]
	s_movk_i32 s4, 0xff
	v_and_b32_sdwa v13, v2, s4 dst_sel:DWORD dst_unused:UNUSED_PAD src0_sel:WORD_1 src1_sel:DWORD
	s_movk_i32 s4, 0x7f
	v_cmp_lt_i16_e32 vcc, s4, v13
	s_mov_b64 s[4:5], 0
                                        ; implicit-def: $sgpr10
	s_and_saveexec_b64 s[6:7], vcc
	s_xor_b64 s[6:7], exec, s[6:7]
	s_cbranch_execz .LBB2_1301
; %bb.37141:
	s_getpc_b64 s[14:15]
.Lpost_getpc22154:
	s_add_u32 s14, s14, (.LBB2_15637-.Lpost_getpc22154)&4294967295
	s_addc_u32 s15, s15, (.LBB2_15637-.Lpost_getpc22154)>>32
	s_setpc_b64 s[14:15]
.LBB2_1301:
	s_or_saveexec_b64 s[6:7], s[6:7]
	v_mov_b32_e32 v14, s10
	s_xor_b64 exec, exec, s[6:7]
	s_cbranch_execz .LBB2_1302
; %bb.37143:
	s_getpc_b64 s[14:15]
.Lpost_getpc22155:
	s_add_u32 s14, s14, (.LBB2_15640-.Lpost_getpc22155)&4294967295
	s_addc_u32 s15, s15, (.LBB2_15640-.Lpost_getpc22155)>>32
	s_setpc_b64 s[14:15]
.LBB2_1302:
	s_or_b64 exec, exec, s[6:7]
	s_and_saveexec_b64 s[6:7], s[4:5]
	s_cbranch_execz .LBB2_1304
.LBB2_1303:
	v_bfe_u32 v13, v2, 16, 3
	v_ffbh_u32_e32 v16, v13
	v_min_u32_e32 v16, 32, v16
	v_lshrrev_b32_e32 v14, 19, v2
	v_subrev_u32_e32 v17, 28, v16
	v_and_b32_e32 v14, 15, v14
	v_lshlrev_b32_sdwa v17, v17, v2 dst_sel:DWORD dst_unused:UNUSED_PAD src0_sel:DWORD src1_sel:WORD_1
	v_bfe_u32 v15, v2, 19, 4
	v_sub_u32_e32 v16, 29, v16
	v_and_b32_e32 v17, 7, v17
	v_cmp_eq_u16_e32 vcc, 0, v14
	v_cndmask_b32_e32 v13, v13, v17, vcc
	v_cndmask_b32_e32 v14, v15, v16, vcc
	v_lshlrev_b32_e32 v15, 8, v2
	v_mov_b32_e32 v16, 0x3b800000
	v_lshlrev_b32_e32 v13, 20, v13
	v_and_b32_e32 v15, 0x80000000, v15
	v_lshl_add_u32 v14, v14, 23, v16
	v_or3_b32 v14, v15, v14, v13
.LBB2_1304:
	s_or_b64 exec, exec, s[6:7]
	s_nop 0
	v_mfma_f32_16x16x4f32 a[0:3], v12, v14, a[0:3]
	s_movk_i32 s4, 0x7f
	v_cmp_gt_i16_sdwa s[6:7], v6, s4 src0_sel:BYTE_3 src1_sel:DWORD
	s_mov_b64 s[4:5], 0
                                        ; implicit-def: $sgpr10
	s_and_saveexec_b64 s[8:9], s[6:7]
	s_xor_b64 s[6:7], exec, s[8:9]
	s_cbranch_execz .LBB2_1305
; %bb.37145:
	s_getpc_b64 s[14:15]
.Lpost_getpc22156:
	s_add_u32 s14, s14, (.LBB2_15641-.Lpost_getpc22156)&4294967295
	s_addc_u32 s15, s15, (.LBB2_15641-.Lpost_getpc22156)>>32
	s_setpc_b64 s[14:15]
.LBB2_1305:
	s_or_saveexec_b64 s[6:7], s[6:7]
	v_mov_b32_e32 v12, s10
	s_xor_b64 exec, exec, s[6:7]
	s_cbranch_execz .LBB2_1306
; %bb.37147:
	s_getpc_b64 s[14:15]
.Lpost_getpc22157:
	s_add_u32 s14, s14, (.LBB2_15644-.Lpost_getpc22157)&4294967295
	s_addc_u32 s15, s15, (.LBB2_15644-.Lpost_getpc22157)>>32
	s_setpc_b64 s[14:15]
.LBB2_1306:
	s_or_b64 exec, exec, s[6:7]
	s_and_saveexec_b64 s[6:7], s[4:5]
	s_cbranch_execz .LBB2_1308
.LBB2_1307:
	v_bfe_u32 v12, v6, 24, 3
	v_ffbh_u32_e32 v16, v12
	v_min_u32_e32 v16, 32, v16
	v_lshrrev_b32_e32 v14, 27, v6
	v_subrev_u32_e32 v17, 28, v16
	v_and_b32_e32 v13, 0x80000000, v6
	v_and_b32_e32 v14, 15, v14
	v_bfe_u32 v15, v6, 27, 4
	v_lshlrev_b32_sdwa v6, v17, v6 dst_sel:DWORD dst_unused:UNUSED_PAD src0_sel:DWORD src1_sel:BYTE_3
	v_sub_u32_e32 v16, 29, v16
	v_and_b32_e32 v6, 7, v6
	v_cmp_eq_u16_e32 vcc, 0, v14
	v_cndmask_b32_e32 v6, v12, v6, vcc
	v_cndmask_b32_e32 v12, v15, v16, vcc
	v_mov_b32_e32 v14, 0x3b800000
	v_lshlrev_b32_e32 v6, 20, v6
	v_lshl_add_u32 v12, v12, 23, v14
	v_or3_b32 v12, v13, v12, v6
.LBB2_1308:
	s_or_b64 exec, exec, s[6:7]
	s_movk_i32 s4, 0x7f
	v_cmp_gt_i16_sdwa s[6:7], v2, s4 src0_sel:BYTE_3 src1_sel:DWORD
	s_mov_b64 s[4:5], 0
                                        ; implicit-def: $sgpr10
	s_and_saveexec_b64 s[8:9], s[6:7]
	s_xor_b64 s[6:7], exec, s[8:9]
	s_cbranch_execz .LBB2_1309
; %bb.37149:
	s_getpc_b64 s[14:15]
.Lpost_getpc22158:
	s_add_u32 s14, s14, (.LBB2_15645-.Lpost_getpc22158)&4294967295
	s_addc_u32 s15, s15, (.LBB2_15645-.Lpost_getpc22158)>>32
	s_setpc_b64 s[14:15]
.LBB2_1309:
	s_or_saveexec_b64 s[6:7], s[6:7]
	v_mov_b32_e32 v6, s10
	s_xor_b64 exec, exec, s[6:7]
	s_cbranch_execz .LBB2_1310
; %bb.37151:
	s_getpc_b64 s[14:15]
.Lpost_getpc22159:
	s_add_u32 s14, s14, (.LBB2_15648-.Lpost_getpc22159)&4294967295
	s_addc_u32 s15, s15, (.LBB2_15648-.Lpost_getpc22159)>>32
	s_setpc_b64 s[14:15]
.LBB2_1310:
	s_or_b64 exec, exec, s[6:7]
	s_and_saveexec_b64 s[6:7], s[4:5]
	s_cbranch_execz .LBB2_1312
.LBB2_1311:
	v_bfe_u32 v6, v2, 24, 3
	v_ffbh_u32_e32 v16, v6
	v_min_u32_e32 v16, 32, v16
	v_lshrrev_b32_e32 v14, 27, v2
	v_subrev_u32_e32 v17, 28, v16
	v_and_b32_e32 v13, 0x80000000, v2
	v_and_b32_e32 v14, 15, v14
	v_bfe_u32 v15, v2, 27, 4
	v_lshlrev_b32_sdwa v2, v17, v2 dst_sel:DWORD dst_unused:UNUSED_PAD src0_sel:DWORD src1_sel:BYTE_3
	v_sub_u32_e32 v16, 29, v16
	v_and_b32_e32 v2, 7, v2
	v_cmp_eq_u16_e32 vcc, 0, v14
	v_cndmask_b32_e32 v2, v6, v2, vcc
	v_cndmask_b32_e32 v6, v15, v16, vcc
	v_mov_b32_e32 v14, 0x3b800000
	v_lshlrev_b32_e32 v2, 20, v2
	v_lshl_add_u32 v6, v6, 23, v14
	v_or3_b32 v6, v13, v6, v2
.LBB2_1312:
	s_or_b64 exec, exec, s[6:7]
	s_nop 0
	v_mfma_f32_16x16x4f32 a[0:3], v12, v6, a[0:3]
	s_movk_i32 s4, 0x7f
	v_cmp_gt_i16_sdwa s[6:7], v7, s4 src0_sel:BYTE_0 src1_sel:DWORD
	s_mov_b64 s[4:5], 0
                                        ; implicit-def: $sgpr10
	s_and_saveexec_b64 s[8:9], s[6:7]
	s_xor_b64 s[6:7], exec, s[8:9]
	s_cbranch_execz .LBB2_1313
; %bb.37153:
	s_getpc_b64 s[14:15]
.Lpost_getpc22160:
	s_add_u32 s14, s14, (.LBB2_15649-.Lpost_getpc22160)&4294967295
	s_addc_u32 s15, s15, (.LBB2_15649-.Lpost_getpc22160)>>32
	s_setpc_b64 s[14:15]
.LBB2_1313:
	s_or_saveexec_b64 s[6:7], s[6:7]
	v_mov_b32_e32 v2, s10
	s_xor_b64 exec, exec, s[6:7]
	s_cbranch_execz .LBB2_1314
; %bb.37155:
	s_getpc_b64 s[14:15]
.Lpost_getpc22161:
	s_add_u32 s14, s14, (.LBB2_15652-.Lpost_getpc22161)&4294967295
	s_addc_u32 s15, s15, (.LBB2_15652-.Lpost_getpc22161)>>32
	s_setpc_b64 s[14:15]
.LBB2_1314:
	s_or_b64 exec, exec, s[6:7]
	s_and_saveexec_b64 s[6:7], s[4:5]
	s_cbranch_execz .LBB2_1316
.LBB2_1315:
	v_and_b32_e32 v2, 7, v7
	v_ffbh_u32_e32 v12, v2
	v_min_u32_e32 v12, 32, v12
	v_lshrrev_b16_e32 v6, 3, v7
	v_subrev_u32_e32 v13, 28, v12
	v_and_b32_e32 v6, 15, v6
	v_lshlrev_b32_e32 v13, v13, v7
	v_sub_u32_e32 v12, 29, v12
	v_and_b32_e32 v13, 7, v13
	v_cmp_eq_u16_e32 vcc, 0, v6
	v_cndmask_b32_e32 v2, v2, v13, vcc
	v_cndmask_b32_e32 v6, v6, v12, vcc
	v_lshlrev_b32_e32 v12, 24, v7
	v_mov_b32_e32 v13, 0x3b800000
	v_lshlrev_b32_e32 v2, 20, v2
	v_and_b32_e32 v12, 0x80000000, v12
	v_lshl_add_u32 v6, v6, 23, v13
	v_or3_b32 v2, v12, v6, v2
.LBB2_1316:
	s_or_b64 exec, exec, s[6:7]
	s_movk_i32 s4, 0x7f
	v_cmp_gt_i16_sdwa s[6:7], v3, s4 src0_sel:BYTE_0 src1_sel:DWORD
	s_mov_b64 s[4:5], 0
                                        ; implicit-def: $sgpr10
	s_and_saveexec_b64 s[8:9], s[6:7]
	s_xor_b64 s[6:7], exec, s[8:9]
	s_cbranch_execz .LBB2_1317
; %bb.37157:
	s_getpc_b64 s[14:15]
.Lpost_getpc22162:
	s_add_u32 s14, s14, (.LBB2_15653-.Lpost_getpc22162)&4294967295
	s_addc_u32 s15, s15, (.LBB2_15653-.Lpost_getpc22162)>>32
	s_setpc_b64 s[14:15]
.LBB2_1317:
	s_or_saveexec_b64 s[6:7], s[6:7]
	v_mov_b32_e32 v6, s10
	s_xor_b64 exec, exec, s[6:7]
	s_cbranch_execz .LBB2_1318
; %bb.37159:
	s_getpc_b64 s[14:15]
.Lpost_getpc22163:
	s_add_u32 s14, s14, (.LBB2_15656-.Lpost_getpc22163)&4294967295
	s_addc_u32 s15, s15, (.LBB2_15656-.Lpost_getpc22163)>>32
	s_setpc_b64 s[14:15]
.LBB2_1318:
	s_or_b64 exec, exec, s[6:7]
	s_and_saveexec_b64 s[6:7], s[4:5]
	s_cbranch_execz .LBB2_1320
.LBB2_1319:
	v_and_b32_e32 v6, 7, v3
	v_ffbh_u32_e32 v13, v6
	v_min_u32_e32 v13, 32, v13
	v_lshrrev_b16_e32 v12, 3, v3
	v_subrev_u32_e32 v14, 28, v13
	v_and_b32_e32 v12, 15, v12
	v_lshlrev_b32_e32 v14, v14, v3
	v_sub_u32_e32 v13, 29, v13
	v_and_b32_e32 v14, 7, v14
	v_cmp_eq_u16_e32 vcc, 0, v12
	v_cndmask_b32_e32 v6, v6, v14, vcc
	v_cndmask_b32_e32 v12, v12, v13, vcc
	v_lshlrev_b32_e32 v13, 24, v3
	v_mov_b32_e32 v14, 0x3b800000
	v_lshlrev_b32_e32 v6, 20, v6
	v_and_b32_e32 v13, 0x80000000, v13
	v_lshl_add_u32 v12, v12, 23, v14
	v_or3_b32 v6, v13, v12, v6
.LBB2_1320:
	s_or_b64 exec, exec, s[6:7]
	s_nop 0
	v_mfma_f32_16x16x4f32 a[0:3], v2, v6, a[0:3]
	v_lshrrev_b32_e32 v6, 8, v7
	s_movk_i32 s4, 0x7f
	v_cmp_gt_i16_sdwa s[6:7], v6, s4 src0_sel:BYTE_0 src1_sel:DWORD
	s_mov_b64 s[4:5], 0
                                        ; implicit-def: $sgpr10
	s_and_saveexec_b64 s[8:9], s[6:7]
	s_xor_b64 s[6:7], exec, s[8:9]
	s_cbranch_execz .LBB2_1321
; %bb.37161:
	s_getpc_b64 s[14:15]
.Lpost_getpc22164:
	s_add_u32 s14, s14, (.LBB2_15657-.Lpost_getpc22164)&4294967295
	s_addc_u32 s15, s15, (.LBB2_15657-.Lpost_getpc22164)>>32
	s_setpc_b64 s[14:15]
.LBB2_1321:
	s_or_saveexec_b64 s[6:7], s[6:7]
	v_mov_b32_e32 v2, s10
	s_xor_b64 exec, exec, s[6:7]
	s_cbranch_execz .LBB2_1322
; %bb.37163:
	s_getpc_b64 s[14:15]
.Lpost_getpc22165:
	s_add_u32 s14, s14, (.LBB2_15660-.Lpost_getpc22165)&4294967295
	s_addc_u32 s15, s15, (.LBB2_15660-.Lpost_getpc22165)>>32
	s_setpc_b64 s[14:15]
.LBB2_1322:
	s_or_b64 exec, exec, s[6:7]
	s_and_saveexec_b64 s[6:7], s[4:5]
	s_cbranch_execz .LBB2_1324
.LBB2_1323:
	v_bfe_u32 v2, v7, 8, 3
	v_ffbh_u32_e32 v13, v2
	v_min_u32_e32 v13, 32, v13
	v_lshrrev_b16_e32 v12, 3, v6
	v_subrev_u32_e32 v14, 28, v13
	v_and_b32_e32 v12, 15, v12
	v_lshlrev_b32_e32 v6, v14, v6
	v_sub_u32_e32 v13, 29, v13
	v_and_b32_e32 v6, 7, v6
	v_cmp_eq_u16_e32 vcc, 0, v12
	v_cndmask_b32_e32 v2, v2, v6, vcc
	v_cndmask_b32_e32 v6, v12, v13, vcc
	v_lshlrev_b32_e32 v12, 16, v7
	v_mov_b32_e32 v13, 0x3b800000
	v_lshlrev_b32_e32 v2, 20, v2
	v_and_b32_e32 v12, 0x80000000, v12
	v_lshl_add_u32 v6, v6, 23, v13
	v_or3_b32 v2, v12, v6, v2
.LBB2_1324:
	s_or_b64 exec, exec, s[6:7]
	v_lshrrev_b32_e32 v6, 8, v3
	s_movk_i32 s4, 0x7f
	v_cmp_gt_i16_sdwa s[6:7], v6, s4 src0_sel:BYTE_0 src1_sel:DWORD
	s_mov_b64 s[4:5], 0
                                        ; implicit-def: $sgpr10
	s_and_saveexec_b64 s[8:9], s[6:7]
	s_xor_b64 s[6:7], exec, s[8:9]
	s_cbranch_execz .LBB2_1325
; %bb.37165:
	s_getpc_b64 s[14:15]
.Lpost_getpc22166:
	s_add_u32 s14, s14, (.LBB2_15661-.Lpost_getpc22166)&4294967295
	s_addc_u32 s15, s15, (.LBB2_15661-.Lpost_getpc22166)>>32
	s_setpc_b64 s[14:15]
.LBB2_1325:
	s_or_saveexec_b64 s[6:7], s[6:7]
	v_mov_b32_e32 v12, s10
	s_xor_b64 exec, exec, s[6:7]
	s_cbranch_execz .LBB2_1326
; %bb.37167:
	s_getpc_b64 s[14:15]
.Lpost_getpc22167:
	s_add_u32 s14, s14, (.LBB2_15664-.Lpost_getpc22167)&4294967295
	s_addc_u32 s15, s15, (.LBB2_15664-.Lpost_getpc22167)>>32
	s_setpc_b64 s[14:15]
.LBB2_1326:
	s_or_b64 exec, exec, s[6:7]
	s_and_saveexec_b64 s[6:7], s[4:5]
	s_cbranch_execz .LBB2_1328
.LBB2_1327:
	v_bfe_u32 v12, v3, 8, 3
	v_ffbh_u32_e32 v14, v12
	v_min_u32_e32 v14, 32, v14
	v_lshrrev_b16_e32 v13, 3, v6
	v_subrev_u32_e32 v15, 28, v14
	v_and_b32_e32 v13, 15, v13
	v_lshlrev_b32_e32 v6, v15, v6
	v_sub_u32_e32 v14, 29, v14
	v_and_b32_e32 v6, 7, v6
	v_cmp_eq_u16_e32 vcc, 0, v13
	v_cndmask_b32_e32 v6, v12, v6, vcc
	v_cndmask_b32_e32 v12, v13, v14, vcc
	v_lshlrev_b32_e32 v13, 16, v3
	v_mov_b32_e32 v14, 0x3b800000
	v_lshlrev_b32_e32 v6, 20, v6
	v_and_b32_e32 v13, 0x80000000, v13
	v_lshl_add_u32 v12, v12, 23, v14
	v_or3_b32 v12, v13, v12, v6
.LBB2_1328:
	s_or_b64 exec, exec, s[6:7]
	s_nop 0
	v_mfma_f32_16x16x4f32 a[0:3], v2, v12, a[0:3]
	s_movk_i32 s4, 0xff
	v_and_b32_sdwa v6, v7, s4 dst_sel:DWORD dst_unused:UNUSED_PAD src0_sel:WORD_1 src1_sel:DWORD
	s_movk_i32 s4, 0x7f
	v_cmp_lt_i16_e32 vcc, s4, v6
	s_mov_b64 s[4:5], 0
                                        ; implicit-def: $sgpr10
	s_and_saveexec_b64 s[6:7], vcc
	s_xor_b64 s[6:7], exec, s[6:7]
	s_cbranch_execz .LBB2_1329
; %bb.37169:
	s_getpc_b64 s[14:15]
.Lpost_getpc22168:
	s_add_u32 s14, s14, (.LBB2_15665-.Lpost_getpc22168)&4294967295
	s_addc_u32 s15, s15, (.LBB2_15665-.Lpost_getpc22168)>>32
	s_setpc_b64 s[14:15]
.LBB2_1329:
	s_or_saveexec_b64 s[6:7], s[6:7]
	v_mov_b32_e32 v2, s10
	s_xor_b64 exec, exec, s[6:7]
	s_cbranch_execz .LBB2_1330
; %bb.37171:
	s_getpc_b64 s[14:15]
.Lpost_getpc22169:
	s_add_u32 s14, s14, (.LBB2_15668-.Lpost_getpc22169)&4294967295
	s_addc_u32 s15, s15, (.LBB2_15668-.Lpost_getpc22169)>>32
	s_setpc_b64 s[14:15]
.LBB2_1330:
	s_or_b64 exec, exec, s[6:7]
	s_and_saveexec_b64 s[6:7], s[4:5]
	s_cbranch_execz .LBB2_1332
.LBB2_1331:
	v_bfe_u32 v2, v7, 16, 3
	v_ffbh_u32_e32 v13, v2
	v_min_u32_e32 v13, 32, v13
	v_lshrrev_b32_e32 v6, 19, v7
	v_subrev_u32_e32 v14, 28, v13
	v_and_b32_e32 v6, 15, v6
	v_lshlrev_b32_sdwa v14, v14, v7 dst_sel:DWORD dst_unused:UNUSED_PAD src0_sel:DWORD src1_sel:WORD_1
	v_bfe_u32 v12, v7, 19, 4
	v_sub_u32_e32 v13, 29, v13
	v_and_b32_e32 v14, 7, v14
	v_cmp_eq_u16_e32 vcc, 0, v6
	v_cndmask_b32_e32 v2, v2, v14, vcc
	v_cndmask_b32_e32 v6, v12, v13, vcc
	v_lshlrev_b32_e32 v12, 8, v7
	v_mov_b32_e32 v13, 0x3b800000
	v_lshlrev_b32_e32 v2, 20, v2
	v_and_b32_e32 v12, 0x80000000, v12
	v_lshl_add_u32 v6, v6, 23, v13
	v_or3_b32 v2, v12, v6, v2
.LBB2_1332:
	s_or_b64 exec, exec, s[6:7]
	s_movk_i32 s4, 0xff
	v_and_b32_sdwa v6, v3, s4 dst_sel:DWORD dst_unused:UNUSED_PAD src0_sel:WORD_1 src1_sel:DWORD
	s_movk_i32 s4, 0x7f
	v_cmp_lt_i16_e32 vcc, s4, v6
	s_mov_b64 s[4:5], 0
                                        ; implicit-def: $sgpr10
	s_and_saveexec_b64 s[6:7], vcc
	s_xor_b64 s[6:7], exec, s[6:7]
	s_cbranch_execz .LBB2_1333
; %bb.37173:
	s_getpc_b64 s[14:15]
.Lpost_getpc22170:
	s_add_u32 s14, s14, (.LBB2_15669-.Lpost_getpc22170)&4294967295
	s_addc_u32 s15, s15, (.LBB2_15669-.Lpost_getpc22170)>>32
	s_setpc_b64 s[14:15]
.LBB2_1333:
	s_or_saveexec_b64 s[6:7], s[6:7]
	v_mov_b32_e32 v12, s10
	s_xor_b64 exec, exec, s[6:7]
	s_cbranch_execz .LBB2_1334
; %bb.37175:
	s_getpc_b64 s[14:15]
.Lpost_getpc22171:
	s_add_u32 s14, s14, (.LBB2_15672-.Lpost_getpc22171)&4294967295
	s_addc_u32 s15, s15, (.LBB2_15672-.Lpost_getpc22171)>>32
	s_setpc_b64 s[14:15]
.LBB2_1334:
	s_or_b64 exec, exec, s[6:7]
	s_and_saveexec_b64 s[6:7], s[4:5]
	s_cbranch_execz .LBB2_1336
.LBB2_1335:
	v_bfe_u32 v6, v3, 16, 3
	v_ffbh_u32_e32 v14, v6
	v_min_u32_e32 v14, 32, v14
	v_lshrrev_b32_e32 v12, 19, v3
	v_subrev_u32_e32 v15, 28, v14
	v_and_b32_e32 v12, 15, v12
	v_lshlrev_b32_sdwa v15, v15, v3 dst_sel:DWORD dst_unused:UNUSED_PAD src0_sel:DWORD src1_sel:WORD_1
	v_bfe_u32 v13, v3, 19, 4
	v_sub_u32_e32 v14, 29, v14
	v_and_b32_e32 v15, 7, v15
	v_cmp_eq_u16_e32 vcc, 0, v12
	v_cndmask_b32_e32 v6, v6, v15, vcc
	v_cndmask_b32_e32 v12, v13, v14, vcc
	v_lshlrev_b32_e32 v13, 8, v3
	v_mov_b32_e32 v14, 0x3b800000
	v_lshlrev_b32_e32 v6, 20, v6
	v_and_b32_e32 v13, 0x80000000, v13
	v_lshl_add_u32 v12, v12, 23, v14
	v_or3_b32 v12, v13, v12, v6
.LBB2_1336:
	s_or_b64 exec, exec, s[6:7]
	s_nop 0
	v_mfma_f32_16x16x4f32 a[0:3], v2, v12, a[0:3]
	s_movk_i32 s4, 0x7f
	v_cmp_gt_i16_sdwa s[6:7], v7, s4 src0_sel:BYTE_3 src1_sel:DWORD
	s_mov_b64 s[4:5], 0
                                        ; implicit-def: $sgpr10
	s_and_saveexec_b64 s[8:9], s[6:7]
	s_xor_b64 s[6:7], exec, s[8:9]
	s_cbranch_execz .LBB2_1337
; %bb.37177:
	s_getpc_b64 s[14:15]
.Lpost_getpc22172:
	s_add_u32 s14, s14, (.LBB2_15673-.Lpost_getpc22172)&4294967295
	s_addc_u32 s15, s15, (.LBB2_15673-.Lpost_getpc22172)>>32
	s_setpc_b64 s[14:15]
.LBB2_1337:
	s_or_saveexec_b64 s[6:7], s[6:7]
	v_mov_b32_e32 v2, s10
	s_xor_b64 exec, exec, s[6:7]
	s_cbranch_execz .LBB2_1338
; %bb.37179:
	s_getpc_b64 s[14:15]
.Lpost_getpc22173:
	s_add_u32 s14, s14, (.LBB2_15676-.Lpost_getpc22173)&4294967295
	s_addc_u32 s15, s15, (.LBB2_15676-.Lpost_getpc22173)>>32
	s_setpc_b64 s[14:15]
.LBB2_1338:
	s_or_b64 exec, exec, s[6:7]
	s_and_saveexec_b64 s[6:7], s[4:5]
	s_cbranch_execz .LBB2_1340
.LBB2_1339:
	v_bfe_u32 v2, v7, 24, 3
	v_ffbh_u32_e32 v14, v2
	v_min_u32_e32 v14, 32, v14
	v_lshrrev_b32_e32 v12, 27, v7
	v_subrev_u32_e32 v15, 28, v14
	v_and_b32_e32 v6, 0x80000000, v7
	v_and_b32_e32 v12, 15, v12
	v_bfe_u32 v13, v7, 27, 4
	v_lshlrev_b32_sdwa v7, v15, v7 dst_sel:DWORD dst_unused:UNUSED_PAD src0_sel:DWORD src1_sel:BYTE_3
	v_sub_u32_e32 v14, 29, v14
	v_and_b32_e32 v7, 7, v7
	v_cmp_eq_u16_e32 vcc, 0, v12
	v_cndmask_b32_e32 v2, v2, v7, vcc
	v_cndmask_b32_e32 v7, v13, v14, vcc
	v_mov_b32_e32 v12, 0x3b800000
	v_lshlrev_b32_e32 v2, 20, v2
	v_lshl_add_u32 v7, v7, 23, v12
	v_or3_b32 v2, v6, v7, v2
.LBB2_1340:
	s_or_b64 exec, exec, s[6:7]
	s_movk_i32 s4, 0x7f
	v_cmp_gt_i16_sdwa s[6:7], v3, s4 src0_sel:BYTE_3 src1_sel:DWORD
	s_mov_b64 s[4:5], 0
                                        ; implicit-def: $sgpr10
	s_and_saveexec_b64 s[8:9], s[6:7]
	s_xor_b64 s[6:7], exec, s[8:9]
	s_cbranch_execz .LBB2_1341
; %bb.37181:
	s_getpc_b64 s[14:15]
.Lpost_getpc22174:
	s_add_u32 s14, s14, (.LBB2_15677-.Lpost_getpc22174)&4294967295
	s_addc_u32 s15, s15, (.LBB2_15677-.Lpost_getpc22174)>>32
	s_setpc_b64 s[14:15]
.LBB2_1341:
	s_or_saveexec_b64 s[6:7], s[6:7]
	v_mov_b32_e32 v6, s10
	s_xor_b64 exec, exec, s[6:7]
	s_cbranch_execz .LBB2_1342
; %bb.37183:
	s_getpc_b64 s[14:15]
.Lpost_getpc22175:
	s_add_u32 s14, s14, (.LBB2_15680-.Lpost_getpc22175)&4294967295
	s_addc_u32 s15, s15, (.LBB2_15680-.Lpost_getpc22175)>>32
	s_setpc_b64 s[14:15]
.LBB2_1342:
	s_or_b64 exec, exec, s[6:7]
	s_and_saveexec_b64 s[6:7], s[4:5]
	s_cbranch_execz .LBB2_1344
.LBB2_1343:
	v_bfe_u32 v6, v3, 24, 3
	v_ffbh_u32_e32 v14, v6
	v_min_u32_e32 v14, 32, v14
	v_lshrrev_b32_e32 v12, 27, v3
	v_subrev_u32_e32 v15, 28, v14
	v_and_b32_e32 v7, 0x80000000, v3
	v_and_b32_e32 v12, 15, v12
	v_bfe_u32 v13, v3, 27, 4
	v_lshlrev_b32_sdwa v3, v15, v3 dst_sel:DWORD dst_unused:UNUSED_PAD src0_sel:DWORD src1_sel:BYTE_3
	v_sub_u32_e32 v14, 29, v14
	v_and_b32_e32 v3, 7, v3
	v_cmp_eq_u16_e32 vcc, 0, v12
	v_cndmask_b32_e32 v3, v6, v3, vcc
	v_cndmask_b32_e32 v6, v13, v14, vcc
	v_mov_b32_e32 v12, 0x3b800000
	v_lshlrev_b32_e32 v3, 20, v3
	v_lshl_add_u32 v6, v6, 23, v12
	v_or3_b32 v6, v7, v6, v3
.LBB2_1344:
	s_or_b64 exec, exec, s[6:7]
	s_nop 0
	v_mfma_f32_16x16x4f32 a[0:3], v2, v6, a[0:3]
	s_movk_i32 s4, 0x7f
	v_cmp_gt_i16_sdwa s[6:7], v8, s4 src0_sel:BYTE_0 src1_sel:DWORD
	s_mov_b64 s[4:5], 0
                                        ; implicit-def: $sgpr10
	s_and_saveexec_b64 s[8:9], s[6:7]
	s_xor_b64 s[6:7], exec, s[8:9]
	s_cbranch_execz .LBB2_1345
; %bb.37185:
	s_getpc_b64 s[14:15]
.Lpost_getpc22176:
	s_add_u32 s14, s14, (.LBB2_15681-.Lpost_getpc22176)&4294967295
	s_addc_u32 s15, s15, (.LBB2_15681-.Lpost_getpc22176)>>32
	s_setpc_b64 s[14:15]
.LBB2_1345:
	s_or_saveexec_b64 s[6:7], s[6:7]
	v_mov_b32_e32 v2, s10
	s_xor_b64 exec, exec, s[6:7]
	s_cbranch_execz .LBB2_1346
; %bb.37187:
	s_getpc_b64 s[14:15]
.Lpost_getpc22177:
	s_add_u32 s14, s14, (.LBB2_15684-.Lpost_getpc22177)&4294967295
	s_addc_u32 s15, s15, (.LBB2_15684-.Lpost_getpc22177)>>32
	s_setpc_b64 s[14:15]
.LBB2_1346:
	s_or_b64 exec, exec, s[6:7]
	s_and_saveexec_b64 s[6:7], s[4:5]
	s_cbranch_execz .LBB2_1348
.LBB2_1347:
	v_and_b32_e32 v2, 7, v8
	v_ffbh_u32_e32 v6, v2
	v_min_u32_e32 v6, 32, v6
	v_lshrrev_b16_e32 v3, 3, v8
	v_subrev_u32_e32 v7, 28, v6
	v_and_b32_e32 v3, 15, v3
	v_lshlrev_b32_e32 v7, v7, v8
	v_sub_u32_e32 v6, 29, v6
	v_and_b32_e32 v7, 7, v7
	v_cmp_eq_u16_e32 vcc, 0, v3
	v_cndmask_b32_e32 v2, v2, v7, vcc
	v_cndmask_b32_e32 v3, v3, v6, vcc
	v_lshlrev_b32_e32 v6, 24, v8
	v_mov_b32_e32 v7, 0x3b800000
	v_lshlrev_b32_e32 v2, 20, v2
	v_and_b32_e32 v6, 0x80000000, v6
	v_lshl_add_u32 v3, v3, 23, v7
	v_or3_b32 v2, v6, v3, v2
.LBB2_1348:
	s_or_b64 exec, exec, s[6:7]
	s_movk_i32 s4, 0x7f
	v_cmp_gt_i16_sdwa s[6:7], v4, s4 src0_sel:BYTE_0 src1_sel:DWORD
	s_mov_b64 s[4:5], 0
                                        ; implicit-def: $sgpr10
	s_and_saveexec_b64 s[8:9], s[6:7]
	s_xor_b64 s[6:7], exec, s[8:9]
	s_cbranch_execz .LBB2_1349
; %bb.37189:
	s_getpc_b64 s[14:15]
.Lpost_getpc22178:
	s_add_u32 s14, s14, (.LBB2_15685-.Lpost_getpc22178)&4294967295
	s_addc_u32 s15, s15, (.LBB2_15685-.Lpost_getpc22178)>>32
	s_setpc_b64 s[14:15]
.LBB2_1349:
	s_or_saveexec_b64 s[6:7], s[6:7]
	v_mov_b32_e32 v3, s10
	s_xor_b64 exec, exec, s[6:7]
	s_cbranch_execz .LBB2_1350
; %bb.37191:
	s_getpc_b64 s[14:15]
.Lpost_getpc22179:
	s_add_u32 s14, s14, (.LBB2_15688-.Lpost_getpc22179)&4294967295
	s_addc_u32 s15, s15, (.LBB2_15688-.Lpost_getpc22179)>>32
	s_setpc_b64 s[14:15]
.LBB2_1350:
	s_or_b64 exec, exec, s[6:7]
	s_and_saveexec_b64 s[6:7], s[4:5]
	s_cbranch_execz .LBB2_1352
.LBB2_1351:
	v_and_b32_e32 v3, 7, v4
	v_ffbh_u32_e32 v7, v3
	v_min_u32_e32 v7, 32, v7
	v_lshrrev_b16_e32 v6, 3, v4
	v_subrev_u32_e32 v12, 28, v7
	v_and_b32_e32 v6, 15, v6
	v_lshlrev_b32_e32 v12, v12, v4
	v_sub_u32_e32 v7, 29, v7
	v_and_b32_e32 v12, 7, v12
	v_cmp_eq_u16_e32 vcc, 0, v6
	v_cndmask_b32_e32 v3, v3, v12, vcc
	v_cndmask_b32_e32 v6, v6, v7, vcc
	v_lshlrev_b32_e32 v7, 24, v4
	v_mov_b32_e32 v12, 0x3b800000
	v_lshlrev_b32_e32 v3, 20, v3
	v_and_b32_e32 v7, 0x80000000, v7
	v_lshl_add_u32 v6, v6, 23, v12
	v_or3_b32 v3, v7, v6, v3
.LBB2_1352:
	s_or_b64 exec, exec, s[6:7]
	s_nop 0
	v_mfma_f32_16x16x4f32 a[0:3], v2, v3, a[0:3]
	v_lshrrev_b32_e32 v3, 8, v8
	s_movk_i32 s4, 0x7f
	v_cmp_gt_i16_sdwa s[6:7], v3, s4 src0_sel:BYTE_0 src1_sel:DWORD
	s_mov_b64 s[4:5], 0
                                        ; implicit-def: $sgpr10
	s_and_saveexec_b64 s[8:9], s[6:7]
	s_xor_b64 s[6:7], exec, s[8:9]
	s_cbranch_execz .LBB2_1353
; %bb.37193:
	s_getpc_b64 s[14:15]
.Lpost_getpc22180:
	s_add_u32 s14, s14, (.LBB2_15689-.Lpost_getpc22180)&4294967295
	s_addc_u32 s15, s15, (.LBB2_15689-.Lpost_getpc22180)>>32
	s_setpc_b64 s[14:15]
.LBB2_1353:
	s_or_saveexec_b64 s[6:7], s[6:7]
	v_mov_b32_e32 v2, s10
	s_xor_b64 exec, exec, s[6:7]
	s_cbranch_execz .LBB2_1354
; %bb.37195:
	s_getpc_b64 s[14:15]
.Lpost_getpc22181:
	s_add_u32 s14, s14, (.LBB2_15692-.Lpost_getpc22181)&4294967295
	s_addc_u32 s15, s15, (.LBB2_15692-.Lpost_getpc22181)>>32
	s_setpc_b64 s[14:15]
.LBB2_1354:
	s_or_b64 exec, exec, s[6:7]
	s_and_saveexec_b64 s[6:7], s[4:5]
	s_cbranch_execz .LBB2_1356
.LBB2_1355:
	v_bfe_u32 v2, v8, 8, 3
	v_ffbh_u32_e32 v7, v2
	v_min_u32_e32 v7, 32, v7
	v_lshrrev_b16_e32 v6, 3, v3
	v_subrev_u32_e32 v12, 28, v7
	v_and_b32_e32 v6, 15, v6
	v_lshlrev_b32_e32 v3, v12, v3
	v_sub_u32_e32 v7, 29, v7
	v_and_b32_e32 v3, 7, v3
	v_cmp_eq_u16_e32 vcc, 0, v6
	v_cndmask_b32_e32 v2, v2, v3, vcc
	v_cndmask_b32_e32 v3, v6, v7, vcc
	v_lshlrev_b32_e32 v6, 16, v8
	v_mov_b32_e32 v7, 0x3b800000
	v_lshlrev_b32_e32 v2, 20, v2
	v_and_b32_e32 v6, 0x80000000, v6
	v_lshl_add_u32 v3, v3, 23, v7
	v_or3_b32 v2, v6, v3, v2
.LBB2_1356:
	s_or_b64 exec, exec, s[6:7]
	v_lshrrev_b32_e32 v3, 8, v4
	s_movk_i32 s4, 0x7f
	v_cmp_gt_i16_sdwa s[6:7], v3, s4 src0_sel:BYTE_0 src1_sel:DWORD
	s_mov_b64 s[4:5], 0
                                        ; implicit-def: $sgpr10
	s_and_saveexec_b64 s[8:9], s[6:7]
	s_xor_b64 s[6:7], exec, s[8:9]
	s_cbranch_execz .LBB2_1357
; %bb.37197:
	s_getpc_b64 s[14:15]
.Lpost_getpc22182:
	s_add_u32 s14, s14, (.LBB2_15693-.Lpost_getpc22182)&4294967295
	s_addc_u32 s15, s15, (.LBB2_15693-.Lpost_getpc22182)>>32
	s_setpc_b64 s[14:15]
.LBB2_1357:
	s_or_saveexec_b64 s[6:7], s[6:7]
	v_mov_b32_e32 v6, s10
	s_xor_b64 exec, exec, s[6:7]
	s_cbranch_execz .LBB2_1358
; %bb.37199:
	s_getpc_b64 s[14:15]
.Lpost_getpc22183:
	s_add_u32 s14, s14, (.LBB2_15696-.Lpost_getpc22183)&4294967295
	s_addc_u32 s15, s15, (.LBB2_15696-.Lpost_getpc22183)>>32
	s_setpc_b64 s[14:15]
.LBB2_1358:
	s_or_b64 exec, exec, s[6:7]
	s_and_saveexec_b64 s[6:7], s[4:5]
	s_cbranch_execz .LBB2_1360
.LBB2_1359:
	v_bfe_u32 v6, v4, 8, 3
	v_ffbh_u32_e32 v12, v6
	v_min_u32_e32 v12, 32, v12
	v_lshrrev_b16_e32 v7, 3, v3
	v_subrev_u32_e32 v13, 28, v12
	v_and_b32_e32 v7, 15, v7
	v_lshlrev_b32_e32 v3, v13, v3
	v_sub_u32_e32 v12, 29, v12
	v_and_b32_e32 v3, 7, v3
	v_cmp_eq_u16_e32 vcc, 0, v7
	v_cndmask_b32_e32 v3, v6, v3, vcc
	v_cndmask_b32_e32 v6, v7, v12, vcc
	v_lshlrev_b32_e32 v7, 16, v4
	v_mov_b32_e32 v12, 0x3b800000
	v_lshlrev_b32_e32 v3, 20, v3
	v_and_b32_e32 v7, 0x80000000, v7
	v_lshl_add_u32 v6, v6, 23, v12
	v_or3_b32 v6, v7, v6, v3
.LBB2_1360:
	s_or_b64 exec, exec, s[6:7]
	s_nop 0
	v_mfma_f32_16x16x4f32 a[0:3], v2, v6, a[0:3]
	s_movk_i32 s4, 0xff
	v_and_b32_sdwa v3, v8, s4 dst_sel:DWORD dst_unused:UNUSED_PAD src0_sel:WORD_1 src1_sel:DWORD
	s_movk_i32 s4, 0x7f
	v_cmp_lt_i16_e32 vcc, s4, v3
	s_mov_b64 s[4:5], 0
                                        ; implicit-def: $sgpr10
	s_and_saveexec_b64 s[6:7], vcc
	s_xor_b64 s[6:7], exec, s[6:7]
	s_cbranch_execz .LBB2_1361
; %bb.37201:
	s_getpc_b64 s[14:15]
.Lpost_getpc22184:
	s_add_u32 s14, s14, (.LBB2_15697-.Lpost_getpc22184)&4294967295
	s_addc_u32 s15, s15, (.LBB2_15697-.Lpost_getpc22184)>>32
	s_setpc_b64 s[14:15]
.LBB2_1361:
	s_or_saveexec_b64 s[6:7], s[6:7]
	v_mov_b32_e32 v2, s10
	s_xor_b64 exec, exec, s[6:7]
	s_cbranch_execz .LBB2_1362
; %bb.37203:
	s_getpc_b64 s[14:15]
.Lpost_getpc22185:
	s_add_u32 s14, s14, (.LBB2_15700-.Lpost_getpc22185)&4294967295
	s_addc_u32 s15, s15, (.LBB2_15700-.Lpost_getpc22185)>>32
	s_setpc_b64 s[14:15]
.LBB2_1362:
	s_or_b64 exec, exec, s[6:7]
	s_and_saveexec_b64 s[6:7], s[4:5]
	s_cbranch_execz .LBB2_1364
.LBB2_1363:
	v_bfe_u32 v2, v8, 16, 3
	v_ffbh_u32_e32 v7, v2
	v_min_u32_e32 v7, 32, v7
	v_lshrrev_b32_e32 v3, 19, v8
	v_subrev_u32_e32 v12, 28, v7
	v_and_b32_e32 v3, 15, v3
	v_lshlrev_b32_sdwa v12, v12, v8 dst_sel:DWORD dst_unused:UNUSED_PAD src0_sel:DWORD src1_sel:WORD_1
	v_bfe_u32 v6, v8, 19, 4
	v_sub_u32_e32 v7, 29, v7
	v_and_b32_e32 v12, 7, v12
	v_cmp_eq_u16_e32 vcc, 0, v3
	v_cndmask_b32_e32 v2, v2, v12, vcc
	v_cndmask_b32_e32 v3, v6, v7, vcc
	v_lshlrev_b32_e32 v6, 8, v8
	v_mov_b32_e32 v7, 0x3b800000
	v_lshlrev_b32_e32 v2, 20, v2
	v_and_b32_e32 v6, 0x80000000, v6
	v_lshl_add_u32 v3, v3, 23, v7
	v_or3_b32 v2, v6, v3, v2
.LBB2_1364:
	s_or_b64 exec, exec, s[6:7]
	s_movk_i32 s4, 0xff
	v_and_b32_sdwa v3, v4, s4 dst_sel:DWORD dst_unused:UNUSED_PAD src0_sel:WORD_1 src1_sel:DWORD
	s_movk_i32 s4, 0x7f
	v_cmp_lt_i16_e32 vcc, s4, v3
	s_mov_b64 s[4:5], 0
                                        ; implicit-def: $sgpr10
	s_and_saveexec_b64 s[6:7], vcc
	s_xor_b64 s[6:7], exec, s[6:7]
	s_cbranch_execz .LBB2_1365
; %bb.37205:
	s_getpc_b64 s[14:15]
.Lpost_getpc22186:
	s_add_u32 s14, s14, (.LBB2_15701-.Lpost_getpc22186)&4294967295
	s_addc_u32 s15, s15, (.LBB2_15701-.Lpost_getpc22186)>>32
	s_setpc_b64 s[14:15]
.LBB2_1365:
	s_or_saveexec_b64 s[6:7], s[6:7]
	v_mov_b32_e32 v6, s10
	s_xor_b64 exec, exec, s[6:7]
	s_cbranch_execz .LBB2_1366
; %bb.37207:
	s_getpc_b64 s[14:15]
.Lpost_getpc22187:
	s_add_u32 s14, s14, (.LBB2_15704-.Lpost_getpc22187)&4294967295
	s_addc_u32 s15, s15, (.LBB2_15704-.Lpost_getpc22187)>>32
	s_setpc_b64 s[14:15]
.LBB2_1366:
	s_or_b64 exec, exec, s[6:7]
	s_and_saveexec_b64 s[6:7], s[4:5]
	s_cbranch_execz .LBB2_1368
.LBB2_1367:
	v_bfe_u32 v3, v4, 16, 3
	v_ffbh_u32_e32 v12, v3
	v_min_u32_e32 v12, 32, v12
	v_lshrrev_b32_e32 v6, 19, v4
	v_subrev_u32_e32 v13, 28, v12
	v_and_b32_e32 v6, 15, v6
	v_lshlrev_b32_sdwa v13, v13, v4 dst_sel:DWORD dst_unused:UNUSED_PAD src0_sel:DWORD src1_sel:WORD_1
	v_bfe_u32 v7, v4, 19, 4
	v_sub_u32_e32 v12, 29, v12
	v_and_b32_e32 v13, 7, v13
	v_cmp_eq_u16_e32 vcc, 0, v6
	v_cndmask_b32_e32 v3, v3, v13, vcc
	v_cndmask_b32_e32 v6, v7, v12, vcc
	v_lshlrev_b32_e32 v7, 8, v4
	v_mov_b32_e32 v12, 0x3b800000
	v_lshlrev_b32_e32 v3, 20, v3
	v_and_b32_e32 v7, 0x80000000, v7
	v_lshl_add_u32 v6, v6, 23, v12
	v_or3_b32 v6, v7, v6, v3
.LBB2_1368:
	s_or_b64 exec, exec, s[6:7]
	s_nop 0
	v_mfma_f32_16x16x4f32 a[0:3], v2, v6, a[0:3]
	s_movk_i32 s4, 0x7f
	v_cmp_gt_i16_sdwa s[6:7], v8, s4 src0_sel:BYTE_3 src1_sel:DWORD
	s_mov_b64 s[4:5], 0
                                        ; implicit-def: $sgpr10
	s_and_saveexec_b64 s[8:9], s[6:7]
	s_xor_b64 s[6:7], exec, s[8:9]
	s_cbranch_execz .LBB2_1369
; %bb.37209:
	s_getpc_b64 s[14:15]
.Lpost_getpc22188:
	s_add_u32 s14, s14, (.LBB2_15705-.Lpost_getpc22188)&4294967295
	s_addc_u32 s15, s15, (.LBB2_15705-.Lpost_getpc22188)>>32
	s_setpc_b64 s[14:15]
.LBB2_1369:
	s_or_saveexec_b64 s[6:7], s[6:7]
	v_mov_b32_e32 v2, s10
	s_xor_b64 exec, exec, s[6:7]
	s_cbranch_execz .LBB2_1370
; %bb.37211:
	s_getpc_b64 s[14:15]
.Lpost_getpc22189:
	s_add_u32 s14, s14, (.LBB2_15708-.Lpost_getpc22189)&4294967295
	s_addc_u32 s15, s15, (.LBB2_15708-.Lpost_getpc22189)>>32
	s_setpc_b64 s[14:15]
.LBB2_1370:
	s_or_b64 exec, exec, s[6:7]
	s_and_saveexec_b64 s[6:7], s[4:5]
	s_cbranch_execz .LBB2_1372
.LBB2_1371:
	v_bfe_u32 v2, v8, 24, 3
	v_ffbh_u32_e32 v12, v2
	v_min_u32_e32 v12, 32, v12
	v_lshrrev_b32_e32 v6, 27, v8
	v_subrev_u32_e32 v13, 28, v12
	v_and_b32_e32 v3, 0x80000000, v8
	v_and_b32_e32 v6, 15, v6
	v_bfe_u32 v7, v8, 27, 4
	v_lshlrev_b32_sdwa v8, v13, v8 dst_sel:DWORD dst_unused:UNUSED_PAD src0_sel:DWORD src1_sel:BYTE_3
	v_sub_u32_e32 v12, 29, v12
	v_and_b32_e32 v8, 7, v8
	v_cmp_eq_u16_e32 vcc, 0, v6
	v_cndmask_b32_e32 v2, v2, v8, vcc
	v_cndmask_b32_e32 v6, v7, v12, vcc
	v_mov_b32_e32 v7, 0x3b800000
	v_lshlrev_b32_e32 v2, 20, v2
	v_lshl_add_u32 v6, v6, 23, v7
	v_or3_b32 v2, v3, v6, v2
.LBB2_1372:
	s_or_b64 exec, exec, s[6:7]
	s_movk_i32 s4, 0x7f
	v_cmp_gt_i16_sdwa s[6:7], v4, s4 src0_sel:BYTE_3 src1_sel:DWORD
	s_mov_b64 s[4:5], 0
                                        ; implicit-def: $sgpr10
	s_and_saveexec_b64 s[8:9], s[6:7]
	s_xor_b64 s[6:7], exec, s[8:9]
	s_cbranch_execz .LBB2_1373
; %bb.37213:
	s_getpc_b64 s[14:15]
.Lpost_getpc22190:
	s_add_u32 s14, s14, (.LBB2_15709-.Lpost_getpc22190)&4294967295
	s_addc_u32 s15, s15, (.LBB2_15709-.Lpost_getpc22190)>>32
	s_setpc_b64 s[14:15]
.LBB2_1373:
	s_or_saveexec_b64 s[6:7], s[6:7]
	v_mov_b32_e32 v3, s10
	s_xor_b64 exec, exec, s[6:7]
	s_cbranch_execz .LBB2_1374
; %bb.37215:
	s_getpc_b64 s[14:15]
.Lpost_getpc22191:
	s_add_u32 s14, s14, (.LBB2_15712-.Lpost_getpc22191)&4294967295
	s_addc_u32 s15, s15, (.LBB2_15712-.Lpost_getpc22191)>>32
	s_setpc_b64 s[14:15]
.LBB2_1374:
	s_or_b64 exec, exec, s[6:7]
	s_and_saveexec_b64 s[6:7], s[4:5]
	s_cbranch_execz .LBB2_1376
.LBB2_1375:
	v_bfe_u32 v3, v4, 24, 3
	v_ffbh_u32_e32 v12, v3
	v_min_u32_e32 v12, 32, v12
	v_lshrrev_b32_e32 v7, 27, v4
	v_subrev_u32_e32 v13, 28, v12
	v_and_b32_e32 v6, 0x80000000, v4
	v_and_b32_e32 v7, 15, v7
	v_bfe_u32 v8, v4, 27, 4
	v_lshlrev_b32_sdwa v4, v13, v4 dst_sel:DWORD dst_unused:UNUSED_PAD src0_sel:DWORD src1_sel:BYTE_3
	v_sub_u32_e32 v12, 29, v12
	v_and_b32_e32 v4, 7, v4
	v_cmp_eq_u16_e32 vcc, 0, v7
	v_cndmask_b32_e32 v3, v3, v4, vcc
	v_cndmask_b32_e32 v4, v8, v12, vcc
	v_mov_b32_e32 v7, 0x3b800000
	v_lshlrev_b32_e32 v3, 20, v3
	v_lshl_add_u32 v4, v4, 23, v7
	v_or3_b32 v3, v6, v4, v3
.LBB2_1376:
	s_or_b64 exec, exec, s[6:7]
	s_nop 0
	v_mfma_f32_16x16x4f32 a[0:3], v2, v3, a[0:3]
	s_movk_i32 s4, 0x7f
	v_cmp_gt_i16_sdwa s[6:7], v9, s4 src0_sel:BYTE_0 src1_sel:DWORD
	s_mov_b64 s[4:5], 0
                                        ; implicit-def: $sgpr10
	s_and_saveexec_b64 s[8:9], s[6:7]
	s_xor_b64 s[6:7], exec, s[8:9]
	s_cbranch_execz .LBB2_1377
; %bb.37217:
	s_getpc_b64 s[14:15]
.Lpost_getpc22192:
	s_add_u32 s14, s14, (.LBB2_15713-.Lpost_getpc22192)&4294967295
	s_addc_u32 s15, s15, (.LBB2_15713-.Lpost_getpc22192)>>32
	s_setpc_b64 s[14:15]
.LBB2_1377:
	s_or_saveexec_b64 s[6:7], s[6:7]
	v_mov_b32_e32 v2, s10
	s_xor_b64 exec, exec, s[6:7]
	s_cbranch_execz .LBB2_1378
; %bb.37219:
	s_getpc_b64 s[14:15]
.Lpost_getpc22193:
	s_add_u32 s14, s14, (.LBB2_15716-.Lpost_getpc22193)&4294967295
	s_addc_u32 s15, s15, (.LBB2_15716-.Lpost_getpc22193)>>32
	s_setpc_b64 s[14:15]
.LBB2_1378:
	s_or_b64 exec, exec, s[6:7]
	s_and_saveexec_b64 s[6:7], s[4:5]
	s_cbranch_execz .LBB2_1380
.LBB2_1379:
	v_mov_b32_e32 v2, 8
	v_and_b32_e32 v3, 7, v9
	v_lshrrev_b32_sdwa v2, v2, v9 dst_sel:BYTE_1 dst_unused:UNUSED_PAD src0_sel:DWORD src1_sel:DWORD
	v_ffbh_u32_e32 v4, v3
	v_or_b32_sdwa v2, v9, v2 dst_sel:DWORD dst_unused:UNUSED_PAD src0_sel:BYTE_0 src1_sel:DWORD
	v_min_u32_e32 v4, 32, v4
	v_lshrrev_b16_e32 v2, 3, v2
	v_subrev_u32_e32 v6, 28, v4
	v_and_b32_e32 v2, 15, v2
	v_lshlrev_b32_e32 v6, v6, v9
	v_sub_u32_e32 v4, 29, v4
	v_and_b32_e32 v6, 7, v6
	v_cmp_eq_u16_e32 vcc, 0, v2
	v_cndmask_b32_e32 v3, v3, v6, vcc
	v_cndmask_b32_e32 v2, v2, v4, vcc
	v_lshlrev_b32_e32 v4, 24, v9
	v_mov_b32_e32 v6, 0x3b800000
	v_lshlrev_b32_e32 v3, 20, v3
	v_and_b32_e32 v4, 0x80000000, v4
	v_lshl_add_u32 v2, v2, 23, v6
	v_or3_b32 v2, v4, v2, v3
.LBB2_1380:
	s_or_b64 exec, exec, s[6:7]
	s_movk_i32 s4, 0x7f
	v_cmp_gt_i16_sdwa s[6:7], v5, s4 src0_sel:BYTE_0 src1_sel:DWORD
	s_mov_b64 s[4:5], 0
                                        ; implicit-def: $sgpr10
	s_and_saveexec_b64 s[8:9], s[6:7]
	s_xor_b64 s[6:7], exec, s[8:9]
	s_cbranch_execz .LBB2_1381
; %bb.37221:
	s_getpc_b64 s[14:15]
.Lpost_getpc22194:
	s_add_u32 s14, s14, (.LBB2_15717-.Lpost_getpc22194)&4294967295
	s_addc_u32 s15, s15, (.LBB2_15717-.Lpost_getpc22194)>>32
	s_setpc_b64 s[14:15]
.LBB2_1381:
	s_or_saveexec_b64 s[6:7], s[6:7]
	v_mov_b32_e32 v3, s10
	s_xor_b64 exec, exec, s[6:7]
	s_cbranch_execz .LBB2_1382
; %bb.37223:
	s_getpc_b64 s[14:15]
.Lpost_getpc22195:
	s_add_u32 s14, s14, (.LBB2_15720-.Lpost_getpc22195)&4294967295
	s_addc_u32 s15, s15, (.LBB2_15720-.Lpost_getpc22195)>>32
	s_setpc_b64 s[14:15]
.LBB2_1382:
	s_or_b64 exec, exec, s[6:7]
	s_and_saveexec_b64 s[6:7], s[4:5]
	s_cbranch_execz .LBB2_1384
.LBB2_1383:
	v_mov_b32_e32 v3, 8
	v_and_b32_e32 v4, 7, v5
	v_lshrrev_b32_sdwa v3, v3, v5 dst_sel:BYTE_1 dst_unused:UNUSED_PAD src0_sel:DWORD src1_sel:DWORD
	v_ffbh_u32_e32 v6, v4
	v_or_b32_sdwa v3, v5, v3 dst_sel:DWORD dst_unused:UNUSED_PAD src0_sel:BYTE_0 src1_sel:DWORD
	v_min_u32_e32 v6, 32, v6
	v_lshrrev_b16_e32 v3, 3, v3
	v_subrev_u32_e32 v7, 28, v6
	v_and_b32_e32 v3, 15, v3
	v_lshlrev_b32_e32 v7, v7, v5
	v_sub_u32_e32 v6, 29, v6
	v_and_b32_e32 v7, 7, v7
	v_cmp_eq_u16_e32 vcc, 0, v3
	v_cndmask_b32_e32 v4, v4, v7, vcc
	v_cndmask_b32_e32 v3, v3, v6, vcc
	v_lshlrev_b32_e32 v6, 24, v5
	v_mov_b32_e32 v7, 0x3b800000
	v_lshlrev_b32_e32 v4, 20, v4
	v_and_b32_e32 v6, 0x80000000, v6
	v_lshl_add_u32 v3, v3, 23, v7
	v_or3_b32 v3, v6, v3, v4
.LBB2_1384:
	s_or_b64 exec, exec, s[6:7]
	s_nop 0
	v_mfma_f32_16x16x4f32 a[0:3], v2, v3, a[0:3]
	v_lshrrev_b32_e32 v3, 8, v9
	s_movk_i32 s4, 0x7f
	v_cmp_gt_i16_sdwa s[6:7], v3, s4 src0_sel:BYTE_0 src1_sel:DWORD
	s_mov_b64 s[4:5], 0
                                        ; implicit-def: $sgpr10
	s_and_saveexec_b64 s[8:9], s[6:7]
	s_xor_b64 s[6:7], exec, s[8:9]
	s_cbranch_execz .LBB2_1385
; %bb.37225:
	s_getpc_b64 s[14:15]
.Lpost_getpc22196:
	s_add_u32 s14, s14, (.LBB2_15721-.Lpost_getpc22196)&4294967295
	s_addc_u32 s15, s15, (.LBB2_15721-.Lpost_getpc22196)>>32
	s_setpc_b64 s[14:15]
.LBB2_1385:
	s_or_saveexec_b64 s[6:7], s[6:7]
	v_mov_b32_e32 v2, s10
	s_xor_b64 exec, exec, s[6:7]
	s_cbranch_execz .LBB2_1386
; %bb.37227:
	s_getpc_b64 s[14:15]
.Lpost_getpc22197:
	s_add_u32 s14, s14, (.LBB2_15724-.Lpost_getpc22197)&4294967295
	s_addc_u32 s15, s15, (.LBB2_15724-.Lpost_getpc22197)>>32
	s_setpc_b64 s[14:15]
.LBB2_1386:
	s_or_b64 exec, exec, s[6:7]
	s_and_saveexec_b64 s[6:7], s[4:5]
	s_cbranch_execz .LBB2_1388
.LBB2_1387:
	v_bfe_u32 v2, v9, 8, 3
	v_ffbh_u32_e32 v6, v2
	v_min_u32_e32 v6, 32, v6
	v_lshrrev_b16_e32 v4, 3, v3
	v_subrev_u32_e32 v7, 28, v6
	v_and_b32_e32 v4, 15, v4
	v_lshlrev_b32_e32 v3, v7, v3
	v_sub_u32_e32 v6, 29, v6
	v_and_b32_e32 v3, 7, v3
	v_cmp_eq_u16_e32 vcc, 0, v4
	v_cndmask_b32_e32 v2, v2, v3, vcc
	v_cndmask_b32_e32 v3, v4, v6, vcc
	v_lshlrev_b32_e32 v4, 16, v9
	v_mov_b32_e32 v6, 0x3b800000
	v_lshlrev_b32_e32 v2, 20, v2
	v_and_b32_e32 v4, 0x80000000, v4
	v_lshl_add_u32 v3, v3, 23, v6
	v_or3_b32 v2, v4, v3, v2
.LBB2_1388:
	s_or_b64 exec, exec, s[6:7]
	v_lshrrev_b32_e32 v3, 8, v5
	s_movk_i32 s4, 0x7f
	v_cmp_gt_i16_sdwa s[6:7], v3, s4 src0_sel:BYTE_0 src1_sel:DWORD
	s_mov_b64 s[4:5], 0
                                        ; implicit-def: $sgpr10
	s_and_saveexec_b64 s[8:9], s[6:7]
	s_xor_b64 s[6:7], exec, s[8:9]
	s_cbranch_execz .LBB2_1389
; %bb.37229:
	s_getpc_b64 s[14:15]
.Lpost_getpc22198:
	s_add_u32 s14, s14, (.LBB2_15725-.Lpost_getpc22198)&4294967295
	s_addc_u32 s15, s15, (.LBB2_15725-.Lpost_getpc22198)>>32
	s_setpc_b64 s[14:15]
.LBB2_1389:
	s_or_saveexec_b64 s[6:7], s[6:7]
	v_mov_b32_e32 v4, s10
	s_xor_b64 exec, exec, s[6:7]
	s_cbranch_execz .LBB2_1390
; %bb.37231:
	s_getpc_b64 s[14:15]
.Lpost_getpc22199:
	s_add_u32 s14, s14, (.LBB2_15728-.Lpost_getpc22199)&4294967295
	s_addc_u32 s15, s15, (.LBB2_15728-.Lpost_getpc22199)>>32
	s_setpc_b64 s[14:15]
.LBB2_1390:
	s_or_b64 exec, exec, s[6:7]
	s_and_saveexec_b64 s[6:7], s[4:5]
	s_cbranch_execz .LBB2_1392
.LBB2_1391:
	v_bfe_u32 v4, v5, 8, 3
	v_ffbh_u32_e32 v7, v4
	v_min_u32_e32 v7, 32, v7
	v_lshrrev_b16_e32 v6, 3, v3
	v_subrev_u32_e32 v8, 28, v7
	v_and_b32_e32 v6, 15, v6
	v_lshlrev_b32_e32 v3, v8, v3
	v_sub_u32_e32 v7, 29, v7
	v_and_b32_e32 v3, 7, v3
	v_cmp_eq_u16_e32 vcc, 0, v6
	v_cndmask_b32_e32 v3, v4, v3, vcc
	v_cndmask_b32_e32 v4, v6, v7, vcc
	v_lshlrev_b32_e32 v6, 16, v5
	v_mov_b32_e32 v7, 0x3b800000
	v_lshlrev_b32_e32 v3, 20, v3
	v_and_b32_e32 v6, 0x80000000, v6
	v_lshl_add_u32 v4, v4, 23, v7
	v_or3_b32 v4, v6, v4, v3
.LBB2_1392:
	s_or_b64 exec, exec, s[6:7]
	s_nop 0
	v_mfma_f32_16x16x4f32 a[0:3], v2, v4, a[0:3]
	s_movk_i32 s4, 0xff
	v_and_b32_sdwa v3, v9, s4 dst_sel:DWORD dst_unused:UNUSED_PAD src0_sel:WORD_1 src1_sel:DWORD
	s_movk_i32 s4, 0x7f
	v_cmp_lt_i16_e32 vcc, s4, v3
	s_mov_b64 s[4:5], 0
                                        ; implicit-def: $sgpr10
	s_and_saveexec_b64 s[6:7], vcc
	s_xor_b64 s[6:7], exec, s[6:7]
	s_cbranch_execz .LBB2_1393
; %bb.37233:
	s_getpc_b64 s[14:15]
.Lpost_getpc22200:
	s_add_u32 s14, s14, (.LBB2_15729-.Lpost_getpc22200)&4294967295
	s_addc_u32 s15, s15, (.LBB2_15729-.Lpost_getpc22200)>>32
	s_setpc_b64 s[14:15]
.LBB2_1393:
	s_or_saveexec_b64 s[6:7], s[6:7]
	v_mov_b32_e32 v2, s10
	s_xor_b64 exec, exec, s[6:7]
	s_cbranch_execz .LBB2_1394
; %bb.37235:
	s_getpc_b64 s[14:15]
.Lpost_getpc22201:
	s_add_u32 s14, s14, (.LBB2_15732-.Lpost_getpc22201)&4294967295
	s_addc_u32 s15, s15, (.LBB2_15732-.Lpost_getpc22201)>>32
	s_setpc_b64 s[14:15]
.LBB2_1394:
	s_or_b64 exec, exec, s[6:7]
	s_and_saveexec_b64 s[6:7], s[4:5]
	s_cbranch_execz .LBB2_1396
.LBB2_1395:
	v_bfe_u32 v2, v9, 16, 3
	v_ffbh_u32_e32 v6, v2
	v_min_u32_e32 v6, 32, v6
	v_lshrrev_b32_e32 v3, 19, v9
	v_subrev_u32_e32 v7, 28, v6
	v_and_b32_e32 v3, 15, v3
	v_lshlrev_b32_sdwa v7, v7, v9 dst_sel:DWORD dst_unused:UNUSED_PAD src0_sel:DWORD src1_sel:WORD_1
	v_bfe_u32 v4, v9, 19, 4
	v_sub_u32_e32 v6, 29, v6
	v_and_b32_e32 v7, 7, v7
	v_cmp_eq_u16_e32 vcc, 0, v3
	v_cndmask_b32_e32 v2, v2, v7, vcc
	v_cndmask_b32_e32 v3, v4, v6, vcc
	v_lshlrev_b32_e32 v4, 8, v9
	v_mov_b32_e32 v6, 0x3b800000
	v_lshlrev_b32_e32 v2, 20, v2
	v_and_b32_e32 v4, 0x80000000, v4
	v_lshl_add_u32 v3, v3, 23, v6
	v_or3_b32 v2, v4, v3, v2
.LBB2_1396:
	s_or_b64 exec, exec, s[6:7]
	s_movk_i32 s4, 0xff
	v_and_b32_sdwa v3, v5, s4 dst_sel:DWORD dst_unused:UNUSED_PAD src0_sel:WORD_1 src1_sel:DWORD
	s_movk_i32 s4, 0x7f
	v_cmp_lt_i16_e32 vcc, s4, v3
	s_mov_b64 s[4:5], 0
                                        ; implicit-def: $sgpr10
	s_and_saveexec_b64 s[6:7], vcc
	s_xor_b64 s[6:7], exec, s[6:7]
	s_cbranch_execz .LBB2_1397
; %bb.37237:
	s_getpc_b64 s[14:15]
.Lpost_getpc22202:
	s_add_u32 s14, s14, (.LBB2_15733-.Lpost_getpc22202)&4294967295
	s_addc_u32 s15, s15, (.LBB2_15733-.Lpost_getpc22202)>>32
	s_setpc_b64 s[14:15]
.LBB2_1397:
	s_or_saveexec_b64 s[6:7], s[6:7]
	v_mov_b32_e32 v4, s10
	s_xor_b64 exec, exec, s[6:7]
	s_cbranch_execz .LBB2_1398
; %bb.37239:
	s_getpc_b64 s[14:15]
.Lpost_getpc22203:
	s_add_u32 s14, s14, (.LBB2_15736-.Lpost_getpc22203)&4294967295
	s_addc_u32 s15, s15, (.LBB2_15736-.Lpost_getpc22203)>>32
	s_setpc_b64 s[14:15]
.LBB2_1398:
	s_or_b64 exec, exec, s[6:7]
	s_and_saveexec_b64 s[6:7], s[4:5]
	s_cbranch_execz .LBB2_1400
.LBB2_1399:
	v_bfe_u32 v3, v5, 16, 3
	v_ffbh_u32_e32 v7, v3
	v_min_u32_e32 v7, 32, v7
	v_lshrrev_b32_e32 v4, 19, v5
	v_subrev_u32_e32 v8, 28, v7
	v_and_b32_e32 v4, 15, v4
	v_lshlrev_b32_sdwa v8, v8, v5 dst_sel:DWORD dst_unused:UNUSED_PAD src0_sel:DWORD src1_sel:WORD_1
	v_bfe_u32 v6, v5, 19, 4
	v_sub_u32_e32 v7, 29, v7
	v_and_b32_e32 v8, 7, v8
	v_cmp_eq_u16_e32 vcc, 0, v4
	v_cndmask_b32_e32 v3, v3, v8, vcc
	v_cndmask_b32_e32 v4, v6, v7, vcc
	v_lshlrev_b32_e32 v6, 8, v5
	v_mov_b32_e32 v7, 0x3b800000
	v_lshlrev_b32_e32 v3, 20, v3
	v_and_b32_e32 v6, 0x80000000, v6
	v_lshl_add_u32 v4, v4, 23, v7
	v_or3_b32 v4, v6, v4, v3
.LBB2_1400:
	s_or_b64 exec, exec, s[6:7]
	s_nop 0
	v_mfma_f32_16x16x4f32 a[0:3], v2, v4, a[0:3]
	s_movk_i32 s4, 0x7f
	v_cmp_gt_i16_sdwa s[6:7], v9, s4 src0_sel:BYTE_3 src1_sel:DWORD
	s_mov_b64 s[4:5], 0
                                        ; implicit-def: $sgpr10
	s_and_saveexec_b64 s[8:9], s[6:7]
	s_xor_b64 s[6:7], exec, s[8:9]
	s_cbranch_execz .LBB2_1401
; %bb.37241:
	s_getpc_b64 s[14:15]
.Lpost_getpc22204:
	s_add_u32 s14, s14, (.LBB2_15737-.Lpost_getpc22204)&4294967295
	s_addc_u32 s15, s15, (.LBB2_15737-.Lpost_getpc22204)>>32
	s_setpc_b64 s[14:15]
.LBB2_1401:
	s_or_saveexec_b64 s[6:7], s[6:7]
	v_mov_b32_e32 v2, s10
	s_xor_b64 exec, exec, s[6:7]
	s_cbranch_execz .LBB2_1402
; %bb.37243:
	s_getpc_b64 s[14:15]
.Lpost_getpc22205:
	s_add_u32 s14, s14, (.LBB2_15740-.Lpost_getpc22205)&4294967295
	s_addc_u32 s15, s15, (.LBB2_15740-.Lpost_getpc22205)>>32
	s_setpc_b64 s[14:15]
.LBB2_1402:
	s_or_b64 exec, exec, s[6:7]
	s_and_saveexec_b64 s[6:7], s[4:5]
	s_cbranch_execz .LBB2_1404
.LBB2_1403:
	v_bfe_u32 v2, v9, 24, 3
	v_ffbh_u32_e32 v7, v2
	v_min_u32_e32 v7, 32, v7
	v_lshrrev_b32_e32 v4, 27, v9
	v_subrev_u32_e32 v8, 28, v7
	v_and_b32_e32 v4, 15, v4
	v_lshlrev_b32_sdwa v8, v8, v9 dst_sel:DWORD dst_unused:UNUSED_PAD src0_sel:DWORD src1_sel:BYTE_3
	v_bfe_u32 v6, v9, 27, 4
	v_sub_u32_e32 v7, 29, v7
	v_and_b32_e32 v8, 7, v8
	v_cmp_eq_u16_e32 vcc, 0, v4
	v_cndmask_b32_e32 v2, v2, v8, vcc
	v_cndmask_b32_e32 v4, v6, v7, vcc
	v_mov_b32_e32 v6, 0x3b800000
	v_and_b32_e32 v3, 0x80000000, v9
	v_lshlrev_b32_e32 v2, 20, v2
	v_lshl_add_u32 v4, v4, 23, v6
	v_or3_b32 v2, v3, v4, v2
.LBB2_1404:
	s_or_b64 exec, exec, s[6:7]
	s_movk_i32 s4, 0x7f
	v_cmp_gt_i16_sdwa s[6:7], v5, s4 src0_sel:BYTE_3 src1_sel:DWORD
	s_mov_b64 s[4:5], 0
                                        ; implicit-def: $sgpr10
	s_and_saveexec_b64 s[8:9], s[6:7]
	s_xor_b64 s[6:7], exec, s[8:9]
	s_cbranch_execz .LBB2_1405
; %bb.37245:
	s_getpc_b64 s[14:15]
.Lpost_getpc22206:
	s_add_u32 s14, s14, (.LBB2_15741-.Lpost_getpc22206)&4294967295
	s_addc_u32 s15, s15, (.LBB2_15741-.Lpost_getpc22206)>>32
	s_setpc_b64 s[14:15]
.LBB2_1405:
	s_or_saveexec_b64 s[6:7], s[6:7]
	v_mov_b32_e32 v3, s10
	s_xor_b64 exec, exec, s[6:7]
	s_cbranch_execz .LBB2_1406
; %bb.37247:
	s_getpc_b64 s[14:15]
.Lpost_getpc22207:
	s_add_u32 s14, s14, (.LBB2_15744-.Lpost_getpc22207)&4294967295
	s_addc_u32 s15, s15, (.LBB2_15744-.Lpost_getpc22207)>>32
	s_setpc_b64 s[14:15]
.LBB2_1406:
	s_or_b64 exec, exec, s[6:7]
	s_and_saveexec_b64 s[6:7], s[4:5]
	s_cbranch_execz .LBB2_1408
.LBB2_1407:
	v_bfe_u32 v3, v5, 24, 3
	v_ffbh_u32_e32 v8, v3
	v_min_u32_e32 v8, 32, v8
	v_lshrrev_b32_e32 v6, 27, v5
	v_subrev_u32_e32 v9, 28, v8
	v_and_b32_e32 v4, 0x80000000, v5
	v_and_b32_e32 v6, 15, v6
	v_bfe_u32 v7, v5, 27, 4
	v_lshlrev_b32_sdwa v5, v9, v5 dst_sel:DWORD dst_unused:UNUSED_PAD src0_sel:DWORD src1_sel:BYTE_3
	v_sub_u32_e32 v8, 29, v8
	v_and_b32_e32 v5, 7, v5
	v_cmp_eq_u16_e32 vcc, 0, v6
	v_cndmask_b32_e32 v3, v3, v5, vcc
	v_cndmask_b32_e32 v5, v7, v8, vcc
	v_mov_b32_e32 v6, 0x3b800000
	v_lshlrev_b32_e32 v3, 20, v3
	v_lshl_add_u32 v5, v5, 23, v6
	v_or3_b32 v3, v4, v5, v3
.LBB2_1408:
	s_or_b64 exec, exec, s[6:7]
	s_nop 0
	v_mfma_f32_16x16x4f32 a[0:3], v2, v3, a[0:3]
	s_movk_i32 s4, 0x7f
                                        ; implicit-def: $sgpr10
	s_nop 7
	s_nop 1
	flat_store_dwordx4 v[10:11], a[0:3] offset:160
	flat_load_dwordx4 v[12:15], v[0:1]
	s_nop 0
	flat_load_dwordx2 v[10:11], v[0:1] offset:16
	s_waitcnt vmcnt(0) lgkmcnt(0)
	flat_load_dwordx4 v[6:9], v[12:13] offset:16
	flat_load_dwordx4 v[2:5], v[14:15] offset:48
	s_waitcnt vmcnt(0) lgkmcnt(0)
	v_cmp_gt_i16_sdwa s[6:7], v6, s4 src0_sel:BYTE_0 src1_sel:DWORD
	s_mov_b64 s[4:5], 0
	s_and_saveexec_b64 s[8:9], s[6:7]
	s_xor_b64 s[6:7], exec, s[8:9]
	s_cbranch_execz .LBB2_1409
; %bb.37249:
	s_getpc_b64 s[14:15]
.Lpost_getpc22208:
	s_add_u32 s14, s14, (.LBB2_15745-.Lpost_getpc22208)&4294967295
	s_addc_u32 s15, s15, (.LBB2_15745-.Lpost_getpc22208)>>32
	s_setpc_b64 s[14:15]
.LBB2_1409:
	s_or_saveexec_b64 s[6:7], s[6:7]
	v_mov_b32_e32 v12, s10
	s_xor_b64 exec, exec, s[6:7]
	s_cbranch_execz .LBB2_1410
; %bb.37251:
	s_getpc_b64 s[14:15]
.Lpost_getpc22209:
	s_add_u32 s14, s14, (.LBB2_15748-.Lpost_getpc22209)&4294967295
	s_addc_u32 s15, s15, (.LBB2_15748-.Lpost_getpc22209)>>32
	s_setpc_b64 s[14:15]
.LBB2_1410:
	s_or_b64 exec, exec, s[6:7]
	s_and_saveexec_b64 s[6:7], s[4:5]
	s_cbranch_execz .LBB2_1412
.LBB2_1411:
	v_and_b32_e32 v12, 7, v6
	v_ffbh_u32_e32 v14, v12
	v_min_u32_e32 v14, 32, v14
	v_lshrrev_b16_e32 v13, 3, v6
	v_subrev_u32_e32 v15, 28, v14
	v_and_b32_e32 v13, 15, v13
	v_lshlrev_b32_e32 v15, v15, v6
	v_sub_u32_e32 v14, 29, v14
	v_and_b32_e32 v15, 7, v15
	v_cmp_eq_u16_e32 vcc, 0, v13
	v_cndmask_b32_e32 v12, v12, v15, vcc
	v_cndmask_b32_e32 v13, v13, v14, vcc
	v_lshlrev_b32_e32 v14, 24, v6
	v_mov_b32_e32 v15, 0x3b800000
	v_lshlrev_b32_e32 v12, 20, v12
	v_and_b32_e32 v14, 0x80000000, v14
	v_lshl_add_u32 v13, v13, 23, v15
	v_or3_b32 v12, v14, v13, v12
.LBB2_1412:
	s_or_b64 exec, exec, s[6:7]
	s_movk_i32 s4, 0x7f
	v_cmp_gt_i16_sdwa s[6:7], v2, s4 src0_sel:BYTE_0 src1_sel:DWORD
	s_mov_b64 s[4:5], 0
                                        ; implicit-def: $sgpr10
	s_and_saveexec_b64 s[8:9], s[6:7]
	s_xor_b64 s[6:7], exec, s[8:9]
	s_cbranch_execz .LBB2_1413
; %bb.37253:
	s_getpc_b64 s[14:15]
.Lpost_getpc22210:
	s_add_u32 s14, s14, (.LBB2_15749-.Lpost_getpc22210)&4294967295
	s_addc_u32 s15, s15, (.LBB2_15749-.Lpost_getpc22210)>>32
	s_setpc_b64 s[14:15]
.LBB2_1413:
	s_or_saveexec_b64 s[6:7], s[6:7]
	v_mov_b32_e32 v13, s10
	s_xor_b64 exec, exec, s[6:7]
	s_cbranch_execz .LBB2_1414
; %bb.37255:
	s_getpc_b64 s[14:15]
.Lpost_getpc22211:
	s_add_u32 s14, s14, (.LBB2_15752-.Lpost_getpc22211)&4294967295
	s_addc_u32 s15, s15, (.LBB2_15752-.Lpost_getpc22211)>>32
	s_setpc_b64 s[14:15]
.LBB2_1414:
	s_or_b64 exec, exec, s[6:7]
	s_and_saveexec_b64 s[6:7], s[4:5]
	s_cbranch_execz .LBB2_1416
.LBB2_1415:
	v_and_b32_e32 v13, 7, v2
	v_ffbh_u32_e32 v15, v13
	v_min_u32_e32 v15, 32, v15
	v_lshrrev_b16_e32 v14, 3, v2
	v_subrev_u32_e32 v16, 28, v15
	v_and_b32_e32 v14, 15, v14
	v_lshlrev_b32_e32 v16, v16, v2
	v_sub_u32_e32 v15, 29, v15
	v_and_b32_e32 v16, 7, v16
	v_cmp_eq_u16_e32 vcc, 0, v14
	v_cndmask_b32_e32 v13, v13, v16, vcc
	v_cndmask_b32_e32 v14, v14, v15, vcc
	v_lshlrev_b32_e32 v15, 24, v2
	v_mov_b32_e32 v16, 0x3b800000
	v_lshlrev_b32_e32 v13, 20, v13
	v_and_b32_e32 v15, 0x80000000, v15
	v_lshl_add_u32 v14, v14, 23, v16
	v_or3_b32 v13, v15, v14, v13
.LBB2_1416:
	s_or_b64 exec, exec, s[6:7]
	flat_load_dwordx4 a[0:3], v[10:11] offset:176
	s_movk_i32 s4, 0x7f
                                        ; implicit-def: $sgpr10
	s_waitcnt vmcnt(0) lgkmcnt(0)
	v_mfma_f32_16x16x4f32 a[0:3], v12, v13, a[0:3]
	v_lshrrev_b32_e32 v13, 8, v6
	v_cmp_gt_i16_sdwa s[6:7], v13, s4 src0_sel:BYTE_0 src1_sel:DWORD
	s_mov_b64 s[4:5], 0
	s_and_saveexec_b64 s[8:9], s[6:7]
	s_xor_b64 s[6:7], exec, s[8:9]
	s_cbranch_execz .LBB2_1417
; %bb.37257:
	s_getpc_b64 s[14:15]
.Lpost_getpc22212:
	s_add_u32 s14, s14, (.LBB2_15753-.Lpost_getpc22212)&4294967295
	s_addc_u32 s15, s15, (.LBB2_15753-.Lpost_getpc22212)>>32
	s_setpc_b64 s[14:15]
.LBB2_1417:
	s_or_saveexec_b64 s[6:7], s[6:7]
	v_mov_b32_e32 v12, s10
	s_xor_b64 exec, exec, s[6:7]
	s_cbranch_execz .LBB2_1418
; %bb.37259:
	s_getpc_b64 s[14:15]
.Lpost_getpc22213:
	s_add_u32 s14, s14, (.LBB2_15756-.Lpost_getpc22213)&4294967295
	s_addc_u32 s15, s15, (.LBB2_15756-.Lpost_getpc22213)>>32
	s_setpc_b64 s[14:15]
.LBB2_1418:
	s_or_b64 exec, exec, s[6:7]
	s_and_saveexec_b64 s[6:7], s[4:5]
	s_cbranch_execz .LBB2_1420
.LBB2_1419:
	v_bfe_u32 v12, v6, 8, 3
	v_ffbh_u32_e32 v15, v12
	v_min_u32_e32 v15, 32, v15
	v_lshrrev_b16_e32 v14, 3, v13
	v_subrev_u32_e32 v16, 28, v15
	v_and_b32_e32 v14, 15, v14
	v_lshlrev_b32_e32 v13, v16, v13
	v_sub_u32_e32 v15, 29, v15
	v_and_b32_e32 v13, 7, v13
	v_cmp_eq_u16_e32 vcc, 0, v14
	v_cndmask_b32_e32 v12, v12, v13, vcc
	v_cndmask_b32_e32 v13, v14, v15, vcc
	v_lshlrev_b32_e32 v14, 16, v6
	v_mov_b32_e32 v15, 0x3b800000
	v_lshlrev_b32_e32 v12, 20, v12
	v_and_b32_e32 v14, 0x80000000, v14
	v_lshl_add_u32 v13, v13, 23, v15
	v_or3_b32 v12, v14, v13, v12
.LBB2_1420:
	s_or_b64 exec, exec, s[6:7]
	v_lshrrev_b32_e32 v13, 8, v2
	s_movk_i32 s4, 0x7f
	v_cmp_gt_i16_sdwa s[6:7], v13, s4 src0_sel:BYTE_0 src1_sel:DWORD
	s_mov_b64 s[4:5], 0
                                        ; implicit-def: $sgpr10
	s_and_saveexec_b64 s[8:9], s[6:7]
	s_xor_b64 s[6:7], exec, s[8:9]
	s_cbranch_execz .LBB2_1421
; %bb.37261:
	s_getpc_b64 s[14:15]
.Lpost_getpc22214:
	s_add_u32 s14, s14, (.LBB2_15757-.Lpost_getpc22214)&4294967295
	s_addc_u32 s15, s15, (.LBB2_15757-.Lpost_getpc22214)>>32
	s_setpc_b64 s[14:15]
.LBB2_1421:
	s_or_saveexec_b64 s[6:7], s[6:7]
	v_mov_b32_e32 v14, s10
	s_xor_b64 exec, exec, s[6:7]
	s_cbranch_execz .LBB2_1422
; %bb.37263:
	s_getpc_b64 s[14:15]
.Lpost_getpc22215:
	s_add_u32 s14, s14, (.LBB2_15760-.Lpost_getpc22215)&4294967295
	s_addc_u32 s15, s15, (.LBB2_15760-.Lpost_getpc22215)>>32
	s_setpc_b64 s[14:15]
.LBB2_1422:
	s_or_b64 exec, exec, s[6:7]
	s_and_saveexec_b64 s[6:7], s[4:5]
	s_cbranch_execz .LBB2_1424
.LBB2_1423:
	v_bfe_u32 v14, v2, 8, 3
	v_ffbh_u32_e32 v16, v14
	v_min_u32_e32 v16, 32, v16
	v_lshrrev_b16_e32 v15, 3, v13
	v_subrev_u32_e32 v17, 28, v16
	v_and_b32_e32 v15, 15, v15
	v_lshlrev_b32_e32 v13, v17, v13
	v_sub_u32_e32 v16, 29, v16
	v_and_b32_e32 v13, 7, v13
	v_cmp_eq_u16_e32 vcc, 0, v15
	v_cndmask_b32_e32 v13, v14, v13, vcc
	v_cndmask_b32_e32 v14, v15, v16, vcc
	v_lshlrev_b32_e32 v15, 16, v2
	v_mov_b32_e32 v16, 0x3b800000
	v_lshlrev_b32_e32 v13, 20, v13
	v_and_b32_e32 v15, 0x80000000, v15
	v_lshl_add_u32 v14, v14, 23, v16
	v_or3_b32 v14, v15, v14, v13
.LBB2_1424:
	s_or_b64 exec, exec, s[6:7]
	s_nop 0
	v_mfma_f32_16x16x4f32 a[0:3], v12, v14, a[0:3]
	s_movk_i32 s4, 0xff
	v_and_b32_sdwa v13, v6, s4 dst_sel:DWORD dst_unused:UNUSED_PAD src0_sel:WORD_1 src1_sel:DWORD
	s_movk_i32 s4, 0x7f
	v_cmp_lt_i16_e32 vcc, s4, v13
	s_mov_b64 s[4:5], 0
                                        ; implicit-def: $sgpr10
	s_and_saveexec_b64 s[6:7], vcc
	s_xor_b64 s[6:7], exec, s[6:7]
	s_cbranch_execz .LBB2_1425
; %bb.37265:
	s_getpc_b64 s[14:15]
.Lpost_getpc22216:
	s_add_u32 s14, s14, (.LBB2_15761-.Lpost_getpc22216)&4294967295
	s_addc_u32 s15, s15, (.LBB2_15761-.Lpost_getpc22216)>>32
	s_setpc_b64 s[14:15]
.LBB2_1425:
	s_or_saveexec_b64 s[6:7], s[6:7]
	v_mov_b32_e32 v12, s10
	s_xor_b64 exec, exec, s[6:7]
	s_cbranch_execz .LBB2_1426
; %bb.37267:
	s_getpc_b64 s[14:15]
.Lpost_getpc22217:
	s_add_u32 s14, s14, (.LBB2_15764-.Lpost_getpc22217)&4294967295
	s_addc_u32 s15, s15, (.LBB2_15764-.Lpost_getpc22217)>>32
	s_setpc_b64 s[14:15]
.LBB2_1426:
	s_or_b64 exec, exec, s[6:7]
	s_and_saveexec_b64 s[6:7], s[4:5]
	s_cbranch_execz .LBB2_1428
.LBB2_1427:
	v_bfe_u32 v12, v6, 16, 3
	v_ffbh_u32_e32 v15, v12
	v_min_u32_e32 v15, 32, v15
	v_lshrrev_b32_e32 v13, 19, v6
	v_subrev_u32_e32 v16, 28, v15
	v_and_b32_e32 v13, 15, v13
	v_lshlrev_b32_sdwa v16, v16, v6 dst_sel:DWORD dst_unused:UNUSED_PAD src0_sel:DWORD src1_sel:WORD_1
	v_bfe_u32 v14, v6, 19, 4
	v_sub_u32_e32 v15, 29, v15
	v_and_b32_e32 v16, 7, v16
	v_cmp_eq_u16_e32 vcc, 0, v13
	v_cndmask_b32_e32 v12, v12, v16, vcc
	v_cndmask_b32_e32 v13, v14, v15, vcc
	v_lshlrev_b32_e32 v14, 8, v6
	v_mov_b32_e32 v15, 0x3b800000
	v_lshlrev_b32_e32 v12, 20, v12
	v_and_b32_e32 v14, 0x80000000, v14
	v_lshl_add_u32 v13, v13, 23, v15
	v_or3_b32 v12, v14, v13, v12
.LBB2_1428:
	s_or_b64 exec, exec, s[6:7]
	s_movk_i32 s4, 0xff
	v_and_b32_sdwa v13, v2, s4 dst_sel:DWORD dst_unused:UNUSED_PAD src0_sel:WORD_1 src1_sel:DWORD
	s_movk_i32 s4, 0x7f
	v_cmp_lt_i16_e32 vcc, s4, v13
	s_mov_b64 s[4:5], 0
                                        ; implicit-def: $sgpr10
	s_and_saveexec_b64 s[6:7], vcc
	s_xor_b64 s[6:7], exec, s[6:7]
	s_cbranch_execz .LBB2_1429
; %bb.37269:
	s_getpc_b64 s[14:15]
.Lpost_getpc22218:
	s_add_u32 s14, s14, (.LBB2_15765-.Lpost_getpc22218)&4294967295
	s_addc_u32 s15, s15, (.LBB2_15765-.Lpost_getpc22218)>>32
	s_setpc_b64 s[14:15]
.LBB2_1429:
	s_or_saveexec_b64 s[6:7], s[6:7]
	v_mov_b32_e32 v14, s10
	s_xor_b64 exec, exec, s[6:7]
	s_cbranch_execz .LBB2_1430
; %bb.37271:
	s_getpc_b64 s[14:15]
.Lpost_getpc22219:
	s_add_u32 s14, s14, (.LBB2_15768-.Lpost_getpc22219)&4294967295
	s_addc_u32 s15, s15, (.LBB2_15768-.Lpost_getpc22219)>>32
	s_setpc_b64 s[14:15]
.LBB2_1430:
	s_or_b64 exec, exec, s[6:7]
	s_and_saveexec_b64 s[6:7], s[4:5]
	s_cbranch_execz .LBB2_1432
.LBB2_1431:
	v_bfe_u32 v13, v2, 16, 3
	v_ffbh_u32_e32 v16, v13
	v_min_u32_e32 v16, 32, v16
	v_lshrrev_b32_e32 v14, 19, v2
	v_subrev_u32_e32 v17, 28, v16
	v_and_b32_e32 v14, 15, v14
	v_lshlrev_b32_sdwa v17, v17, v2 dst_sel:DWORD dst_unused:UNUSED_PAD src0_sel:DWORD src1_sel:WORD_1
	v_bfe_u32 v15, v2, 19, 4
	v_sub_u32_e32 v16, 29, v16
	v_and_b32_e32 v17, 7, v17
	v_cmp_eq_u16_e32 vcc, 0, v14
	v_cndmask_b32_e32 v13, v13, v17, vcc
	v_cndmask_b32_e32 v14, v15, v16, vcc
	v_lshlrev_b32_e32 v15, 8, v2
	v_mov_b32_e32 v16, 0x3b800000
	v_lshlrev_b32_e32 v13, 20, v13
	v_and_b32_e32 v15, 0x80000000, v15
	v_lshl_add_u32 v14, v14, 23, v16
	v_or3_b32 v14, v15, v14, v13
.LBB2_1432:
	s_or_b64 exec, exec, s[6:7]
	s_nop 0
	v_mfma_f32_16x16x4f32 a[0:3], v12, v14, a[0:3]
	s_movk_i32 s4, 0x7f
	v_cmp_gt_i16_sdwa s[6:7], v6, s4 src0_sel:BYTE_3 src1_sel:DWORD
	s_mov_b64 s[4:5], 0
                                        ; implicit-def: $sgpr10
	s_and_saveexec_b64 s[8:9], s[6:7]
	s_xor_b64 s[6:7], exec, s[8:9]
	s_cbranch_execz .LBB2_1433
; %bb.37273:
	s_getpc_b64 s[14:15]
.Lpost_getpc22220:
	s_add_u32 s14, s14, (.LBB2_15769-.Lpost_getpc22220)&4294967295
	s_addc_u32 s15, s15, (.LBB2_15769-.Lpost_getpc22220)>>32
	s_setpc_b64 s[14:15]
.LBB2_1433:
	s_or_saveexec_b64 s[6:7], s[6:7]
	v_mov_b32_e32 v12, s10
	s_xor_b64 exec, exec, s[6:7]
	s_cbranch_execz .LBB2_1434
; %bb.37275:
	s_getpc_b64 s[14:15]
.Lpost_getpc22221:
	s_add_u32 s14, s14, (.LBB2_15772-.Lpost_getpc22221)&4294967295
	s_addc_u32 s15, s15, (.LBB2_15772-.Lpost_getpc22221)>>32
	s_setpc_b64 s[14:15]
.LBB2_1434:
	s_or_b64 exec, exec, s[6:7]
	s_and_saveexec_b64 s[6:7], s[4:5]
	s_cbranch_execz .LBB2_1436
.LBB2_1435:
	v_bfe_u32 v12, v6, 24, 3
	v_ffbh_u32_e32 v16, v12
	v_min_u32_e32 v16, 32, v16
	v_lshrrev_b32_e32 v14, 27, v6
	v_subrev_u32_e32 v17, 28, v16
	v_and_b32_e32 v13, 0x80000000, v6
	v_and_b32_e32 v14, 15, v14
	v_bfe_u32 v15, v6, 27, 4
	v_lshlrev_b32_sdwa v6, v17, v6 dst_sel:DWORD dst_unused:UNUSED_PAD src0_sel:DWORD src1_sel:BYTE_3
	v_sub_u32_e32 v16, 29, v16
	v_and_b32_e32 v6, 7, v6
	v_cmp_eq_u16_e32 vcc, 0, v14
	v_cndmask_b32_e32 v6, v12, v6, vcc
	v_cndmask_b32_e32 v12, v15, v16, vcc
	v_mov_b32_e32 v14, 0x3b800000
	v_lshlrev_b32_e32 v6, 20, v6
	v_lshl_add_u32 v12, v12, 23, v14
	v_or3_b32 v12, v13, v12, v6
.LBB2_1436:
	s_or_b64 exec, exec, s[6:7]
	s_movk_i32 s4, 0x7f
	v_cmp_gt_i16_sdwa s[6:7], v2, s4 src0_sel:BYTE_3 src1_sel:DWORD
	s_mov_b64 s[4:5], 0
                                        ; implicit-def: $sgpr10
	s_and_saveexec_b64 s[8:9], s[6:7]
	s_xor_b64 s[6:7], exec, s[8:9]
	s_cbranch_execz .LBB2_1437
; %bb.37277:
	s_getpc_b64 s[14:15]
.Lpost_getpc22222:
	s_add_u32 s14, s14, (.LBB2_15773-.Lpost_getpc22222)&4294967295
	s_addc_u32 s15, s15, (.LBB2_15773-.Lpost_getpc22222)>>32
	s_setpc_b64 s[14:15]
.LBB2_1437:
	s_or_saveexec_b64 s[6:7], s[6:7]
	v_mov_b32_e32 v6, s10
	s_xor_b64 exec, exec, s[6:7]
	s_cbranch_execz .LBB2_1438
; %bb.37279:
	s_getpc_b64 s[14:15]
.Lpost_getpc22223:
	s_add_u32 s14, s14, (.LBB2_15776-.Lpost_getpc22223)&4294967295
	s_addc_u32 s15, s15, (.LBB2_15776-.Lpost_getpc22223)>>32
	s_setpc_b64 s[14:15]
.LBB2_1438:
	s_or_b64 exec, exec, s[6:7]
	s_and_saveexec_b64 s[6:7], s[4:5]
	s_cbranch_execz .LBB2_1440
.LBB2_1439:
	v_bfe_u32 v6, v2, 24, 3
	v_ffbh_u32_e32 v16, v6
	v_min_u32_e32 v16, 32, v16
	v_lshrrev_b32_e32 v14, 27, v2
	v_subrev_u32_e32 v17, 28, v16
	v_and_b32_e32 v13, 0x80000000, v2
	v_and_b32_e32 v14, 15, v14
	v_bfe_u32 v15, v2, 27, 4
	v_lshlrev_b32_sdwa v2, v17, v2 dst_sel:DWORD dst_unused:UNUSED_PAD src0_sel:DWORD src1_sel:BYTE_3
	v_sub_u32_e32 v16, 29, v16
	v_and_b32_e32 v2, 7, v2
	v_cmp_eq_u16_e32 vcc, 0, v14
	v_cndmask_b32_e32 v2, v6, v2, vcc
	v_cndmask_b32_e32 v6, v15, v16, vcc
	v_mov_b32_e32 v14, 0x3b800000
	v_lshlrev_b32_e32 v2, 20, v2
	v_lshl_add_u32 v6, v6, 23, v14
	v_or3_b32 v6, v13, v6, v2
.LBB2_1440:
	s_or_b64 exec, exec, s[6:7]
	s_nop 0
	v_mfma_f32_16x16x4f32 a[0:3], v12, v6, a[0:3]
	s_movk_i32 s4, 0x7f
	v_cmp_gt_i16_sdwa s[6:7], v7, s4 src0_sel:BYTE_0 src1_sel:DWORD
	s_mov_b64 s[4:5], 0
                                        ; implicit-def: $sgpr10
	s_and_saveexec_b64 s[8:9], s[6:7]
	s_xor_b64 s[6:7], exec, s[8:9]
	s_cbranch_execz .LBB2_1441
; %bb.37281:
	s_getpc_b64 s[14:15]
.Lpost_getpc22224:
	s_add_u32 s14, s14, (.LBB2_15777-.Lpost_getpc22224)&4294967295
	s_addc_u32 s15, s15, (.LBB2_15777-.Lpost_getpc22224)>>32
	s_setpc_b64 s[14:15]
.LBB2_1441:
	s_or_saveexec_b64 s[6:7], s[6:7]
	v_mov_b32_e32 v2, s10
	s_xor_b64 exec, exec, s[6:7]
	s_cbranch_execz .LBB2_1442
; %bb.37283:
	s_getpc_b64 s[14:15]
.Lpost_getpc22225:
	s_add_u32 s14, s14, (.LBB2_15780-.Lpost_getpc22225)&4294967295
	s_addc_u32 s15, s15, (.LBB2_15780-.Lpost_getpc22225)>>32
	s_setpc_b64 s[14:15]
.LBB2_1442:
	s_or_b64 exec, exec, s[6:7]
	s_and_saveexec_b64 s[6:7], s[4:5]
	s_cbranch_execz .LBB2_1444
.LBB2_1443:
	v_and_b32_e32 v2, 7, v7
	v_ffbh_u32_e32 v12, v2
	v_min_u32_e32 v12, 32, v12
	v_lshrrev_b16_e32 v6, 3, v7
	v_subrev_u32_e32 v13, 28, v12
	v_and_b32_e32 v6, 15, v6
	v_lshlrev_b32_e32 v13, v13, v7
	v_sub_u32_e32 v12, 29, v12
	v_and_b32_e32 v13, 7, v13
	v_cmp_eq_u16_e32 vcc, 0, v6
	v_cndmask_b32_e32 v2, v2, v13, vcc
	v_cndmask_b32_e32 v6, v6, v12, vcc
	v_lshlrev_b32_e32 v12, 24, v7
	v_mov_b32_e32 v13, 0x3b800000
	v_lshlrev_b32_e32 v2, 20, v2
	v_and_b32_e32 v12, 0x80000000, v12
	v_lshl_add_u32 v6, v6, 23, v13
	v_or3_b32 v2, v12, v6, v2
.LBB2_1444:
	s_or_b64 exec, exec, s[6:7]
	s_movk_i32 s4, 0x7f
	v_cmp_gt_i16_sdwa s[6:7], v3, s4 src0_sel:BYTE_0 src1_sel:DWORD
	s_mov_b64 s[4:5], 0
                                        ; implicit-def: $sgpr10
	s_and_saveexec_b64 s[8:9], s[6:7]
	s_xor_b64 s[6:7], exec, s[8:9]
	s_cbranch_execz .LBB2_1445
; %bb.37285:
	s_getpc_b64 s[14:15]
.Lpost_getpc22226:
	s_add_u32 s14, s14, (.LBB2_15781-.Lpost_getpc22226)&4294967295
	s_addc_u32 s15, s15, (.LBB2_15781-.Lpost_getpc22226)>>32
	s_setpc_b64 s[14:15]
.LBB2_1445:
	s_or_saveexec_b64 s[6:7], s[6:7]
	v_mov_b32_e32 v6, s10
	s_xor_b64 exec, exec, s[6:7]
	s_cbranch_execz .LBB2_1446
; %bb.37287:
	s_getpc_b64 s[14:15]
.Lpost_getpc22227:
	s_add_u32 s14, s14, (.LBB2_15784-.Lpost_getpc22227)&4294967295
	s_addc_u32 s15, s15, (.LBB2_15784-.Lpost_getpc22227)>>32
	s_setpc_b64 s[14:15]
.LBB2_1446:
	s_or_b64 exec, exec, s[6:7]
	s_and_saveexec_b64 s[6:7], s[4:5]
	s_cbranch_execz .LBB2_1448
.LBB2_1447:
	v_and_b32_e32 v6, 7, v3
	v_ffbh_u32_e32 v13, v6
	v_min_u32_e32 v13, 32, v13
	v_lshrrev_b16_e32 v12, 3, v3
	v_subrev_u32_e32 v14, 28, v13
	v_and_b32_e32 v12, 15, v12
	v_lshlrev_b32_e32 v14, v14, v3
	v_sub_u32_e32 v13, 29, v13
	v_and_b32_e32 v14, 7, v14
	v_cmp_eq_u16_e32 vcc, 0, v12
	v_cndmask_b32_e32 v6, v6, v14, vcc
	v_cndmask_b32_e32 v12, v12, v13, vcc
	v_lshlrev_b32_e32 v13, 24, v3
	v_mov_b32_e32 v14, 0x3b800000
	v_lshlrev_b32_e32 v6, 20, v6
	v_and_b32_e32 v13, 0x80000000, v13
	v_lshl_add_u32 v12, v12, 23, v14
	v_or3_b32 v6, v13, v12, v6
.LBB2_1448:
	s_or_b64 exec, exec, s[6:7]
	s_nop 0
	v_mfma_f32_16x16x4f32 a[0:3], v2, v6, a[0:3]
	v_lshrrev_b32_e32 v6, 8, v7
	s_movk_i32 s4, 0x7f
	v_cmp_gt_i16_sdwa s[6:7], v6, s4 src0_sel:BYTE_0 src1_sel:DWORD
	s_mov_b64 s[4:5], 0
                                        ; implicit-def: $sgpr10
	s_and_saveexec_b64 s[8:9], s[6:7]
	s_xor_b64 s[6:7], exec, s[8:9]
	s_cbranch_execz .LBB2_1449
; %bb.37289:
	s_getpc_b64 s[14:15]
.Lpost_getpc22228:
	s_add_u32 s14, s14, (.LBB2_15785-.Lpost_getpc22228)&4294967295
	s_addc_u32 s15, s15, (.LBB2_15785-.Lpost_getpc22228)>>32
	s_setpc_b64 s[14:15]
.LBB2_1449:
	s_or_saveexec_b64 s[6:7], s[6:7]
	v_mov_b32_e32 v2, s10
	s_xor_b64 exec, exec, s[6:7]
	s_cbranch_execz .LBB2_1450
; %bb.37291:
	s_getpc_b64 s[14:15]
.Lpost_getpc22229:
	s_add_u32 s14, s14, (.LBB2_15788-.Lpost_getpc22229)&4294967295
	s_addc_u32 s15, s15, (.LBB2_15788-.Lpost_getpc22229)>>32
	s_setpc_b64 s[14:15]
.LBB2_1450:
	s_or_b64 exec, exec, s[6:7]
	s_and_saveexec_b64 s[6:7], s[4:5]
	s_cbranch_execz .LBB2_1452
.LBB2_1451:
	v_bfe_u32 v2, v7, 8, 3
	v_ffbh_u32_e32 v13, v2
	v_min_u32_e32 v13, 32, v13
	v_lshrrev_b16_e32 v12, 3, v6
	v_subrev_u32_e32 v14, 28, v13
	v_and_b32_e32 v12, 15, v12
	v_lshlrev_b32_e32 v6, v14, v6
	v_sub_u32_e32 v13, 29, v13
	v_and_b32_e32 v6, 7, v6
	v_cmp_eq_u16_e32 vcc, 0, v12
	v_cndmask_b32_e32 v2, v2, v6, vcc
	v_cndmask_b32_e32 v6, v12, v13, vcc
	v_lshlrev_b32_e32 v12, 16, v7
	v_mov_b32_e32 v13, 0x3b800000
	v_lshlrev_b32_e32 v2, 20, v2
	v_and_b32_e32 v12, 0x80000000, v12
	v_lshl_add_u32 v6, v6, 23, v13
	v_or3_b32 v2, v12, v6, v2
.LBB2_1452:
	s_or_b64 exec, exec, s[6:7]
	v_lshrrev_b32_e32 v6, 8, v3
	s_movk_i32 s4, 0x7f
	v_cmp_gt_i16_sdwa s[6:7], v6, s4 src0_sel:BYTE_0 src1_sel:DWORD
	s_mov_b64 s[4:5], 0
                                        ; implicit-def: $sgpr10
	s_and_saveexec_b64 s[8:9], s[6:7]
	s_xor_b64 s[6:7], exec, s[8:9]
	s_cbranch_execz .LBB2_1453
; %bb.37293:
	s_getpc_b64 s[14:15]
.Lpost_getpc22230:
	s_add_u32 s14, s14, (.LBB2_15789-.Lpost_getpc22230)&4294967295
	s_addc_u32 s15, s15, (.LBB2_15789-.Lpost_getpc22230)>>32
	s_setpc_b64 s[14:15]
.LBB2_1453:
	s_or_saveexec_b64 s[6:7], s[6:7]
	v_mov_b32_e32 v12, s10
	s_xor_b64 exec, exec, s[6:7]
	s_cbranch_execz .LBB2_1454
; %bb.37295:
	s_getpc_b64 s[14:15]
.Lpost_getpc22231:
	s_add_u32 s14, s14, (.LBB2_15792-.Lpost_getpc22231)&4294967295
	s_addc_u32 s15, s15, (.LBB2_15792-.Lpost_getpc22231)>>32
	s_setpc_b64 s[14:15]
.LBB2_1454:
	s_or_b64 exec, exec, s[6:7]
	s_and_saveexec_b64 s[6:7], s[4:5]
	s_cbranch_execz .LBB2_1456
.LBB2_1455:
	v_bfe_u32 v12, v3, 8, 3
	v_ffbh_u32_e32 v14, v12
	v_min_u32_e32 v14, 32, v14
	v_lshrrev_b16_e32 v13, 3, v6
	v_subrev_u32_e32 v15, 28, v14
	v_and_b32_e32 v13, 15, v13
	v_lshlrev_b32_e32 v6, v15, v6
	v_sub_u32_e32 v14, 29, v14
	v_and_b32_e32 v6, 7, v6
	v_cmp_eq_u16_e32 vcc, 0, v13
	v_cndmask_b32_e32 v6, v12, v6, vcc
	v_cndmask_b32_e32 v12, v13, v14, vcc
	v_lshlrev_b32_e32 v13, 16, v3
	v_mov_b32_e32 v14, 0x3b800000
	v_lshlrev_b32_e32 v6, 20, v6
	v_and_b32_e32 v13, 0x80000000, v13
	v_lshl_add_u32 v12, v12, 23, v14
	v_or3_b32 v12, v13, v12, v6
.LBB2_1456:
	s_or_b64 exec, exec, s[6:7]
	s_nop 0
	v_mfma_f32_16x16x4f32 a[0:3], v2, v12, a[0:3]
	s_movk_i32 s4, 0xff
	v_and_b32_sdwa v6, v7, s4 dst_sel:DWORD dst_unused:UNUSED_PAD src0_sel:WORD_1 src1_sel:DWORD
	s_movk_i32 s4, 0x7f
	v_cmp_lt_i16_e32 vcc, s4, v6
	s_mov_b64 s[4:5], 0
                                        ; implicit-def: $sgpr10
	s_and_saveexec_b64 s[6:7], vcc
	s_xor_b64 s[6:7], exec, s[6:7]
	s_cbranch_execz .LBB2_1457
; %bb.37297:
	s_getpc_b64 s[14:15]
.Lpost_getpc22232:
	s_add_u32 s14, s14, (.LBB2_15793-.Lpost_getpc22232)&4294967295
	s_addc_u32 s15, s15, (.LBB2_15793-.Lpost_getpc22232)>>32
	s_setpc_b64 s[14:15]
.LBB2_1457:
	s_or_saveexec_b64 s[6:7], s[6:7]
	v_mov_b32_e32 v2, s10
	s_xor_b64 exec, exec, s[6:7]
	s_cbranch_execz .LBB2_1458
; %bb.37299:
	s_getpc_b64 s[14:15]
.Lpost_getpc22233:
	s_add_u32 s14, s14, (.LBB2_15796-.Lpost_getpc22233)&4294967295
	s_addc_u32 s15, s15, (.LBB2_15796-.Lpost_getpc22233)>>32
	s_setpc_b64 s[14:15]
.LBB2_1458:
	s_or_b64 exec, exec, s[6:7]
	s_and_saveexec_b64 s[6:7], s[4:5]
	s_cbranch_execz .LBB2_1460
.LBB2_1459:
	v_bfe_u32 v2, v7, 16, 3
	v_ffbh_u32_e32 v13, v2
	v_min_u32_e32 v13, 32, v13
	v_lshrrev_b32_e32 v6, 19, v7
	v_subrev_u32_e32 v14, 28, v13
	v_and_b32_e32 v6, 15, v6
	v_lshlrev_b32_sdwa v14, v14, v7 dst_sel:DWORD dst_unused:UNUSED_PAD src0_sel:DWORD src1_sel:WORD_1
	v_bfe_u32 v12, v7, 19, 4
	v_sub_u32_e32 v13, 29, v13
	v_and_b32_e32 v14, 7, v14
	v_cmp_eq_u16_e32 vcc, 0, v6
	v_cndmask_b32_e32 v2, v2, v14, vcc
	v_cndmask_b32_e32 v6, v12, v13, vcc
	v_lshlrev_b32_e32 v12, 8, v7
	v_mov_b32_e32 v13, 0x3b800000
	v_lshlrev_b32_e32 v2, 20, v2
	v_and_b32_e32 v12, 0x80000000, v12
	v_lshl_add_u32 v6, v6, 23, v13
	v_or3_b32 v2, v12, v6, v2
.LBB2_1460:
	s_or_b64 exec, exec, s[6:7]
	s_movk_i32 s4, 0xff
	v_and_b32_sdwa v6, v3, s4 dst_sel:DWORD dst_unused:UNUSED_PAD src0_sel:WORD_1 src1_sel:DWORD
	s_movk_i32 s4, 0x7f
	v_cmp_lt_i16_e32 vcc, s4, v6
	s_mov_b64 s[4:5], 0
                                        ; implicit-def: $sgpr10
	s_and_saveexec_b64 s[6:7], vcc
	s_xor_b64 s[6:7], exec, s[6:7]
	s_cbranch_execz .LBB2_1461
; %bb.37301:
	s_getpc_b64 s[14:15]
.Lpost_getpc22234:
	s_add_u32 s14, s14, (.LBB2_15797-.Lpost_getpc22234)&4294967295
	s_addc_u32 s15, s15, (.LBB2_15797-.Lpost_getpc22234)>>32
	s_setpc_b64 s[14:15]
.LBB2_1461:
	s_or_saveexec_b64 s[6:7], s[6:7]
	v_mov_b32_e32 v12, s10
	s_xor_b64 exec, exec, s[6:7]
	s_cbranch_execz .LBB2_1462
; %bb.37303:
	s_getpc_b64 s[14:15]
.Lpost_getpc22235:
	s_add_u32 s14, s14, (.LBB2_15800-.Lpost_getpc22235)&4294967295
	s_addc_u32 s15, s15, (.LBB2_15800-.Lpost_getpc22235)>>32
	s_setpc_b64 s[14:15]
.LBB2_1462:
	s_or_b64 exec, exec, s[6:7]
	s_and_saveexec_b64 s[6:7], s[4:5]
	s_cbranch_execz .LBB2_1464
.LBB2_1463:
	v_bfe_u32 v6, v3, 16, 3
	v_ffbh_u32_e32 v14, v6
	v_min_u32_e32 v14, 32, v14
	v_lshrrev_b32_e32 v12, 19, v3
	v_subrev_u32_e32 v15, 28, v14
	v_and_b32_e32 v12, 15, v12
	v_lshlrev_b32_sdwa v15, v15, v3 dst_sel:DWORD dst_unused:UNUSED_PAD src0_sel:DWORD src1_sel:WORD_1
	v_bfe_u32 v13, v3, 19, 4
	v_sub_u32_e32 v14, 29, v14
	v_and_b32_e32 v15, 7, v15
	v_cmp_eq_u16_e32 vcc, 0, v12
	v_cndmask_b32_e32 v6, v6, v15, vcc
	v_cndmask_b32_e32 v12, v13, v14, vcc
	v_lshlrev_b32_e32 v13, 8, v3
	v_mov_b32_e32 v14, 0x3b800000
	v_lshlrev_b32_e32 v6, 20, v6
	v_and_b32_e32 v13, 0x80000000, v13
	v_lshl_add_u32 v12, v12, 23, v14
	v_or3_b32 v12, v13, v12, v6
.LBB2_1464:
	s_or_b64 exec, exec, s[6:7]
	s_nop 0
	v_mfma_f32_16x16x4f32 a[0:3], v2, v12, a[0:3]
	s_movk_i32 s4, 0x7f
	v_cmp_gt_i16_sdwa s[6:7], v7, s4 src0_sel:BYTE_3 src1_sel:DWORD
	s_mov_b64 s[4:5], 0
                                        ; implicit-def: $sgpr10
	s_and_saveexec_b64 s[8:9], s[6:7]
	s_xor_b64 s[6:7], exec, s[8:9]
	s_cbranch_execz .LBB2_1465
; %bb.37305:
	s_getpc_b64 s[14:15]
.Lpost_getpc22236:
	s_add_u32 s14, s14, (.LBB2_15801-.Lpost_getpc22236)&4294967295
	s_addc_u32 s15, s15, (.LBB2_15801-.Lpost_getpc22236)>>32
	s_setpc_b64 s[14:15]
.LBB2_1465:
	s_or_saveexec_b64 s[6:7], s[6:7]
	v_mov_b32_e32 v2, s10
	s_xor_b64 exec, exec, s[6:7]
	s_cbranch_execz .LBB2_1466
; %bb.37307:
	s_getpc_b64 s[14:15]
.Lpost_getpc22237:
	s_add_u32 s14, s14, (.LBB2_15804-.Lpost_getpc22237)&4294967295
	s_addc_u32 s15, s15, (.LBB2_15804-.Lpost_getpc22237)>>32
	s_setpc_b64 s[14:15]
.LBB2_1466:
	s_or_b64 exec, exec, s[6:7]
	s_and_saveexec_b64 s[6:7], s[4:5]
	s_cbranch_execz .LBB2_1468
.LBB2_1467:
	v_bfe_u32 v2, v7, 24, 3
	v_ffbh_u32_e32 v14, v2
	v_min_u32_e32 v14, 32, v14
	v_lshrrev_b32_e32 v12, 27, v7
	v_subrev_u32_e32 v15, 28, v14
	v_and_b32_e32 v6, 0x80000000, v7
	v_and_b32_e32 v12, 15, v12
	v_bfe_u32 v13, v7, 27, 4
	v_lshlrev_b32_sdwa v7, v15, v7 dst_sel:DWORD dst_unused:UNUSED_PAD src0_sel:DWORD src1_sel:BYTE_3
	v_sub_u32_e32 v14, 29, v14
	v_and_b32_e32 v7, 7, v7
	v_cmp_eq_u16_e32 vcc, 0, v12
	v_cndmask_b32_e32 v2, v2, v7, vcc
	v_cndmask_b32_e32 v7, v13, v14, vcc
	v_mov_b32_e32 v12, 0x3b800000
	v_lshlrev_b32_e32 v2, 20, v2
	v_lshl_add_u32 v7, v7, 23, v12
	v_or3_b32 v2, v6, v7, v2
.LBB2_1468:
	s_or_b64 exec, exec, s[6:7]
	s_movk_i32 s4, 0x7f
	v_cmp_gt_i16_sdwa s[6:7], v3, s4 src0_sel:BYTE_3 src1_sel:DWORD
	s_mov_b64 s[4:5], 0
                                        ; implicit-def: $sgpr10
	s_and_saveexec_b64 s[8:9], s[6:7]
	s_xor_b64 s[6:7], exec, s[8:9]
	s_cbranch_execz .LBB2_1469
; %bb.37309:
	s_getpc_b64 s[14:15]
.Lpost_getpc22238:
	s_add_u32 s14, s14, (.LBB2_15805-.Lpost_getpc22238)&4294967295
	s_addc_u32 s15, s15, (.LBB2_15805-.Lpost_getpc22238)>>32
	s_setpc_b64 s[14:15]
.LBB2_1469:
	s_or_saveexec_b64 s[6:7], s[6:7]
	v_mov_b32_e32 v6, s10
	s_xor_b64 exec, exec, s[6:7]
	s_cbranch_execz .LBB2_1470
; %bb.37311:
	s_getpc_b64 s[14:15]
.Lpost_getpc22239:
	s_add_u32 s14, s14, (.LBB2_15808-.Lpost_getpc22239)&4294967295
	s_addc_u32 s15, s15, (.LBB2_15808-.Lpost_getpc22239)>>32
	s_setpc_b64 s[14:15]
.LBB2_1470:
	s_or_b64 exec, exec, s[6:7]
	s_and_saveexec_b64 s[6:7], s[4:5]
	s_cbranch_execz .LBB2_1472
.LBB2_1471:
	v_bfe_u32 v6, v3, 24, 3
	v_ffbh_u32_e32 v14, v6
	v_min_u32_e32 v14, 32, v14
	v_lshrrev_b32_e32 v12, 27, v3
	v_subrev_u32_e32 v15, 28, v14
	v_and_b32_e32 v7, 0x80000000, v3
	v_and_b32_e32 v12, 15, v12
	v_bfe_u32 v13, v3, 27, 4
	v_lshlrev_b32_sdwa v3, v15, v3 dst_sel:DWORD dst_unused:UNUSED_PAD src0_sel:DWORD src1_sel:BYTE_3
	v_sub_u32_e32 v14, 29, v14
	v_and_b32_e32 v3, 7, v3
	v_cmp_eq_u16_e32 vcc, 0, v12
	v_cndmask_b32_e32 v3, v6, v3, vcc
	v_cndmask_b32_e32 v6, v13, v14, vcc
	v_mov_b32_e32 v12, 0x3b800000
	v_lshlrev_b32_e32 v3, 20, v3
	v_lshl_add_u32 v6, v6, 23, v12
	v_or3_b32 v6, v7, v6, v3
.LBB2_1472:
	s_or_b64 exec, exec, s[6:7]
	s_nop 0
	v_mfma_f32_16x16x4f32 a[0:3], v2, v6, a[0:3]
	s_movk_i32 s4, 0x7f
	v_cmp_gt_i16_sdwa s[6:7], v8, s4 src0_sel:BYTE_0 src1_sel:DWORD
	s_mov_b64 s[4:5], 0
                                        ; implicit-def: $sgpr10
	s_and_saveexec_b64 s[8:9], s[6:7]
	s_xor_b64 s[6:7], exec, s[8:9]
	s_cbranch_execz .LBB2_1473
; %bb.37313:
	s_getpc_b64 s[14:15]
.Lpost_getpc22240:
	s_add_u32 s14, s14, (.LBB2_15809-.Lpost_getpc22240)&4294967295
	s_addc_u32 s15, s15, (.LBB2_15809-.Lpost_getpc22240)>>32
	s_setpc_b64 s[14:15]
.LBB2_1473:
	s_or_saveexec_b64 s[6:7], s[6:7]
	v_mov_b32_e32 v2, s10
	s_xor_b64 exec, exec, s[6:7]
	s_cbranch_execz .LBB2_1474
; %bb.37315:
	s_getpc_b64 s[14:15]
.Lpost_getpc22241:
	s_add_u32 s14, s14, (.LBB2_15812-.Lpost_getpc22241)&4294967295
	s_addc_u32 s15, s15, (.LBB2_15812-.Lpost_getpc22241)>>32
	s_setpc_b64 s[14:15]
.LBB2_1474:
	s_or_b64 exec, exec, s[6:7]
	s_and_saveexec_b64 s[6:7], s[4:5]
	s_cbranch_execz .LBB2_1476
.LBB2_1475:
	v_and_b32_e32 v2, 7, v8
	v_ffbh_u32_e32 v6, v2
	v_min_u32_e32 v6, 32, v6
	v_lshrrev_b16_e32 v3, 3, v8
	v_subrev_u32_e32 v7, 28, v6
	v_and_b32_e32 v3, 15, v3
	v_lshlrev_b32_e32 v7, v7, v8
	v_sub_u32_e32 v6, 29, v6
	v_and_b32_e32 v7, 7, v7
	v_cmp_eq_u16_e32 vcc, 0, v3
	v_cndmask_b32_e32 v2, v2, v7, vcc
	v_cndmask_b32_e32 v3, v3, v6, vcc
	v_lshlrev_b32_e32 v6, 24, v8
	v_mov_b32_e32 v7, 0x3b800000
	v_lshlrev_b32_e32 v2, 20, v2
	v_and_b32_e32 v6, 0x80000000, v6
	v_lshl_add_u32 v3, v3, 23, v7
	v_or3_b32 v2, v6, v3, v2
.LBB2_1476:
	s_or_b64 exec, exec, s[6:7]
	s_movk_i32 s4, 0x7f
	v_cmp_gt_i16_sdwa s[6:7], v4, s4 src0_sel:BYTE_0 src1_sel:DWORD
	s_mov_b64 s[4:5], 0
                                        ; implicit-def: $sgpr10
	s_and_saveexec_b64 s[8:9], s[6:7]
	s_xor_b64 s[6:7], exec, s[8:9]
	s_cbranch_execz .LBB2_1477
; %bb.37317:
	s_getpc_b64 s[14:15]
.Lpost_getpc22242:
	s_add_u32 s14, s14, (.LBB2_15813-.Lpost_getpc22242)&4294967295
	s_addc_u32 s15, s15, (.LBB2_15813-.Lpost_getpc22242)>>32
	s_setpc_b64 s[14:15]
.LBB2_1477:
	s_or_saveexec_b64 s[6:7], s[6:7]
	v_mov_b32_e32 v3, s10
	s_xor_b64 exec, exec, s[6:7]
	s_cbranch_execz .LBB2_1478
; %bb.37319:
	s_getpc_b64 s[14:15]
.Lpost_getpc22243:
	s_add_u32 s14, s14, (.LBB2_15816-.Lpost_getpc22243)&4294967295
	s_addc_u32 s15, s15, (.LBB2_15816-.Lpost_getpc22243)>>32
	s_setpc_b64 s[14:15]
.LBB2_1478:
	s_or_b64 exec, exec, s[6:7]
	s_and_saveexec_b64 s[6:7], s[4:5]
	s_cbranch_execz .LBB2_1480
.LBB2_1479:
	v_and_b32_e32 v3, 7, v4
	v_ffbh_u32_e32 v7, v3
	v_min_u32_e32 v7, 32, v7
	v_lshrrev_b16_e32 v6, 3, v4
	v_subrev_u32_e32 v12, 28, v7
	v_and_b32_e32 v6, 15, v6
	v_lshlrev_b32_e32 v12, v12, v4
	v_sub_u32_e32 v7, 29, v7
	v_and_b32_e32 v12, 7, v12
	v_cmp_eq_u16_e32 vcc, 0, v6
	v_cndmask_b32_e32 v3, v3, v12, vcc
	v_cndmask_b32_e32 v6, v6, v7, vcc
	v_lshlrev_b32_e32 v7, 24, v4
	v_mov_b32_e32 v12, 0x3b800000
	v_lshlrev_b32_e32 v3, 20, v3
	v_and_b32_e32 v7, 0x80000000, v7
	v_lshl_add_u32 v6, v6, 23, v12
	v_or3_b32 v3, v7, v6, v3
.LBB2_1480:
	s_or_b64 exec, exec, s[6:7]
	s_nop 0
	v_mfma_f32_16x16x4f32 a[0:3], v2, v3, a[0:3]
	v_lshrrev_b32_e32 v3, 8, v8
	s_movk_i32 s4, 0x7f
	v_cmp_gt_i16_sdwa s[6:7], v3, s4 src0_sel:BYTE_0 src1_sel:DWORD
	s_mov_b64 s[4:5], 0
                                        ; implicit-def: $sgpr10
	s_and_saveexec_b64 s[8:9], s[6:7]
	s_xor_b64 s[6:7], exec, s[8:9]
	s_cbranch_execz .LBB2_1481
; %bb.37321:
	s_getpc_b64 s[14:15]
.Lpost_getpc22244:
	s_add_u32 s14, s14, (.LBB2_15817-.Lpost_getpc22244)&4294967295
	s_addc_u32 s15, s15, (.LBB2_15817-.Lpost_getpc22244)>>32
	s_setpc_b64 s[14:15]
.LBB2_1481:
	s_or_saveexec_b64 s[6:7], s[6:7]
	v_mov_b32_e32 v2, s10
	s_xor_b64 exec, exec, s[6:7]
	s_cbranch_execz .LBB2_1482
; %bb.37323:
	s_getpc_b64 s[14:15]
.Lpost_getpc22245:
	s_add_u32 s14, s14, (.LBB2_15820-.Lpost_getpc22245)&4294967295
	s_addc_u32 s15, s15, (.LBB2_15820-.Lpost_getpc22245)>>32
	s_setpc_b64 s[14:15]
.LBB2_1482:
	s_or_b64 exec, exec, s[6:7]
	s_and_saveexec_b64 s[6:7], s[4:5]
	s_cbranch_execz .LBB2_1484
.LBB2_1483:
	v_bfe_u32 v2, v8, 8, 3
	v_ffbh_u32_e32 v7, v2
	v_min_u32_e32 v7, 32, v7
	v_lshrrev_b16_e32 v6, 3, v3
	v_subrev_u32_e32 v12, 28, v7
	v_and_b32_e32 v6, 15, v6
	v_lshlrev_b32_e32 v3, v12, v3
	v_sub_u32_e32 v7, 29, v7
	v_and_b32_e32 v3, 7, v3
	v_cmp_eq_u16_e32 vcc, 0, v6
	v_cndmask_b32_e32 v2, v2, v3, vcc
	v_cndmask_b32_e32 v3, v6, v7, vcc
	v_lshlrev_b32_e32 v6, 16, v8
	v_mov_b32_e32 v7, 0x3b800000
	v_lshlrev_b32_e32 v2, 20, v2
	v_and_b32_e32 v6, 0x80000000, v6
	v_lshl_add_u32 v3, v3, 23, v7
	v_or3_b32 v2, v6, v3, v2
.LBB2_1484:
	s_or_b64 exec, exec, s[6:7]
	v_lshrrev_b32_e32 v3, 8, v4
	s_movk_i32 s4, 0x7f
	v_cmp_gt_i16_sdwa s[6:7], v3, s4 src0_sel:BYTE_0 src1_sel:DWORD
	s_mov_b64 s[4:5], 0
                                        ; implicit-def: $sgpr10
	s_and_saveexec_b64 s[8:9], s[6:7]
	s_xor_b64 s[6:7], exec, s[8:9]
	s_cbranch_execz .LBB2_1485
; %bb.37325:
	s_getpc_b64 s[14:15]
.Lpost_getpc22246:
	s_add_u32 s14, s14, (.LBB2_15821-.Lpost_getpc22246)&4294967295
	s_addc_u32 s15, s15, (.LBB2_15821-.Lpost_getpc22246)>>32
	s_setpc_b64 s[14:15]
.LBB2_1485:
	s_or_saveexec_b64 s[6:7], s[6:7]
	v_mov_b32_e32 v6, s10
	s_xor_b64 exec, exec, s[6:7]
	s_cbranch_execz .LBB2_1486
; %bb.37327:
	s_getpc_b64 s[14:15]
.Lpost_getpc22247:
	s_add_u32 s14, s14, (.LBB2_15824-.Lpost_getpc22247)&4294967295
	s_addc_u32 s15, s15, (.LBB2_15824-.Lpost_getpc22247)>>32
	s_setpc_b64 s[14:15]
.LBB2_1486:
	s_or_b64 exec, exec, s[6:7]
	s_and_saveexec_b64 s[6:7], s[4:5]
	s_cbranch_execz .LBB2_1488
.LBB2_1487:
	v_bfe_u32 v6, v4, 8, 3
	v_ffbh_u32_e32 v12, v6
	v_min_u32_e32 v12, 32, v12
	v_lshrrev_b16_e32 v7, 3, v3
	v_subrev_u32_e32 v13, 28, v12
	v_and_b32_e32 v7, 15, v7
	v_lshlrev_b32_e32 v3, v13, v3
	v_sub_u32_e32 v12, 29, v12
	v_and_b32_e32 v3, 7, v3
	v_cmp_eq_u16_e32 vcc, 0, v7
	v_cndmask_b32_e32 v3, v6, v3, vcc
	v_cndmask_b32_e32 v6, v7, v12, vcc
	v_lshlrev_b32_e32 v7, 16, v4
	v_mov_b32_e32 v12, 0x3b800000
	v_lshlrev_b32_e32 v3, 20, v3
	v_and_b32_e32 v7, 0x80000000, v7
	v_lshl_add_u32 v6, v6, 23, v12
	v_or3_b32 v6, v7, v6, v3
.LBB2_1488:
	s_or_b64 exec, exec, s[6:7]
	s_nop 0
	v_mfma_f32_16x16x4f32 a[0:3], v2, v6, a[0:3]
	s_movk_i32 s4, 0xff
	v_and_b32_sdwa v3, v8, s4 dst_sel:DWORD dst_unused:UNUSED_PAD src0_sel:WORD_1 src1_sel:DWORD
	s_movk_i32 s4, 0x7f
	v_cmp_lt_i16_e32 vcc, s4, v3
	s_mov_b64 s[4:5], 0
                                        ; implicit-def: $sgpr10
	s_and_saveexec_b64 s[6:7], vcc
	s_xor_b64 s[6:7], exec, s[6:7]
	s_cbranch_execz .LBB2_1489
; %bb.37329:
	s_getpc_b64 s[14:15]
.Lpost_getpc22248:
	s_add_u32 s14, s14, (.LBB2_15825-.Lpost_getpc22248)&4294967295
	s_addc_u32 s15, s15, (.LBB2_15825-.Lpost_getpc22248)>>32
	s_setpc_b64 s[14:15]
.LBB2_1489:
	s_or_saveexec_b64 s[6:7], s[6:7]
	v_mov_b32_e32 v2, s10
	s_xor_b64 exec, exec, s[6:7]
	s_cbranch_execz .LBB2_1490
; %bb.37331:
	s_getpc_b64 s[14:15]
.Lpost_getpc22249:
	s_add_u32 s14, s14, (.LBB2_15828-.Lpost_getpc22249)&4294967295
	s_addc_u32 s15, s15, (.LBB2_15828-.Lpost_getpc22249)>>32
	s_setpc_b64 s[14:15]
.LBB2_1490:
	s_or_b64 exec, exec, s[6:7]
	s_and_saveexec_b64 s[6:7], s[4:5]
	s_cbranch_execz .LBB2_1492
.LBB2_1491:
	v_bfe_u32 v2, v8, 16, 3
	v_ffbh_u32_e32 v7, v2
	v_min_u32_e32 v7, 32, v7
	v_lshrrev_b32_e32 v3, 19, v8
	v_subrev_u32_e32 v12, 28, v7
	v_and_b32_e32 v3, 15, v3
	v_lshlrev_b32_sdwa v12, v12, v8 dst_sel:DWORD dst_unused:UNUSED_PAD src0_sel:DWORD src1_sel:WORD_1
	v_bfe_u32 v6, v8, 19, 4
	v_sub_u32_e32 v7, 29, v7
	v_and_b32_e32 v12, 7, v12
	v_cmp_eq_u16_e32 vcc, 0, v3
	v_cndmask_b32_e32 v2, v2, v12, vcc
	v_cndmask_b32_e32 v3, v6, v7, vcc
	v_lshlrev_b32_e32 v6, 8, v8
	v_mov_b32_e32 v7, 0x3b800000
	v_lshlrev_b32_e32 v2, 20, v2
	v_and_b32_e32 v6, 0x80000000, v6
	v_lshl_add_u32 v3, v3, 23, v7
	v_or3_b32 v2, v6, v3, v2
.LBB2_1492:
	s_or_b64 exec, exec, s[6:7]
	s_movk_i32 s4, 0xff
	v_and_b32_sdwa v3, v4, s4 dst_sel:DWORD dst_unused:UNUSED_PAD src0_sel:WORD_1 src1_sel:DWORD
	s_movk_i32 s4, 0x7f
	v_cmp_lt_i16_e32 vcc, s4, v3
	s_mov_b64 s[4:5], 0
                                        ; implicit-def: $sgpr10
	s_and_saveexec_b64 s[6:7], vcc
	s_xor_b64 s[6:7], exec, s[6:7]
	s_cbranch_execz .LBB2_1493
; %bb.37333:
	s_getpc_b64 s[14:15]
.Lpost_getpc22250:
	s_add_u32 s14, s14, (.LBB2_15829-.Lpost_getpc22250)&4294967295
	s_addc_u32 s15, s15, (.LBB2_15829-.Lpost_getpc22250)>>32
	s_setpc_b64 s[14:15]
.LBB2_1493:
	s_or_saveexec_b64 s[6:7], s[6:7]
	v_mov_b32_e32 v6, s10
	s_xor_b64 exec, exec, s[6:7]
	s_cbranch_execz .LBB2_1494
; %bb.37335:
	s_getpc_b64 s[14:15]
.Lpost_getpc22251:
	s_add_u32 s14, s14, (.LBB2_15832-.Lpost_getpc22251)&4294967295
	s_addc_u32 s15, s15, (.LBB2_15832-.Lpost_getpc22251)>>32
	s_setpc_b64 s[14:15]
.LBB2_1494:
	s_or_b64 exec, exec, s[6:7]
	s_and_saveexec_b64 s[6:7], s[4:5]
	s_cbranch_execz .LBB2_1496
.LBB2_1495:
	v_bfe_u32 v3, v4, 16, 3
	v_ffbh_u32_e32 v12, v3
	v_min_u32_e32 v12, 32, v12
	v_lshrrev_b32_e32 v6, 19, v4
	v_subrev_u32_e32 v13, 28, v12
	v_and_b32_e32 v6, 15, v6
	v_lshlrev_b32_sdwa v13, v13, v4 dst_sel:DWORD dst_unused:UNUSED_PAD src0_sel:DWORD src1_sel:WORD_1
	v_bfe_u32 v7, v4, 19, 4
	v_sub_u32_e32 v12, 29, v12
	v_and_b32_e32 v13, 7, v13
	v_cmp_eq_u16_e32 vcc, 0, v6
	v_cndmask_b32_e32 v3, v3, v13, vcc
	v_cndmask_b32_e32 v6, v7, v12, vcc
	v_lshlrev_b32_e32 v7, 8, v4
	v_mov_b32_e32 v12, 0x3b800000
	v_lshlrev_b32_e32 v3, 20, v3
	v_and_b32_e32 v7, 0x80000000, v7
	v_lshl_add_u32 v6, v6, 23, v12
	v_or3_b32 v6, v7, v6, v3
.LBB2_1496:
	s_or_b64 exec, exec, s[6:7]
	s_nop 0
	v_mfma_f32_16x16x4f32 a[0:3], v2, v6, a[0:3]
	s_movk_i32 s4, 0x7f
	v_cmp_gt_i16_sdwa s[6:7], v8, s4 src0_sel:BYTE_3 src1_sel:DWORD
	s_mov_b64 s[4:5], 0
                                        ; implicit-def: $sgpr10
	s_and_saveexec_b64 s[8:9], s[6:7]
	s_xor_b64 s[6:7], exec, s[8:9]
	s_cbranch_execz .LBB2_1497
; %bb.37337:
	s_getpc_b64 s[14:15]
.Lpost_getpc22252:
	s_add_u32 s14, s14, (.LBB2_15833-.Lpost_getpc22252)&4294967295
	s_addc_u32 s15, s15, (.LBB2_15833-.Lpost_getpc22252)>>32
	s_setpc_b64 s[14:15]
.LBB2_1497:
	s_or_saveexec_b64 s[6:7], s[6:7]
	v_mov_b32_e32 v2, s10
	s_xor_b64 exec, exec, s[6:7]
	s_cbranch_execz .LBB2_1498
; %bb.37339:
	s_getpc_b64 s[14:15]
.Lpost_getpc22253:
	s_add_u32 s14, s14, (.LBB2_15836-.Lpost_getpc22253)&4294967295
	s_addc_u32 s15, s15, (.LBB2_15836-.Lpost_getpc22253)>>32
	s_setpc_b64 s[14:15]
.LBB2_1498:
	s_or_b64 exec, exec, s[6:7]
	s_and_saveexec_b64 s[6:7], s[4:5]
	s_cbranch_execz .LBB2_1500
.LBB2_1499:
	v_bfe_u32 v2, v8, 24, 3
	v_ffbh_u32_e32 v12, v2
	v_min_u32_e32 v12, 32, v12
	v_lshrrev_b32_e32 v6, 27, v8
	v_subrev_u32_e32 v13, 28, v12
	v_and_b32_e32 v3, 0x80000000, v8
	v_and_b32_e32 v6, 15, v6
	v_bfe_u32 v7, v8, 27, 4
	v_lshlrev_b32_sdwa v8, v13, v8 dst_sel:DWORD dst_unused:UNUSED_PAD src0_sel:DWORD src1_sel:BYTE_3
	v_sub_u32_e32 v12, 29, v12
	v_and_b32_e32 v8, 7, v8
	v_cmp_eq_u16_e32 vcc, 0, v6
	v_cndmask_b32_e32 v2, v2, v8, vcc
	v_cndmask_b32_e32 v6, v7, v12, vcc
	v_mov_b32_e32 v7, 0x3b800000
	v_lshlrev_b32_e32 v2, 20, v2
	v_lshl_add_u32 v6, v6, 23, v7
	v_or3_b32 v2, v3, v6, v2
.LBB2_1500:
	s_or_b64 exec, exec, s[6:7]
	s_movk_i32 s4, 0x7f
	v_cmp_gt_i16_sdwa s[6:7], v4, s4 src0_sel:BYTE_3 src1_sel:DWORD
	s_mov_b64 s[4:5], 0
                                        ; implicit-def: $sgpr10
	s_and_saveexec_b64 s[8:9], s[6:7]
	s_xor_b64 s[6:7], exec, s[8:9]
	s_cbranch_execz .LBB2_1501
; %bb.37341:
	s_getpc_b64 s[14:15]
.Lpost_getpc22254:
	s_add_u32 s14, s14, (.LBB2_15837-.Lpost_getpc22254)&4294967295
	s_addc_u32 s15, s15, (.LBB2_15837-.Lpost_getpc22254)>>32
	s_setpc_b64 s[14:15]
.LBB2_1501:
	s_or_saveexec_b64 s[6:7], s[6:7]
	v_mov_b32_e32 v3, s10
	s_xor_b64 exec, exec, s[6:7]
	s_cbranch_execz .LBB2_1502
; %bb.37343:
	s_getpc_b64 s[14:15]
.Lpost_getpc22255:
	s_add_u32 s14, s14, (.LBB2_15840-.Lpost_getpc22255)&4294967295
	s_addc_u32 s15, s15, (.LBB2_15840-.Lpost_getpc22255)>>32
	s_setpc_b64 s[14:15]
.LBB2_1502:
	s_or_b64 exec, exec, s[6:7]
	s_and_saveexec_b64 s[6:7], s[4:5]
	s_cbranch_execz .LBB2_1504
.LBB2_1503:
	v_bfe_u32 v3, v4, 24, 3
	v_ffbh_u32_e32 v12, v3
	v_min_u32_e32 v12, 32, v12
	v_lshrrev_b32_e32 v7, 27, v4
	v_subrev_u32_e32 v13, 28, v12
	v_and_b32_e32 v6, 0x80000000, v4
	v_and_b32_e32 v7, 15, v7
	v_bfe_u32 v8, v4, 27, 4
	v_lshlrev_b32_sdwa v4, v13, v4 dst_sel:DWORD dst_unused:UNUSED_PAD src0_sel:DWORD src1_sel:BYTE_3
	v_sub_u32_e32 v12, 29, v12
	v_and_b32_e32 v4, 7, v4
	v_cmp_eq_u16_e32 vcc, 0, v7
	v_cndmask_b32_e32 v3, v3, v4, vcc
	v_cndmask_b32_e32 v4, v8, v12, vcc
	v_mov_b32_e32 v7, 0x3b800000
	v_lshlrev_b32_e32 v3, 20, v3
	v_lshl_add_u32 v4, v4, 23, v7
	v_or3_b32 v3, v6, v4, v3
.LBB2_1504:
	s_or_b64 exec, exec, s[6:7]
	s_nop 0
	v_mfma_f32_16x16x4f32 a[0:3], v2, v3, a[0:3]
	s_movk_i32 s4, 0x7f
	v_cmp_gt_i16_sdwa s[6:7], v9, s4 src0_sel:BYTE_0 src1_sel:DWORD
	s_mov_b64 s[4:5], 0
                                        ; implicit-def: $sgpr10
	s_and_saveexec_b64 s[8:9], s[6:7]
	s_xor_b64 s[6:7], exec, s[8:9]
	s_cbranch_execz .LBB2_1505
; %bb.37345:
	s_getpc_b64 s[14:15]
.Lpost_getpc22256:
	s_add_u32 s14, s14, (.LBB2_15841-.Lpost_getpc22256)&4294967295
	s_addc_u32 s15, s15, (.LBB2_15841-.Lpost_getpc22256)>>32
	s_setpc_b64 s[14:15]
.LBB2_1505:
	s_or_saveexec_b64 s[6:7], s[6:7]
	v_mov_b32_e32 v2, s10
	s_xor_b64 exec, exec, s[6:7]
	s_cbranch_execz .LBB2_1506
; %bb.37347:
	s_getpc_b64 s[14:15]
.Lpost_getpc22257:
	s_add_u32 s14, s14, (.LBB2_15844-.Lpost_getpc22257)&4294967295
	s_addc_u32 s15, s15, (.LBB2_15844-.Lpost_getpc22257)>>32
	s_setpc_b64 s[14:15]
.LBB2_1506:
	s_or_b64 exec, exec, s[6:7]
	s_and_saveexec_b64 s[6:7], s[4:5]
	s_cbranch_execz .LBB2_1508
.LBB2_1507:
	v_mov_b32_e32 v2, 8
	v_and_b32_e32 v3, 7, v9
	v_lshrrev_b32_sdwa v2, v2, v9 dst_sel:BYTE_1 dst_unused:UNUSED_PAD src0_sel:DWORD src1_sel:DWORD
	v_ffbh_u32_e32 v4, v3
	v_or_b32_sdwa v2, v9, v2 dst_sel:DWORD dst_unused:UNUSED_PAD src0_sel:BYTE_0 src1_sel:DWORD
	v_min_u32_e32 v4, 32, v4
	v_lshrrev_b16_e32 v2, 3, v2
	v_subrev_u32_e32 v6, 28, v4
	v_and_b32_e32 v2, 15, v2
	v_lshlrev_b32_e32 v6, v6, v9
	v_sub_u32_e32 v4, 29, v4
	v_and_b32_e32 v6, 7, v6
	v_cmp_eq_u16_e32 vcc, 0, v2
	v_cndmask_b32_e32 v3, v3, v6, vcc
	v_cndmask_b32_e32 v2, v2, v4, vcc
	v_lshlrev_b32_e32 v4, 24, v9
	v_mov_b32_e32 v6, 0x3b800000
	v_lshlrev_b32_e32 v3, 20, v3
	v_and_b32_e32 v4, 0x80000000, v4
	v_lshl_add_u32 v2, v2, 23, v6
	v_or3_b32 v2, v4, v2, v3
.LBB2_1508:
	s_or_b64 exec, exec, s[6:7]
	s_movk_i32 s4, 0x7f
	v_cmp_gt_i16_sdwa s[6:7], v5, s4 src0_sel:BYTE_0 src1_sel:DWORD
	s_mov_b64 s[4:5], 0
                                        ; implicit-def: $sgpr10
	s_and_saveexec_b64 s[8:9], s[6:7]
	s_xor_b64 s[6:7], exec, s[8:9]
	s_cbranch_execz .LBB2_1509
; %bb.37349:
	s_getpc_b64 s[14:15]
.Lpost_getpc22258:
	s_add_u32 s14, s14, (.LBB2_15845-.Lpost_getpc22258)&4294967295
	s_addc_u32 s15, s15, (.LBB2_15845-.Lpost_getpc22258)>>32
	s_setpc_b64 s[14:15]
.LBB2_1509:
	s_or_saveexec_b64 s[6:7], s[6:7]
	v_mov_b32_e32 v3, s10
	s_xor_b64 exec, exec, s[6:7]
	s_cbranch_execz .LBB2_1510
; %bb.37351:
	s_getpc_b64 s[14:15]
.Lpost_getpc22259:
	s_add_u32 s14, s14, (.LBB2_15848-.Lpost_getpc22259)&4294967295
	s_addc_u32 s15, s15, (.LBB2_15848-.Lpost_getpc22259)>>32
	s_setpc_b64 s[14:15]
.LBB2_1510:
	s_or_b64 exec, exec, s[6:7]
	s_and_saveexec_b64 s[6:7], s[4:5]
	s_cbranch_execz .LBB2_1512
.LBB2_1511:
	v_mov_b32_e32 v3, 8
	v_and_b32_e32 v4, 7, v5
	v_lshrrev_b32_sdwa v3, v3, v5 dst_sel:BYTE_1 dst_unused:UNUSED_PAD src0_sel:DWORD src1_sel:DWORD
	v_ffbh_u32_e32 v6, v4
	v_or_b32_sdwa v3, v5, v3 dst_sel:DWORD dst_unused:UNUSED_PAD src0_sel:BYTE_0 src1_sel:DWORD
	v_min_u32_e32 v6, 32, v6
	v_lshrrev_b16_e32 v3, 3, v3
	v_subrev_u32_e32 v7, 28, v6
	v_and_b32_e32 v3, 15, v3
	v_lshlrev_b32_e32 v7, v7, v5
	v_sub_u32_e32 v6, 29, v6
	v_and_b32_e32 v7, 7, v7
	v_cmp_eq_u16_e32 vcc, 0, v3
	v_cndmask_b32_e32 v4, v4, v7, vcc
	v_cndmask_b32_e32 v3, v3, v6, vcc
	v_lshlrev_b32_e32 v6, 24, v5
	v_mov_b32_e32 v7, 0x3b800000
	v_lshlrev_b32_e32 v4, 20, v4
	v_and_b32_e32 v6, 0x80000000, v6
	v_lshl_add_u32 v3, v3, 23, v7
	v_or3_b32 v3, v6, v3, v4
.LBB2_1512:
	s_or_b64 exec, exec, s[6:7]
	s_nop 0
	v_mfma_f32_16x16x4f32 a[0:3], v2, v3, a[0:3]
	v_lshrrev_b32_e32 v3, 8, v9
	s_movk_i32 s4, 0x7f
	v_cmp_gt_i16_sdwa s[6:7], v3, s4 src0_sel:BYTE_0 src1_sel:DWORD
	s_mov_b64 s[4:5], 0
                                        ; implicit-def: $sgpr10
	s_and_saveexec_b64 s[8:9], s[6:7]
	s_xor_b64 s[6:7], exec, s[8:9]
	s_cbranch_execz .LBB2_1513
; %bb.37353:
	s_getpc_b64 s[14:15]
.Lpost_getpc22260:
	s_add_u32 s14, s14, (.LBB2_15849-.Lpost_getpc22260)&4294967295
	s_addc_u32 s15, s15, (.LBB2_15849-.Lpost_getpc22260)>>32
	s_setpc_b64 s[14:15]
.LBB2_1513:
	s_or_saveexec_b64 s[6:7], s[6:7]
	v_mov_b32_e32 v2, s10
	s_xor_b64 exec, exec, s[6:7]
	s_cbranch_execz .LBB2_1514
; %bb.37355:
	s_getpc_b64 s[14:15]
.Lpost_getpc22261:
	s_add_u32 s14, s14, (.LBB2_15852-.Lpost_getpc22261)&4294967295
	s_addc_u32 s15, s15, (.LBB2_15852-.Lpost_getpc22261)>>32
	s_setpc_b64 s[14:15]
.LBB2_1514:
	s_or_b64 exec, exec, s[6:7]
	s_and_saveexec_b64 s[6:7], s[4:5]
	s_cbranch_execz .LBB2_1516
.LBB2_1515:
	v_bfe_u32 v2, v9, 8, 3
	v_ffbh_u32_e32 v6, v2
	v_min_u32_e32 v6, 32, v6
	v_lshrrev_b16_e32 v4, 3, v3
	v_subrev_u32_e32 v7, 28, v6
	v_and_b32_e32 v4, 15, v4
	v_lshlrev_b32_e32 v3, v7, v3
	v_sub_u32_e32 v6, 29, v6
	v_and_b32_e32 v3, 7, v3
	v_cmp_eq_u16_e32 vcc, 0, v4
	v_cndmask_b32_e32 v2, v2, v3, vcc
	v_cndmask_b32_e32 v3, v4, v6, vcc
	v_lshlrev_b32_e32 v4, 16, v9
	v_mov_b32_e32 v6, 0x3b800000
	v_lshlrev_b32_e32 v2, 20, v2
	v_and_b32_e32 v4, 0x80000000, v4
	v_lshl_add_u32 v3, v3, 23, v6
	v_or3_b32 v2, v4, v3, v2
.LBB2_1516:
	s_or_b64 exec, exec, s[6:7]
	v_lshrrev_b32_e32 v3, 8, v5
	s_movk_i32 s4, 0x7f
	v_cmp_gt_i16_sdwa s[6:7], v3, s4 src0_sel:BYTE_0 src1_sel:DWORD
	s_mov_b64 s[4:5], 0
                                        ; implicit-def: $sgpr10
	s_and_saveexec_b64 s[8:9], s[6:7]
	s_xor_b64 s[6:7], exec, s[8:9]
	s_cbranch_execz .LBB2_1517
; %bb.37357:
	s_getpc_b64 s[14:15]
.Lpost_getpc22262:
	s_add_u32 s14, s14, (.LBB2_15853-.Lpost_getpc22262)&4294967295
	s_addc_u32 s15, s15, (.LBB2_15853-.Lpost_getpc22262)>>32
	s_setpc_b64 s[14:15]
.LBB2_1517:
	s_or_saveexec_b64 s[6:7], s[6:7]
	v_mov_b32_e32 v4, s10
	s_xor_b64 exec, exec, s[6:7]
	s_cbranch_execz .LBB2_1518
; %bb.37359:
	s_getpc_b64 s[14:15]
.Lpost_getpc22263:
	s_add_u32 s14, s14, (.LBB2_15856-.Lpost_getpc22263)&4294967295
	s_addc_u32 s15, s15, (.LBB2_15856-.Lpost_getpc22263)>>32
	s_setpc_b64 s[14:15]
.LBB2_1518:
	s_or_b64 exec, exec, s[6:7]
	s_and_saveexec_b64 s[6:7], s[4:5]
	s_cbranch_execz .LBB2_1520
.LBB2_1519:
	v_bfe_u32 v4, v5, 8, 3
	v_ffbh_u32_e32 v7, v4
	v_min_u32_e32 v7, 32, v7
	v_lshrrev_b16_e32 v6, 3, v3
	v_subrev_u32_e32 v8, 28, v7
	v_and_b32_e32 v6, 15, v6
	v_lshlrev_b32_e32 v3, v8, v3
	v_sub_u32_e32 v7, 29, v7
	v_and_b32_e32 v3, 7, v3
	v_cmp_eq_u16_e32 vcc, 0, v6
	v_cndmask_b32_e32 v3, v4, v3, vcc
	v_cndmask_b32_e32 v4, v6, v7, vcc
	v_lshlrev_b32_e32 v6, 16, v5
	v_mov_b32_e32 v7, 0x3b800000
	v_lshlrev_b32_e32 v3, 20, v3
	v_and_b32_e32 v6, 0x80000000, v6
	v_lshl_add_u32 v4, v4, 23, v7
	v_or3_b32 v4, v6, v4, v3
.LBB2_1520:
	s_or_b64 exec, exec, s[6:7]
	s_nop 0
	v_mfma_f32_16x16x4f32 a[0:3], v2, v4, a[0:3]
	s_movk_i32 s4, 0xff
	v_and_b32_sdwa v3, v9, s4 dst_sel:DWORD dst_unused:UNUSED_PAD src0_sel:WORD_1 src1_sel:DWORD
	s_movk_i32 s4, 0x7f
	v_cmp_lt_i16_e32 vcc, s4, v3
	s_mov_b64 s[4:5], 0
                                        ; implicit-def: $sgpr10
	s_and_saveexec_b64 s[6:7], vcc
	s_xor_b64 s[6:7], exec, s[6:7]
	s_cbranch_execz .LBB2_1521
; %bb.37361:
	s_getpc_b64 s[14:15]
.Lpost_getpc22264:
	s_add_u32 s14, s14, (.LBB2_15857-.Lpost_getpc22264)&4294967295
	s_addc_u32 s15, s15, (.LBB2_15857-.Lpost_getpc22264)>>32
	s_setpc_b64 s[14:15]
.LBB2_1521:
	s_or_saveexec_b64 s[6:7], s[6:7]
	v_mov_b32_e32 v2, s10
	s_xor_b64 exec, exec, s[6:7]
	s_cbranch_execz .LBB2_1522
; %bb.37363:
	s_getpc_b64 s[14:15]
.Lpost_getpc22265:
	s_add_u32 s14, s14, (.LBB2_15860-.Lpost_getpc22265)&4294967295
	s_addc_u32 s15, s15, (.LBB2_15860-.Lpost_getpc22265)>>32
	s_setpc_b64 s[14:15]
.LBB2_1522:
	s_or_b64 exec, exec, s[6:7]
	s_and_saveexec_b64 s[6:7], s[4:5]
	s_cbranch_execz .LBB2_1524
.LBB2_1523:
	v_bfe_u32 v2, v9, 16, 3
	v_ffbh_u32_e32 v6, v2
	v_min_u32_e32 v6, 32, v6
	v_lshrrev_b32_e32 v3, 19, v9
	v_subrev_u32_e32 v7, 28, v6
	v_and_b32_e32 v3, 15, v3
	v_lshlrev_b32_sdwa v7, v7, v9 dst_sel:DWORD dst_unused:UNUSED_PAD src0_sel:DWORD src1_sel:WORD_1
	v_bfe_u32 v4, v9, 19, 4
	v_sub_u32_e32 v6, 29, v6
	v_and_b32_e32 v7, 7, v7
	v_cmp_eq_u16_e32 vcc, 0, v3
	v_cndmask_b32_e32 v2, v2, v7, vcc
	v_cndmask_b32_e32 v3, v4, v6, vcc
	v_lshlrev_b32_e32 v4, 8, v9
	v_mov_b32_e32 v6, 0x3b800000
	v_lshlrev_b32_e32 v2, 20, v2
	v_and_b32_e32 v4, 0x80000000, v4
	v_lshl_add_u32 v3, v3, 23, v6
	v_or3_b32 v2, v4, v3, v2
.LBB2_1524:
	s_or_b64 exec, exec, s[6:7]
	s_movk_i32 s4, 0xff
	v_and_b32_sdwa v3, v5, s4 dst_sel:DWORD dst_unused:UNUSED_PAD src0_sel:WORD_1 src1_sel:DWORD
	s_movk_i32 s4, 0x7f
	v_cmp_lt_i16_e32 vcc, s4, v3
	s_mov_b64 s[4:5], 0
                                        ; implicit-def: $sgpr10
	s_and_saveexec_b64 s[6:7], vcc
	s_xor_b64 s[6:7], exec, s[6:7]
	s_cbranch_execz .LBB2_1525
; %bb.37365:
	s_getpc_b64 s[14:15]
.Lpost_getpc22266:
	s_add_u32 s14, s14, (.LBB2_15861-.Lpost_getpc22266)&4294967295
	s_addc_u32 s15, s15, (.LBB2_15861-.Lpost_getpc22266)>>32
	s_setpc_b64 s[14:15]
.LBB2_1525:
	s_or_saveexec_b64 s[6:7], s[6:7]
	v_mov_b32_e32 v4, s10
	s_xor_b64 exec, exec, s[6:7]
	s_cbranch_execz .LBB2_1526
; %bb.37367:
	s_getpc_b64 s[14:15]
.Lpost_getpc22267:
	s_add_u32 s14, s14, (.LBB2_15864-.Lpost_getpc22267)&4294967295
	s_addc_u32 s15, s15, (.LBB2_15864-.Lpost_getpc22267)>>32
	s_setpc_b64 s[14:15]
.LBB2_1526:
	s_or_b64 exec, exec, s[6:7]
	s_and_saveexec_b64 s[6:7], s[4:5]
	s_cbranch_execz .LBB2_1528
.LBB2_1527:
	v_bfe_u32 v3, v5, 16, 3
	v_ffbh_u32_e32 v7, v3
	v_min_u32_e32 v7, 32, v7
	v_lshrrev_b32_e32 v4, 19, v5
	v_subrev_u32_e32 v8, 28, v7
	v_and_b32_e32 v4, 15, v4
	v_lshlrev_b32_sdwa v8, v8, v5 dst_sel:DWORD dst_unused:UNUSED_PAD src0_sel:DWORD src1_sel:WORD_1
	v_bfe_u32 v6, v5, 19, 4
	v_sub_u32_e32 v7, 29, v7
	v_and_b32_e32 v8, 7, v8
	v_cmp_eq_u16_e32 vcc, 0, v4
	v_cndmask_b32_e32 v3, v3, v8, vcc
	v_cndmask_b32_e32 v4, v6, v7, vcc
	v_lshlrev_b32_e32 v6, 8, v5
	v_mov_b32_e32 v7, 0x3b800000
	v_lshlrev_b32_e32 v3, 20, v3
	v_and_b32_e32 v6, 0x80000000, v6
	v_lshl_add_u32 v4, v4, 23, v7
	v_or3_b32 v4, v6, v4, v3
.LBB2_1528:
	s_or_b64 exec, exec, s[6:7]
	s_nop 0
	v_mfma_f32_16x16x4f32 a[0:3], v2, v4, a[0:3]
	s_movk_i32 s4, 0x7f
	v_cmp_gt_i16_sdwa s[6:7], v9, s4 src0_sel:BYTE_3 src1_sel:DWORD
	s_mov_b64 s[4:5], 0
                                        ; implicit-def: $sgpr10
	s_and_saveexec_b64 s[8:9], s[6:7]
	s_xor_b64 s[6:7], exec, s[8:9]
	s_cbranch_execz .LBB2_1529
; %bb.37369:
	s_getpc_b64 s[14:15]
.Lpost_getpc22268:
	s_add_u32 s14, s14, (.LBB2_15865-.Lpost_getpc22268)&4294967295
	s_addc_u32 s15, s15, (.LBB2_15865-.Lpost_getpc22268)>>32
	s_setpc_b64 s[14:15]
.LBB2_1529:
	s_or_saveexec_b64 s[6:7], s[6:7]
	v_mov_b32_e32 v2, s10
	s_xor_b64 exec, exec, s[6:7]
	s_cbranch_execz .LBB2_1530
; %bb.37371:
	s_getpc_b64 s[14:15]
.Lpost_getpc22269:
	s_add_u32 s14, s14, (.LBB2_15868-.Lpost_getpc22269)&4294967295
	s_addc_u32 s15, s15, (.LBB2_15868-.Lpost_getpc22269)>>32
	s_setpc_b64 s[14:15]
.LBB2_1530:
	s_or_b64 exec, exec, s[6:7]
	s_and_saveexec_b64 s[6:7], s[4:5]
	s_cbranch_execz .LBB2_1532
.LBB2_1531:
	v_bfe_u32 v2, v9, 24, 3
	v_ffbh_u32_e32 v7, v2
	v_min_u32_e32 v7, 32, v7
	v_lshrrev_b32_e32 v4, 27, v9
	v_subrev_u32_e32 v8, 28, v7
	v_and_b32_e32 v4, 15, v4
	v_lshlrev_b32_sdwa v8, v8, v9 dst_sel:DWORD dst_unused:UNUSED_PAD src0_sel:DWORD src1_sel:BYTE_3
	v_bfe_u32 v6, v9, 27, 4
	v_sub_u32_e32 v7, 29, v7
	v_and_b32_e32 v8, 7, v8
	v_cmp_eq_u16_e32 vcc, 0, v4
	v_cndmask_b32_e32 v2, v2, v8, vcc
	v_cndmask_b32_e32 v4, v6, v7, vcc
	v_mov_b32_e32 v6, 0x3b800000
	v_and_b32_e32 v3, 0x80000000, v9
	v_lshlrev_b32_e32 v2, 20, v2
	v_lshl_add_u32 v4, v4, 23, v6
	v_or3_b32 v2, v3, v4, v2
.LBB2_1532:
	s_or_b64 exec, exec, s[6:7]
	s_movk_i32 s4, 0x7f
	v_cmp_gt_i16_sdwa s[6:7], v5, s4 src0_sel:BYTE_3 src1_sel:DWORD
	s_mov_b64 s[4:5], 0
                                        ; implicit-def: $sgpr10
	s_and_saveexec_b64 s[8:9], s[6:7]
	s_xor_b64 s[6:7], exec, s[8:9]
	s_cbranch_execz .LBB2_1533
; %bb.37373:
	s_getpc_b64 s[14:15]
.Lpost_getpc22270:
	s_add_u32 s14, s14, (.LBB2_15869-.Lpost_getpc22270)&4294967295
	s_addc_u32 s15, s15, (.LBB2_15869-.Lpost_getpc22270)>>32
	s_setpc_b64 s[14:15]
.LBB2_1533:
	s_or_saveexec_b64 s[6:7], s[6:7]
	v_mov_b32_e32 v3, s10
	s_xor_b64 exec, exec, s[6:7]
	s_cbranch_execz .LBB2_1534
; %bb.37375:
	s_getpc_b64 s[14:15]
.Lpost_getpc22271:
	s_add_u32 s14, s14, (.LBB2_15872-.Lpost_getpc22271)&4294967295
	s_addc_u32 s15, s15, (.LBB2_15872-.Lpost_getpc22271)>>32
	s_setpc_b64 s[14:15]
.LBB2_1534:
	s_or_b64 exec, exec, s[6:7]
	s_and_saveexec_b64 s[6:7], s[4:5]
	s_cbranch_execz .LBB2_1536
.LBB2_1535:
	v_bfe_u32 v3, v5, 24, 3
	v_ffbh_u32_e32 v8, v3
	v_min_u32_e32 v8, 32, v8
	v_lshrrev_b32_e32 v6, 27, v5
	v_subrev_u32_e32 v9, 28, v8
	v_and_b32_e32 v4, 0x80000000, v5
	v_and_b32_e32 v6, 15, v6
	v_bfe_u32 v7, v5, 27, 4
	v_lshlrev_b32_sdwa v5, v9, v5 dst_sel:DWORD dst_unused:UNUSED_PAD src0_sel:DWORD src1_sel:BYTE_3
	v_sub_u32_e32 v8, 29, v8
	v_and_b32_e32 v5, 7, v5
	v_cmp_eq_u16_e32 vcc, 0, v6
	v_cndmask_b32_e32 v3, v3, v5, vcc
	v_cndmask_b32_e32 v5, v7, v8, vcc
	v_mov_b32_e32 v6, 0x3b800000
	v_lshlrev_b32_e32 v3, 20, v3
	v_lshl_add_u32 v5, v5, 23, v6
	v_or3_b32 v3, v4, v5, v3
.LBB2_1536:
	s_or_b64 exec, exec, s[6:7]
	s_nop 0
	v_mfma_f32_16x16x4f32 a[0:3], v2, v3, a[0:3]
	s_movk_i32 s4, 0x7f
                                        ; implicit-def: $sgpr10
	s_nop 7
	s_nop 1
	flat_store_dwordx4 v[10:11], a[0:3] offset:176
	flat_load_dwordx4 v[12:15], v[0:1]
	s_nop 0
	flat_load_dwordx2 v[10:11], v[0:1] offset:16
	s_waitcnt vmcnt(0) lgkmcnt(0)
	flat_load_dwordx4 v[6:9], v[12:13] offset:16
	flat_load_dwordx4 v[2:5], v[14:15] offset:64
	s_waitcnt vmcnt(0) lgkmcnt(0)
	v_cmp_gt_i16_sdwa s[6:7], v6, s4 src0_sel:BYTE_0 src1_sel:DWORD
	s_mov_b64 s[4:5], 0
	s_and_saveexec_b64 s[8:9], s[6:7]
	s_xor_b64 s[6:7], exec, s[8:9]
	s_cbranch_execz .LBB2_1537
; %bb.37377:
	s_getpc_b64 s[14:15]
.Lpost_getpc22272:
	s_add_u32 s14, s14, (.LBB2_15873-.Lpost_getpc22272)&4294967295
	s_addc_u32 s15, s15, (.LBB2_15873-.Lpost_getpc22272)>>32
	s_setpc_b64 s[14:15]
.LBB2_1537:
	s_or_saveexec_b64 s[6:7], s[6:7]
	v_mov_b32_e32 v12, s10
	s_xor_b64 exec, exec, s[6:7]
	s_cbranch_execz .LBB2_1538
; %bb.37379:
	s_getpc_b64 s[14:15]
.Lpost_getpc22273:
	s_add_u32 s14, s14, (.LBB2_15876-.Lpost_getpc22273)&4294967295
	s_addc_u32 s15, s15, (.LBB2_15876-.Lpost_getpc22273)>>32
	s_setpc_b64 s[14:15]
.LBB2_1538:
	s_or_b64 exec, exec, s[6:7]
	s_and_saveexec_b64 s[6:7], s[4:5]
	s_cbranch_execz .LBB2_1540
.LBB2_1539:
	v_and_b32_e32 v12, 7, v6
	v_ffbh_u32_e32 v14, v12
	v_min_u32_e32 v14, 32, v14
	v_lshrrev_b16_e32 v13, 3, v6
	v_subrev_u32_e32 v15, 28, v14
	v_and_b32_e32 v13, 15, v13
	v_lshlrev_b32_e32 v15, v15, v6
	v_sub_u32_e32 v14, 29, v14
	v_and_b32_e32 v15, 7, v15
	v_cmp_eq_u16_e32 vcc, 0, v13
	v_cndmask_b32_e32 v12, v12, v15, vcc
	v_cndmask_b32_e32 v13, v13, v14, vcc
	v_lshlrev_b32_e32 v14, 24, v6
	v_mov_b32_e32 v15, 0x3b800000
	v_lshlrev_b32_e32 v12, 20, v12
	v_and_b32_e32 v14, 0x80000000, v14
	v_lshl_add_u32 v13, v13, 23, v15
	v_or3_b32 v12, v14, v13, v12
.LBB2_1540:
	s_or_b64 exec, exec, s[6:7]
	s_movk_i32 s4, 0x7f
	v_cmp_gt_i16_sdwa s[6:7], v2, s4 src0_sel:BYTE_0 src1_sel:DWORD
	s_mov_b64 s[4:5], 0
                                        ; implicit-def: $sgpr10
	s_and_saveexec_b64 s[8:9], s[6:7]
	s_xor_b64 s[6:7], exec, s[8:9]
	s_cbranch_execz .LBB2_1541
; %bb.37381:
	s_getpc_b64 s[14:15]
.Lpost_getpc22274:
	s_add_u32 s14, s14, (.LBB2_15877-.Lpost_getpc22274)&4294967295
	s_addc_u32 s15, s15, (.LBB2_15877-.Lpost_getpc22274)>>32
	s_setpc_b64 s[14:15]
.LBB2_1541:
	s_or_saveexec_b64 s[6:7], s[6:7]
	v_mov_b32_e32 v13, s10
	s_xor_b64 exec, exec, s[6:7]
	s_cbranch_execz .LBB2_1542
; %bb.37383:
	s_getpc_b64 s[14:15]
.Lpost_getpc22275:
	s_add_u32 s14, s14, (.LBB2_15880-.Lpost_getpc22275)&4294967295
	s_addc_u32 s15, s15, (.LBB2_15880-.Lpost_getpc22275)>>32
	s_setpc_b64 s[14:15]
.LBB2_1542:
	s_or_b64 exec, exec, s[6:7]
	s_and_saveexec_b64 s[6:7], s[4:5]
	s_cbranch_execz .LBB2_1544
.LBB2_1543:
	v_and_b32_e32 v13, 7, v2
	v_ffbh_u32_e32 v15, v13
	v_min_u32_e32 v15, 32, v15
	v_lshrrev_b16_e32 v14, 3, v2
	v_subrev_u32_e32 v16, 28, v15
	v_and_b32_e32 v14, 15, v14
	v_lshlrev_b32_e32 v16, v16, v2
	v_sub_u32_e32 v15, 29, v15
	v_and_b32_e32 v16, 7, v16
	v_cmp_eq_u16_e32 vcc, 0, v14
	v_cndmask_b32_e32 v13, v13, v16, vcc
	v_cndmask_b32_e32 v14, v14, v15, vcc
	v_lshlrev_b32_e32 v15, 24, v2
	v_mov_b32_e32 v16, 0x3b800000
	v_lshlrev_b32_e32 v13, 20, v13
	v_and_b32_e32 v15, 0x80000000, v15
	v_lshl_add_u32 v14, v14, 23, v16
	v_or3_b32 v13, v15, v14, v13
.LBB2_1544:
	s_or_b64 exec, exec, s[6:7]
	flat_load_dwordx4 a[0:3], v[10:11] offset:192
	s_movk_i32 s4, 0x7f
                                        ; implicit-def: $sgpr10
	s_waitcnt vmcnt(0) lgkmcnt(0)
	v_mfma_f32_16x16x4f32 a[0:3], v12, v13, a[0:3]
	v_lshrrev_b32_e32 v13, 8, v6
	v_cmp_gt_i16_sdwa s[6:7], v13, s4 src0_sel:BYTE_0 src1_sel:DWORD
	s_mov_b64 s[4:5], 0
	s_and_saveexec_b64 s[8:9], s[6:7]
	s_xor_b64 s[6:7], exec, s[8:9]
	s_cbranch_execz .LBB2_1545
; %bb.37385:
	s_getpc_b64 s[14:15]
.Lpost_getpc22276:
	s_add_u32 s14, s14, (.LBB2_15881-.Lpost_getpc22276)&4294967295
	s_addc_u32 s15, s15, (.LBB2_15881-.Lpost_getpc22276)>>32
	s_setpc_b64 s[14:15]
.LBB2_1545:
	s_or_saveexec_b64 s[6:7], s[6:7]
	v_mov_b32_e32 v12, s10
	s_xor_b64 exec, exec, s[6:7]
	s_cbranch_execz .LBB2_1546
; %bb.37387:
	s_getpc_b64 s[14:15]
.Lpost_getpc22277:
	s_add_u32 s14, s14, (.LBB2_15884-.Lpost_getpc22277)&4294967295
	s_addc_u32 s15, s15, (.LBB2_15884-.Lpost_getpc22277)>>32
	s_setpc_b64 s[14:15]
.LBB2_1546:
	s_or_b64 exec, exec, s[6:7]
	s_and_saveexec_b64 s[6:7], s[4:5]
	s_cbranch_execz .LBB2_1548
.LBB2_1547:
	v_bfe_u32 v12, v6, 8, 3
	v_ffbh_u32_e32 v15, v12
	v_min_u32_e32 v15, 32, v15
	v_lshrrev_b16_e32 v14, 3, v13
	v_subrev_u32_e32 v16, 28, v15
	v_and_b32_e32 v14, 15, v14
	v_lshlrev_b32_e32 v13, v16, v13
	v_sub_u32_e32 v15, 29, v15
	v_and_b32_e32 v13, 7, v13
	v_cmp_eq_u16_e32 vcc, 0, v14
	v_cndmask_b32_e32 v12, v12, v13, vcc
	v_cndmask_b32_e32 v13, v14, v15, vcc
	v_lshlrev_b32_e32 v14, 16, v6
	v_mov_b32_e32 v15, 0x3b800000
	v_lshlrev_b32_e32 v12, 20, v12
	v_and_b32_e32 v14, 0x80000000, v14
	v_lshl_add_u32 v13, v13, 23, v15
	v_or3_b32 v12, v14, v13, v12
.LBB2_1548:
	s_or_b64 exec, exec, s[6:7]
	v_lshrrev_b32_e32 v13, 8, v2
	s_movk_i32 s4, 0x7f
	v_cmp_gt_i16_sdwa s[6:7], v13, s4 src0_sel:BYTE_0 src1_sel:DWORD
	s_mov_b64 s[4:5], 0
                                        ; implicit-def: $sgpr10
	s_and_saveexec_b64 s[8:9], s[6:7]
	s_xor_b64 s[6:7], exec, s[8:9]
	s_cbranch_execz .LBB2_1549
; %bb.37389:
	s_getpc_b64 s[14:15]
.Lpost_getpc22278:
	s_add_u32 s14, s14, (.LBB2_15885-.Lpost_getpc22278)&4294967295
	s_addc_u32 s15, s15, (.LBB2_15885-.Lpost_getpc22278)>>32
	s_setpc_b64 s[14:15]
.LBB2_1549:
	s_or_saveexec_b64 s[6:7], s[6:7]
	v_mov_b32_e32 v14, s10
	s_xor_b64 exec, exec, s[6:7]
	s_cbranch_execz .LBB2_1550
; %bb.37391:
	s_getpc_b64 s[14:15]
.Lpost_getpc22279:
	s_add_u32 s14, s14, (.LBB2_15888-.Lpost_getpc22279)&4294967295
	s_addc_u32 s15, s15, (.LBB2_15888-.Lpost_getpc22279)>>32
	s_setpc_b64 s[14:15]
.LBB2_1550:
	s_or_b64 exec, exec, s[6:7]
	s_and_saveexec_b64 s[6:7], s[4:5]
	s_cbranch_execz .LBB2_1552
.LBB2_1551:
	v_bfe_u32 v14, v2, 8, 3
	v_ffbh_u32_e32 v16, v14
	v_min_u32_e32 v16, 32, v16
	v_lshrrev_b16_e32 v15, 3, v13
	v_subrev_u32_e32 v17, 28, v16
	v_and_b32_e32 v15, 15, v15
	v_lshlrev_b32_e32 v13, v17, v13
	v_sub_u32_e32 v16, 29, v16
	v_and_b32_e32 v13, 7, v13
	v_cmp_eq_u16_e32 vcc, 0, v15
	v_cndmask_b32_e32 v13, v14, v13, vcc
	v_cndmask_b32_e32 v14, v15, v16, vcc
	v_lshlrev_b32_e32 v15, 16, v2
	v_mov_b32_e32 v16, 0x3b800000
	v_lshlrev_b32_e32 v13, 20, v13
	v_and_b32_e32 v15, 0x80000000, v15
	v_lshl_add_u32 v14, v14, 23, v16
	v_or3_b32 v14, v15, v14, v13
.LBB2_1552:
	s_or_b64 exec, exec, s[6:7]
	s_nop 0
	v_mfma_f32_16x16x4f32 a[0:3], v12, v14, a[0:3]
	s_movk_i32 s4, 0xff
	v_and_b32_sdwa v13, v6, s4 dst_sel:DWORD dst_unused:UNUSED_PAD src0_sel:WORD_1 src1_sel:DWORD
	s_movk_i32 s4, 0x7f
	v_cmp_lt_i16_e32 vcc, s4, v13
	s_mov_b64 s[4:5], 0
                                        ; implicit-def: $sgpr10
	s_and_saveexec_b64 s[6:7], vcc
	s_xor_b64 s[6:7], exec, s[6:7]
	s_cbranch_execz .LBB2_1553
; %bb.37393:
	s_getpc_b64 s[14:15]
.Lpost_getpc22280:
	s_add_u32 s14, s14, (.LBB2_15889-.Lpost_getpc22280)&4294967295
	s_addc_u32 s15, s15, (.LBB2_15889-.Lpost_getpc22280)>>32
	s_setpc_b64 s[14:15]
.LBB2_1553:
	s_or_saveexec_b64 s[6:7], s[6:7]
	v_mov_b32_e32 v12, s10
	s_xor_b64 exec, exec, s[6:7]
	s_cbranch_execz .LBB2_1554
; %bb.37395:
	s_getpc_b64 s[14:15]
.Lpost_getpc22281:
	s_add_u32 s14, s14, (.LBB2_15892-.Lpost_getpc22281)&4294967295
	s_addc_u32 s15, s15, (.LBB2_15892-.Lpost_getpc22281)>>32
	s_setpc_b64 s[14:15]
.LBB2_1554:
	s_or_b64 exec, exec, s[6:7]
	s_and_saveexec_b64 s[6:7], s[4:5]
	s_cbranch_execz .LBB2_1556
.LBB2_1555:
	v_bfe_u32 v12, v6, 16, 3
	v_ffbh_u32_e32 v15, v12
	v_min_u32_e32 v15, 32, v15
	v_lshrrev_b32_e32 v13, 19, v6
	v_subrev_u32_e32 v16, 28, v15
	v_and_b32_e32 v13, 15, v13
	v_lshlrev_b32_sdwa v16, v16, v6 dst_sel:DWORD dst_unused:UNUSED_PAD src0_sel:DWORD src1_sel:WORD_1
	v_bfe_u32 v14, v6, 19, 4
	v_sub_u32_e32 v15, 29, v15
	v_and_b32_e32 v16, 7, v16
	v_cmp_eq_u16_e32 vcc, 0, v13
	v_cndmask_b32_e32 v12, v12, v16, vcc
	v_cndmask_b32_e32 v13, v14, v15, vcc
	v_lshlrev_b32_e32 v14, 8, v6
	v_mov_b32_e32 v15, 0x3b800000
	v_lshlrev_b32_e32 v12, 20, v12
	v_and_b32_e32 v14, 0x80000000, v14
	v_lshl_add_u32 v13, v13, 23, v15
	v_or3_b32 v12, v14, v13, v12
.LBB2_1556:
	s_or_b64 exec, exec, s[6:7]
	s_movk_i32 s4, 0xff
	v_and_b32_sdwa v13, v2, s4 dst_sel:DWORD dst_unused:UNUSED_PAD src0_sel:WORD_1 src1_sel:DWORD
	s_movk_i32 s4, 0x7f
	v_cmp_lt_i16_e32 vcc, s4, v13
	s_mov_b64 s[4:5], 0
                                        ; implicit-def: $sgpr10
	s_and_saveexec_b64 s[6:7], vcc
	s_xor_b64 s[6:7], exec, s[6:7]
	s_cbranch_execz .LBB2_1557
; %bb.37397:
	s_getpc_b64 s[14:15]
.Lpost_getpc22282:
	s_add_u32 s14, s14, (.LBB2_15893-.Lpost_getpc22282)&4294967295
	s_addc_u32 s15, s15, (.LBB2_15893-.Lpost_getpc22282)>>32
	s_setpc_b64 s[14:15]
.LBB2_1557:
	s_or_saveexec_b64 s[6:7], s[6:7]
	v_mov_b32_e32 v14, s10
	s_xor_b64 exec, exec, s[6:7]
	s_cbranch_execz .LBB2_1558
; %bb.37399:
	s_getpc_b64 s[14:15]
.Lpost_getpc22283:
	s_add_u32 s14, s14, (.LBB2_15896-.Lpost_getpc22283)&4294967295
	s_addc_u32 s15, s15, (.LBB2_15896-.Lpost_getpc22283)>>32
	s_setpc_b64 s[14:15]
.LBB2_1558:
	s_or_b64 exec, exec, s[6:7]
	s_and_saveexec_b64 s[6:7], s[4:5]
	s_cbranch_execz .LBB2_1560
.LBB2_1559:
	v_bfe_u32 v13, v2, 16, 3
	v_ffbh_u32_e32 v16, v13
	v_min_u32_e32 v16, 32, v16
	v_lshrrev_b32_e32 v14, 19, v2
	v_subrev_u32_e32 v17, 28, v16
	v_and_b32_e32 v14, 15, v14
	v_lshlrev_b32_sdwa v17, v17, v2 dst_sel:DWORD dst_unused:UNUSED_PAD src0_sel:DWORD src1_sel:WORD_1
	v_bfe_u32 v15, v2, 19, 4
	v_sub_u32_e32 v16, 29, v16
	v_and_b32_e32 v17, 7, v17
	v_cmp_eq_u16_e32 vcc, 0, v14
	v_cndmask_b32_e32 v13, v13, v17, vcc
	v_cndmask_b32_e32 v14, v15, v16, vcc
	v_lshlrev_b32_e32 v15, 8, v2
	v_mov_b32_e32 v16, 0x3b800000
	v_lshlrev_b32_e32 v13, 20, v13
	v_and_b32_e32 v15, 0x80000000, v15
	v_lshl_add_u32 v14, v14, 23, v16
	v_or3_b32 v14, v15, v14, v13
.LBB2_1560:
	s_or_b64 exec, exec, s[6:7]
	s_nop 0
	v_mfma_f32_16x16x4f32 a[0:3], v12, v14, a[0:3]
	s_movk_i32 s4, 0x7f
	v_cmp_gt_i16_sdwa s[6:7], v6, s4 src0_sel:BYTE_3 src1_sel:DWORD
	s_mov_b64 s[4:5], 0
                                        ; implicit-def: $sgpr10
	s_and_saveexec_b64 s[8:9], s[6:7]
	s_xor_b64 s[6:7], exec, s[8:9]
	s_cbranch_execz .LBB2_1561
; %bb.37401:
	s_getpc_b64 s[14:15]
.Lpost_getpc22284:
	s_add_u32 s14, s14, (.LBB2_15897-.Lpost_getpc22284)&4294967295
	s_addc_u32 s15, s15, (.LBB2_15897-.Lpost_getpc22284)>>32
	s_setpc_b64 s[14:15]
.LBB2_1561:
	s_or_saveexec_b64 s[6:7], s[6:7]
	v_mov_b32_e32 v12, s10
	s_xor_b64 exec, exec, s[6:7]
	s_cbranch_execz .LBB2_1562
; %bb.37403:
	s_getpc_b64 s[14:15]
.Lpost_getpc22285:
	s_add_u32 s14, s14, (.LBB2_15900-.Lpost_getpc22285)&4294967295
	s_addc_u32 s15, s15, (.LBB2_15900-.Lpost_getpc22285)>>32
	s_setpc_b64 s[14:15]
.LBB2_1562:
	s_or_b64 exec, exec, s[6:7]
	s_and_saveexec_b64 s[6:7], s[4:5]
	s_cbranch_execz .LBB2_1564
.LBB2_1563:
	v_bfe_u32 v12, v6, 24, 3
	v_ffbh_u32_e32 v16, v12
	v_min_u32_e32 v16, 32, v16
	v_lshrrev_b32_e32 v14, 27, v6
	v_subrev_u32_e32 v17, 28, v16
	v_and_b32_e32 v13, 0x80000000, v6
	v_and_b32_e32 v14, 15, v14
	v_bfe_u32 v15, v6, 27, 4
	v_lshlrev_b32_sdwa v6, v17, v6 dst_sel:DWORD dst_unused:UNUSED_PAD src0_sel:DWORD src1_sel:BYTE_3
	v_sub_u32_e32 v16, 29, v16
	v_and_b32_e32 v6, 7, v6
	v_cmp_eq_u16_e32 vcc, 0, v14
	v_cndmask_b32_e32 v6, v12, v6, vcc
	v_cndmask_b32_e32 v12, v15, v16, vcc
	v_mov_b32_e32 v14, 0x3b800000
	v_lshlrev_b32_e32 v6, 20, v6
	v_lshl_add_u32 v12, v12, 23, v14
	v_or3_b32 v12, v13, v12, v6
.LBB2_1564:
	s_or_b64 exec, exec, s[6:7]
	s_movk_i32 s4, 0x7f
	v_cmp_gt_i16_sdwa s[6:7], v2, s4 src0_sel:BYTE_3 src1_sel:DWORD
	s_mov_b64 s[4:5], 0
                                        ; implicit-def: $sgpr10
	s_and_saveexec_b64 s[8:9], s[6:7]
	s_xor_b64 s[6:7], exec, s[8:9]
	s_cbranch_execz .LBB2_1565
; %bb.37405:
	s_getpc_b64 s[14:15]
.Lpost_getpc22286:
	s_add_u32 s14, s14, (.LBB2_15901-.Lpost_getpc22286)&4294967295
	s_addc_u32 s15, s15, (.LBB2_15901-.Lpost_getpc22286)>>32
	s_setpc_b64 s[14:15]
.LBB2_1565:
	s_or_saveexec_b64 s[6:7], s[6:7]
	v_mov_b32_e32 v6, s10
	s_xor_b64 exec, exec, s[6:7]
	s_cbranch_execz .LBB2_1566
; %bb.37407:
	s_getpc_b64 s[14:15]
.Lpost_getpc22287:
	s_add_u32 s14, s14, (.LBB2_15904-.Lpost_getpc22287)&4294967295
	s_addc_u32 s15, s15, (.LBB2_15904-.Lpost_getpc22287)>>32
	s_setpc_b64 s[14:15]
.LBB2_1566:
	s_or_b64 exec, exec, s[6:7]
	s_and_saveexec_b64 s[6:7], s[4:5]
	s_cbranch_execz .LBB2_1568
.LBB2_1567:
	v_bfe_u32 v6, v2, 24, 3
	v_ffbh_u32_e32 v16, v6
	v_min_u32_e32 v16, 32, v16
	v_lshrrev_b32_e32 v14, 27, v2
	v_subrev_u32_e32 v17, 28, v16
	v_and_b32_e32 v13, 0x80000000, v2
	v_and_b32_e32 v14, 15, v14
	v_bfe_u32 v15, v2, 27, 4
	v_lshlrev_b32_sdwa v2, v17, v2 dst_sel:DWORD dst_unused:UNUSED_PAD src0_sel:DWORD src1_sel:BYTE_3
	v_sub_u32_e32 v16, 29, v16
	v_and_b32_e32 v2, 7, v2
	v_cmp_eq_u16_e32 vcc, 0, v14
	v_cndmask_b32_e32 v2, v6, v2, vcc
	v_cndmask_b32_e32 v6, v15, v16, vcc
	v_mov_b32_e32 v14, 0x3b800000
	v_lshlrev_b32_e32 v2, 20, v2
	v_lshl_add_u32 v6, v6, 23, v14
	v_or3_b32 v6, v13, v6, v2
.LBB2_1568:
	s_or_b64 exec, exec, s[6:7]
	s_nop 0
	v_mfma_f32_16x16x4f32 a[0:3], v12, v6, a[0:3]
	s_movk_i32 s4, 0x7f
	v_cmp_gt_i16_sdwa s[6:7], v7, s4 src0_sel:BYTE_0 src1_sel:DWORD
	s_mov_b64 s[4:5], 0
                                        ; implicit-def: $sgpr10
	s_and_saveexec_b64 s[8:9], s[6:7]
	s_xor_b64 s[6:7], exec, s[8:9]
	s_cbranch_execz .LBB2_1569
; %bb.37409:
	s_getpc_b64 s[14:15]
.Lpost_getpc22288:
	s_add_u32 s14, s14, (.LBB2_15905-.Lpost_getpc22288)&4294967295
	s_addc_u32 s15, s15, (.LBB2_15905-.Lpost_getpc22288)>>32
	s_setpc_b64 s[14:15]
.LBB2_1569:
	s_or_saveexec_b64 s[6:7], s[6:7]
	v_mov_b32_e32 v2, s10
	s_xor_b64 exec, exec, s[6:7]
	s_cbranch_execz .LBB2_1570
; %bb.37411:
	s_getpc_b64 s[14:15]
.Lpost_getpc22289:
	s_add_u32 s14, s14, (.LBB2_15908-.Lpost_getpc22289)&4294967295
	s_addc_u32 s15, s15, (.LBB2_15908-.Lpost_getpc22289)>>32
	s_setpc_b64 s[14:15]
.LBB2_1570:
	s_or_b64 exec, exec, s[6:7]
	s_and_saveexec_b64 s[6:7], s[4:5]
	s_cbranch_execz .LBB2_1572
.LBB2_1571:
	v_and_b32_e32 v2, 7, v7
	v_ffbh_u32_e32 v12, v2
	v_min_u32_e32 v12, 32, v12
	v_lshrrev_b16_e32 v6, 3, v7
	v_subrev_u32_e32 v13, 28, v12
	v_and_b32_e32 v6, 15, v6
	v_lshlrev_b32_e32 v13, v13, v7
	v_sub_u32_e32 v12, 29, v12
	v_and_b32_e32 v13, 7, v13
	v_cmp_eq_u16_e32 vcc, 0, v6
	v_cndmask_b32_e32 v2, v2, v13, vcc
	v_cndmask_b32_e32 v6, v6, v12, vcc
	v_lshlrev_b32_e32 v12, 24, v7
	v_mov_b32_e32 v13, 0x3b800000
	v_lshlrev_b32_e32 v2, 20, v2
	v_and_b32_e32 v12, 0x80000000, v12
	v_lshl_add_u32 v6, v6, 23, v13
	v_or3_b32 v2, v12, v6, v2
.LBB2_1572:
	s_or_b64 exec, exec, s[6:7]
	s_movk_i32 s4, 0x7f
	v_cmp_gt_i16_sdwa s[6:7], v3, s4 src0_sel:BYTE_0 src1_sel:DWORD
	s_mov_b64 s[4:5], 0
                                        ; implicit-def: $sgpr10
	s_and_saveexec_b64 s[8:9], s[6:7]
	s_xor_b64 s[6:7], exec, s[8:9]
	s_cbranch_execz .LBB2_1573
; %bb.37413:
	s_getpc_b64 s[14:15]
.Lpost_getpc22290:
	s_add_u32 s14, s14, (.LBB2_15909-.Lpost_getpc22290)&4294967295
	s_addc_u32 s15, s15, (.LBB2_15909-.Lpost_getpc22290)>>32
	s_setpc_b64 s[14:15]
.LBB2_1573:
	s_or_saveexec_b64 s[6:7], s[6:7]
	v_mov_b32_e32 v6, s10
	s_xor_b64 exec, exec, s[6:7]
	s_cbranch_execz .LBB2_1574
; %bb.37415:
	s_getpc_b64 s[14:15]
.Lpost_getpc22291:
	s_add_u32 s14, s14, (.LBB2_15912-.Lpost_getpc22291)&4294967295
	s_addc_u32 s15, s15, (.LBB2_15912-.Lpost_getpc22291)>>32
	s_setpc_b64 s[14:15]
.LBB2_1574:
	s_or_b64 exec, exec, s[6:7]
	s_and_saveexec_b64 s[6:7], s[4:5]
	s_cbranch_execz .LBB2_1576
.LBB2_1575:
	v_and_b32_e32 v6, 7, v3
	v_ffbh_u32_e32 v13, v6
	v_min_u32_e32 v13, 32, v13
	v_lshrrev_b16_e32 v12, 3, v3
	v_subrev_u32_e32 v14, 28, v13
	v_and_b32_e32 v12, 15, v12
	v_lshlrev_b32_e32 v14, v14, v3
	v_sub_u32_e32 v13, 29, v13
	v_and_b32_e32 v14, 7, v14
	v_cmp_eq_u16_e32 vcc, 0, v12
	v_cndmask_b32_e32 v6, v6, v14, vcc
	v_cndmask_b32_e32 v12, v12, v13, vcc
	v_lshlrev_b32_e32 v13, 24, v3
	v_mov_b32_e32 v14, 0x3b800000
	v_lshlrev_b32_e32 v6, 20, v6
	v_and_b32_e32 v13, 0x80000000, v13
	v_lshl_add_u32 v12, v12, 23, v14
	v_or3_b32 v6, v13, v12, v6
.LBB2_1576:
	s_or_b64 exec, exec, s[6:7]
	s_nop 0
	v_mfma_f32_16x16x4f32 a[0:3], v2, v6, a[0:3]
	v_lshrrev_b32_e32 v6, 8, v7
	s_movk_i32 s4, 0x7f
	v_cmp_gt_i16_sdwa s[6:7], v6, s4 src0_sel:BYTE_0 src1_sel:DWORD
	s_mov_b64 s[4:5], 0
                                        ; implicit-def: $sgpr10
	s_and_saveexec_b64 s[8:9], s[6:7]
	s_xor_b64 s[6:7], exec, s[8:9]
	s_cbranch_execz .LBB2_1577
; %bb.37417:
	s_getpc_b64 s[14:15]
.Lpost_getpc22292:
	s_add_u32 s14, s14, (.LBB2_15913-.Lpost_getpc22292)&4294967295
	s_addc_u32 s15, s15, (.LBB2_15913-.Lpost_getpc22292)>>32
	s_setpc_b64 s[14:15]
.LBB2_1577:
	s_or_saveexec_b64 s[6:7], s[6:7]
	v_mov_b32_e32 v2, s10
	s_xor_b64 exec, exec, s[6:7]
	s_cbranch_execz .LBB2_1578
; %bb.37419:
	s_getpc_b64 s[14:15]
.Lpost_getpc22293:
	s_add_u32 s14, s14, (.LBB2_15916-.Lpost_getpc22293)&4294967295
	s_addc_u32 s15, s15, (.LBB2_15916-.Lpost_getpc22293)>>32
	s_setpc_b64 s[14:15]
.LBB2_1578:
	s_or_b64 exec, exec, s[6:7]
	s_and_saveexec_b64 s[6:7], s[4:5]
	s_cbranch_execz .LBB2_1580
.LBB2_1579:
	v_bfe_u32 v2, v7, 8, 3
	v_ffbh_u32_e32 v13, v2
	v_min_u32_e32 v13, 32, v13
	v_lshrrev_b16_e32 v12, 3, v6
	v_subrev_u32_e32 v14, 28, v13
	v_and_b32_e32 v12, 15, v12
	v_lshlrev_b32_e32 v6, v14, v6
	v_sub_u32_e32 v13, 29, v13
	v_and_b32_e32 v6, 7, v6
	v_cmp_eq_u16_e32 vcc, 0, v12
	v_cndmask_b32_e32 v2, v2, v6, vcc
	v_cndmask_b32_e32 v6, v12, v13, vcc
	v_lshlrev_b32_e32 v12, 16, v7
	v_mov_b32_e32 v13, 0x3b800000
	v_lshlrev_b32_e32 v2, 20, v2
	v_and_b32_e32 v12, 0x80000000, v12
	v_lshl_add_u32 v6, v6, 23, v13
	v_or3_b32 v2, v12, v6, v2
.LBB2_1580:
	s_or_b64 exec, exec, s[6:7]
	v_lshrrev_b32_e32 v6, 8, v3
	s_movk_i32 s4, 0x7f
	v_cmp_gt_i16_sdwa s[6:7], v6, s4 src0_sel:BYTE_0 src1_sel:DWORD
	s_mov_b64 s[4:5], 0
                                        ; implicit-def: $sgpr10
	s_and_saveexec_b64 s[8:9], s[6:7]
	s_xor_b64 s[6:7], exec, s[8:9]
	s_cbranch_execz .LBB2_1581
; %bb.37421:
	s_getpc_b64 s[14:15]
.Lpost_getpc22294:
	s_add_u32 s14, s14, (.LBB2_15917-.Lpost_getpc22294)&4294967295
	s_addc_u32 s15, s15, (.LBB2_15917-.Lpost_getpc22294)>>32
	s_setpc_b64 s[14:15]
.LBB2_1581:
	s_or_saveexec_b64 s[6:7], s[6:7]
	v_mov_b32_e32 v12, s10
	s_xor_b64 exec, exec, s[6:7]
	s_cbranch_execz .LBB2_1582
; %bb.37423:
	s_getpc_b64 s[14:15]
.Lpost_getpc22295:
	s_add_u32 s14, s14, (.LBB2_15920-.Lpost_getpc22295)&4294967295
	s_addc_u32 s15, s15, (.LBB2_15920-.Lpost_getpc22295)>>32
	s_setpc_b64 s[14:15]
.LBB2_1582:
	s_or_b64 exec, exec, s[6:7]
	s_and_saveexec_b64 s[6:7], s[4:5]
	s_cbranch_execz .LBB2_1584
.LBB2_1583:
	v_bfe_u32 v12, v3, 8, 3
	v_ffbh_u32_e32 v14, v12
	v_min_u32_e32 v14, 32, v14
	v_lshrrev_b16_e32 v13, 3, v6
	v_subrev_u32_e32 v15, 28, v14
	v_and_b32_e32 v13, 15, v13
	v_lshlrev_b32_e32 v6, v15, v6
	v_sub_u32_e32 v14, 29, v14
	v_and_b32_e32 v6, 7, v6
	v_cmp_eq_u16_e32 vcc, 0, v13
	v_cndmask_b32_e32 v6, v12, v6, vcc
	v_cndmask_b32_e32 v12, v13, v14, vcc
	v_lshlrev_b32_e32 v13, 16, v3
	v_mov_b32_e32 v14, 0x3b800000
	v_lshlrev_b32_e32 v6, 20, v6
	v_and_b32_e32 v13, 0x80000000, v13
	v_lshl_add_u32 v12, v12, 23, v14
	v_or3_b32 v12, v13, v12, v6
.LBB2_1584:
	s_or_b64 exec, exec, s[6:7]
	s_nop 0
	v_mfma_f32_16x16x4f32 a[0:3], v2, v12, a[0:3]
	s_movk_i32 s4, 0xff
	v_and_b32_sdwa v6, v7, s4 dst_sel:DWORD dst_unused:UNUSED_PAD src0_sel:WORD_1 src1_sel:DWORD
	s_movk_i32 s4, 0x7f
	v_cmp_lt_i16_e32 vcc, s4, v6
	s_mov_b64 s[4:5], 0
                                        ; implicit-def: $sgpr10
	s_and_saveexec_b64 s[6:7], vcc
	s_xor_b64 s[6:7], exec, s[6:7]
	s_cbranch_execz .LBB2_1585
; %bb.37425:
	s_getpc_b64 s[14:15]
.Lpost_getpc22296:
	s_add_u32 s14, s14, (.LBB2_15921-.Lpost_getpc22296)&4294967295
	s_addc_u32 s15, s15, (.LBB2_15921-.Lpost_getpc22296)>>32
	s_setpc_b64 s[14:15]
.LBB2_1585:
	s_or_saveexec_b64 s[6:7], s[6:7]
	v_mov_b32_e32 v2, s10
	s_xor_b64 exec, exec, s[6:7]
	s_cbranch_execz .LBB2_1586
; %bb.37427:
	s_getpc_b64 s[14:15]
.Lpost_getpc22297:
	s_add_u32 s14, s14, (.LBB2_15924-.Lpost_getpc22297)&4294967295
	s_addc_u32 s15, s15, (.LBB2_15924-.Lpost_getpc22297)>>32
	s_setpc_b64 s[14:15]
.LBB2_1586:
	s_or_b64 exec, exec, s[6:7]
	s_and_saveexec_b64 s[6:7], s[4:5]
	s_cbranch_execz .LBB2_1588
.LBB2_1587:
	v_bfe_u32 v2, v7, 16, 3
	v_ffbh_u32_e32 v13, v2
	v_min_u32_e32 v13, 32, v13
	v_lshrrev_b32_e32 v6, 19, v7
	v_subrev_u32_e32 v14, 28, v13
	v_and_b32_e32 v6, 15, v6
	v_lshlrev_b32_sdwa v14, v14, v7 dst_sel:DWORD dst_unused:UNUSED_PAD src0_sel:DWORD src1_sel:WORD_1
	v_bfe_u32 v12, v7, 19, 4
	v_sub_u32_e32 v13, 29, v13
	v_and_b32_e32 v14, 7, v14
	v_cmp_eq_u16_e32 vcc, 0, v6
	v_cndmask_b32_e32 v2, v2, v14, vcc
	v_cndmask_b32_e32 v6, v12, v13, vcc
	v_lshlrev_b32_e32 v12, 8, v7
	v_mov_b32_e32 v13, 0x3b800000
	v_lshlrev_b32_e32 v2, 20, v2
	v_and_b32_e32 v12, 0x80000000, v12
	v_lshl_add_u32 v6, v6, 23, v13
	v_or3_b32 v2, v12, v6, v2
.LBB2_1588:
	s_or_b64 exec, exec, s[6:7]
	s_movk_i32 s4, 0xff
	v_and_b32_sdwa v6, v3, s4 dst_sel:DWORD dst_unused:UNUSED_PAD src0_sel:WORD_1 src1_sel:DWORD
	s_movk_i32 s4, 0x7f
	v_cmp_lt_i16_e32 vcc, s4, v6
	s_mov_b64 s[4:5], 0
                                        ; implicit-def: $sgpr10
	s_and_saveexec_b64 s[6:7], vcc
	s_xor_b64 s[6:7], exec, s[6:7]
	s_cbranch_execz .LBB2_1589
; %bb.37429:
	s_getpc_b64 s[14:15]
.Lpost_getpc22298:
	s_add_u32 s14, s14, (.LBB2_15925-.Lpost_getpc22298)&4294967295
	s_addc_u32 s15, s15, (.LBB2_15925-.Lpost_getpc22298)>>32
	s_setpc_b64 s[14:15]
.LBB2_1589:
	s_or_saveexec_b64 s[6:7], s[6:7]
	v_mov_b32_e32 v12, s10
	s_xor_b64 exec, exec, s[6:7]
	s_cbranch_execz .LBB2_1590
; %bb.37431:
	s_getpc_b64 s[14:15]
.Lpost_getpc22299:
	s_add_u32 s14, s14, (.LBB2_15928-.Lpost_getpc22299)&4294967295
	s_addc_u32 s15, s15, (.LBB2_15928-.Lpost_getpc22299)>>32
	s_setpc_b64 s[14:15]
.LBB2_1590:
	s_or_b64 exec, exec, s[6:7]
	s_and_saveexec_b64 s[6:7], s[4:5]
	s_cbranch_execz .LBB2_1592
.LBB2_1591:
	v_bfe_u32 v6, v3, 16, 3
	v_ffbh_u32_e32 v14, v6
	v_min_u32_e32 v14, 32, v14
	v_lshrrev_b32_e32 v12, 19, v3
	v_subrev_u32_e32 v15, 28, v14
	v_and_b32_e32 v12, 15, v12
	v_lshlrev_b32_sdwa v15, v15, v3 dst_sel:DWORD dst_unused:UNUSED_PAD src0_sel:DWORD src1_sel:WORD_1
	v_bfe_u32 v13, v3, 19, 4
	v_sub_u32_e32 v14, 29, v14
	v_and_b32_e32 v15, 7, v15
	v_cmp_eq_u16_e32 vcc, 0, v12
	v_cndmask_b32_e32 v6, v6, v15, vcc
	v_cndmask_b32_e32 v12, v13, v14, vcc
	v_lshlrev_b32_e32 v13, 8, v3
	v_mov_b32_e32 v14, 0x3b800000
	v_lshlrev_b32_e32 v6, 20, v6
	v_and_b32_e32 v13, 0x80000000, v13
	v_lshl_add_u32 v12, v12, 23, v14
	v_or3_b32 v12, v13, v12, v6
.LBB2_1592:
	s_or_b64 exec, exec, s[6:7]
	s_nop 0
	v_mfma_f32_16x16x4f32 a[0:3], v2, v12, a[0:3]
	s_movk_i32 s4, 0x7f
	v_cmp_gt_i16_sdwa s[6:7], v7, s4 src0_sel:BYTE_3 src1_sel:DWORD
	s_mov_b64 s[4:5], 0
                                        ; implicit-def: $sgpr10
	s_and_saveexec_b64 s[8:9], s[6:7]
	s_xor_b64 s[6:7], exec, s[8:9]
	s_cbranch_execz .LBB2_1593
; %bb.37433:
	s_getpc_b64 s[14:15]
.Lpost_getpc22300:
	s_add_u32 s14, s14, (.LBB2_15929-.Lpost_getpc22300)&4294967295
	s_addc_u32 s15, s15, (.LBB2_15929-.Lpost_getpc22300)>>32
	s_setpc_b64 s[14:15]
.LBB2_1593:
	s_or_saveexec_b64 s[6:7], s[6:7]
	v_mov_b32_e32 v2, s10
	s_xor_b64 exec, exec, s[6:7]
	s_cbranch_execz .LBB2_1594
; %bb.37435:
	s_getpc_b64 s[14:15]
.Lpost_getpc22301:
	s_add_u32 s14, s14, (.LBB2_15932-.Lpost_getpc22301)&4294967295
	s_addc_u32 s15, s15, (.LBB2_15932-.Lpost_getpc22301)>>32
	s_setpc_b64 s[14:15]
.LBB2_1594:
	s_or_b64 exec, exec, s[6:7]
	s_and_saveexec_b64 s[6:7], s[4:5]
	s_cbranch_execz .LBB2_1596
.LBB2_1595:
	v_bfe_u32 v2, v7, 24, 3
	v_ffbh_u32_e32 v14, v2
	v_min_u32_e32 v14, 32, v14
	v_lshrrev_b32_e32 v12, 27, v7
	v_subrev_u32_e32 v15, 28, v14
	v_and_b32_e32 v6, 0x80000000, v7
	v_and_b32_e32 v12, 15, v12
	v_bfe_u32 v13, v7, 27, 4
	v_lshlrev_b32_sdwa v7, v15, v7 dst_sel:DWORD dst_unused:UNUSED_PAD src0_sel:DWORD src1_sel:BYTE_3
	v_sub_u32_e32 v14, 29, v14
	v_and_b32_e32 v7, 7, v7
	v_cmp_eq_u16_e32 vcc, 0, v12
	v_cndmask_b32_e32 v2, v2, v7, vcc
	v_cndmask_b32_e32 v7, v13, v14, vcc
	v_mov_b32_e32 v12, 0x3b800000
	v_lshlrev_b32_e32 v2, 20, v2
	v_lshl_add_u32 v7, v7, 23, v12
	v_or3_b32 v2, v6, v7, v2
.LBB2_1596:
	s_or_b64 exec, exec, s[6:7]
	s_movk_i32 s4, 0x7f
	v_cmp_gt_i16_sdwa s[6:7], v3, s4 src0_sel:BYTE_3 src1_sel:DWORD
	s_mov_b64 s[4:5], 0
                                        ; implicit-def: $sgpr10
	s_and_saveexec_b64 s[8:9], s[6:7]
	s_xor_b64 s[6:7], exec, s[8:9]
	s_cbranch_execz .LBB2_1597
; %bb.37437:
	s_getpc_b64 s[14:15]
.Lpost_getpc22302:
	s_add_u32 s14, s14, (.LBB2_15933-.Lpost_getpc22302)&4294967295
	s_addc_u32 s15, s15, (.LBB2_15933-.Lpost_getpc22302)>>32
	s_setpc_b64 s[14:15]
.LBB2_1597:
	s_or_saveexec_b64 s[6:7], s[6:7]
	v_mov_b32_e32 v6, s10
	s_xor_b64 exec, exec, s[6:7]
	s_cbranch_execz .LBB2_1598
; %bb.37439:
	s_getpc_b64 s[14:15]
.Lpost_getpc22303:
	s_add_u32 s14, s14, (.LBB2_15936-.Lpost_getpc22303)&4294967295
	s_addc_u32 s15, s15, (.LBB2_15936-.Lpost_getpc22303)>>32
	s_setpc_b64 s[14:15]
.LBB2_1598:
	s_or_b64 exec, exec, s[6:7]
	s_and_saveexec_b64 s[6:7], s[4:5]
	s_cbranch_execz .LBB2_1600
.LBB2_1599:
	v_bfe_u32 v6, v3, 24, 3
	v_ffbh_u32_e32 v14, v6
	v_min_u32_e32 v14, 32, v14
	v_lshrrev_b32_e32 v12, 27, v3
	v_subrev_u32_e32 v15, 28, v14
	v_and_b32_e32 v7, 0x80000000, v3
	v_and_b32_e32 v12, 15, v12
	v_bfe_u32 v13, v3, 27, 4
	v_lshlrev_b32_sdwa v3, v15, v3 dst_sel:DWORD dst_unused:UNUSED_PAD src0_sel:DWORD src1_sel:BYTE_3
	v_sub_u32_e32 v14, 29, v14
	v_and_b32_e32 v3, 7, v3
	v_cmp_eq_u16_e32 vcc, 0, v12
	v_cndmask_b32_e32 v3, v6, v3, vcc
	v_cndmask_b32_e32 v6, v13, v14, vcc
	v_mov_b32_e32 v12, 0x3b800000
	v_lshlrev_b32_e32 v3, 20, v3
	v_lshl_add_u32 v6, v6, 23, v12
	v_or3_b32 v6, v7, v6, v3
.LBB2_1600:
	s_or_b64 exec, exec, s[6:7]
	s_nop 0
	v_mfma_f32_16x16x4f32 a[0:3], v2, v6, a[0:3]
	s_movk_i32 s4, 0x7f
	v_cmp_gt_i16_sdwa s[6:7], v8, s4 src0_sel:BYTE_0 src1_sel:DWORD
	s_mov_b64 s[4:5], 0
                                        ; implicit-def: $sgpr10
	s_and_saveexec_b64 s[8:9], s[6:7]
	s_xor_b64 s[6:7], exec, s[8:9]
	s_cbranch_execz .LBB2_1601
; %bb.37441:
	s_getpc_b64 s[14:15]
.Lpost_getpc22304:
	s_add_u32 s14, s14, (.LBB2_15937-.Lpost_getpc22304)&4294967295
	s_addc_u32 s15, s15, (.LBB2_15937-.Lpost_getpc22304)>>32
	s_setpc_b64 s[14:15]
.LBB2_1601:
	s_or_saveexec_b64 s[6:7], s[6:7]
	v_mov_b32_e32 v2, s10
	s_xor_b64 exec, exec, s[6:7]
	s_cbranch_execz .LBB2_1602
; %bb.37443:
	s_getpc_b64 s[14:15]
.Lpost_getpc22305:
	s_add_u32 s14, s14, (.LBB2_15940-.Lpost_getpc22305)&4294967295
	s_addc_u32 s15, s15, (.LBB2_15940-.Lpost_getpc22305)>>32
	s_setpc_b64 s[14:15]
.LBB2_1602:
	s_or_b64 exec, exec, s[6:7]
	s_and_saveexec_b64 s[6:7], s[4:5]
	s_cbranch_execz .LBB2_1604
.LBB2_1603:
	v_and_b32_e32 v2, 7, v8
	v_ffbh_u32_e32 v6, v2
	v_min_u32_e32 v6, 32, v6
	v_lshrrev_b16_e32 v3, 3, v8
	v_subrev_u32_e32 v7, 28, v6
	v_and_b32_e32 v3, 15, v3
	v_lshlrev_b32_e32 v7, v7, v8
	v_sub_u32_e32 v6, 29, v6
	v_and_b32_e32 v7, 7, v7
	v_cmp_eq_u16_e32 vcc, 0, v3
	v_cndmask_b32_e32 v2, v2, v7, vcc
	v_cndmask_b32_e32 v3, v3, v6, vcc
	v_lshlrev_b32_e32 v6, 24, v8
	v_mov_b32_e32 v7, 0x3b800000
	v_lshlrev_b32_e32 v2, 20, v2
	v_and_b32_e32 v6, 0x80000000, v6
	v_lshl_add_u32 v3, v3, 23, v7
	v_or3_b32 v2, v6, v3, v2
.LBB2_1604:
	s_or_b64 exec, exec, s[6:7]
	s_movk_i32 s4, 0x7f
	v_cmp_gt_i16_sdwa s[6:7], v4, s4 src0_sel:BYTE_0 src1_sel:DWORD
	s_mov_b64 s[4:5], 0
                                        ; implicit-def: $sgpr10
	s_and_saveexec_b64 s[8:9], s[6:7]
	s_xor_b64 s[6:7], exec, s[8:9]
	s_cbranch_execz .LBB2_1605
; %bb.37445:
	s_getpc_b64 s[14:15]
.Lpost_getpc22306:
	s_add_u32 s14, s14, (.LBB2_15941-.Lpost_getpc22306)&4294967295
	s_addc_u32 s15, s15, (.LBB2_15941-.Lpost_getpc22306)>>32
	s_setpc_b64 s[14:15]
.LBB2_1605:
	s_or_saveexec_b64 s[6:7], s[6:7]
	v_mov_b32_e32 v3, s10
	s_xor_b64 exec, exec, s[6:7]
	s_cbranch_execz .LBB2_1606
; %bb.37447:
	s_getpc_b64 s[14:15]
.Lpost_getpc22307:
	s_add_u32 s14, s14, (.LBB2_15944-.Lpost_getpc22307)&4294967295
	s_addc_u32 s15, s15, (.LBB2_15944-.Lpost_getpc22307)>>32
	s_setpc_b64 s[14:15]
.LBB2_1606:
	s_or_b64 exec, exec, s[6:7]
	s_and_saveexec_b64 s[6:7], s[4:5]
	s_cbranch_execz .LBB2_1608
.LBB2_1607:
	v_and_b32_e32 v3, 7, v4
	v_ffbh_u32_e32 v7, v3
	v_min_u32_e32 v7, 32, v7
	v_lshrrev_b16_e32 v6, 3, v4
	v_subrev_u32_e32 v12, 28, v7
	v_and_b32_e32 v6, 15, v6
	v_lshlrev_b32_e32 v12, v12, v4
	v_sub_u32_e32 v7, 29, v7
	v_and_b32_e32 v12, 7, v12
	v_cmp_eq_u16_e32 vcc, 0, v6
	v_cndmask_b32_e32 v3, v3, v12, vcc
	v_cndmask_b32_e32 v6, v6, v7, vcc
	v_lshlrev_b32_e32 v7, 24, v4
	v_mov_b32_e32 v12, 0x3b800000
	v_lshlrev_b32_e32 v3, 20, v3
	v_and_b32_e32 v7, 0x80000000, v7
	v_lshl_add_u32 v6, v6, 23, v12
	v_or3_b32 v3, v7, v6, v3
.LBB2_1608:
	s_or_b64 exec, exec, s[6:7]
	s_nop 0
	v_mfma_f32_16x16x4f32 a[0:3], v2, v3, a[0:3]
	v_lshrrev_b32_e32 v3, 8, v8
	s_movk_i32 s4, 0x7f
	v_cmp_gt_i16_sdwa s[6:7], v3, s4 src0_sel:BYTE_0 src1_sel:DWORD
	s_mov_b64 s[4:5], 0
                                        ; implicit-def: $sgpr10
	s_and_saveexec_b64 s[8:9], s[6:7]
	s_xor_b64 s[6:7], exec, s[8:9]
	s_cbranch_execz .LBB2_1609
; %bb.37449:
	s_getpc_b64 s[14:15]
.Lpost_getpc22308:
	s_add_u32 s14, s14, (.LBB2_15945-.Lpost_getpc22308)&4294967295
	s_addc_u32 s15, s15, (.LBB2_15945-.Lpost_getpc22308)>>32
	s_setpc_b64 s[14:15]
.LBB2_1609:
	s_or_saveexec_b64 s[6:7], s[6:7]
	v_mov_b32_e32 v2, s10
	s_xor_b64 exec, exec, s[6:7]
	s_cbranch_execz .LBB2_1610
; %bb.37451:
	s_getpc_b64 s[14:15]
.Lpost_getpc22309:
	s_add_u32 s14, s14, (.LBB2_15948-.Lpost_getpc22309)&4294967295
	s_addc_u32 s15, s15, (.LBB2_15948-.Lpost_getpc22309)>>32
	s_setpc_b64 s[14:15]
.LBB2_1610:
	s_or_b64 exec, exec, s[6:7]
	s_and_saveexec_b64 s[6:7], s[4:5]
	s_cbranch_execz .LBB2_1612
.LBB2_1611:
	v_bfe_u32 v2, v8, 8, 3
	v_ffbh_u32_e32 v7, v2
	v_min_u32_e32 v7, 32, v7
	v_lshrrev_b16_e32 v6, 3, v3
	v_subrev_u32_e32 v12, 28, v7
	v_and_b32_e32 v6, 15, v6
	v_lshlrev_b32_e32 v3, v12, v3
	v_sub_u32_e32 v7, 29, v7
	v_and_b32_e32 v3, 7, v3
	v_cmp_eq_u16_e32 vcc, 0, v6
	v_cndmask_b32_e32 v2, v2, v3, vcc
	v_cndmask_b32_e32 v3, v6, v7, vcc
	v_lshlrev_b32_e32 v6, 16, v8
	v_mov_b32_e32 v7, 0x3b800000
	v_lshlrev_b32_e32 v2, 20, v2
	v_and_b32_e32 v6, 0x80000000, v6
	v_lshl_add_u32 v3, v3, 23, v7
	v_or3_b32 v2, v6, v3, v2
.LBB2_1612:
	s_or_b64 exec, exec, s[6:7]
	v_lshrrev_b32_e32 v3, 8, v4
	s_movk_i32 s4, 0x7f
	v_cmp_gt_i16_sdwa s[6:7], v3, s4 src0_sel:BYTE_0 src1_sel:DWORD
	s_mov_b64 s[4:5], 0
                                        ; implicit-def: $sgpr10
	s_and_saveexec_b64 s[8:9], s[6:7]
	s_xor_b64 s[6:7], exec, s[8:9]
	s_cbranch_execz .LBB2_1613
; %bb.37453:
	s_getpc_b64 s[14:15]
.Lpost_getpc22310:
	s_add_u32 s14, s14, (.LBB2_15949-.Lpost_getpc22310)&4294967295
	s_addc_u32 s15, s15, (.LBB2_15949-.Lpost_getpc22310)>>32
	s_setpc_b64 s[14:15]
.LBB2_1613:
	s_or_saveexec_b64 s[6:7], s[6:7]
	v_mov_b32_e32 v6, s10
	s_xor_b64 exec, exec, s[6:7]
	s_cbranch_execz .LBB2_1614
; %bb.37455:
	s_getpc_b64 s[14:15]
.Lpost_getpc22311:
	s_add_u32 s14, s14, (.LBB2_15952-.Lpost_getpc22311)&4294967295
	s_addc_u32 s15, s15, (.LBB2_15952-.Lpost_getpc22311)>>32
	s_setpc_b64 s[14:15]
.LBB2_1614:
	s_or_b64 exec, exec, s[6:7]
	s_and_saveexec_b64 s[6:7], s[4:5]
	s_cbranch_execz .LBB2_1616
.LBB2_1615:
	v_bfe_u32 v6, v4, 8, 3
	v_ffbh_u32_e32 v12, v6
	v_min_u32_e32 v12, 32, v12
	v_lshrrev_b16_e32 v7, 3, v3
	v_subrev_u32_e32 v13, 28, v12
	v_and_b32_e32 v7, 15, v7
	v_lshlrev_b32_e32 v3, v13, v3
	v_sub_u32_e32 v12, 29, v12
	v_and_b32_e32 v3, 7, v3
	v_cmp_eq_u16_e32 vcc, 0, v7
	v_cndmask_b32_e32 v3, v6, v3, vcc
	v_cndmask_b32_e32 v6, v7, v12, vcc
	v_lshlrev_b32_e32 v7, 16, v4
	v_mov_b32_e32 v12, 0x3b800000
	v_lshlrev_b32_e32 v3, 20, v3
	v_and_b32_e32 v7, 0x80000000, v7
	v_lshl_add_u32 v6, v6, 23, v12
	v_or3_b32 v6, v7, v6, v3
.LBB2_1616:
	s_or_b64 exec, exec, s[6:7]
	s_nop 0
	v_mfma_f32_16x16x4f32 a[0:3], v2, v6, a[0:3]
	s_movk_i32 s4, 0xff
	v_and_b32_sdwa v3, v8, s4 dst_sel:DWORD dst_unused:UNUSED_PAD src0_sel:WORD_1 src1_sel:DWORD
	s_movk_i32 s4, 0x7f
	v_cmp_lt_i16_e32 vcc, s4, v3
	s_mov_b64 s[4:5], 0
                                        ; implicit-def: $sgpr10
	s_and_saveexec_b64 s[6:7], vcc
	s_xor_b64 s[6:7], exec, s[6:7]
	s_cbranch_execz .LBB2_1617
; %bb.37457:
	s_getpc_b64 s[14:15]
.Lpost_getpc22312:
	s_add_u32 s14, s14, (.LBB2_15953-.Lpost_getpc22312)&4294967295
	s_addc_u32 s15, s15, (.LBB2_15953-.Lpost_getpc22312)>>32
	s_setpc_b64 s[14:15]
.LBB2_1617:
	s_or_saveexec_b64 s[6:7], s[6:7]
	v_mov_b32_e32 v2, s10
	s_xor_b64 exec, exec, s[6:7]
	s_cbranch_execz .LBB2_1618
; %bb.37459:
	s_getpc_b64 s[14:15]
.Lpost_getpc22313:
	s_add_u32 s14, s14, (.LBB2_15956-.Lpost_getpc22313)&4294967295
	s_addc_u32 s15, s15, (.LBB2_15956-.Lpost_getpc22313)>>32
	s_setpc_b64 s[14:15]
.LBB2_1618:
	s_or_b64 exec, exec, s[6:7]
	s_and_saveexec_b64 s[6:7], s[4:5]
	s_cbranch_execz .LBB2_1620
.LBB2_1619:
	v_bfe_u32 v2, v8, 16, 3
	v_ffbh_u32_e32 v7, v2
	v_min_u32_e32 v7, 32, v7
	v_lshrrev_b32_e32 v3, 19, v8
	v_subrev_u32_e32 v12, 28, v7
	v_and_b32_e32 v3, 15, v3
	v_lshlrev_b32_sdwa v12, v12, v8 dst_sel:DWORD dst_unused:UNUSED_PAD src0_sel:DWORD src1_sel:WORD_1
	v_bfe_u32 v6, v8, 19, 4
	v_sub_u32_e32 v7, 29, v7
	v_and_b32_e32 v12, 7, v12
	v_cmp_eq_u16_e32 vcc, 0, v3
	v_cndmask_b32_e32 v2, v2, v12, vcc
	v_cndmask_b32_e32 v3, v6, v7, vcc
	v_lshlrev_b32_e32 v6, 8, v8
	v_mov_b32_e32 v7, 0x3b800000
	v_lshlrev_b32_e32 v2, 20, v2
	v_and_b32_e32 v6, 0x80000000, v6
	v_lshl_add_u32 v3, v3, 23, v7
	v_or3_b32 v2, v6, v3, v2
.LBB2_1620:
	s_or_b64 exec, exec, s[6:7]
	s_movk_i32 s4, 0xff
	v_and_b32_sdwa v3, v4, s4 dst_sel:DWORD dst_unused:UNUSED_PAD src0_sel:WORD_1 src1_sel:DWORD
	s_movk_i32 s4, 0x7f
	v_cmp_lt_i16_e32 vcc, s4, v3
	s_mov_b64 s[4:5], 0
                                        ; implicit-def: $sgpr10
	s_and_saveexec_b64 s[6:7], vcc
	s_xor_b64 s[6:7], exec, s[6:7]
	s_cbranch_execz .LBB2_1621
; %bb.37461:
	s_getpc_b64 s[14:15]
.Lpost_getpc22314:
	s_add_u32 s14, s14, (.LBB2_15957-.Lpost_getpc22314)&4294967295
	s_addc_u32 s15, s15, (.LBB2_15957-.Lpost_getpc22314)>>32
	s_setpc_b64 s[14:15]
.LBB2_1621:
	s_or_saveexec_b64 s[6:7], s[6:7]
	v_mov_b32_e32 v6, s10
	s_xor_b64 exec, exec, s[6:7]
	s_cbranch_execz .LBB2_1622
; %bb.37463:
	s_getpc_b64 s[14:15]
.Lpost_getpc22315:
	s_add_u32 s14, s14, (.LBB2_15960-.Lpost_getpc22315)&4294967295
	s_addc_u32 s15, s15, (.LBB2_15960-.Lpost_getpc22315)>>32
	s_setpc_b64 s[14:15]
.LBB2_1622:
	s_or_b64 exec, exec, s[6:7]
	s_and_saveexec_b64 s[6:7], s[4:5]
	s_cbranch_execz .LBB2_1624
.LBB2_1623:
	v_bfe_u32 v3, v4, 16, 3
	v_ffbh_u32_e32 v12, v3
	v_min_u32_e32 v12, 32, v12
	v_lshrrev_b32_e32 v6, 19, v4
	v_subrev_u32_e32 v13, 28, v12
	v_and_b32_e32 v6, 15, v6
	v_lshlrev_b32_sdwa v13, v13, v4 dst_sel:DWORD dst_unused:UNUSED_PAD src0_sel:DWORD src1_sel:WORD_1
	v_bfe_u32 v7, v4, 19, 4
	v_sub_u32_e32 v12, 29, v12
	v_and_b32_e32 v13, 7, v13
	v_cmp_eq_u16_e32 vcc, 0, v6
	v_cndmask_b32_e32 v3, v3, v13, vcc
	v_cndmask_b32_e32 v6, v7, v12, vcc
	v_lshlrev_b32_e32 v7, 8, v4
	v_mov_b32_e32 v12, 0x3b800000
	v_lshlrev_b32_e32 v3, 20, v3
	v_and_b32_e32 v7, 0x80000000, v7
	v_lshl_add_u32 v6, v6, 23, v12
	v_or3_b32 v6, v7, v6, v3
.LBB2_1624:
	s_or_b64 exec, exec, s[6:7]
	s_nop 0
	v_mfma_f32_16x16x4f32 a[0:3], v2, v6, a[0:3]
	s_movk_i32 s4, 0x7f
	v_cmp_gt_i16_sdwa s[6:7], v8, s4 src0_sel:BYTE_3 src1_sel:DWORD
	s_mov_b64 s[4:5], 0
                                        ; implicit-def: $sgpr10
	s_and_saveexec_b64 s[8:9], s[6:7]
	s_xor_b64 s[6:7], exec, s[8:9]
	s_cbranch_execz .LBB2_1625
; %bb.37465:
	s_getpc_b64 s[14:15]
.Lpost_getpc22316:
	s_add_u32 s14, s14, (.LBB2_15961-.Lpost_getpc22316)&4294967295
	s_addc_u32 s15, s15, (.LBB2_15961-.Lpost_getpc22316)>>32
	s_setpc_b64 s[14:15]
.LBB2_1625:
	s_or_saveexec_b64 s[6:7], s[6:7]
	v_mov_b32_e32 v2, s10
	s_xor_b64 exec, exec, s[6:7]
	s_cbranch_execz .LBB2_1626
; %bb.37467:
	s_getpc_b64 s[14:15]
.Lpost_getpc22317:
	s_add_u32 s14, s14, (.LBB2_15964-.Lpost_getpc22317)&4294967295
	s_addc_u32 s15, s15, (.LBB2_15964-.Lpost_getpc22317)>>32
	s_setpc_b64 s[14:15]
.LBB2_1626:
	s_or_b64 exec, exec, s[6:7]
	s_and_saveexec_b64 s[6:7], s[4:5]
	s_cbranch_execz .LBB2_1628
.LBB2_1627:
	v_bfe_u32 v2, v8, 24, 3
	v_ffbh_u32_e32 v12, v2
	v_min_u32_e32 v12, 32, v12
	v_lshrrev_b32_e32 v6, 27, v8
	v_subrev_u32_e32 v13, 28, v12
	v_and_b32_e32 v3, 0x80000000, v8
	v_and_b32_e32 v6, 15, v6
	v_bfe_u32 v7, v8, 27, 4
	v_lshlrev_b32_sdwa v8, v13, v8 dst_sel:DWORD dst_unused:UNUSED_PAD src0_sel:DWORD src1_sel:BYTE_3
	v_sub_u32_e32 v12, 29, v12
	v_and_b32_e32 v8, 7, v8
	v_cmp_eq_u16_e32 vcc, 0, v6
	v_cndmask_b32_e32 v2, v2, v8, vcc
	v_cndmask_b32_e32 v6, v7, v12, vcc
	v_mov_b32_e32 v7, 0x3b800000
	v_lshlrev_b32_e32 v2, 20, v2
	v_lshl_add_u32 v6, v6, 23, v7
	v_or3_b32 v2, v3, v6, v2
.LBB2_1628:
	s_or_b64 exec, exec, s[6:7]
	s_movk_i32 s4, 0x7f
	v_cmp_gt_i16_sdwa s[6:7], v4, s4 src0_sel:BYTE_3 src1_sel:DWORD
	s_mov_b64 s[4:5], 0
                                        ; implicit-def: $sgpr10
	s_and_saveexec_b64 s[8:9], s[6:7]
	s_xor_b64 s[6:7], exec, s[8:9]
	s_cbranch_execz .LBB2_1629
; %bb.37469:
	s_getpc_b64 s[14:15]
.Lpost_getpc22318:
	s_add_u32 s14, s14, (.LBB2_15965-.Lpost_getpc22318)&4294967295
	s_addc_u32 s15, s15, (.LBB2_15965-.Lpost_getpc22318)>>32
	s_setpc_b64 s[14:15]
.LBB2_1629:
	s_or_saveexec_b64 s[6:7], s[6:7]
	v_mov_b32_e32 v3, s10
	s_xor_b64 exec, exec, s[6:7]
	s_cbranch_execz .LBB2_1630
; %bb.37471:
	s_getpc_b64 s[14:15]
.Lpost_getpc22319:
	s_add_u32 s14, s14, (.LBB2_15968-.Lpost_getpc22319)&4294967295
	s_addc_u32 s15, s15, (.LBB2_15968-.Lpost_getpc22319)>>32
	s_setpc_b64 s[14:15]
.LBB2_1630:
	s_or_b64 exec, exec, s[6:7]
	s_and_saveexec_b64 s[6:7], s[4:5]
	s_cbranch_execz .LBB2_1632
.LBB2_1631:
	v_bfe_u32 v3, v4, 24, 3
	v_ffbh_u32_e32 v12, v3
	v_min_u32_e32 v12, 32, v12
	v_lshrrev_b32_e32 v7, 27, v4
	v_subrev_u32_e32 v13, 28, v12
	v_and_b32_e32 v6, 0x80000000, v4
	v_and_b32_e32 v7, 15, v7
	v_bfe_u32 v8, v4, 27, 4
	v_lshlrev_b32_sdwa v4, v13, v4 dst_sel:DWORD dst_unused:UNUSED_PAD src0_sel:DWORD src1_sel:BYTE_3
	v_sub_u32_e32 v12, 29, v12
	v_and_b32_e32 v4, 7, v4
	v_cmp_eq_u16_e32 vcc, 0, v7
	v_cndmask_b32_e32 v3, v3, v4, vcc
	v_cndmask_b32_e32 v4, v8, v12, vcc
	v_mov_b32_e32 v7, 0x3b800000
	v_lshlrev_b32_e32 v3, 20, v3
	v_lshl_add_u32 v4, v4, 23, v7
	v_or3_b32 v3, v6, v4, v3
.LBB2_1632:
	s_or_b64 exec, exec, s[6:7]
	s_nop 0
	v_mfma_f32_16x16x4f32 a[0:3], v2, v3, a[0:3]
	s_movk_i32 s4, 0x7f
	v_cmp_gt_i16_sdwa s[6:7], v9, s4 src0_sel:BYTE_0 src1_sel:DWORD
	s_mov_b64 s[4:5], 0
                                        ; implicit-def: $sgpr10
	s_and_saveexec_b64 s[8:9], s[6:7]
	s_xor_b64 s[6:7], exec, s[8:9]
	s_cbranch_execz .LBB2_1633
; %bb.37473:
	s_getpc_b64 s[14:15]
.Lpost_getpc22320:
	s_add_u32 s14, s14, (.LBB2_15969-.Lpost_getpc22320)&4294967295
	s_addc_u32 s15, s15, (.LBB2_15969-.Lpost_getpc22320)>>32
	s_setpc_b64 s[14:15]
.LBB2_1633:
	s_or_saveexec_b64 s[6:7], s[6:7]
	v_mov_b32_e32 v2, s10
	s_xor_b64 exec, exec, s[6:7]
	s_cbranch_execz .LBB2_1634
; %bb.37475:
	s_getpc_b64 s[14:15]
.Lpost_getpc22321:
	s_add_u32 s14, s14, (.LBB2_15972-.Lpost_getpc22321)&4294967295
	s_addc_u32 s15, s15, (.LBB2_15972-.Lpost_getpc22321)>>32
	s_setpc_b64 s[14:15]
.LBB2_1634:
	s_or_b64 exec, exec, s[6:7]
	s_and_saveexec_b64 s[6:7], s[4:5]
	s_cbranch_execz .LBB2_1636
.LBB2_1635:
	v_mov_b32_e32 v2, 8
	v_and_b32_e32 v3, 7, v9
	v_lshrrev_b32_sdwa v2, v2, v9 dst_sel:BYTE_1 dst_unused:UNUSED_PAD src0_sel:DWORD src1_sel:DWORD
	v_ffbh_u32_e32 v4, v3
	v_or_b32_sdwa v2, v9, v2 dst_sel:DWORD dst_unused:UNUSED_PAD src0_sel:BYTE_0 src1_sel:DWORD
	v_min_u32_e32 v4, 32, v4
	v_lshrrev_b16_e32 v2, 3, v2
	v_subrev_u32_e32 v6, 28, v4
	v_and_b32_e32 v2, 15, v2
	v_lshlrev_b32_e32 v6, v6, v9
	v_sub_u32_e32 v4, 29, v4
	v_and_b32_e32 v6, 7, v6
	v_cmp_eq_u16_e32 vcc, 0, v2
	v_cndmask_b32_e32 v3, v3, v6, vcc
	v_cndmask_b32_e32 v2, v2, v4, vcc
	v_lshlrev_b32_e32 v4, 24, v9
	v_mov_b32_e32 v6, 0x3b800000
	v_lshlrev_b32_e32 v3, 20, v3
	v_and_b32_e32 v4, 0x80000000, v4
	v_lshl_add_u32 v2, v2, 23, v6
	v_or3_b32 v2, v4, v2, v3
.LBB2_1636:
	s_or_b64 exec, exec, s[6:7]
	s_movk_i32 s4, 0x7f
	v_cmp_gt_i16_sdwa s[6:7], v5, s4 src0_sel:BYTE_0 src1_sel:DWORD
	s_mov_b64 s[4:5], 0
                                        ; implicit-def: $sgpr10
	s_and_saveexec_b64 s[8:9], s[6:7]
	s_xor_b64 s[6:7], exec, s[8:9]
	s_cbranch_execz .LBB2_1637
; %bb.37477:
	s_getpc_b64 s[14:15]
.Lpost_getpc22322:
	s_add_u32 s14, s14, (.LBB2_15973-.Lpost_getpc22322)&4294967295
	s_addc_u32 s15, s15, (.LBB2_15973-.Lpost_getpc22322)>>32
	s_setpc_b64 s[14:15]
.LBB2_1637:
	s_or_saveexec_b64 s[6:7], s[6:7]
	v_mov_b32_e32 v3, s10
	s_xor_b64 exec, exec, s[6:7]
	s_cbranch_execz .LBB2_1638
; %bb.37479:
	s_getpc_b64 s[14:15]
.Lpost_getpc22323:
	s_add_u32 s14, s14, (.LBB2_15976-.Lpost_getpc22323)&4294967295
	s_addc_u32 s15, s15, (.LBB2_15976-.Lpost_getpc22323)>>32
	s_setpc_b64 s[14:15]
.LBB2_1638:
	s_or_b64 exec, exec, s[6:7]
	s_and_saveexec_b64 s[6:7], s[4:5]
	s_cbranch_execz .LBB2_1640
.LBB2_1639:
	v_mov_b32_e32 v3, 8
	v_and_b32_e32 v4, 7, v5
	v_lshrrev_b32_sdwa v3, v3, v5 dst_sel:BYTE_1 dst_unused:UNUSED_PAD src0_sel:DWORD src1_sel:DWORD
	v_ffbh_u32_e32 v6, v4
	v_or_b32_sdwa v3, v5, v3 dst_sel:DWORD dst_unused:UNUSED_PAD src0_sel:BYTE_0 src1_sel:DWORD
	v_min_u32_e32 v6, 32, v6
	v_lshrrev_b16_e32 v3, 3, v3
	v_subrev_u32_e32 v7, 28, v6
	v_and_b32_e32 v3, 15, v3
	v_lshlrev_b32_e32 v7, v7, v5
	v_sub_u32_e32 v6, 29, v6
	v_and_b32_e32 v7, 7, v7
	v_cmp_eq_u16_e32 vcc, 0, v3
	v_cndmask_b32_e32 v4, v4, v7, vcc
	v_cndmask_b32_e32 v3, v3, v6, vcc
	v_lshlrev_b32_e32 v6, 24, v5
	v_mov_b32_e32 v7, 0x3b800000
	v_lshlrev_b32_e32 v4, 20, v4
	v_and_b32_e32 v6, 0x80000000, v6
	v_lshl_add_u32 v3, v3, 23, v7
	v_or3_b32 v3, v6, v3, v4
.LBB2_1640:
	s_or_b64 exec, exec, s[6:7]
	s_nop 0
	v_mfma_f32_16x16x4f32 a[0:3], v2, v3, a[0:3]
	v_lshrrev_b32_e32 v3, 8, v9
	s_movk_i32 s4, 0x7f
	v_cmp_gt_i16_sdwa s[6:7], v3, s4 src0_sel:BYTE_0 src1_sel:DWORD
	s_mov_b64 s[4:5], 0
                                        ; implicit-def: $sgpr10
	s_and_saveexec_b64 s[8:9], s[6:7]
	s_xor_b64 s[6:7], exec, s[8:9]
	s_cbranch_execz .LBB2_1641
; %bb.37481:
	s_getpc_b64 s[14:15]
.Lpost_getpc22324:
	s_add_u32 s14, s14, (.LBB2_15977-.Lpost_getpc22324)&4294967295
	s_addc_u32 s15, s15, (.LBB2_15977-.Lpost_getpc22324)>>32
	s_setpc_b64 s[14:15]
.LBB2_1641:
	s_or_saveexec_b64 s[6:7], s[6:7]
	v_mov_b32_e32 v2, s10
	s_xor_b64 exec, exec, s[6:7]
	s_cbranch_execz .LBB2_1642
; %bb.37483:
	s_getpc_b64 s[14:15]
.Lpost_getpc22325:
	s_add_u32 s14, s14, (.LBB2_15980-.Lpost_getpc22325)&4294967295
	s_addc_u32 s15, s15, (.LBB2_15980-.Lpost_getpc22325)>>32
	s_setpc_b64 s[14:15]
.LBB2_1642:
	s_or_b64 exec, exec, s[6:7]
	s_and_saveexec_b64 s[6:7], s[4:5]
	s_cbranch_execz .LBB2_1644
.LBB2_1643:
	v_bfe_u32 v2, v9, 8, 3
	v_ffbh_u32_e32 v6, v2
	v_min_u32_e32 v6, 32, v6
	v_lshrrev_b16_e32 v4, 3, v3
	v_subrev_u32_e32 v7, 28, v6
	v_and_b32_e32 v4, 15, v4
	v_lshlrev_b32_e32 v3, v7, v3
	v_sub_u32_e32 v6, 29, v6
	v_and_b32_e32 v3, 7, v3
	v_cmp_eq_u16_e32 vcc, 0, v4
	v_cndmask_b32_e32 v2, v2, v3, vcc
	v_cndmask_b32_e32 v3, v4, v6, vcc
	v_lshlrev_b32_e32 v4, 16, v9
	v_mov_b32_e32 v6, 0x3b800000
	v_lshlrev_b32_e32 v2, 20, v2
	v_and_b32_e32 v4, 0x80000000, v4
	v_lshl_add_u32 v3, v3, 23, v6
	v_or3_b32 v2, v4, v3, v2
.LBB2_1644:
	s_or_b64 exec, exec, s[6:7]
	v_lshrrev_b32_e32 v3, 8, v5
	s_movk_i32 s4, 0x7f
	v_cmp_gt_i16_sdwa s[6:7], v3, s4 src0_sel:BYTE_0 src1_sel:DWORD
	s_mov_b64 s[4:5], 0
                                        ; implicit-def: $sgpr10
	s_and_saveexec_b64 s[8:9], s[6:7]
	s_xor_b64 s[6:7], exec, s[8:9]
	s_cbranch_execz .LBB2_1645
; %bb.37485:
	s_getpc_b64 s[14:15]
.Lpost_getpc22326:
	s_add_u32 s14, s14, (.LBB2_15981-.Lpost_getpc22326)&4294967295
	s_addc_u32 s15, s15, (.LBB2_15981-.Lpost_getpc22326)>>32
	s_setpc_b64 s[14:15]
.LBB2_1645:
	s_or_saveexec_b64 s[6:7], s[6:7]
	v_mov_b32_e32 v4, s10
	s_xor_b64 exec, exec, s[6:7]
	s_cbranch_execz .LBB2_1646
; %bb.37487:
	s_getpc_b64 s[14:15]
.Lpost_getpc22327:
	s_add_u32 s14, s14, (.LBB2_15984-.Lpost_getpc22327)&4294967295
	s_addc_u32 s15, s15, (.LBB2_15984-.Lpost_getpc22327)>>32
	s_setpc_b64 s[14:15]
.LBB2_1646:
	s_or_b64 exec, exec, s[6:7]
	s_and_saveexec_b64 s[6:7], s[4:5]
	s_cbranch_execz .LBB2_1648
.LBB2_1647:
	v_bfe_u32 v4, v5, 8, 3
	v_ffbh_u32_e32 v7, v4
	v_min_u32_e32 v7, 32, v7
	v_lshrrev_b16_e32 v6, 3, v3
	v_subrev_u32_e32 v8, 28, v7
	v_and_b32_e32 v6, 15, v6
	v_lshlrev_b32_e32 v3, v8, v3
	v_sub_u32_e32 v7, 29, v7
	v_and_b32_e32 v3, 7, v3
	v_cmp_eq_u16_e32 vcc, 0, v6
	v_cndmask_b32_e32 v3, v4, v3, vcc
	v_cndmask_b32_e32 v4, v6, v7, vcc
	v_lshlrev_b32_e32 v6, 16, v5
	v_mov_b32_e32 v7, 0x3b800000
	v_lshlrev_b32_e32 v3, 20, v3
	v_and_b32_e32 v6, 0x80000000, v6
	v_lshl_add_u32 v4, v4, 23, v7
	v_or3_b32 v4, v6, v4, v3
.LBB2_1648:
	s_or_b64 exec, exec, s[6:7]
	s_nop 0
	v_mfma_f32_16x16x4f32 a[0:3], v2, v4, a[0:3]
	s_movk_i32 s4, 0xff
	v_and_b32_sdwa v3, v9, s4 dst_sel:DWORD dst_unused:UNUSED_PAD src0_sel:WORD_1 src1_sel:DWORD
	s_movk_i32 s4, 0x7f
	v_cmp_lt_i16_e32 vcc, s4, v3
	s_mov_b64 s[4:5], 0
                                        ; implicit-def: $sgpr10
	s_and_saveexec_b64 s[6:7], vcc
	s_xor_b64 s[6:7], exec, s[6:7]
	s_cbranch_execz .LBB2_1649
; %bb.37489:
	s_getpc_b64 s[14:15]
.Lpost_getpc22328:
	s_add_u32 s14, s14, (.LBB2_15985-.Lpost_getpc22328)&4294967295
	s_addc_u32 s15, s15, (.LBB2_15985-.Lpost_getpc22328)>>32
	s_setpc_b64 s[14:15]
.LBB2_1649:
	s_or_saveexec_b64 s[6:7], s[6:7]
	v_mov_b32_e32 v2, s10
	s_xor_b64 exec, exec, s[6:7]
	s_cbranch_execz .LBB2_1650
; %bb.37491:
	s_getpc_b64 s[14:15]
.Lpost_getpc22329:
	s_add_u32 s14, s14, (.LBB2_15988-.Lpost_getpc22329)&4294967295
	s_addc_u32 s15, s15, (.LBB2_15988-.Lpost_getpc22329)>>32
	s_setpc_b64 s[14:15]
.LBB2_1650:
	s_or_b64 exec, exec, s[6:7]
	s_and_saveexec_b64 s[6:7], s[4:5]
	s_cbranch_execz .LBB2_1652
.LBB2_1651:
	v_bfe_u32 v2, v9, 16, 3
	v_ffbh_u32_e32 v6, v2
	v_min_u32_e32 v6, 32, v6
	v_lshrrev_b32_e32 v3, 19, v9
	v_subrev_u32_e32 v7, 28, v6
	v_and_b32_e32 v3, 15, v3
	v_lshlrev_b32_sdwa v7, v7, v9 dst_sel:DWORD dst_unused:UNUSED_PAD src0_sel:DWORD src1_sel:WORD_1
	v_bfe_u32 v4, v9, 19, 4
	v_sub_u32_e32 v6, 29, v6
	v_and_b32_e32 v7, 7, v7
	v_cmp_eq_u16_e32 vcc, 0, v3
	v_cndmask_b32_e32 v2, v2, v7, vcc
	v_cndmask_b32_e32 v3, v4, v6, vcc
	v_lshlrev_b32_e32 v4, 8, v9
	v_mov_b32_e32 v6, 0x3b800000
	v_lshlrev_b32_e32 v2, 20, v2
	v_and_b32_e32 v4, 0x80000000, v4
	v_lshl_add_u32 v3, v3, 23, v6
	v_or3_b32 v2, v4, v3, v2
.LBB2_1652:
	s_or_b64 exec, exec, s[6:7]
	s_movk_i32 s4, 0xff
	v_and_b32_sdwa v3, v5, s4 dst_sel:DWORD dst_unused:UNUSED_PAD src0_sel:WORD_1 src1_sel:DWORD
	s_movk_i32 s4, 0x7f
	v_cmp_lt_i16_e32 vcc, s4, v3
	s_mov_b64 s[4:5], 0
                                        ; implicit-def: $sgpr10
	s_and_saveexec_b64 s[6:7], vcc
	s_xor_b64 s[6:7], exec, s[6:7]
	s_cbranch_execz .LBB2_1653
; %bb.37493:
	s_getpc_b64 s[14:15]
.Lpost_getpc22330:
	s_add_u32 s14, s14, (.LBB2_15989-.Lpost_getpc22330)&4294967295
	s_addc_u32 s15, s15, (.LBB2_15989-.Lpost_getpc22330)>>32
	s_setpc_b64 s[14:15]
.LBB2_1653:
	s_or_saveexec_b64 s[6:7], s[6:7]
	v_mov_b32_e32 v4, s10
	s_xor_b64 exec, exec, s[6:7]
	s_cbranch_execz .LBB2_1654
; %bb.37495:
	s_getpc_b64 s[14:15]
.Lpost_getpc22331:
	s_add_u32 s14, s14, (.LBB2_15992-.Lpost_getpc22331)&4294967295
	s_addc_u32 s15, s15, (.LBB2_15992-.Lpost_getpc22331)>>32
	s_setpc_b64 s[14:15]
.LBB2_1654:
	s_or_b64 exec, exec, s[6:7]
	s_and_saveexec_b64 s[6:7], s[4:5]
	s_cbranch_execz .LBB2_1656
.LBB2_1655:
	v_bfe_u32 v3, v5, 16, 3
	v_ffbh_u32_e32 v7, v3
	v_min_u32_e32 v7, 32, v7
	v_lshrrev_b32_e32 v4, 19, v5
	v_subrev_u32_e32 v8, 28, v7
	v_and_b32_e32 v4, 15, v4
	v_lshlrev_b32_sdwa v8, v8, v5 dst_sel:DWORD dst_unused:UNUSED_PAD src0_sel:DWORD src1_sel:WORD_1
	v_bfe_u32 v6, v5, 19, 4
	v_sub_u32_e32 v7, 29, v7
	v_and_b32_e32 v8, 7, v8
	v_cmp_eq_u16_e32 vcc, 0, v4
	v_cndmask_b32_e32 v3, v3, v8, vcc
	v_cndmask_b32_e32 v4, v6, v7, vcc
	v_lshlrev_b32_e32 v6, 8, v5
	v_mov_b32_e32 v7, 0x3b800000
	v_lshlrev_b32_e32 v3, 20, v3
	v_and_b32_e32 v6, 0x80000000, v6
	v_lshl_add_u32 v4, v4, 23, v7
	v_or3_b32 v4, v6, v4, v3
.LBB2_1656:
	s_or_b64 exec, exec, s[6:7]
	s_nop 0
	v_mfma_f32_16x16x4f32 a[0:3], v2, v4, a[0:3]
	s_movk_i32 s4, 0x7f
	v_cmp_gt_i16_sdwa s[6:7], v9, s4 src0_sel:BYTE_3 src1_sel:DWORD
	s_mov_b64 s[4:5], 0
                                        ; implicit-def: $sgpr10
	s_and_saveexec_b64 s[8:9], s[6:7]
	s_xor_b64 s[6:7], exec, s[8:9]
	s_cbranch_execz .LBB2_1657
; %bb.37497:
	s_getpc_b64 s[14:15]
.Lpost_getpc22332:
	s_add_u32 s14, s14, (.LBB2_15993-.Lpost_getpc22332)&4294967295
	s_addc_u32 s15, s15, (.LBB2_15993-.Lpost_getpc22332)>>32
	s_setpc_b64 s[14:15]
.LBB2_1657:
	s_or_saveexec_b64 s[6:7], s[6:7]
	v_mov_b32_e32 v2, s10
	s_xor_b64 exec, exec, s[6:7]
	s_cbranch_execz .LBB2_1658
; %bb.37499:
	s_getpc_b64 s[14:15]
.Lpost_getpc22333:
	s_add_u32 s14, s14, (.LBB2_15996-.Lpost_getpc22333)&4294967295
	s_addc_u32 s15, s15, (.LBB2_15996-.Lpost_getpc22333)>>32
	s_setpc_b64 s[14:15]
.LBB2_1658:
	s_or_b64 exec, exec, s[6:7]
	s_and_saveexec_b64 s[6:7], s[4:5]
	s_cbranch_execz .LBB2_1660
.LBB2_1659:
	v_bfe_u32 v2, v9, 24, 3
	v_ffbh_u32_e32 v7, v2
	v_min_u32_e32 v7, 32, v7
	v_lshrrev_b32_e32 v4, 27, v9
	v_subrev_u32_e32 v8, 28, v7
	v_and_b32_e32 v4, 15, v4
	v_lshlrev_b32_sdwa v8, v8, v9 dst_sel:DWORD dst_unused:UNUSED_PAD src0_sel:DWORD src1_sel:BYTE_3
	v_bfe_u32 v6, v9, 27, 4
	v_sub_u32_e32 v7, 29, v7
	v_and_b32_e32 v8, 7, v8
	v_cmp_eq_u16_e32 vcc, 0, v4
	v_cndmask_b32_e32 v2, v2, v8, vcc
	v_cndmask_b32_e32 v4, v6, v7, vcc
	v_mov_b32_e32 v6, 0x3b800000
	v_and_b32_e32 v3, 0x80000000, v9
	v_lshlrev_b32_e32 v2, 20, v2
	v_lshl_add_u32 v4, v4, 23, v6
	v_or3_b32 v2, v3, v4, v2
.LBB2_1660:
	s_or_b64 exec, exec, s[6:7]
	s_movk_i32 s4, 0x7f
	v_cmp_gt_i16_sdwa s[6:7], v5, s4 src0_sel:BYTE_3 src1_sel:DWORD
	s_mov_b64 s[4:5], 0
                                        ; implicit-def: $sgpr10
	s_and_saveexec_b64 s[8:9], s[6:7]
	s_xor_b64 s[6:7], exec, s[8:9]
	s_cbranch_execz .LBB2_1661
; %bb.37501:
	s_getpc_b64 s[14:15]
.Lpost_getpc22334:
	s_add_u32 s14, s14, (.LBB2_15997-.Lpost_getpc22334)&4294967295
	s_addc_u32 s15, s15, (.LBB2_15997-.Lpost_getpc22334)>>32
	s_setpc_b64 s[14:15]
.LBB2_1661:
	s_or_saveexec_b64 s[6:7], s[6:7]
	v_mov_b32_e32 v3, s10
	s_xor_b64 exec, exec, s[6:7]
	s_cbranch_execz .LBB2_1662
; %bb.37503:
	s_getpc_b64 s[14:15]
.Lpost_getpc22335:
	s_add_u32 s14, s14, (.LBB2_16000-.Lpost_getpc22335)&4294967295
	s_addc_u32 s15, s15, (.LBB2_16000-.Lpost_getpc22335)>>32
	s_setpc_b64 s[14:15]
.LBB2_1662:
	s_or_b64 exec, exec, s[6:7]
	s_and_saveexec_b64 s[6:7], s[4:5]
	s_cbranch_execz .LBB2_1664
.LBB2_1663:
	v_bfe_u32 v3, v5, 24, 3
	v_ffbh_u32_e32 v8, v3
	v_min_u32_e32 v8, 32, v8
	v_lshrrev_b32_e32 v6, 27, v5
	v_subrev_u32_e32 v9, 28, v8
	v_and_b32_e32 v4, 0x80000000, v5
	v_and_b32_e32 v6, 15, v6
	v_bfe_u32 v7, v5, 27, 4
	v_lshlrev_b32_sdwa v5, v9, v5 dst_sel:DWORD dst_unused:UNUSED_PAD src0_sel:DWORD src1_sel:BYTE_3
	v_sub_u32_e32 v8, 29, v8
	v_and_b32_e32 v5, 7, v5
	v_cmp_eq_u16_e32 vcc, 0, v6
	v_cndmask_b32_e32 v3, v3, v5, vcc
	v_cndmask_b32_e32 v5, v7, v8, vcc
	v_mov_b32_e32 v6, 0x3b800000
	v_lshlrev_b32_e32 v3, 20, v3
	v_lshl_add_u32 v5, v5, 23, v6
	v_or3_b32 v3, v4, v5, v3
.LBB2_1664:
	s_or_b64 exec, exec, s[6:7]
	s_nop 0
	v_mfma_f32_16x16x4f32 a[0:3], v2, v3, a[0:3]
	s_movk_i32 s4, 0x7f
                                        ; implicit-def: $sgpr10
	s_nop 7
	s_nop 1
	flat_store_dwordx4 v[10:11], a[0:3] offset:192
	flat_load_dwordx4 v[12:15], v[0:1]
	s_nop 0
	flat_load_dwordx2 v[10:11], v[0:1] offset:16
	s_waitcnt vmcnt(0) lgkmcnt(0)
	flat_load_dwordx4 v[6:9], v[12:13] offset:16
	flat_load_dwordx4 v[2:5], v[14:15] offset:80
	s_waitcnt vmcnt(0) lgkmcnt(0)
	v_cmp_gt_i16_sdwa s[6:7], v6, s4 src0_sel:BYTE_0 src1_sel:DWORD
	s_mov_b64 s[4:5], 0
	s_and_saveexec_b64 s[8:9], s[6:7]
	s_xor_b64 s[6:7], exec, s[8:9]
	s_cbranch_execz .LBB2_1665
; %bb.37505:
	s_getpc_b64 s[14:15]
.Lpost_getpc22336:
	s_add_u32 s14, s14, (.LBB2_16001-.Lpost_getpc22336)&4294967295
	s_addc_u32 s15, s15, (.LBB2_16001-.Lpost_getpc22336)>>32
	s_setpc_b64 s[14:15]
.LBB2_1665:
	s_or_saveexec_b64 s[6:7], s[6:7]
	v_mov_b32_e32 v12, s10
	s_xor_b64 exec, exec, s[6:7]
	s_cbranch_execz .LBB2_1666
; %bb.37507:
	s_getpc_b64 s[14:15]
.Lpost_getpc22337:
	s_add_u32 s14, s14, (.LBB2_16004-.Lpost_getpc22337)&4294967295
	s_addc_u32 s15, s15, (.LBB2_16004-.Lpost_getpc22337)>>32
	s_setpc_b64 s[14:15]
.LBB2_1666:
	s_or_b64 exec, exec, s[6:7]
	s_and_saveexec_b64 s[6:7], s[4:5]
	s_cbranch_execz .LBB2_1668
.LBB2_1667:
	v_and_b32_e32 v12, 7, v6
	v_ffbh_u32_e32 v14, v12
	v_min_u32_e32 v14, 32, v14
	v_lshrrev_b16_e32 v13, 3, v6
	v_subrev_u32_e32 v15, 28, v14
	v_and_b32_e32 v13, 15, v13
	v_lshlrev_b32_e32 v15, v15, v6
	v_sub_u32_e32 v14, 29, v14
	v_and_b32_e32 v15, 7, v15
	v_cmp_eq_u16_e32 vcc, 0, v13
	v_cndmask_b32_e32 v12, v12, v15, vcc
	v_cndmask_b32_e32 v13, v13, v14, vcc
	v_lshlrev_b32_e32 v14, 24, v6
	v_mov_b32_e32 v15, 0x3b800000
	v_lshlrev_b32_e32 v12, 20, v12
	v_and_b32_e32 v14, 0x80000000, v14
	v_lshl_add_u32 v13, v13, 23, v15
	v_or3_b32 v12, v14, v13, v12
.LBB2_1668:
	s_or_b64 exec, exec, s[6:7]
	s_movk_i32 s4, 0x7f
	v_cmp_gt_i16_sdwa s[6:7], v2, s4 src0_sel:BYTE_0 src1_sel:DWORD
	s_mov_b64 s[4:5], 0
                                        ; implicit-def: $sgpr10
	s_and_saveexec_b64 s[8:9], s[6:7]
	s_xor_b64 s[6:7], exec, s[8:9]
	s_cbranch_execz .LBB2_1669
; %bb.37509:
	s_getpc_b64 s[14:15]
.Lpost_getpc22338:
	s_add_u32 s14, s14, (.LBB2_16005-.Lpost_getpc22338)&4294967295
	s_addc_u32 s15, s15, (.LBB2_16005-.Lpost_getpc22338)>>32
	s_setpc_b64 s[14:15]
.LBB2_1669:
	s_or_saveexec_b64 s[6:7], s[6:7]
	v_mov_b32_e32 v13, s10
	s_xor_b64 exec, exec, s[6:7]
	s_cbranch_execz .LBB2_1670
; %bb.37511:
	s_getpc_b64 s[14:15]
.Lpost_getpc22339:
	s_add_u32 s14, s14, (.LBB2_16008-.Lpost_getpc22339)&4294967295
	s_addc_u32 s15, s15, (.LBB2_16008-.Lpost_getpc22339)>>32
	s_setpc_b64 s[14:15]
.LBB2_1670:
	s_or_b64 exec, exec, s[6:7]
	s_and_saveexec_b64 s[6:7], s[4:5]
	s_cbranch_execz .LBB2_1672
.LBB2_1671:
	v_and_b32_e32 v13, 7, v2
	v_ffbh_u32_e32 v15, v13
	v_min_u32_e32 v15, 32, v15
	v_lshrrev_b16_e32 v14, 3, v2
	v_subrev_u32_e32 v16, 28, v15
	v_and_b32_e32 v14, 15, v14
	v_lshlrev_b32_e32 v16, v16, v2
	v_sub_u32_e32 v15, 29, v15
	v_and_b32_e32 v16, 7, v16
	v_cmp_eq_u16_e32 vcc, 0, v14
	v_cndmask_b32_e32 v13, v13, v16, vcc
	v_cndmask_b32_e32 v14, v14, v15, vcc
	v_lshlrev_b32_e32 v15, 24, v2
	v_mov_b32_e32 v16, 0x3b800000
	v_lshlrev_b32_e32 v13, 20, v13
	v_and_b32_e32 v15, 0x80000000, v15
	v_lshl_add_u32 v14, v14, 23, v16
	v_or3_b32 v13, v15, v14, v13
.LBB2_1672:
	s_or_b64 exec, exec, s[6:7]
	flat_load_dwordx4 a[0:3], v[10:11] offset:208
	s_movk_i32 s4, 0x7f
                                        ; implicit-def: $sgpr10
	s_waitcnt vmcnt(0) lgkmcnt(0)
	v_mfma_f32_16x16x4f32 a[0:3], v12, v13, a[0:3]
	v_lshrrev_b32_e32 v13, 8, v6
	v_cmp_gt_i16_sdwa s[6:7], v13, s4 src0_sel:BYTE_0 src1_sel:DWORD
	s_mov_b64 s[4:5], 0
	s_and_saveexec_b64 s[8:9], s[6:7]
	s_xor_b64 s[6:7], exec, s[8:9]
	s_cbranch_execz .LBB2_1673
; %bb.37513:
	s_getpc_b64 s[14:15]
.Lpost_getpc22340:
	s_add_u32 s14, s14, (.LBB2_16009-.Lpost_getpc22340)&4294967295
	s_addc_u32 s15, s15, (.LBB2_16009-.Lpost_getpc22340)>>32
	s_setpc_b64 s[14:15]
.LBB2_1673:
	s_or_saveexec_b64 s[6:7], s[6:7]
	v_mov_b32_e32 v12, s10
	s_xor_b64 exec, exec, s[6:7]
	s_cbranch_execz .LBB2_1674
; %bb.37515:
	s_getpc_b64 s[14:15]
.Lpost_getpc22341:
	s_add_u32 s14, s14, (.LBB2_16012-.Lpost_getpc22341)&4294967295
	s_addc_u32 s15, s15, (.LBB2_16012-.Lpost_getpc22341)>>32
	s_setpc_b64 s[14:15]
.LBB2_1674:
	s_or_b64 exec, exec, s[6:7]
	s_and_saveexec_b64 s[6:7], s[4:5]
	s_cbranch_execz .LBB2_1676
.LBB2_1675:
	v_bfe_u32 v12, v6, 8, 3
	v_ffbh_u32_e32 v15, v12
	v_min_u32_e32 v15, 32, v15
	v_lshrrev_b16_e32 v14, 3, v13
	v_subrev_u32_e32 v16, 28, v15
	v_and_b32_e32 v14, 15, v14
	v_lshlrev_b32_e32 v13, v16, v13
	v_sub_u32_e32 v15, 29, v15
	v_and_b32_e32 v13, 7, v13
	v_cmp_eq_u16_e32 vcc, 0, v14
	v_cndmask_b32_e32 v12, v12, v13, vcc
	v_cndmask_b32_e32 v13, v14, v15, vcc
	v_lshlrev_b32_e32 v14, 16, v6
	v_mov_b32_e32 v15, 0x3b800000
	v_lshlrev_b32_e32 v12, 20, v12
	v_and_b32_e32 v14, 0x80000000, v14
	v_lshl_add_u32 v13, v13, 23, v15
	v_or3_b32 v12, v14, v13, v12
.LBB2_1676:
	s_or_b64 exec, exec, s[6:7]
	v_lshrrev_b32_e32 v13, 8, v2
	s_movk_i32 s4, 0x7f
	v_cmp_gt_i16_sdwa s[6:7], v13, s4 src0_sel:BYTE_0 src1_sel:DWORD
	s_mov_b64 s[4:5], 0
                                        ; implicit-def: $sgpr10
	s_and_saveexec_b64 s[8:9], s[6:7]
	s_xor_b64 s[6:7], exec, s[8:9]
	s_cbranch_execz .LBB2_1677
; %bb.37517:
	s_getpc_b64 s[14:15]
.Lpost_getpc22342:
	s_add_u32 s14, s14, (.LBB2_16013-.Lpost_getpc22342)&4294967295
	s_addc_u32 s15, s15, (.LBB2_16013-.Lpost_getpc22342)>>32
	s_setpc_b64 s[14:15]
.LBB2_1677:
	s_or_saveexec_b64 s[6:7], s[6:7]
	v_mov_b32_e32 v14, s10
	s_xor_b64 exec, exec, s[6:7]
	s_cbranch_execz .LBB2_1678
; %bb.37519:
	s_getpc_b64 s[14:15]
.Lpost_getpc22343:
	s_add_u32 s14, s14, (.LBB2_16016-.Lpost_getpc22343)&4294967295
	s_addc_u32 s15, s15, (.LBB2_16016-.Lpost_getpc22343)>>32
	s_setpc_b64 s[14:15]
.LBB2_1678:
	s_or_b64 exec, exec, s[6:7]
	s_and_saveexec_b64 s[6:7], s[4:5]
	s_cbranch_execz .LBB2_1680
.LBB2_1679:
	v_bfe_u32 v14, v2, 8, 3
	v_ffbh_u32_e32 v16, v14
	v_min_u32_e32 v16, 32, v16
	v_lshrrev_b16_e32 v15, 3, v13
	v_subrev_u32_e32 v17, 28, v16
	v_and_b32_e32 v15, 15, v15
	v_lshlrev_b32_e32 v13, v17, v13
	v_sub_u32_e32 v16, 29, v16
	v_and_b32_e32 v13, 7, v13
	v_cmp_eq_u16_e32 vcc, 0, v15
	v_cndmask_b32_e32 v13, v14, v13, vcc
	v_cndmask_b32_e32 v14, v15, v16, vcc
	v_lshlrev_b32_e32 v15, 16, v2
	v_mov_b32_e32 v16, 0x3b800000
	v_lshlrev_b32_e32 v13, 20, v13
	v_and_b32_e32 v15, 0x80000000, v15
	v_lshl_add_u32 v14, v14, 23, v16
	v_or3_b32 v14, v15, v14, v13
.LBB2_1680:
	s_or_b64 exec, exec, s[6:7]
	s_nop 0
	v_mfma_f32_16x16x4f32 a[0:3], v12, v14, a[0:3]
	s_movk_i32 s4, 0xff
	v_and_b32_sdwa v13, v6, s4 dst_sel:DWORD dst_unused:UNUSED_PAD src0_sel:WORD_1 src1_sel:DWORD
	s_movk_i32 s4, 0x7f
	v_cmp_lt_i16_e32 vcc, s4, v13
	s_mov_b64 s[4:5], 0
                                        ; implicit-def: $sgpr10
	s_and_saveexec_b64 s[6:7], vcc
	s_xor_b64 s[6:7], exec, s[6:7]
	s_cbranch_execz .LBB2_1681
; %bb.37521:
	s_getpc_b64 s[14:15]
.Lpost_getpc22344:
	s_add_u32 s14, s14, (.LBB2_16017-.Lpost_getpc22344)&4294967295
	s_addc_u32 s15, s15, (.LBB2_16017-.Lpost_getpc22344)>>32
	s_setpc_b64 s[14:15]
.LBB2_1681:
	s_or_saveexec_b64 s[6:7], s[6:7]
	v_mov_b32_e32 v12, s10
	s_xor_b64 exec, exec, s[6:7]
	s_cbranch_execz .LBB2_1682
; %bb.37523:
	s_getpc_b64 s[14:15]
.Lpost_getpc22345:
	s_add_u32 s14, s14, (.LBB2_16020-.Lpost_getpc22345)&4294967295
	s_addc_u32 s15, s15, (.LBB2_16020-.Lpost_getpc22345)>>32
	s_setpc_b64 s[14:15]
.LBB2_1682:
	s_or_b64 exec, exec, s[6:7]
	s_and_saveexec_b64 s[6:7], s[4:5]
	s_cbranch_execz .LBB2_1684
.LBB2_1683:
	v_bfe_u32 v12, v6, 16, 3
	v_ffbh_u32_e32 v15, v12
	v_min_u32_e32 v15, 32, v15
	v_lshrrev_b32_e32 v13, 19, v6
	v_subrev_u32_e32 v16, 28, v15
	v_and_b32_e32 v13, 15, v13
	v_lshlrev_b32_sdwa v16, v16, v6 dst_sel:DWORD dst_unused:UNUSED_PAD src0_sel:DWORD src1_sel:WORD_1
	v_bfe_u32 v14, v6, 19, 4
	v_sub_u32_e32 v15, 29, v15
	v_and_b32_e32 v16, 7, v16
	v_cmp_eq_u16_e32 vcc, 0, v13
	v_cndmask_b32_e32 v12, v12, v16, vcc
	v_cndmask_b32_e32 v13, v14, v15, vcc
	v_lshlrev_b32_e32 v14, 8, v6
	v_mov_b32_e32 v15, 0x3b800000
	v_lshlrev_b32_e32 v12, 20, v12
	v_and_b32_e32 v14, 0x80000000, v14
	v_lshl_add_u32 v13, v13, 23, v15
	v_or3_b32 v12, v14, v13, v12
.LBB2_1684:
	s_or_b64 exec, exec, s[6:7]
	s_movk_i32 s4, 0xff
	v_and_b32_sdwa v13, v2, s4 dst_sel:DWORD dst_unused:UNUSED_PAD src0_sel:WORD_1 src1_sel:DWORD
	s_movk_i32 s4, 0x7f
	v_cmp_lt_i16_e32 vcc, s4, v13
	s_mov_b64 s[4:5], 0
                                        ; implicit-def: $sgpr10
	s_and_saveexec_b64 s[6:7], vcc
	s_xor_b64 s[6:7], exec, s[6:7]
	s_cbranch_execz .LBB2_1685
; %bb.37525:
	s_getpc_b64 s[14:15]
.Lpost_getpc22346:
	s_add_u32 s14, s14, (.LBB2_16021-.Lpost_getpc22346)&4294967295
	s_addc_u32 s15, s15, (.LBB2_16021-.Lpost_getpc22346)>>32
	s_setpc_b64 s[14:15]
.LBB2_1685:
	s_or_saveexec_b64 s[6:7], s[6:7]
	v_mov_b32_e32 v14, s10
	s_xor_b64 exec, exec, s[6:7]
	s_cbranch_execz .LBB2_1686
; %bb.37527:
	s_getpc_b64 s[14:15]
.Lpost_getpc22347:
	s_add_u32 s14, s14, (.LBB2_16024-.Lpost_getpc22347)&4294967295
	s_addc_u32 s15, s15, (.LBB2_16024-.Lpost_getpc22347)>>32
	s_setpc_b64 s[14:15]
.LBB2_1686:
	s_or_b64 exec, exec, s[6:7]
	s_and_saveexec_b64 s[6:7], s[4:5]
	s_cbranch_execz .LBB2_1688
.LBB2_1687:
	v_bfe_u32 v13, v2, 16, 3
	v_ffbh_u32_e32 v16, v13
	v_min_u32_e32 v16, 32, v16
	v_lshrrev_b32_e32 v14, 19, v2
	v_subrev_u32_e32 v17, 28, v16
	v_and_b32_e32 v14, 15, v14
	v_lshlrev_b32_sdwa v17, v17, v2 dst_sel:DWORD dst_unused:UNUSED_PAD src0_sel:DWORD src1_sel:WORD_1
	v_bfe_u32 v15, v2, 19, 4
	v_sub_u32_e32 v16, 29, v16
	v_and_b32_e32 v17, 7, v17
	v_cmp_eq_u16_e32 vcc, 0, v14
	v_cndmask_b32_e32 v13, v13, v17, vcc
	v_cndmask_b32_e32 v14, v15, v16, vcc
	v_lshlrev_b32_e32 v15, 8, v2
	v_mov_b32_e32 v16, 0x3b800000
	v_lshlrev_b32_e32 v13, 20, v13
	v_and_b32_e32 v15, 0x80000000, v15
	v_lshl_add_u32 v14, v14, 23, v16
	v_or3_b32 v14, v15, v14, v13
.LBB2_1688:
	s_or_b64 exec, exec, s[6:7]
	s_nop 0
	v_mfma_f32_16x16x4f32 a[0:3], v12, v14, a[0:3]
	s_movk_i32 s4, 0x7f
	v_cmp_gt_i16_sdwa s[6:7], v6, s4 src0_sel:BYTE_3 src1_sel:DWORD
	s_mov_b64 s[4:5], 0
                                        ; implicit-def: $sgpr10
	s_and_saveexec_b64 s[8:9], s[6:7]
	s_xor_b64 s[6:7], exec, s[8:9]
	s_cbranch_execz .LBB2_1689
; %bb.37529:
	s_getpc_b64 s[14:15]
.Lpost_getpc22348:
	s_add_u32 s14, s14, (.LBB2_16025-.Lpost_getpc22348)&4294967295
	s_addc_u32 s15, s15, (.LBB2_16025-.Lpost_getpc22348)>>32
	s_setpc_b64 s[14:15]
.LBB2_1689:
	s_or_saveexec_b64 s[6:7], s[6:7]
	v_mov_b32_e32 v12, s10
	s_xor_b64 exec, exec, s[6:7]
	s_cbranch_execz .LBB2_1690
; %bb.37531:
	s_getpc_b64 s[14:15]
.Lpost_getpc22349:
	s_add_u32 s14, s14, (.LBB2_16028-.Lpost_getpc22349)&4294967295
	s_addc_u32 s15, s15, (.LBB2_16028-.Lpost_getpc22349)>>32
	s_setpc_b64 s[14:15]
.LBB2_1690:
	s_or_b64 exec, exec, s[6:7]
	s_and_saveexec_b64 s[6:7], s[4:5]
	s_cbranch_execz .LBB2_1692
.LBB2_1691:
	v_bfe_u32 v12, v6, 24, 3
	v_ffbh_u32_e32 v16, v12
	v_min_u32_e32 v16, 32, v16
	v_lshrrev_b32_e32 v14, 27, v6
	v_subrev_u32_e32 v17, 28, v16
	v_and_b32_e32 v13, 0x80000000, v6
	v_and_b32_e32 v14, 15, v14
	v_bfe_u32 v15, v6, 27, 4
	v_lshlrev_b32_sdwa v6, v17, v6 dst_sel:DWORD dst_unused:UNUSED_PAD src0_sel:DWORD src1_sel:BYTE_3
	v_sub_u32_e32 v16, 29, v16
	v_and_b32_e32 v6, 7, v6
	v_cmp_eq_u16_e32 vcc, 0, v14
	v_cndmask_b32_e32 v6, v12, v6, vcc
	v_cndmask_b32_e32 v12, v15, v16, vcc
	v_mov_b32_e32 v14, 0x3b800000
	v_lshlrev_b32_e32 v6, 20, v6
	v_lshl_add_u32 v12, v12, 23, v14
	v_or3_b32 v12, v13, v12, v6
.LBB2_1692:
	s_or_b64 exec, exec, s[6:7]
	s_movk_i32 s4, 0x7f
	v_cmp_gt_i16_sdwa s[6:7], v2, s4 src0_sel:BYTE_3 src1_sel:DWORD
	s_mov_b64 s[4:5], 0
                                        ; implicit-def: $sgpr10
	s_and_saveexec_b64 s[8:9], s[6:7]
	s_xor_b64 s[6:7], exec, s[8:9]
	s_cbranch_execz .LBB2_1693
; %bb.37533:
	s_getpc_b64 s[14:15]
.Lpost_getpc22350:
	s_add_u32 s14, s14, (.LBB2_16029-.Lpost_getpc22350)&4294967295
	s_addc_u32 s15, s15, (.LBB2_16029-.Lpost_getpc22350)>>32
	s_setpc_b64 s[14:15]
.LBB2_1693:
	s_or_saveexec_b64 s[6:7], s[6:7]
	v_mov_b32_e32 v6, s10
	s_xor_b64 exec, exec, s[6:7]
	s_cbranch_execz .LBB2_1694
; %bb.37535:
	s_getpc_b64 s[14:15]
.Lpost_getpc22351:
	s_add_u32 s14, s14, (.LBB2_16032-.Lpost_getpc22351)&4294967295
	s_addc_u32 s15, s15, (.LBB2_16032-.Lpost_getpc22351)>>32
	s_setpc_b64 s[14:15]
.LBB2_1694:
	s_or_b64 exec, exec, s[6:7]
	s_and_saveexec_b64 s[6:7], s[4:5]
	s_cbranch_execz .LBB2_1696
.LBB2_1695:
	v_bfe_u32 v6, v2, 24, 3
	v_ffbh_u32_e32 v16, v6
	v_min_u32_e32 v16, 32, v16
	v_lshrrev_b32_e32 v14, 27, v2
	v_subrev_u32_e32 v17, 28, v16
	v_and_b32_e32 v13, 0x80000000, v2
	v_and_b32_e32 v14, 15, v14
	v_bfe_u32 v15, v2, 27, 4
	v_lshlrev_b32_sdwa v2, v17, v2 dst_sel:DWORD dst_unused:UNUSED_PAD src0_sel:DWORD src1_sel:BYTE_3
	v_sub_u32_e32 v16, 29, v16
	v_and_b32_e32 v2, 7, v2
	v_cmp_eq_u16_e32 vcc, 0, v14
	v_cndmask_b32_e32 v2, v6, v2, vcc
	v_cndmask_b32_e32 v6, v15, v16, vcc
	v_mov_b32_e32 v14, 0x3b800000
	v_lshlrev_b32_e32 v2, 20, v2
	v_lshl_add_u32 v6, v6, 23, v14
	v_or3_b32 v6, v13, v6, v2
.LBB2_1696:
	s_or_b64 exec, exec, s[6:7]
	s_nop 0
	v_mfma_f32_16x16x4f32 a[0:3], v12, v6, a[0:3]
	s_movk_i32 s4, 0x7f
	v_cmp_gt_i16_sdwa s[6:7], v7, s4 src0_sel:BYTE_0 src1_sel:DWORD
	s_mov_b64 s[4:5], 0
                                        ; implicit-def: $sgpr10
	s_and_saveexec_b64 s[8:9], s[6:7]
	s_xor_b64 s[6:7], exec, s[8:9]
	s_cbranch_execz .LBB2_1697
; %bb.37537:
	s_getpc_b64 s[14:15]
.Lpost_getpc22352:
	s_add_u32 s14, s14, (.LBB2_16033-.Lpost_getpc22352)&4294967295
	s_addc_u32 s15, s15, (.LBB2_16033-.Lpost_getpc22352)>>32
	s_setpc_b64 s[14:15]
.LBB2_1697:
	s_or_saveexec_b64 s[6:7], s[6:7]
	v_mov_b32_e32 v2, s10
	s_xor_b64 exec, exec, s[6:7]
	s_cbranch_execz .LBB2_1698
; %bb.37539:
	s_getpc_b64 s[14:15]
.Lpost_getpc22353:
	s_add_u32 s14, s14, (.LBB2_16036-.Lpost_getpc22353)&4294967295
	s_addc_u32 s15, s15, (.LBB2_16036-.Lpost_getpc22353)>>32
	s_setpc_b64 s[14:15]
.LBB2_1698:
	s_or_b64 exec, exec, s[6:7]
	s_and_saveexec_b64 s[6:7], s[4:5]
	s_cbranch_execz .LBB2_1700
.LBB2_1699:
	v_and_b32_e32 v2, 7, v7
	v_ffbh_u32_e32 v12, v2
	v_min_u32_e32 v12, 32, v12
	v_lshrrev_b16_e32 v6, 3, v7
	v_subrev_u32_e32 v13, 28, v12
	v_and_b32_e32 v6, 15, v6
	v_lshlrev_b32_e32 v13, v13, v7
	v_sub_u32_e32 v12, 29, v12
	v_and_b32_e32 v13, 7, v13
	v_cmp_eq_u16_e32 vcc, 0, v6
	v_cndmask_b32_e32 v2, v2, v13, vcc
	v_cndmask_b32_e32 v6, v6, v12, vcc
	v_lshlrev_b32_e32 v12, 24, v7
	v_mov_b32_e32 v13, 0x3b800000
	v_lshlrev_b32_e32 v2, 20, v2
	v_and_b32_e32 v12, 0x80000000, v12
	v_lshl_add_u32 v6, v6, 23, v13
	v_or3_b32 v2, v12, v6, v2
.LBB2_1700:
	s_or_b64 exec, exec, s[6:7]
	s_movk_i32 s4, 0x7f
	v_cmp_gt_i16_sdwa s[6:7], v3, s4 src0_sel:BYTE_0 src1_sel:DWORD
	s_mov_b64 s[4:5], 0
                                        ; implicit-def: $sgpr10
	s_and_saveexec_b64 s[8:9], s[6:7]
	s_xor_b64 s[6:7], exec, s[8:9]
	s_cbranch_execz .LBB2_1701
; %bb.37541:
	s_getpc_b64 s[14:15]
.Lpost_getpc22354:
	s_add_u32 s14, s14, (.LBB2_16037-.Lpost_getpc22354)&4294967295
	s_addc_u32 s15, s15, (.LBB2_16037-.Lpost_getpc22354)>>32
	s_setpc_b64 s[14:15]
.LBB2_1701:
	s_or_saveexec_b64 s[6:7], s[6:7]
	v_mov_b32_e32 v6, s10
	s_xor_b64 exec, exec, s[6:7]
	s_cbranch_execz .LBB2_1702
; %bb.37543:
	s_getpc_b64 s[14:15]
.Lpost_getpc22355:
	s_add_u32 s14, s14, (.LBB2_16040-.Lpost_getpc22355)&4294967295
	s_addc_u32 s15, s15, (.LBB2_16040-.Lpost_getpc22355)>>32
	s_setpc_b64 s[14:15]
.LBB2_1702:
	s_or_b64 exec, exec, s[6:7]
	s_and_saveexec_b64 s[6:7], s[4:5]
	s_cbranch_execz .LBB2_1704
.LBB2_1703:
	v_and_b32_e32 v6, 7, v3
	v_ffbh_u32_e32 v13, v6
	v_min_u32_e32 v13, 32, v13
	v_lshrrev_b16_e32 v12, 3, v3
	v_subrev_u32_e32 v14, 28, v13
	v_and_b32_e32 v12, 15, v12
	v_lshlrev_b32_e32 v14, v14, v3
	v_sub_u32_e32 v13, 29, v13
	v_and_b32_e32 v14, 7, v14
	v_cmp_eq_u16_e32 vcc, 0, v12
	v_cndmask_b32_e32 v6, v6, v14, vcc
	v_cndmask_b32_e32 v12, v12, v13, vcc
	v_lshlrev_b32_e32 v13, 24, v3
	v_mov_b32_e32 v14, 0x3b800000
	v_lshlrev_b32_e32 v6, 20, v6
	v_and_b32_e32 v13, 0x80000000, v13
	v_lshl_add_u32 v12, v12, 23, v14
	v_or3_b32 v6, v13, v12, v6
.LBB2_1704:
	s_or_b64 exec, exec, s[6:7]
	s_nop 0
	v_mfma_f32_16x16x4f32 a[0:3], v2, v6, a[0:3]
	v_lshrrev_b32_e32 v6, 8, v7
	s_movk_i32 s4, 0x7f
	v_cmp_gt_i16_sdwa s[6:7], v6, s4 src0_sel:BYTE_0 src1_sel:DWORD
	s_mov_b64 s[4:5], 0
                                        ; implicit-def: $sgpr10
	s_and_saveexec_b64 s[8:9], s[6:7]
	s_xor_b64 s[6:7], exec, s[8:9]
	s_cbranch_execz .LBB2_1705
; %bb.37545:
	s_getpc_b64 s[14:15]
.Lpost_getpc22356:
	s_add_u32 s14, s14, (.LBB2_16041-.Lpost_getpc22356)&4294967295
	s_addc_u32 s15, s15, (.LBB2_16041-.Lpost_getpc22356)>>32
	s_setpc_b64 s[14:15]
.LBB2_1705:
	s_or_saveexec_b64 s[6:7], s[6:7]
	v_mov_b32_e32 v2, s10
	s_xor_b64 exec, exec, s[6:7]
	s_cbranch_execz .LBB2_1706
; %bb.37547:
	s_getpc_b64 s[14:15]
.Lpost_getpc22357:
	s_add_u32 s14, s14, (.LBB2_16044-.Lpost_getpc22357)&4294967295
	s_addc_u32 s15, s15, (.LBB2_16044-.Lpost_getpc22357)>>32
	s_setpc_b64 s[14:15]
.LBB2_1706:
	s_or_b64 exec, exec, s[6:7]
	s_and_saveexec_b64 s[6:7], s[4:5]
	s_cbranch_execz .LBB2_1708
.LBB2_1707:
	v_bfe_u32 v2, v7, 8, 3
	v_ffbh_u32_e32 v13, v2
	v_min_u32_e32 v13, 32, v13
	v_lshrrev_b16_e32 v12, 3, v6
	v_subrev_u32_e32 v14, 28, v13
	v_and_b32_e32 v12, 15, v12
	v_lshlrev_b32_e32 v6, v14, v6
	v_sub_u32_e32 v13, 29, v13
	v_and_b32_e32 v6, 7, v6
	v_cmp_eq_u16_e32 vcc, 0, v12
	v_cndmask_b32_e32 v2, v2, v6, vcc
	v_cndmask_b32_e32 v6, v12, v13, vcc
	v_lshlrev_b32_e32 v12, 16, v7
	v_mov_b32_e32 v13, 0x3b800000
	v_lshlrev_b32_e32 v2, 20, v2
	v_and_b32_e32 v12, 0x80000000, v12
	v_lshl_add_u32 v6, v6, 23, v13
	v_or3_b32 v2, v12, v6, v2
.LBB2_1708:
	s_or_b64 exec, exec, s[6:7]
	v_lshrrev_b32_e32 v6, 8, v3
	s_movk_i32 s4, 0x7f
	v_cmp_gt_i16_sdwa s[6:7], v6, s4 src0_sel:BYTE_0 src1_sel:DWORD
	s_mov_b64 s[4:5], 0
                                        ; implicit-def: $sgpr10
	s_and_saveexec_b64 s[8:9], s[6:7]
	s_xor_b64 s[6:7], exec, s[8:9]
	s_cbranch_execz .LBB2_1709
; %bb.37549:
	s_getpc_b64 s[14:15]
.Lpost_getpc22358:
	s_add_u32 s14, s14, (.LBB2_16045-.Lpost_getpc22358)&4294967295
	s_addc_u32 s15, s15, (.LBB2_16045-.Lpost_getpc22358)>>32
	s_setpc_b64 s[14:15]
.LBB2_1709:
	s_or_saveexec_b64 s[6:7], s[6:7]
	v_mov_b32_e32 v12, s10
	s_xor_b64 exec, exec, s[6:7]
	s_cbranch_execz .LBB2_1710
; %bb.37551:
	s_getpc_b64 s[14:15]
.Lpost_getpc22359:
	s_add_u32 s14, s14, (.LBB2_16048-.Lpost_getpc22359)&4294967295
	s_addc_u32 s15, s15, (.LBB2_16048-.Lpost_getpc22359)>>32
	s_setpc_b64 s[14:15]
.LBB2_1710:
	s_or_b64 exec, exec, s[6:7]
	s_and_saveexec_b64 s[6:7], s[4:5]
	s_cbranch_execz .LBB2_1712
.LBB2_1711:
	v_bfe_u32 v12, v3, 8, 3
	v_ffbh_u32_e32 v14, v12
	v_min_u32_e32 v14, 32, v14
	v_lshrrev_b16_e32 v13, 3, v6
	v_subrev_u32_e32 v15, 28, v14
	v_and_b32_e32 v13, 15, v13
	v_lshlrev_b32_e32 v6, v15, v6
	v_sub_u32_e32 v14, 29, v14
	v_and_b32_e32 v6, 7, v6
	v_cmp_eq_u16_e32 vcc, 0, v13
	v_cndmask_b32_e32 v6, v12, v6, vcc
	v_cndmask_b32_e32 v12, v13, v14, vcc
	v_lshlrev_b32_e32 v13, 16, v3
	v_mov_b32_e32 v14, 0x3b800000
	v_lshlrev_b32_e32 v6, 20, v6
	v_and_b32_e32 v13, 0x80000000, v13
	v_lshl_add_u32 v12, v12, 23, v14
	v_or3_b32 v12, v13, v12, v6
.LBB2_1712:
	s_or_b64 exec, exec, s[6:7]
	s_nop 0
	v_mfma_f32_16x16x4f32 a[0:3], v2, v12, a[0:3]
	s_movk_i32 s4, 0xff
	v_and_b32_sdwa v6, v7, s4 dst_sel:DWORD dst_unused:UNUSED_PAD src0_sel:WORD_1 src1_sel:DWORD
	s_movk_i32 s4, 0x7f
	v_cmp_lt_i16_e32 vcc, s4, v6
	s_mov_b64 s[4:5], 0
                                        ; implicit-def: $sgpr10
	s_and_saveexec_b64 s[6:7], vcc
	s_xor_b64 s[6:7], exec, s[6:7]
	s_cbranch_execz .LBB2_1713
; %bb.37553:
	s_getpc_b64 s[14:15]
.Lpost_getpc22360:
	s_add_u32 s14, s14, (.LBB2_16049-.Lpost_getpc22360)&4294967295
	s_addc_u32 s15, s15, (.LBB2_16049-.Lpost_getpc22360)>>32
	s_setpc_b64 s[14:15]
.LBB2_1713:
	s_or_saveexec_b64 s[6:7], s[6:7]
	v_mov_b32_e32 v2, s10
	s_xor_b64 exec, exec, s[6:7]
	s_cbranch_execz .LBB2_1714
; %bb.37555:
	s_getpc_b64 s[14:15]
.Lpost_getpc22361:
	s_add_u32 s14, s14, (.LBB2_16052-.Lpost_getpc22361)&4294967295
	s_addc_u32 s15, s15, (.LBB2_16052-.Lpost_getpc22361)>>32
	s_setpc_b64 s[14:15]
.LBB2_1714:
	s_or_b64 exec, exec, s[6:7]
	s_and_saveexec_b64 s[6:7], s[4:5]
	s_cbranch_execz .LBB2_1716
.LBB2_1715:
	v_bfe_u32 v2, v7, 16, 3
	v_ffbh_u32_e32 v13, v2
	v_min_u32_e32 v13, 32, v13
	v_lshrrev_b32_e32 v6, 19, v7
	v_subrev_u32_e32 v14, 28, v13
	v_and_b32_e32 v6, 15, v6
	v_lshlrev_b32_sdwa v14, v14, v7 dst_sel:DWORD dst_unused:UNUSED_PAD src0_sel:DWORD src1_sel:WORD_1
	v_bfe_u32 v12, v7, 19, 4
	v_sub_u32_e32 v13, 29, v13
	v_and_b32_e32 v14, 7, v14
	v_cmp_eq_u16_e32 vcc, 0, v6
	v_cndmask_b32_e32 v2, v2, v14, vcc
	v_cndmask_b32_e32 v6, v12, v13, vcc
	v_lshlrev_b32_e32 v12, 8, v7
	v_mov_b32_e32 v13, 0x3b800000
	v_lshlrev_b32_e32 v2, 20, v2
	v_and_b32_e32 v12, 0x80000000, v12
	v_lshl_add_u32 v6, v6, 23, v13
	v_or3_b32 v2, v12, v6, v2
.LBB2_1716:
	s_or_b64 exec, exec, s[6:7]
	s_movk_i32 s4, 0xff
	v_and_b32_sdwa v6, v3, s4 dst_sel:DWORD dst_unused:UNUSED_PAD src0_sel:WORD_1 src1_sel:DWORD
	s_movk_i32 s4, 0x7f
	v_cmp_lt_i16_e32 vcc, s4, v6
	s_mov_b64 s[4:5], 0
                                        ; implicit-def: $sgpr10
	s_and_saveexec_b64 s[6:7], vcc
	s_xor_b64 s[6:7], exec, s[6:7]
	s_cbranch_execz .LBB2_1717
; %bb.37557:
	s_getpc_b64 s[14:15]
.Lpost_getpc22362:
	s_add_u32 s14, s14, (.LBB2_16053-.Lpost_getpc22362)&4294967295
	s_addc_u32 s15, s15, (.LBB2_16053-.Lpost_getpc22362)>>32
	s_setpc_b64 s[14:15]
.LBB2_1717:
	s_or_saveexec_b64 s[6:7], s[6:7]
	v_mov_b32_e32 v12, s10
	s_xor_b64 exec, exec, s[6:7]
	s_cbranch_execz .LBB2_1718
; %bb.37559:
	s_getpc_b64 s[14:15]
.Lpost_getpc22363:
	s_add_u32 s14, s14, (.LBB2_16056-.Lpost_getpc22363)&4294967295
	s_addc_u32 s15, s15, (.LBB2_16056-.Lpost_getpc22363)>>32
	s_setpc_b64 s[14:15]
.LBB2_1718:
	s_or_b64 exec, exec, s[6:7]
	s_and_saveexec_b64 s[6:7], s[4:5]
	s_cbranch_execz .LBB2_1720
.LBB2_1719:
	v_bfe_u32 v6, v3, 16, 3
	v_ffbh_u32_e32 v14, v6
	v_min_u32_e32 v14, 32, v14
	v_lshrrev_b32_e32 v12, 19, v3
	v_subrev_u32_e32 v15, 28, v14
	v_and_b32_e32 v12, 15, v12
	v_lshlrev_b32_sdwa v15, v15, v3 dst_sel:DWORD dst_unused:UNUSED_PAD src0_sel:DWORD src1_sel:WORD_1
	v_bfe_u32 v13, v3, 19, 4
	v_sub_u32_e32 v14, 29, v14
	v_and_b32_e32 v15, 7, v15
	v_cmp_eq_u16_e32 vcc, 0, v12
	v_cndmask_b32_e32 v6, v6, v15, vcc
	v_cndmask_b32_e32 v12, v13, v14, vcc
	v_lshlrev_b32_e32 v13, 8, v3
	v_mov_b32_e32 v14, 0x3b800000
	v_lshlrev_b32_e32 v6, 20, v6
	v_and_b32_e32 v13, 0x80000000, v13
	v_lshl_add_u32 v12, v12, 23, v14
	v_or3_b32 v12, v13, v12, v6
.LBB2_1720:
	s_or_b64 exec, exec, s[6:7]
	s_nop 0
	v_mfma_f32_16x16x4f32 a[0:3], v2, v12, a[0:3]
	s_movk_i32 s4, 0x7f
	v_cmp_gt_i16_sdwa s[6:7], v7, s4 src0_sel:BYTE_3 src1_sel:DWORD
	s_mov_b64 s[4:5], 0
                                        ; implicit-def: $sgpr10
	s_and_saveexec_b64 s[8:9], s[6:7]
	s_xor_b64 s[6:7], exec, s[8:9]
	s_cbranch_execz .LBB2_1721
; %bb.37561:
	s_getpc_b64 s[14:15]
.Lpost_getpc22364:
	s_add_u32 s14, s14, (.LBB2_16057-.Lpost_getpc22364)&4294967295
	s_addc_u32 s15, s15, (.LBB2_16057-.Lpost_getpc22364)>>32
	s_setpc_b64 s[14:15]
.LBB2_1721:
	s_or_saveexec_b64 s[6:7], s[6:7]
	v_mov_b32_e32 v2, s10
	s_xor_b64 exec, exec, s[6:7]
	s_cbranch_execz .LBB2_1722
; %bb.37563:
	s_getpc_b64 s[14:15]
.Lpost_getpc22365:
	s_add_u32 s14, s14, (.LBB2_16060-.Lpost_getpc22365)&4294967295
	s_addc_u32 s15, s15, (.LBB2_16060-.Lpost_getpc22365)>>32
	s_setpc_b64 s[14:15]
.LBB2_1722:
	s_or_b64 exec, exec, s[6:7]
	s_and_saveexec_b64 s[6:7], s[4:5]
	s_cbranch_execz .LBB2_1724
.LBB2_1723:
	v_bfe_u32 v2, v7, 24, 3
	v_ffbh_u32_e32 v14, v2
	v_min_u32_e32 v14, 32, v14
	v_lshrrev_b32_e32 v12, 27, v7
	v_subrev_u32_e32 v15, 28, v14
	v_and_b32_e32 v6, 0x80000000, v7
	v_and_b32_e32 v12, 15, v12
	v_bfe_u32 v13, v7, 27, 4
	v_lshlrev_b32_sdwa v7, v15, v7 dst_sel:DWORD dst_unused:UNUSED_PAD src0_sel:DWORD src1_sel:BYTE_3
	v_sub_u32_e32 v14, 29, v14
	v_and_b32_e32 v7, 7, v7
	v_cmp_eq_u16_e32 vcc, 0, v12
	v_cndmask_b32_e32 v2, v2, v7, vcc
	v_cndmask_b32_e32 v7, v13, v14, vcc
	v_mov_b32_e32 v12, 0x3b800000
	v_lshlrev_b32_e32 v2, 20, v2
	v_lshl_add_u32 v7, v7, 23, v12
	v_or3_b32 v2, v6, v7, v2
.LBB2_1724:
	s_or_b64 exec, exec, s[6:7]
	s_movk_i32 s4, 0x7f
	v_cmp_gt_i16_sdwa s[6:7], v3, s4 src0_sel:BYTE_3 src1_sel:DWORD
	s_mov_b64 s[4:5], 0
                                        ; implicit-def: $sgpr10
	s_and_saveexec_b64 s[8:9], s[6:7]
	s_xor_b64 s[6:7], exec, s[8:9]
	s_cbranch_execz .LBB2_1725
; %bb.37565:
	s_getpc_b64 s[14:15]
.Lpost_getpc22366:
	s_add_u32 s14, s14, (.LBB2_16061-.Lpost_getpc22366)&4294967295
	s_addc_u32 s15, s15, (.LBB2_16061-.Lpost_getpc22366)>>32
	s_setpc_b64 s[14:15]
.LBB2_1725:
	s_or_saveexec_b64 s[6:7], s[6:7]
	v_mov_b32_e32 v6, s10
	s_xor_b64 exec, exec, s[6:7]
	s_cbranch_execz .LBB2_1726
; %bb.37567:
	s_getpc_b64 s[14:15]
.Lpost_getpc22367:
	s_add_u32 s14, s14, (.LBB2_16064-.Lpost_getpc22367)&4294967295
	s_addc_u32 s15, s15, (.LBB2_16064-.Lpost_getpc22367)>>32
	s_setpc_b64 s[14:15]
.LBB2_1726:
	s_or_b64 exec, exec, s[6:7]
	s_and_saveexec_b64 s[6:7], s[4:5]
	s_cbranch_execz .LBB2_1728
.LBB2_1727:
	v_bfe_u32 v6, v3, 24, 3
	v_ffbh_u32_e32 v14, v6
	v_min_u32_e32 v14, 32, v14
	v_lshrrev_b32_e32 v12, 27, v3
	v_subrev_u32_e32 v15, 28, v14
	v_and_b32_e32 v7, 0x80000000, v3
	v_and_b32_e32 v12, 15, v12
	v_bfe_u32 v13, v3, 27, 4
	v_lshlrev_b32_sdwa v3, v15, v3 dst_sel:DWORD dst_unused:UNUSED_PAD src0_sel:DWORD src1_sel:BYTE_3
	v_sub_u32_e32 v14, 29, v14
	v_and_b32_e32 v3, 7, v3
	v_cmp_eq_u16_e32 vcc, 0, v12
	v_cndmask_b32_e32 v3, v6, v3, vcc
	v_cndmask_b32_e32 v6, v13, v14, vcc
	v_mov_b32_e32 v12, 0x3b800000
	v_lshlrev_b32_e32 v3, 20, v3
	v_lshl_add_u32 v6, v6, 23, v12
	v_or3_b32 v6, v7, v6, v3
.LBB2_1728:
	s_or_b64 exec, exec, s[6:7]
	s_nop 0
	v_mfma_f32_16x16x4f32 a[0:3], v2, v6, a[0:3]
	s_movk_i32 s4, 0x7f
	v_cmp_gt_i16_sdwa s[6:7], v8, s4 src0_sel:BYTE_0 src1_sel:DWORD
	s_mov_b64 s[4:5], 0
                                        ; implicit-def: $sgpr10
	s_and_saveexec_b64 s[8:9], s[6:7]
	s_xor_b64 s[6:7], exec, s[8:9]
	s_cbranch_execz .LBB2_1729
; %bb.37569:
	s_getpc_b64 s[14:15]
.Lpost_getpc22368:
	s_add_u32 s14, s14, (.LBB2_16065-.Lpost_getpc22368)&4294967295
	s_addc_u32 s15, s15, (.LBB2_16065-.Lpost_getpc22368)>>32
	s_setpc_b64 s[14:15]
.LBB2_1729:
	s_or_saveexec_b64 s[6:7], s[6:7]
	v_mov_b32_e32 v2, s10
	s_xor_b64 exec, exec, s[6:7]
	s_cbranch_execz .LBB2_1730
; %bb.37571:
	s_getpc_b64 s[14:15]
.Lpost_getpc22369:
	s_add_u32 s14, s14, (.LBB2_16068-.Lpost_getpc22369)&4294967295
	s_addc_u32 s15, s15, (.LBB2_16068-.Lpost_getpc22369)>>32
	s_setpc_b64 s[14:15]
.LBB2_1730:
	s_or_b64 exec, exec, s[6:7]
	s_and_saveexec_b64 s[6:7], s[4:5]
	s_cbranch_execz .LBB2_1732
.LBB2_1731:
	v_and_b32_e32 v2, 7, v8
	v_ffbh_u32_e32 v6, v2
	v_min_u32_e32 v6, 32, v6
	v_lshrrev_b16_e32 v3, 3, v8
	v_subrev_u32_e32 v7, 28, v6
	v_and_b32_e32 v3, 15, v3
	v_lshlrev_b32_e32 v7, v7, v8
	v_sub_u32_e32 v6, 29, v6
	v_and_b32_e32 v7, 7, v7
	v_cmp_eq_u16_e32 vcc, 0, v3
	v_cndmask_b32_e32 v2, v2, v7, vcc
	v_cndmask_b32_e32 v3, v3, v6, vcc
	v_lshlrev_b32_e32 v6, 24, v8
	v_mov_b32_e32 v7, 0x3b800000
	v_lshlrev_b32_e32 v2, 20, v2
	v_and_b32_e32 v6, 0x80000000, v6
	v_lshl_add_u32 v3, v3, 23, v7
	v_or3_b32 v2, v6, v3, v2
.LBB2_1732:
	s_or_b64 exec, exec, s[6:7]
	s_movk_i32 s4, 0x7f
	v_cmp_gt_i16_sdwa s[6:7], v4, s4 src0_sel:BYTE_0 src1_sel:DWORD
	s_mov_b64 s[4:5], 0
                                        ; implicit-def: $sgpr10
	s_and_saveexec_b64 s[8:9], s[6:7]
	s_xor_b64 s[6:7], exec, s[8:9]
	s_cbranch_execz .LBB2_1733
; %bb.37573:
	s_getpc_b64 s[14:15]
.Lpost_getpc22370:
	s_add_u32 s14, s14, (.LBB2_16069-.Lpost_getpc22370)&4294967295
	s_addc_u32 s15, s15, (.LBB2_16069-.Lpost_getpc22370)>>32
	s_setpc_b64 s[14:15]
.LBB2_1733:
	s_or_saveexec_b64 s[6:7], s[6:7]
	v_mov_b32_e32 v3, s10
	s_xor_b64 exec, exec, s[6:7]
	s_cbranch_execz .LBB2_1734
; %bb.37575:
	s_getpc_b64 s[14:15]
.Lpost_getpc22371:
	s_add_u32 s14, s14, (.LBB2_16072-.Lpost_getpc22371)&4294967295
	s_addc_u32 s15, s15, (.LBB2_16072-.Lpost_getpc22371)>>32
	s_setpc_b64 s[14:15]
.LBB2_1734:
	s_or_b64 exec, exec, s[6:7]
	s_and_saveexec_b64 s[6:7], s[4:5]
	s_cbranch_execz .LBB2_1736
.LBB2_1735:
	v_and_b32_e32 v3, 7, v4
	v_ffbh_u32_e32 v7, v3
	v_min_u32_e32 v7, 32, v7
	v_lshrrev_b16_e32 v6, 3, v4
	v_subrev_u32_e32 v12, 28, v7
	v_and_b32_e32 v6, 15, v6
	v_lshlrev_b32_e32 v12, v12, v4
	v_sub_u32_e32 v7, 29, v7
	v_and_b32_e32 v12, 7, v12
	v_cmp_eq_u16_e32 vcc, 0, v6
	v_cndmask_b32_e32 v3, v3, v12, vcc
	v_cndmask_b32_e32 v6, v6, v7, vcc
	v_lshlrev_b32_e32 v7, 24, v4
	v_mov_b32_e32 v12, 0x3b800000
	v_lshlrev_b32_e32 v3, 20, v3
	v_and_b32_e32 v7, 0x80000000, v7
	v_lshl_add_u32 v6, v6, 23, v12
	v_or3_b32 v3, v7, v6, v3
.LBB2_1736:
	s_or_b64 exec, exec, s[6:7]
	s_nop 0
	v_mfma_f32_16x16x4f32 a[0:3], v2, v3, a[0:3]
	v_lshrrev_b32_e32 v3, 8, v8
	s_movk_i32 s4, 0x7f
	v_cmp_gt_i16_sdwa s[6:7], v3, s4 src0_sel:BYTE_0 src1_sel:DWORD
	s_mov_b64 s[4:5], 0
                                        ; implicit-def: $sgpr10
	s_and_saveexec_b64 s[8:9], s[6:7]
	s_xor_b64 s[6:7], exec, s[8:9]
	s_cbranch_execz .LBB2_1737
; %bb.37577:
	s_getpc_b64 s[14:15]
.Lpost_getpc22372:
	s_add_u32 s14, s14, (.LBB2_16073-.Lpost_getpc22372)&4294967295
	s_addc_u32 s15, s15, (.LBB2_16073-.Lpost_getpc22372)>>32
	s_setpc_b64 s[14:15]
.LBB2_1737:
	s_or_saveexec_b64 s[6:7], s[6:7]
	v_mov_b32_e32 v2, s10
	s_xor_b64 exec, exec, s[6:7]
	s_cbranch_execz .LBB2_1738
; %bb.37579:
	s_getpc_b64 s[14:15]
.Lpost_getpc22373:
	s_add_u32 s14, s14, (.LBB2_16076-.Lpost_getpc22373)&4294967295
	s_addc_u32 s15, s15, (.LBB2_16076-.Lpost_getpc22373)>>32
	s_setpc_b64 s[14:15]
.LBB2_1738:
	s_or_b64 exec, exec, s[6:7]
	s_and_saveexec_b64 s[6:7], s[4:5]
	s_cbranch_execz .LBB2_1740
.LBB2_1739:
	v_bfe_u32 v2, v8, 8, 3
	v_ffbh_u32_e32 v7, v2
	v_min_u32_e32 v7, 32, v7
	v_lshrrev_b16_e32 v6, 3, v3
	v_subrev_u32_e32 v12, 28, v7
	v_and_b32_e32 v6, 15, v6
	v_lshlrev_b32_e32 v3, v12, v3
	v_sub_u32_e32 v7, 29, v7
	v_and_b32_e32 v3, 7, v3
	v_cmp_eq_u16_e32 vcc, 0, v6
	v_cndmask_b32_e32 v2, v2, v3, vcc
	v_cndmask_b32_e32 v3, v6, v7, vcc
	v_lshlrev_b32_e32 v6, 16, v8
	v_mov_b32_e32 v7, 0x3b800000
	v_lshlrev_b32_e32 v2, 20, v2
	v_and_b32_e32 v6, 0x80000000, v6
	v_lshl_add_u32 v3, v3, 23, v7
	v_or3_b32 v2, v6, v3, v2
.LBB2_1740:
	s_or_b64 exec, exec, s[6:7]
	v_lshrrev_b32_e32 v3, 8, v4
	s_movk_i32 s4, 0x7f
	v_cmp_gt_i16_sdwa s[6:7], v3, s4 src0_sel:BYTE_0 src1_sel:DWORD
	s_mov_b64 s[4:5], 0
                                        ; implicit-def: $sgpr10
	s_and_saveexec_b64 s[8:9], s[6:7]
	s_xor_b64 s[6:7], exec, s[8:9]
	s_cbranch_execz .LBB2_1741
; %bb.37581:
	s_getpc_b64 s[14:15]
.Lpost_getpc22374:
	s_add_u32 s14, s14, (.LBB2_16077-.Lpost_getpc22374)&4294967295
	s_addc_u32 s15, s15, (.LBB2_16077-.Lpost_getpc22374)>>32
	s_setpc_b64 s[14:15]
.LBB2_1741:
	s_or_saveexec_b64 s[6:7], s[6:7]
	v_mov_b32_e32 v6, s10
	s_xor_b64 exec, exec, s[6:7]
	s_cbranch_execz .LBB2_1742
; %bb.37583:
	s_getpc_b64 s[14:15]
.Lpost_getpc22375:
	s_add_u32 s14, s14, (.LBB2_16080-.Lpost_getpc22375)&4294967295
	s_addc_u32 s15, s15, (.LBB2_16080-.Lpost_getpc22375)>>32
	s_setpc_b64 s[14:15]
.LBB2_1742:
	s_or_b64 exec, exec, s[6:7]
	s_and_saveexec_b64 s[6:7], s[4:5]
	s_cbranch_execz .LBB2_1744
.LBB2_1743:
	v_bfe_u32 v6, v4, 8, 3
	v_ffbh_u32_e32 v12, v6
	v_min_u32_e32 v12, 32, v12
	v_lshrrev_b16_e32 v7, 3, v3
	v_subrev_u32_e32 v13, 28, v12
	v_and_b32_e32 v7, 15, v7
	v_lshlrev_b32_e32 v3, v13, v3
	v_sub_u32_e32 v12, 29, v12
	v_and_b32_e32 v3, 7, v3
	v_cmp_eq_u16_e32 vcc, 0, v7
	v_cndmask_b32_e32 v3, v6, v3, vcc
	v_cndmask_b32_e32 v6, v7, v12, vcc
	v_lshlrev_b32_e32 v7, 16, v4
	v_mov_b32_e32 v12, 0x3b800000
	v_lshlrev_b32_e32 v3, 20, v3
	v_and_b32_e32 v7, 0x80000000, v7
	v_lshl_add_u32 v6, v6, 23, v12
	v_or3_b32 v6, v7, v6, v3
.LBB2_1744:
	s_or_b64 exec, exec, s[6:7]
	s_nop 0
	v_mfma_f32_16x16x4f32 a[0:3], v2, v6, a[0:3]
	s_movk_i32 s4, 0xff
	v_and_b32_sdwa v3, v8, s4 dst_sel:DWORD dst_unused:UNUSED_PAD src0_sel:WORD_1 src1_sel:DWORD
	s_movk_i32 s4, 0x7f
	v_cmp_lt_i16_e32 vcc, s4, v3
	s_mov_b64 s[4:5], 0
                                        ; implicit-def: $sgpr10
	s_and_saveexec_b64 s[6:7], vcc
	s_xor_b64 s[6:7], exec, s[6:7]
	s_cbranch_execz .LBB2_1745
; %bb.37585:
	s_getpc_b64 s[14:15]
.Lpost_getpc22376:
	s_add_u32 s14, s14, (.LBB2_16081-.Lpost_getpc22376)&4294967295
	s_addc_u32 s15, s15, (.LBB2_16081-.Lpost_getpc22376)>>32
	s_setpc_b64 s[14:15]
.LBB2_1745:
	s_or_saveexec_b64 s[6:7], s[6:7]
	v_mov_b32_e32 v2, s10
	s_xor_b64 exec, exec, s[6:7]
	s_cbranch_execz .LBB2_1746
; %bb.37587:
	s_getpc_b64 s[14:15]
.Lpost_getpc22377:
	s_add_u32 s14, s14, (.LBB2_16084-.Lpost_getpc22377)&4294967295
	s_addc_u32 s15, s15, (.LBB2_16084-.Lpost_getpc22377)>>32
	s_setpc_b64 s[14:15]
.LBB2_1746:
	s_or_b64 exec, exec, s[6:7]
	s_and_saveexec_b64 s[6:7], s[4:5]
	s_cbranch_execz .LBB2_1748
.LBB2_1747:
	v_bfe_u32 v2, v8, 16, 3
	v_ffbh_u32_e32 v7, v2
	v_min_u32_e32 v7, 32, v7
	v_lshrrev_b32_e32 v3, 19, v8
	v_subrev_u32_e32 v12, 28, v7
	v_and_b32_e32 v3, 15, v3
	v_lshlrev_b32_sdwa v12, v12, v8 dst_sel:DWORD dst_unused:UNUSED_PAD src0_sel:DWORD src1_sel:WORD_1
	v_bfe_u32 v6, v8, 19, 4
	v_sub_u32_e32 v7, 29, v7
	v_and_b32_e32 v12, 7, v12
	v_cmp_eq_u16_e32 vcc, 0, v3
	v_cndmask_b32_e32 v2, v2, v12, vcc
	v_cndmask_b32_e32 v3, v6, v7, vcc
	v_lshlrev_b32_e32 v6, 8, v8
	v_mov_b32_e32 v7, 0x3b800000
	v_lshlrev_b32_e32 v2, 20, v2
	v_and_b32_e32 v6, 0x80000000, v6
	v_lshl_add_u32 v3, v3, 23, v7
	v_or3_b32 v2, v6, v3, v2
.LBB2_1748:
	s_or_b64 exec, exec, s[6:7]
	s_movk_i32 s4, 0xff
	v_and_b32_sdwa v3, v4, s4 dst_sel:DWORD dst_unused:UNUSED_PAD src0_sel:WORD_1 src1_sel:DWORD
	s_movk_i32 s4, 0x7f
	v_cmp_lt_i16_e32 vcc, s4, v3
	s_mov_b64 s[4:5], 0
                                        ; implicit-def: $sgpr10
	s_and_saveexec_b64 s[6:7], vcc
	s_xor_b64 s[6:7], exec, s[6:7]
	s_cbranch_execz .LBB2_1749
; %bb.37589:
	s_getpc_b64 s[14:15]
.Lpost_getpc22378:
	s_add_u32 s14, s14, (.LBB2_16085-.Lpost_getpc22378)&4294967295
	s_addc_u32 s15, s15, (.LBB2_16085-.Lpost_getpc22378)>>32
	s_setpc_b64 s[14:15]
.LBB2_1749:
	s_or_saveexec_b64 s[6:7], s[6:7]
	v_mov_b32_e32 v6, s10
	s_xor_b64 exec, exec, s[6:7]
	s_cbranch_execz .LBB2_1750
; %bb.37591:
	s_getpc_b64 s[14:15]
.Lpost_getpc22379:
	s_add_u32 s14, s14, (.LBB2_16088-.Lpost_getpc22379)&4294967295
	s_addc_u32 s15, s15, (.LBB2_16088-.Lpost_getpc22379)>>32
	s_setpc_b64 s[14:15]
.LBB2_1750:
	s_or_b64 exec, exec, s[6:7]
	s_and_saveexec_b64 s[6:7], s[4:5]
	s_cbranch_execz .LBB2_1752
.LBB2_1751:
	v_bfe_u32 v3, v4, 16, 3
	v_ffbh_u32_e32 v12, v3
	v_min_u32_e32 v12, 32, v12
	v_lshrrev_b32_e32 v6, 19, v4
	v_subrev_u32_e32 v13, 28, v12
	v_and_b32_e32 v6, 15, v6
	v_lshlrev_b32_sdwa v13, v13, v4 dst_sel:DWORD dst_unused:UNUSED_PAD src0_sel:DWORD src1_sel:WORD_1
	v_bfe_u32 v7, v4, 19, 4
	v_sub_u32_e32 v12, 29, v12
	v_and_b32_e32 v13, 7, v13
	v_cmp_eq_u16_e32 vcc, 0, v6
	v_cndmask_b32_e32 v3, v3, v13, vcc
	v_cndmask_b32_e32 v6, v7, v12, vcc
	v_lshlrev_b32_e32 v7, 8, v4
	v_mov_b32_e32 v12, 0x3b800000
	v_lshlrev_b32_e32 v3, 20, v3
	v_and_b32_e32 v7, 0x80000000, v7
	v_lshl_add_u32 v6, v6, 23, v12
	v_or3_b32 v6, v7, v6, v3
.LBB2_1752:
	s_or_b64 exec, exec, s[6:7]
	s_nop 0
	v_mfma_f32_16x16x4f32 a[0:3], v2, v6, a[0:3]
	s_movk_i32 s4, 0x7f
	v_cmp_gt_i16_sdwa s[6:7], v8, s4 src0_sel:BYTE_3 src1_sel:DWORD
	s_mov_b64 s[4:5], 0
                                        ; implicit-def: $sgpr10
	s_and_saveexec_b64 s[8:9], s[6:7]
	s_xor_b64 s[6:7], exec, s[8:9]
	s_cbranch_execz .LBB2_1753
; %bb.37593:
	s_getpc_b64 s[14:15]
.Lpost_getpc22380:
	s_add_u32 s14, s14, (.LBB2_16089-.Lpost_getpc22380)&4294967295
	s_addc_u32 s15, s15, (.LBB2_16089-.Lpost_getpc22380)>>32
	s_setpc_b64 s[14:15]
.LBB2_1753:
	s_or_saveexec_b64 s[6:7], s[6:7]
	v_mov_b32_e32 v2, s10
	s_xor_b64 exec, exec, s[6:7]
	s_cbranch_execz .LBB2_1754
; %bb.37595:
	s_getpc_b64 s[14:15]
.Lpost_getpc22381:
	s_add_u32 s14, s14, (.LBB2_16092-.Lpost_getpc22381)&4294967295
	s_addc_u32 s15, s15, (.LBB2_16092-.Lpost_getpc22381)>>32
	s_setpc_b64 s[14:15]
.LBB2_1754:
	s_or_b64 exec, exec, s[6:7]
	s_and_saveexec_b64 s[6:7], s[4:5]
	s_cbranch_execz .LBB2_1756
.LBB2_1755:
	v_bfe_u32 v2, v8, 24, 3
	v_ffbh_u32_e32 v12, v2
	v_min_u32_e32 v12, 32, v12
	v_lshrrev_b32_e32 v6, 27, v8
	v_subrev_u32_e32 v13, 28, v12
	v_and_b32_e32 v3, 0x80000000, v8
	v_and_b32_e32 v6, 15, v6
	v_bfe_u32 v7, v8, 27, 4
	v_lshlrev_b32_sdwa v8, v13, v8 dst_sel:DWORD dst_unused:UNUSED_PAD src0_sel:DWORD src1_sel:BYTE_3
	v_sub_u32_e32 v12, 29, v12
	v_and_b32_e32 v8, 7, v8
	v_cmp_eq_u16_e32 vcc, 0, v6
	v_cndmask_b32_e32 v2, v2, v8, vcc
	v_cndmask_b32_e32 v6, v7, v12, vcc
	v_mov_b32_e32 v7, 0x3b800000
	v_lshlrev_b32_e32 v2, 20, v2
	v_lshl_add_u32 v6, v6, 23, v7
	v_or3_b32 v2, v3, v6, v2
.LBB2_1756:
	s_or_b64 exec, exec, s[6:7]
	s_movk_i32 s4, 0x7f
	v_cmp_gt_i16_sdwa s[6:7], v4, s4 src0_sel:BYTE_3 src1_sel:DWORD
	s_mov_b64 s[4:5], 0
                                        ; implicit-def: $sgpr10
	s_and_saveexec_b64 s[8:9], s[6:7]
	s_xor_b64 s[6:7], exec, s[8:9]
	s_cbranch_execz .LBB2_1757
; %bb.37597:
	s_getpc_b64 s[14:15]
.Lpost_getpc22382:
	s_add_u32 s14, s14, (.LBB2_16093-.Lpost_getpc22382)&4294967295
	s_addc_u32 s15, s15, (.LBB2_16093-.Lpost_getpc22382)>>32
	s_setpc_b64 s[14:15]
.LBB2_1757:
	s_or_saveexec_b64 s[6:7], s[6:7]
	v_mov_b32_e32 v3, s10
	s_xor_b64 exec, exec, s[6:7]
	s_cbranch_execz .LBB2_1758
; %bb.37599:
	s_getpc_b64 s[14:15]
.Lpost_getpc22383:
	s_add_u32 s14, s14, (.LBB2_16096-.Lpost_getpc22383)&4294967295
	s_addc_u32 s15, s15, (.LBB2_16096-.Lpost_getpc22383)>>32
	s_setpc_b64 s[14:15]
.LBB2_1758:
	s_or_b64 exec, exec, s[6:7]
	s_and_saveexec_b64 s[6:7], s[4:5]
	s_cbranch_execz .LBB2_1760
.LBB2_1759:
	v_bfe_u32 v3, v4, 24, 3
	v_ffbh_u32_e32 v12, v3
	v_min_u32_e32 v12, 32, v12
	v_lshrrev_b32_e32 v7, 27, v4
	v_subrev_u32_e32 v13, 28, v12
	v_and_b32_e32 v6, 0x80000000, v4
	v_and_b32_e32 v7, 15, v7
	v_bfe_u32 v8, v4, 27, 4
	v_lshlrev_b32_sdwa v4, v13, v4 dst_sel:DWORD dst_unused:UNUSED_PAD src0_sel:DWORD src1_sel:BYTE_3
	v_sub_u32_e32 v12, 29, v12
	v_and_b32_e32 v4, 7, v4
	v_cmp_eq_u16_e32 vcc, 0, v7
	v_cndmask_b32_e32 v3, v3, v4, vcc
	v_cndmask_b32_e32 v4, v8, v12, vcc
	v_mov_b32_e32 v7, 0x3b800000
	v_lshlrev_b32_e32 v3, 20, v3
	v_lshl_add_u32 v4, v4, 23, v7
	v_or3_b32 v3, v6, v4, v3
.LBB2_1760:
	s_or_b64 exec, exec, s[6:7]
	s_nop 0
	v_mfma_f32_16x16x4f32 a[0:3], v2, v3, a[0:3]
	s_movk_i32 s4, 0x7f
	v_cmp_gt_i16_sdwa s[6:7], v9, s4 src0_sel:BYTE_0 src1_sel:DWORD
	s_mov_b64 s[4:5], 0
                                        ; implicit-def: $sgpr10
	s_and_saveexec_b64 s[8:9], s[6:7]
	s_xor_b64 s[6:7], exec, s[8:9]
	s_cbranch_execz .LBB2_1761
; %bb.37601:
	s_getpc_b64 s[14:15]
.Lpost_getpc22384:
	s_add_u32 s14, s14, (.LBB2_16097-.Lpost_getpc22384)&4294967295
	s_addc_u32 s15, s15, (.LBB2_16097-.Lpost_getpc22384)>>32
	s_setpc_b64 s[14:15]
.LBB2_1761:
	s_or_saveexec_b64 s[6:7], s[6:7]
	v_mov_b32_e32 v2, s10
	s_xor_b64 exec, exec, s[6:7]
	s_cbranch_execz .LBB2_1762
; %bb.37603:
	s_getpc_b64 s[14:15]
.Lpost_getpc22385:
	s_add_u32 s14, s14, (.LBB2_16100-.Lpost_getpc22385)&4294967295
	s_addc_u32 s15, s15, (.LBB2_16100-.Lpost_getpc22385)>>32
	s_setpc_b64 s[14:15]
.LBB2_1762:
	s_or_b64 exec, exec, s[6:7]
	s_and_saveexec_b64 s[6:7], s[4:5]
	s_cbranch_execz .LBB2_1764
.LBB2_1763:
	v_mov_b32_e32 v2, 8
	v_and_b32_e32 v3, 7, v9
	v_lshrrev_b32_sdwa v2, v2, v9 dst_sel:BYTE_1 dst_unused:UNUSED_PAD src0_sel:DWORD src1_sel:DWORD
	v_ffbh_u32_e32 v4, v3
	v_or_b32_sdwa v2, v9, v2 dst_sel:DWORD dst_unused:UNUSED_PAD src0_sel:BYTE_0 src1_sel:DWORD
	v_min_u32_e32 v4, 32, v4
	v_lshrrev_b16_e32 v2, 3, v2
	v_subrev_u32_e32 v6, 28, v4
	v_and_b32_e32 v2, 15, v2
	v_lshlrev_b32_e32 v6, v6, v9
	v_sub_u32_e32 v4, 29, v4
	v_and_b32_e32 v6, 7, v6
	v_cmp_eq_u16_e32 vcc, 0, v2
	v_cndmask_b32_e32 v3, v3, v6, vcc
	v_cndmask_b32_e32 v2, v2, v4, vcc
	v_lshlrev_b32_e32 v4, 24, v9
	v_mov_b32_e32 v6, 0x3b800000
	v_lshlrev_b32_e32 v3, 20, v3
	v_and_b32_e32 v4, 0x80000000, v4
	v_lshl_add_u32 v2, v2, 23, v6
	v_or3_b32 v2, v4, v2, v3
.LBB2_1764:
	s_or_b64 exec, exec, s[6:7]
	s_movk_i32 s4, 0x7f
	v_cmp_gt_i16_sdwa s[6:7], v5, s4 src0_sel:BYTE_0 src1_sel:DWORD
	s_mov_b64 s[4:5], 0
                                        ; implicit-def: $sgpr10
	s_and_saveexec_b64 s[8:9], s[6:7]
	s_xor_b64 s[6:7], exec, s[8:9]
	s_cbranch_execz .LBB2_1765
; %bb.37605:
	s_getpc_b64 s[14:15]
.Lpost_getpc22386:
	s_add_u32 s14, s14, (.LBB2_16101-.Lpost_getpc22386)&4294967295
	s_addc_u32 s15, s15, (.LBB2_16101-.Lpost_getpc22386)>>32
	s_setpc_b64 s[14:15]
.LBB2_1765:
	s_or_saveexec_b64 s[6:7], s[6:7]
	v_mov_b32_e32 v3, s10
	s_xor_b64 exec, exec, s[6:7]
	s_cbranch_execz .LBB2_1766
; %bb.37607:
	s_getpc_b64 s[14:15]
.Lpost_getpc22387:
	s_add_u32 s14, s14, (.LBB2_16104-.Lpost_getpc22387)&4294967295
	s_addc_u32 s15, s15, (.LBB2_16104-.Lpost_getpc22387)>>32
	s_setpc_b64 s[14:15]
.LBB2_1766:
	s_or_b64 exec, exec, s[6:7]
	s_and_saveexec_b64 s[6:7], s[4:5]
	s_cbranch_execz .LBB2_1768
.LBB2_1767:
	v_mov_b32_e32 v3, 8
	v_and_b32_e32 v4, 7, v5
	v_lshrrev_b32_sdwa v3, v3, v5 dst_sel:BYTE_1 dst_unused:UNUSED_PAD src0_sel:DWORD src1_sel:DWORD
	v_ffbh_u32_e32 v6, v4
	v_or_b32_sdwa v3, v5, v3 dst_sel:DWORD dst_unused:UNUSED_PAD src0_sel:BYTE_0 src1_sel:DWORD
	v_min_u32_e32 v6, 32, v6
	v_lshrrev_b16_e32 v3, 3, v3
	v_subrev_u32_e32 v7, 28, v6
	v_and_b32_e32 v3, 15, v3
	v_lshlrev_b32_e32 v7, v7, v5
	v_sub_u32_e32 v6, 29, v6
	v_and_b32_e32 v7, 7, v7
	v_cmp_eq_u16_e32 vcc, 0, v3
	v_cndmask_b32_e32 v4, v4, v7, vcc
	v_cndmask_b32_e32 v3, v3, v6, vcc
	v_lshlrev_b32_e32 v6, 24, v5
	v_mov_b32_e32 v7, 0x3b800000
	v_lshlrev_b32_e32 v4, 20, v4
	v_and_b32_e32 v6, 0x80000000, v6
	v_lshl_add_u32 v3, v3, 23, v7
	v_or3_b32 v3, v6, v3, v4
.LBB2_1768:
	s_or_b64 exec, exec, s[6:7]
	s_nop 0
	v_mfma_f32_16x16x4f32 a[0:3], v2, v3, a[0:3]
	v_lshrrev_b32_e32 v3, 8, v9
	s_movk_i32 s4, 0x7f
	v_cmp_gt_i16_sdwa s[6:7], v3, s4 src0_sel:BYTE_0 src1_sel:DWORD
	s_mov_b64 s[4:5], 0
                                        ; implicit-def: $sgpr10
	s_and_saveexec_b64 s[8:9], s[6:7]
	s_xor_b64 s[6:7], exec, s[8:9]
	s_cbranch_execz .LBB2_1769
; %bb.37609:
	s_getpc_b64 s[14:15]
.Lpost_getpc22388:
	s_add_u32 s14, s14, (.LBB2_16105-.Lpost_getpc22388)&4294967295
	s_addc_u32 s15, s15, (.LBB2_16105-.Lpost_getpc22388)>>32
	s_setpc_b64 s[14:15]
.LBB2_1769:
	s_or_saveexec_b64 s[6:7], s[6:7]
	v_mov_b32_e32 v2, s10
	s_xor_b64 exec, exec, s[6:7]
	s_cbranch_execz .LBB2_1770
; %bb.37611:
	s_getpc_b64 s[14:15]
.Lpost_getpc22389:
	s_add_u32 s14, s14, (.LBB2_16108-.Lpost_getpc22389)&4294967295
	s_addc_u32 s15, s15, (.LBB2_16108-.Lpost_getpc22389)>>32
	s_setpc_b64 s[14:15]
.LBB2_1770:
	s_or_b64 exec, exec, s[6:7]
	s_and_saveexec_b64 s[6:7], s[4:5]
	s_cbranch_execz .LBB2_1772
.LBB2_1771:
	v_bfe_u32 v2, v9, 8, 3
	v_ffbh_u32_e32 v6, v2
	v_min_u32_e32 v6, 32, v6
	v_lshrrev_b16_e32 v4, 3, v3
	v_subrev_u32_e32 v7, 28, v6
	v_and_b32_e32 v4, 15, v4
	v_lshlrev_b32_e32 v3, v7, v3
	v_sub_u32_e32 v6, 29, v6
	v_and_b32_e32 v3, 7, v3
	v_cmp_eq_u16_e32 vcc, 0, v4
	v_cndmask_b32_e32 v2, v2, v3, vcc
	v_cndmask_b32_e32 v3, v4, v6, vcc
	v_lshlrev_b32_e32 v4, 16, v9
	v_mov_b32_e32 v6, 0x3b800000
	v_lshlrev_b32_e32 v2, 20, v2
	v_and_b32_e32 v4, 0x80000000, v4
	v_lshl_add_u32 v3, v3, 23, v6
	v_or3_b32 v2, v4, v3, v2
.LBB2_1772:
	s_or_b64 exec, exec, s[6:7]
	v_lshrrev_b32_e32 v3, 8, v5
	s_movk_i32 s4, 0x7f
	v_cmp_gt_i16_sdwa s[6:7], v3, s4 src0_sel:BYTE_0 src1_sel:DWORD
	s_mov_b64 s[4:5], 0
                                        ; implicit-def: $sgpr10
	s_and_saveexec_b64 s[8:9], s[6:7]
	s_xor_b64 s[6:7], exec, s[8:9]
	s_cbranch_execz .LBB2_1773
; %bb.37613:
	s_getpc_b64 s[14:15]
.Lpost_getpc22390:
	s_add_u32 s14, s14, (.LBB2_16109-.Lpost_getpc22390)&4294967295
	s_addc_u32 s15, s15, (.LBB2_16109-.Lpost_getpc22390)>>32
	s_setpc_b64 s[14:15]
.LBB2_1773:
	s_or_saveexec_b64 s[6:7], s[6:7]
	v_mov_b32_e32 v4, s10
	s_xor_b64 exec, exec, s[6:7]
	s_cbranch_execz .LBB2_1774
; %bb.37615:
	s_getpc_b64 s[14:15]
.Lpost_getpc22391:
	s_add_u32 s14, s14, (.LBB2_16112-.Lpost_getpc22391)&4294967295
	s_addc_u32 s15, s15, (.LBB2_16112-.Lpost_getpc22391)>>32
	s_setpc_b64 s[14:15]
.LBB2_1774:
	s_or_b64 exec, exec, s[6:7]
	s_and_saveexec_b64 s[6:7], s[4:5]
	s_cbranch_execz .LBB2_1776
.LBB2_1775:
	v_bfe_u32 v4, v5, 8, 3
	v_ffbh_u32_e32 v7, v4
	v_min_u32_e32 v7, 32, v7
	v_lshrrev_b16_e32 v6, 3, v3
	v_subrev_u32_e32 v8, 28, v7
	v_and_b32_e32 v6, 15, v6
	v_lshlrev_b32_e32 v3, v8, v3
	v_sub_u32_e32 v7, 29, v7
	v_and_b32_e32 v3, 7, v3
	v_cmp_eq_u16_e32 vcc, 0, v6
	v_cndmask_b32_e32 v3, v4, v3, vcc
	v_cndmask_b32_e32 v4, v6, v7, vcc
	v_lshlrev_b32_e32 v6, 16, v5
	v_mov_b32_e32 v7, 0x3b800000
	v_lshlrev_b32_e32 v3, 20, v3
	v_and_b32_e32 v6, 0x80000000, v6
	v_lshl_add_u32 v4, v4, 23, v7
	v_or3_b32 v4, v6, v4, v3
.LBB2_1776:
	s_or_b64 exec, exec, s[6:7]
	s_nop 0
	v_mfma_f32_16x16x4f32 a[0:3], v2, v4, a[0:3]
	s_movk_i32 s4, 0xff
	v_and_b32_sdwa v3, v9, s4 dst_sel:DWORD dst_unused:UNUSED_PAD src0_sel:WORD_1 src1_sel:DWORD
	s_movk_i32 s4, 0x7f
	v_cmp_lt_i16_e32 vcc, s4, v3
	s_mov_b64 s[4:5], 0
                                        ; implicit-def: $sgpr10
	s_and_saveexec_b64 s[6:7], vcc
	s_xor_b64 s[6:7], exec, s[6:7]
	s_cbranch_execz .LBB2_1777
; %bb.37617:
	s_getpc_b64 s[14:15]
.Lpost_getpc22392:
	s_add_u32 s14, s14, (.LBB2_16113-.Lpost_getpc22392)&4294967295
	s_addc_u32 s15, s15, (.LBB2_16113-.Lpost_getpc22392)>>32
	s_setpc_b64 s[14:15]
.LBB2_1777:
	s_or_saveexec_b64 s[6:7], s[6:7]
	v_mov_b32_e32 v2, s10
	s_xor_b64 exec, exec, s[6:7]
	s_cbranch_execz .LBB2_1778
; %bb.37619:
	s_getpc_b64 s[14:15]
.Lpost_getpc22393:
	s_add_u32 s14, s14, (.LBB2_16116-.Lpost_getpc22393)&4294967295
	s_addc_u32 s15, s15, (.LBB2_16116-.Lpost_getpc22393)>>32
	s_setpc_b64 s[14:15]
.LBB2_1778:
	s_or_b64 exec, exec, s[6:7]
	s_and_saveexec_b64 s[6:7], s[4:5]
	s_cbranch_execz .LBB2_1780
.LBB2_1779:
	v_bfe_u32 v2, v9, 16, 3
	v_ffbh_u32_e32 v6, v2
	v_min_u32_e32 v6, 32, v6
	v_lshrrev_b32_e32 v3, 19, v9
	v_subrev_u32_e32 v7, 28, v6
	v_and_b32_e32 v3, 15, v3
	v_lshlrev_b32_sdwa v7, v7, v9 dst_sel:DWORD dst_unused:UNUSED_PAD src0_sel:DWORD src1_sel:WORD_1
	v_bfe_u32 v4, v9, 19, 4
	v_sub_u32_e32 v6, 29, v6
	v_and_b32_e32 v7, 7, v7
	v_cmp_eq_u16_e32 vcc, 0, v3
	v_cndmask_b32_e32 v2, v2, v7, vcc
	v_cndmask_b32_e32 v3, v4, v6, vcc
	v_lshlrev_b32_e32 v4, 8, v9
	v_mov_b32_e32 v6, 0x3b800000
	v_lshlrev_b32_e32 v2, 20, v2
	v_and_b32_e32 v4, 0x80000000, v4
	v_lshl_add_u32 v3, v3, 23, v6
	v_or3_b32 v2, v4, v3, v2
.LBB2_1780:
	s_or_b64 exec, exec, s[6:7]
	s_movk_i32 s4, 0xff
	v_and_b32_sdwa v3, v5, s4 dst_sel:DWORD dst_unused:UNUSED_PAD src0_sel:WORD_1 src1_sel:DWORD
	s_movk_i32 s4, 0x7f
	v_cmp_lt_i16_e32 vcc, s4, v3
	s_mov_b64 s[4:5], 0
                                        ; implicit-def: $sgpr10
	s_and_saveexec_b64 s[6:7], vcc
	s_xor_b64 s[6:7], exec, s[6:7]
	s_cbranch_execz .LBB2_1781
; %bb.37621:
	s_getpc_b64 s[14:15]
.Lpost_getpc22394:
	s_add_u32 s14, s14, (.LBB2_16117-.Lpost_getpc22394)&4294967295
	s_addc_u32 s15, s15, (.LBB2_16117-.Lpost_getpc22394)>>32
	s_setpc_b64 s[14:15]
.LBB2_1781:
	s_or_saveexec_b64 s[6:7], s[6:7]
	v_mov_b32_e32 v4, s10
	s_xor_b64 exec, exec, s[6:7]
	s_cbranch_execz .LBB2_1782
; %bb.37623:
	s_getpc_b64 s[14:15]
.Lpost_getpc22395:
	s_add_u32 s14, s14, (.LBB2_16120-.Lpost_getpc22395)&4294967295
	s_addc_u32 s15, s15, (.LBB2_16120-.Lpost_getpc22395)>>32
	s_setpc_b64 s[14:15]
.LBB2_1782:
	s_or_b64 exec, exec, s[6:7]
	s_and_saveexec_b64 s[6:7], s[4:5]
	s_cbranch_execz .LBB2_1784
.LBB2_1783:
	v_bfe_u32 v3, v5, 16, 3
	v_ffbh_u32_e32 v7, v3
	v_min_u32_e32 v7, 32, v7
	v_lshrrev_b32_e32 v4, 19, v5
	v_subrev_u32_e32 v8, 28, v7
	v_and_b32_e32 v4, 15, v4
	v_lshlrev_b32_sdwa v8, v8, v5 dst_sel:DWORD dst_unused:UNUSED_PAD src0_sel:DWORD src1_sel:WORD_1
	v_bfe_u32 v6, v5, 19, 4
	v_sub_u32_e32 v7, 29, v7
	v_and_b32_e32 v8, 7, v8
	v_cmp_eq_u16_e32 vcc, 0, v4
	v_cndmask_b32_e32 v3, v3, v8, vcc
	v_cndmask_b32_e32 v4, v6, v7, vcc
	v_lshlrev_b32_e32 v6, 8, v5
	v_mov_b32_e32 v7, 0x3b800000
	v_lshlrev_b32_e32 v3, 20, v3
	v_and_b32_e32 v6, 0x80000000, v6
	v_lshl_add_u32 v4, v4, 23, v7
	v_or3_b32 v4, v6, v4, v3
.LBB2_1784:
	s_or_b64 exec, exec, s[6:7]
	s_nop 0
	v_mfma_f32_16x16x4f32 a[0:3], v2, v4, a[0:3]
	s_movk_i32 s4, 0x7f
	v_cmp_gt_i16_sdwa s[6:7], v9, s4 src0_sel:BYTE_3 src1_sel:DWORD
	s_mov_b64 s[4:5], 0
                                        ; implicit-def: $sgpr10
	s_and_saveexec_b64 s[8:9], s[6:7]
	s_xor_b64 s[6:7], exec, s[8:9]
	s_cbranch_execz .LBB2_1785
; %bb.37625:
	s_getpc_b64 s[14:15]
.Lpost_getpc22396:
	s_add_u32 s14, s14, (.LBB2_16121-.Lpost_getpc22396)&4294967295
	s_addc_u32 s15, s15, (.LBB2_16121-.Lpost_getpc22396)>>32
	s_setpc_b64 s[14:15]
.LBB2_1785:
	s_or_saveexec_b64 s[6:7], s[6:7]
	v_mov_b32_e32 v2, s10
	s_xor_b64 exec, exec, s[6:7]
	s_cbranch_execz .LBB2_1786
; %bb.37627:
	s_getpc_b64 s[14:15]
.Lpost_getpc22397:
	s_add_u32 s14, s14, (.LBB2_16124-.Lpost_getpc22397)&4294967295
	s_addc_u32 s15, s15, (.LBB2_16124-.Lpost_getpc22397)>>32
	s_setpc_b64 s[14:15]
.LBB2_1786:
	s_or_b64 exec, exec, s[6:7]
	s_and_saveexec_b64 s[6:7], s[4:5]
	s_cbranch_execz .LBB2_1788
.LBB2_1787:
	v_bfe_u32 v2, v9, 24, 3
	v_ffbh_u32_e32 v7, v2
	v_min_u32_e32 v7, 32, v7
	v_lshrrev_b32_e32 v4, 27, v9
	v_subrev_u32_e32 v8, 28, v7
	v_and_b32_e32 v4, 15, v4
	v_lshlrev_b32_sdwa v8, v8, v9 dst_sel:DWORD dst_unused:UNUSED_PAD src0_sel:DWORD src1_sel:BYTE_3
	v_bfe_u32 v6, v9, 27, 4
	v_sub_u32_e32 v7, 29, v7
	v_and_b32_e32 v8, 7, v8
	v_cmp_eq_u16_e32 vcc, 0, v4
	v_cndmask_b32_e32 v2, v2, v8, vcc
	v_cndmask_b32_e32 v4, v6, v7, vcc
	v_mov_b32_e32 v6, 0x3b800000
	v_and_b32_e32 v3, 0x80000000, v9
	v_lshlrev_b32_e32 v2, 20, v2
	v_lshl_add_u32 v4, v4, 23, v6
	v_or3_b32 v2, v3, v4, v2
.LBB2_1788:
	s_or_b64 exec, exec, s[6:7]
	s_movk_i32 s4, 0x7f
	v_cmp_gt_i16_sdwa s[6:7], v5, s4 src0_sel:BYTE_3 src1_sel:DWORD
	s_mov_b64 s[4:5], 0
                                        ; implicit-def: $sgpr10
	s_and_saveexec_b64 s[8:9], s[6:7]
	s_xor_b64 s[6:7], exec, s[8:9]
	s_cbranch_execz .LBB2_1789
; %bb.37629:
	s_getpc_b64 s[14:15]
.Lpost_getpc22398:
	s_add_u32 s14, s14, (.LBB2_16125-.Lpost_getpc22398)&4294967295
	s_addc_u32 s15, s15, (.LBB2_16125-.Lpost_getpc22398)>>32
	s_setpc_b64 s[14:15]
.LBB2_1789:
	s_or_saveexec_b64 s[6:7], s[6:7]
	v_mov_b32_e32 v3, s10
	s_xor_b64 exec, exec, s[6:7]
	s_cbranch_execz .LBB2_1790
; %bb.37631:
	s_getpc_b64 s[14:15]
.Lpost_getpc22399:
	s_add_u32 s14, s14, (.LBB2_16128-.Lpost_getpc22399)&4294967295
	s_addc_u32 s15, s15, (.LBB2_16128-.Lpost_getpc22399)>>32
	s_setpc_b64 s[14:15]
.LBB2_1790:
	s_or_b64 exec, exec, s[6:7]
	s_and_saveexec_b64 s[6:7], s[4:5]
	s_cbranch_execz .LBB2_1792
.LBB2_1791:
	v_bfe_u32 v3, v5, 24, 3
	v_ffbh_u32_e32 v8, v3
	v_min_u32_e32 v8, 32, v8
	v_lshrrev_b32_e32 v6, 27, v5
	v_subrev_u32_e32 v9, 28, v8
	v_and_b32_e32 v4, 0x80000000, v5
	v_and_b32_e32 v6, 15, v6
	v_bfe_u32 v7, v5, 27, 4
	v_lshlrev_b32_sdwa v5, v9, v5 dst_sel:DWORD dst_unused:UNUSED_PAD src0_sel:DWORD src1_sel:BYTE_3
	v_sub_u32_e32 v8, 29, v8
	v_and_b32_e32 v5, 7, v5
	v_cmp_eq_u16_e32 vcc, 0, v6
	v_cndmask_b32_e32 v3, v3, v5, vcc
	v_cndmask_b32_e32 v5, v7, v8, vcc
	v_mov_b32_e32 v6, 0x3b800000
	v_lshlrev_b32_e32 v3, 20, v3
	v_lshl_add_u32 v5, v5, 23, v6
	v_or3_b32 v3, v4, v5, v3
.LBB2_1792:
	s_or_b64 exec, exec, s[6:7]
	s_nop 0
	v_mfma_f32_16x16x4f32 a[0:3], v2, v3, a[0:3]
	s_movk_i32 s4, 0x7f
                                        ; implicit-def: $sgpr10
	s_nop 7
	s_nop 1
	flat_store_dwordx4 v[10:11], a[0:3] offset:208
	flat_load_dwordx4 v[12:15], v[0:1]
	s_nop 0
	flat_load_dwordx2 v[10:11], v[0:1] offset:16
	s_waitcnt vmcnt(0) lgkmcnt(0)
	flat_load_dwordx4 v[6:9], v[12:13] offset:16
	flat_load_dwordx4 v[2:5], v[14:15] offset:96
	s_waitcnt vmcnt(0) lgkmcnt(0)
	v_cmp_gt_i16_sdwa s[6:7], v6, s4 src0_sel:BYTE_0 src1_sel:DWORD
	s_mov_b64 s[4:5], 0
	s_and_saveexec_b64 s[8:9], s[6:7]
	s_xor_b64 s[6:7], exec, s[8:9]
	s_cbranch_execz .LBB2_1793
; %bb.37633:
	s_getpc_b64 s[14:15]
.Lpost_getpc22400:
	s_add_u32 s14, s14, (.LBB2_16129-.Lpost_getpc22400)&4294967295
	s_addc_u32 s15, s15, (.LBB2_16129-.Lpost_getpc22400)>>32
	s_setpc_b64 s[14:15]
.LBB2_1793:
	s_or_saveexec_b64 s[6:7], s[6:7]
	v_mov_b32_e32 v12, s10
	s_xor_b64 exec, exec, s[6:7]
	s_cbranch_execz .LBB2_1794
; %bb.37635:
	s_getpc_b64 s[14:15]
.Lpost_getpc22401:
	s_add_u32 s14, s14, (.LBB2_16132-.Lpost_getpc22401)&4294967295
	s_addc_u32 s15, s15, (.LBB2_16132-.Lpost_getpc22401)>>32
	s_setpc_b64 s[14:15]
.LBB2_1794:
	s_or_b64 exec, exec, s[6:7]
	s_and_saveexec_b64 s[6:7], s[4:5]
	s_cbranch_execz .LBB2_1796
.LBB2_1795:
	v_and_b32_e32 v12, 7, v6
	v_ffbh_u32_e32 v14, v12
	v_min_u32_e32 v14, 32, v14
	v_lshrrev_b16_e32 v13, 3, v6
	v_subrev_u32_e32 v15, 28, v14
	v_and_b32_e32 v13, 15, v13
	v_lshlrev_b32_e32 v15, v15, v6
	v_sub_u32_e32 v14, 29, v14
	v_and_b32_e32 v15, 7, v15
	v_cmp_eq_u16_e32 vcc, 0, v13
	v_cndmask_b32_e32 v12, v12, v15, vcc
	v_cndmask_b32_e32 v13, v13, v14, vcc
	v_lshlrev_b32_e32 v14, 24, v6
	v_mov_b32_e32 v15, 0x3b800000
	v_lshlrev_b32_e32 v12, 20, v12
	v_and_b32_e32 v14, 0x80000000, v14
	v_lshl_add_u32 v13, v13, 23, v15
	v_or3_b32 v12, v14, v13, v12
.LBB2_1796:
	s_or_b64 exec, exec, s[6:7]
	s_movk_i32 s4, 0x7f
	v_cmp_gt_i16_sdwa s[6:7], v2, s4 src0_sel:BYTE_0 src1_sel:DWORD
	s_mov_b64 s[4:5], 0
                                        ; implicit-def: $sgpr10
	s_and_saveexec_b64 s[8:9], s[6:7]
	s_xor_b64 s[6:7], exec, s[8:9]
	s_cbranch_execz .LBB2_1797
; %bb.37637:
	s_getpc_b64 s[14:15]
.Lpost_getpc22402:
	s_add_u32 s14, s14, (.LBB2_16133-.Lpost_getpc22402)&4294967295
	s_addc_u32 s15, s15, (.LBB2_16133-.Lpost_getpc22402)>>32
	s_setpc_b64 s[14:15]
.LBB2_1797:
	s_or_saveexec_b64 s[6:7], s[6:7]
	v_mov_b32_e32 v13, s10
	s_xor_b64 exec, exec, s[6:7]
	s_cbranch_execz .LBB2_1798
; %bb.37639:
	s_getpc_b64 s[14:15]
.Lpost_getpc22403:
	s_add_u32 s14, s14, (.LBB2_16136-.Lpost_getpc22403)&4294967295
	s_addc_u32 s15, s15, (.LBB2_16136-.Lpost_getpc22403)>>32
	s_setpc_b64 s[14:15]
.LBB2_1798:
	s_or_b64 exec, exec, s[6:7]
	s_and_saveexec_b64 s[6:7], s[4:5]
	s_cbranch_execz .LBB2_1800
.LBB2_1799:
	v_and_b32_e32 v13, 7, v2
	v_ffbh_u32_e32 v15, v13
	v_min_u32_e32 v15, 32, v15
	v_lshrrev_b16_e32 v14, 3, v2
	v_subrev_u32_e32 v16, 28, v15
	v_and_b32_e32 v14, 15, v14
	v_lshlrev_b32_e32 v16, v16, v2
	v_sub_u32_e32 v15, 29, v15
	v_and_b32_e32 v16, 7, v16
	v_cmp_eq_u16_e32 vcc, 0, v14
	v_cndmask_b32_e32 v13, v13, v16, vcc
	v_cndmask_b32_e32 v14, v14, v15, vcc
	v_lshlrev_b32_e32 v15, 24, v2
	v_mov_b32_e32 v16, 0x3b800000
	v_lshlrev_b32_e32 v13, 20, v13
	v_and_b32_e32 v15, 0x80000000, v15
	v_lshl_add_u32 v14, v14, 23, v16
	v_or3_b32 v13, v15, v14, v13
.LBB2_1800:
	s_or_b64 exec, exec, s[6:7]
	flat_load_dwordx4 a[0:3], v[10:11] offset:224
	s_movk_i32 s4, 0x7f
                                        ; implicit-def: $sgpr10
	s_waitcnt vmcnt(0) lgkmcnt(0)
	v_mfma_f32_16x16x4f32 a[0:3], v12, v13, a[0:3]
	v_lshrrev_b32_e32 v13, 8, v6
	v_cmp_gt_i16_sdwa s[6:7], v13, s4 src0_sel:BYTE_0 src1_sel:DWORD
	s_mov_b64 s[4:5], 0
	s_and_saveexec_b64 s[8:9], s[6:7]
	s_xor_b64 s[6:7], exec, s[8:9]
	s_cbranch_execz .LBB2_1801
; %bb.37641:
	s_getpc_b64 s[14:15]
.Lpost_getpc22404:
	s_add_u32 s14, s14, (.LBB2_16137-.Lpost_getpc22404)&4294967295
	s_addc_u32 s15, s15, (.LBB2_16137-.Lpost_getpc22404)>>32
	s_setpc_b64 s[14:15]
.LBB2_1801:
	s_or_saveexec_b64 s[6:7], s[6:7]
	v_mov_b32_e32 v12, s10
	s_xor_b64 exec, exec, s[6:7]
	s_cbranch_execz .LBB2_1802
; %bb.37643:
	s_getpc_b64 s[14:15]
.Lpost_getpc22405:
	s_add_u32 s14, s14, (.LBB2_16140-.Lpost_getpc22405)&4294967295
	s_addc_u32 s15, s15, (.LBB2_16140-.Lpost_getpc22405)>>32
	s_setpc_b64 s[14:15]
.LBB2_1802:
	s_or_b64 exec, exec, s[6:7]
	s_and_saveexec_b64 s[6:7], s[4:5]
	s_cbranch_execz .LBB2_1804
.LBB2_1803:
	v_bfe_u32 v12, v6, 8, 3
	v_ffbh_u32_e32 v15, v12
	v_min_u32_e32 v15, 32, v15
	v_lshrrev_b16_e32 v14, 3, v13
	v_subrev_u32_e32 v16, 28, v15
	v_and_b32_e32 v14, 15, v14
	v_lshlrev_b32_e32 v13, v16, v13
	v_sub_u32_e32 v15, 29, v15
	v_and_b32_e32 v13, 7, v13
	v_cmp_eq_u16_e32 vcc, 0, v14
	v_cndmask_b32_e32 v12, v12, v13, vcc
	v_cndmask_b32_e32 v13, v14, v15, vcc
	v_lshlrev_b32_e32 v14, 16, v6
	v_mov_b32_e32 v15, 0x3b800000
	v_lshlrev_b32_e32 v12, 20, v12
	v_and_b32_e32 v14, 0x80000000, v14
	v_lshl_add_u32 v13, v13, 23, v15
	v_or3_b32 v12, v14, v13, v12
.LBB2_1804:
	s_or_b64 exec, exec, s[6:7]
	v_lshrrev_b32_e32 v13, 8, v2
	s_movk_i32 s4, 0x7f
	v_cmp_gt_i16_sdwa s[6:7], v13, s4 src0_sel:BYTE_0 src1_sel:DWORD
	s_mov_b64 s[4:5], 0
                                        ; implicit-def: $sgpr10
	s_and_saveexec_b64 s[8:9], s[6:7]
	s_xor_b64 s[6:7], exec, s[8:9]
	s_cbranch_execz .LBB2_1805
; %bb.37645:
	s_getpc_b64 s[14:15]
.Lpost_getpc22406:
	s_add_u32 s14, s14, (.LBB2_16141-.Lpost_getpc22406)&4294967295
	s_addc_u32 s15, s15, (.LBB2_16141-.Lpost_getpc22406)>>32
	s_setpc_b64 s[14:15]
.LBB2_1805:
	s_or_saveexec_b64 s[6:7], s[6:7]
	v_mov_b32_e32 v14, s10
	s_xor_b64 exec, exec, s[6:7]
	s_cbranch_execz .LBB2_1806
; %bb.37647:
	s_getpc_b64 s[14:15]
.Lpost_getpc22407:
	s_add_u32 s14, s14, (.LBB2_16144-.Lpost_getpc22407)&4294967295
	s_addc_u32 s15, s15, (.LBB2_16144-.Lpost_getpc22407)>>32
	s_setpc_b64 s[14:15]
.LBB2_1806:
	s_or_b64 exec, exec, s[6:7]
	s_and_saveexec_b64 s[6:7], s[4:5]
	s_cbranch_execz .LBB2_1808
.LBB2_1807:
	v_bfe_u32 v14, v2, 8, 3
	v_ffbh_u32_e32 v16, v14
	v_min_u32_e32 v16, 32, v16
	v_lshrrev_b16_e32 v15, 3, v13
	v_subrev_u32_e32 v17, 28, v16
	v_and_b32_e32 v15, 15, v15
	v_lshlrev_b32_e32 v13, v17, v13
	v_sub_u32_e32 v16, 29, v16
	v_and_b32_e32 v13, 7, v13
	v_cmp_eq_u16_e32 vcc, 0, v15
	v_cndmask_b32_e32 v13, v14, v13, vcc
	v_cndmask_b32_e32 v14, v15, v16, vcc
	v_lshlrev_b32_e32 v15, 16, v2
	v_mov_b32_e32 v16, 0x3b800000
	v_lshlrev_b32_e32 v13, 20, v13
	v_and_b32_e32 v15, 0x80000000, v15
	v_lshl_add_u32 v14, v14, 23, v16
	v_or3_b32 v14, v15, v14, v13
.LBB2_1808:
	s_or_b64 exec, exec, s[6:7]
	s_nop 0
	v_mfma_f32_16x16x4f32 a[0:3], v12, v14, a[0:3]
	s_movk_i32 s4, 0xff
	v_and_b32_sdwa v13, v6, s4 dst_sel:DWORD dst_unused:UNUSED_PAD src0_sel:WORD_1 src1_sel:DWORD
	s_movk_i32 s4, 0x7f
	v_cmp_lt_i16_e32 vcc, s4, v13
	s_mov_b64 s[4:5], 0
                                        ; implicit-def: $sgpr10
	s_and_saveexec_b64 s[6:7], vcc
	s_xor_b64 s[6:7], exec, s[6:7]
	s_cbranch_execz .LBB2_1809
; %bb.37649:
	s_getpc_b64 s[14:15]
.Lpost_getpc22408:
	s_add_u32 s14, s14, (.LBB2_16145-.Lpost_getpc22408)&4294967295
	s_addc_u32 s15, s15, (.LBB2_16145-.Lpost_getpc22408)>>32
	s_setpc_b64 s[14:15]
.LBB2_1809:
	s_or_saveexec_b64 s[6:7], s[6:7]
	v_mov_b32_e32 v12, s10
	s_xor_b64 exec, exec, s[6:7]
	s_cbranch_execz .LBB2_1810
; %bb.37651:
	s_getpc_b64 s[14:15]
.Lpost_getpc22409:
	s_add_u32 s14, s14, (.LBB2_16148-.Lpost_getpc22409)&4294967295
	s_addc_u32 s15, s15, (.LBB2_16148-.Lpost_getpc22409)>>32
	s_setpc_b64 s[14:15]
.LBB2_1810:
	s_or_b64 exec, exec, s[6:7]
	s_and_saveexec_b64 s[6:7], s[4:5]
	s_cbranch_execz .LBB2_1812
.LBB2_1811:
	v_bfe_u32 v12, v6, 16, 3
	v_ffbh_u32_e32 v15, v12
	v_min_u32_e32 v15, 32, v15
	v_lshrrev_b32_e32 v13, 19, v6
	v_subrev_u32_e32 v16, 28, v15
	v_and_b32_e32 v13, 15, v13
	v_lshlrev_b32_sdwa v16, v16, v6 dst_sel:DWORD dst_unused:UNUSED_PAD src0_sel:DWORD src1_sel:WORD_1
	v_bfe_u32 v14, v6, 19, 4
	v_sub_u32_e32 v15, 29, v15
	v_and_b32_e32 v16, 7, v16
	v_cmp_eq_u16_e32 vcc, 0, v13
	v_cndmask_b32_e32 v12, v12, v16, vcc
	v_cndmask_b32_e32 v13, v14, v15, vcc
	v_lshlrev_b32_e32 v14, 8, v6
	v_mov_b32_e32 v15, 0x3b800000
	v_lshlrev_b32_e32 v12, 20, v12
	v_and_b32_e32 v14, 0x80000000, v14
	v_lshl_add_u32 v13, v13, 23, v15
	v_or3_b32 v12, v14, v13, v12
.LBB2_1812:
	s_or_b64 exec, exec, s[6:7]
	s_movk_i32 s4, 0xff
	v_and_b32_sdwa v13, v2, s4 dst_sel:DWORD dst_unused:UNUSED_PAD src0_sel:WORD_1 src1_sel:DWORD
	s_movk_i32 s4, 0x7f
	v_cmp_lt_i16_e32 vcc, s4, v13
	s_mov_b64 s[4:5], 0
                                        ; implicit-def: $sgpr10
	s_and_saveexec_b64 s[6:7], vcc
	s_xor_b64 s[6:7], exec, s[6:7]
	s_cbranch_execz .LBB2_1813
; %bb.37653:
	s_getpc_b64 s[14:15]
.Lpost_getpc22410:
	s_add_u32 s14, s14, (.LBB2_16149-.Lpost_getpc22410)&4294967295
	s_addc_u32 s15, s15, (.LBB2_16149-.Lpost_getpc22410)>>32
	s_setpc_b64 s[14:15]
.LBB2_1813:
	s_or_saveexec_b64 s[6:7], s[6:7]
	v_mov_b32_e32 v14, s10
	s_xor_b64 exec, exec, s[6:7]
	s_cbranch_execz .LBB2_1814
; %bb.37655:
	s_getpc_b64 s[14:15]
.Lpost_getpc22411:
	s_add_u32 s14, s14, (.LBB2_16152-.Lpost_getpc22411)&4294967295
	s_addc_u32 s15, s15, (.LBB2_16152-.Lpost_getpc22411)>>32
	s_setpc_b64 s[14:15]
.LBB2_1814:
	s_or_b64 exec, exec, s[6:7]
	s_and_saveexec_b64 s[6:7], s[4:5]
	s_cbranch_execz .LBB2_1816
.LBB2_1815:
	v_bfe_u32 v13, v2, 16, 3
	v_ffbh_u32_e32 v16, v13
	v_min_u32_e32 v16, 32, v16
	v_lshrrev_b32_e32 v14, 19, v2
	v_subrev_u32_e32 v17, 28, v16
	v_and_b32_e32 v14, 15, v14
	v_lshlrev_b32_sdwa v17, v17, v2 dst_sel:DWORD dst_unused:UNUSED_PAD src0_sel:DWORD src1_sel:WORD_1
	v_bfe_u32 v15, v2, 19, 4
	v_sub_u32_e32 v16, 29, v16
	v_and_b32_e32 v17, 7, v17
	v_cmp_eq_u16_e32 vcc, 0, v14
	v_cndmask_b32_e32 v13, v13, v17, vcc
	v_cndmask_b32_e32 v14, v15, v16, vcc
	v_lshlrev_b32_e32 v15, 8, v2
	v_mov_b32_e32 v16, 0x3b800000
	v_lshlrev_b32_e32 v13, 20, v13
	v_and_b32_e32 v15, 0x80000000, v15
	v_lshl_add_u32 v14, v14, 23, v16
	v_or3_b32 v14, v15, v14, v13
.LBB2_1816:
	s_or_b64 exec, exec, s[6:7]
	s_nop 0
	v_mfma_f32_16x16x4f32 a[0:3], v12, v14, a[0:3]
	s_movk_i32 s4, 0x7f
	v_cmp_gt_i16_sdwa s[6:7], v6, s4 src0_sel:BYTE_3 src1_sel:DWORD
	s_mov_b64 s[4:5], 0
                                        ; implicit-def: $sgpr10
	s_and_saveexec_b64 s[8:9], s[6:7]
	s_xor_b64 s[6:7], exec, s[8:9]
	s_cbranch_execz .LBB2_1817
; %bb.37657:
	s_getpc_b64 s[14:15]
.Lpost_getpc22412:
	s_add_u32 s14, s14, (.LBB2_16153-.Lpost_getpc22412)&4294967295
	s_addc_u32 s15, s15, (.LBB2_16153-.Lpost_getpc22412)>>32
	s_setpc_b64 s[14:15]
.LBB2_1817:
	s_or_saveexec_b64 s[6:7], s[6:7]
	v_mov_b32_e32 v12, s10
	s_xor_b64 exec, exec, s[6:7]
	s_cbranch_execz .LBB2_1818
; %bb.37659:
	s_getpc_b64 s[14:15]
.Lpost_getpc22413:
	s_add_u32 s14, s14, (.LBB2_16156-.Lpost_getpc22413)&4294967295
	s_addc_u32 s15, s15, (.LBB2_16156-.Lpost_getpc22413)>>32
	s_setpc_b64 s[14:15]
.LBB2_1818:
	s_or_b64 exec, exec, s[6:7]
	s_and_saveexec_b64 s[6:7], s[4:5]
	s_cbranch_execz .LBB2_1820
.LBB2_1819:
	v_bfe_u32 v12, v6, 24, 3
	v_ffbh_u32_e32 v16, v12
	v_min_u32_e32 v16, 32, v16
	v_lshrrev_b32_e32 v14, 27, v6
	v_subrev_u32_e32 v17, 28, v16
	v_and_b32_e32 v13, 0x80000000, v6
	v_and_b32_e32 v14, 15, v14
	v_bfe_u32 v15, v6, 27, 4
	v_lshlrev_b32_sdwa v6, v17, v6 dst_sel:DWORD dst_unused:UNUSED_PAD src0_sel:DWORD src1_sel:BYTE_3
	v_sub_u32_e32 v16, 29, v16
	v_and_b32_e32 v6, 7, v6
	v_cmp_eq_u16_e32 vcc, 0, v14
	v_cndmask_b32_e32 v6, v12, v6, vcc
	v_cndmask_b32_e32 v12, v15, v16, vcc
	v_mov_b32_e32 v14, 0x3b800000
	v_lshlrev_b32_e32 v6, 20, v6
	v_lshl_add_u32 v12, v12, 23, v14
	v_or3_b32 v12, v13, v12, v6
.LBB2_1820:
	s_or_b64 exec, exec, s[6:7]
	s_movk_i32 s4, 0x7f
	v_cmp_gt_i16_sdwa s[6:7], v2, s4 src0_sel:BYTE_3 src1_sel:DWORD
	s_mov_b64 s[4:5], 0
                                        ; implicit-def: $sgpr10
	s_and_saveexec_b64 s[8:9], s[6:7]
	s_xor_b64 s[6:7], exec, s[8:9]
	s_cbranch_execz .LBB2_1821
; %bb.37661:
	s_getpc_b64 s[14:15]
.Lpost_getpc22414:
	s_add_u32 s14, s14, (.LBB2_16157-.Lpost_getpc22414)&4294967295
	s_addc_u32 s15, s15, (.LBB2_16157-.Lpost_getpc22414)>>32
	s_setpc_b64 s[14:15]
.LBB2_1821:
	s_or_saveexec_b64 s[6:7], s[6:7]
	v_mov_b32_e32 v6, s10
	s_xor_b64 exec, exec, s[6:7]
	s_cbranch_execz .LBB2_1822
; %bb.37663:
	s_getpc_b64 s[14:15]
.Lpost_getpc22415:
	s_add_u32 s14, s14, (.LBB2_16160-.Lpost_getpc22415)&4294967295
	s_addc_u32 s15, s15, (.LBB2_16160-.Lpost_getpc22415)>>32
	s_setpc_b64 s[14:15]
.LBB2_1822:
	s_or_b64 exec, exec, s[6:7]
	s_and_saveexec_b64 s[6:7], s[4:5]
	s_cbranch_execz .LBB2_1824
.LBB2_1823:
	v_bfe_u32 v6, v2, 24, 3
	v_ffbh_u32_e32 v16, v6
	v_min_u32_e32 v16, 32, v16
	v_lshrrev_b32_e32 v14, 27, v2
	v_subrev_u32_e32 v17, 28, v16
	v_and_b32_e32 v13, 0x80000000, v2
	v_and_b32_e32 v14, 15, v14
	v_bfe_u32 v15, v2, 27, 4
	v_lshlrev_b32_sdwa v2, v17, v2 dst_sel:DWORD dst_unused:UNUSED_PAD src0_sel:DWORD src1_sel:BYTE_3
	v_sub_u32_e32 v16, 29, v16
	v_and_b32_e32 v2, 7, v2
	v_cmp_eq_u16_e32 vcc, 0, v14
	v_cndmask_b32_e32 v2, v6, v2, vcc
	v_cndmask_b32_e32 v6, v15, v16, vcc
	v_mov_b32_e32 v14, 0x3b800000
	v_lshlrev_b32_e32 v2, 20, v2
	v_lshl_add_u32 v6, v6, 23, v14
	v_or3_b32 v6, v13, v6, v2
.LBB2_1824:
	s_or_b64 exec, exec, s[6:7]
	s_nop 0
	v_mfma_f32_16x16x4f32 a[0:3], v12, v6, a[0:3]
	s_movk_i32 s4, 0x7f
	v_cmp_gt_i16_sdwa s[6:7], v7, s4 src0_sel:BYTE_0 src1_sel:DWORD
	s_mov_b64 s[4:5], 0
                                        ; implicit-def: $sgpr10
	s_and_saveexec_b64 s[8:9], s[6:7]
	s_xor_b64 s[6:7], exec, s[8:9]
	s_cbranch_execz .LBB2_1825
; %bb.37665:
	s_getpc_b64 s[14:15]
.Lpost_getpc22416:
	s_add_u32 s14, s14, (.LBB2_16161-.Lpost_getpc22416)&4294967295
	s_addc_u32 s15, s15, (.LBB2_16161-.Lpost_getpc22416)>>32
	s_setpc_b64 s[14:15]
.LBB2_1825:
	s_or_saveexec_b64 s[6:7], s[6:7]
	v_mov_b32_e32 v2, s10
	s_xor_b64 exec, exec, s[6:7]
	s_cbranch_execz .LBB2_1826
; %bb.37667:
	s_getpc_b64 s[14:15]
.Lpost_getpc22417:
	s_add_u32 s14, s14, (.LBB2_16164-.Lpost_getpc22417)&4294967295
	s_addc_u32 s15, s15, (.LBB2_16164-.Lpost_getpc22417)>>32
	s_setpc_b64 s[14:15]
.LBB2_1826:
	s_or_b64 exec, exec, s[6:7]
	s_and_saveexec_b64 s[6:7], s[4:5]
	s_cbranch_execz .LBB2_1828
.LBB2_1827:
	v_and_b32_e32 v2, 7, v7
	v_ffbh_u32_e32 v12, v2
	v_min_u32_e32 v12, 32, v12
	v_lshrrev_b16_e32 v6, 3, v7
	v_subrev_u32_e32 v13, 28, v12
	v_and_b32_e32 v6, 15, v6
	v_lshlrev_b32_e32 v13, v13, v7
	v_sub_u32_e32 v12, 29, v12
	v_and_b32_e32 v13, 7, v13
	v_cmp_eq_u16_e32 vcc, 0, v6
	v_cndmask_b32_e32 v2, v2, v13, vcc
	v_cndmask_b32_e32 v6, v6, v12, vcc
	v_lshlrev_b32_e32 v12, 24, v7
	v_mov_b32_e32 v13, 0x3b800000
	v_lshlrev_b32_e32 v2, 20, v2
	v_and_b32_e32 v12, 0x80000000, v12
	v_lshl_add_u32 v6, v6, 23, v13
	v_or3_b32 v2, v12, v6, v2
.LBB2_1828:
	s_or_b64 exec, exec, s[6:7]
	s_movk_i32 s4, 0x7f
	v_cmp_gt_i16_sdwa s[6:7], v3, s4 src0_sel:BYTE_0 src1_sel:DWORD
	s_mov_b64 s[4:5], 0
                                        ; implicit-def: $sgpr10
	s_and_saveexec_b64 s[8:9], s[6:7]
	s_xor_b64 s[6:7], exec, s[8:9]
	s_cbranch_execz .LBB2_1829
; %bb.37669:
	s_getpc_b64 s[14:15]
.Lpost_getpc22418:
	s_add_u32 s14, s14, (.LBB2_16165-.Lpost_getpc22418)&4294967295
	s_addc_u32 s15, s15, (.LBB2_16165-.Lpost_getpc22418)>>32
	s_setpc_b64 s[14:15]
.LBB2_1829:
	s_or_saveexec_b64 s[6:7], s[6:7]
	v_mov_b32_e32 v6, s10
	s_xor_b64 exec, exec, s[6:7]
	s_cbranch_execz .LBB2_1830
; %bb.37671:
	s_getpc_b64 s[14:15]
.Lpost_getpc22419:
	s_add_u32 s14, s14, (.LBB2_16168-.Lpost_getpc22419)&4294967295
	s_addc_u32 s15, s15, (.LBB2_16168-.Lpost_getpc22419)>>32
	s_setpc_b64 s[14:15]
.LBB2_1830:
	s_or_b64 exec, exec, s[6:7]
	s_and_saveexec_b64 s[6:7], s[4:5]
	s_cbranch_execz .LBB2_1832
.LBB2_1831:
	v_and_b32_e32 v6, 7, v3
	v_ffbh_u32_e32 v13, v6
	v_min_u32_e32 v13, 32, v13
	v_lshrrev_b16_e32 v12, 3, v3
	v_subrev_u32_e32 v14, 28, v13
	v_and_b32_e32 v12, 15, v12
	v_lshlrev_b32_e32 v14, v14, v3
	v_sub_u32_e32 v13, 29, v13
	v_and_b32_e32 v14, 7, v14
	v_cmp_eq_u16_e32 vcc, 0, v12
	v_cndmask_b32_e32 v6, v6, v14, vcc
	v_cndmask_b32_e32 v12, v12, v13, vcc
	v_lshlrev_b32_e32 v13, 24, v3
	v_mov_b32_e32 v14, 0x3b800000
	v_lshlrev_b32_e32 v6, 20, v6
	v_and_b32_e32 v13, 0x80000000, v13
	v_lshl_add_u32 v12, v12, 23, v14
	v_or3_b32 v6, v13, v12, v6
.LBB2_1832:
	s_or_b64 exec, exec, s[6:7]
	s_nop 0
	v_mfma_f32_16x16x4f32 a[0:3], v2, v6, a[0:3]
	v_lshrrev_b32_e32 v6, 8, v7
	s_movk_i32 s4, 0x7f
	v_cmp_gt_i16_sdwa s[6:7], v6, s4 src0_sel:BYTE_0 src1_sel:DWORD
	s_mov_b64 s[4:5], 0
                                        ; implicit-def: $sgpr10
	s_and_saveexec_b64 s[8:9], s[6:7]
	s_xor_b64 s[6:7], exec, s[8:9]
	s_cbranch_execz .LBB2_1833
; %bb.37673:
	s_getpc_b64 s[14:15]
.Lpost_getpc22420:
	s_add_u32 s14, s14, (.LBB2_16169-.Lpost_getpc22420)&4294967295
	s_addc_u32 s15, s15, (.LBB2_16169-.Lpost_getpc22420)>>32
	s_setpc_b64 s[14:15]
.LBB2_1833:
	s_or_saveexec_b64 s[6:7], s[6:7]
	v_mov_b32_e32 v2, s10
	s_xor_b64 exec, exec, s[6:7]
	s_cbranch_execz .LBB2_1834
; %bb.37675:
	s_getpc_b64 s[14:15]
.Lpost_getpc22421:
	s_add_u32 s14, s14, (.LBB2_16172-.Lpost_getpc22421)&4294967295
	s_addc_u32 s15, s15, (.LBB2_16172-.Lpost_getpc22421)>>32
	s_setpc_b64 s[14:15]
.LBB2_1834:
	s_or_b64 exec, exec, s[6:7]
	s_and_saveexec_b64 s[6:7], s[4:5]
	s_cbranch_execz .LBB2_1836
.LBB2_1835:
	v_bfe_u32 v2, v7, 8, 3
	v_ffbh_u32_e32 v13, v2
	v_min_u32_e32 v13, 32, v13
	v_lshrrev_b16_e32 v12, 3, v6
	v_subrev_u32_e32 v14, 28, v13
	v_and_b32_e32 v12, 15, v12
	v_lshlrev_b32_e32 v6, v14, v6
	v_sub_u32_e32 v13, 29, v13
	v_and_b32_e32 v6, 7, v6
	v_cmp_eq_u16_e32 vcc, 0, v12
	v_cndmask_b32_e32 v2, v2, v6, vcc
	v_cndmask_b32_e32 v6, v12, v13, vcc
	v_lshlrev_b32_e32 v12, 16, v7
	v_mov_b32_e32 v13, 0x3b800000
	v_lshlrev_b32_e32 v2, 20, v2
	v_and_b32_e32 v12, 0x80000000, v12
	v_lshl_add_u32 v6, v6, 23, v13
	v_or3_b32 v2, v12, v6, v2
.LBB2_1836:
	s_or_b64 exec, exec, s[6:7]
	v_lshrrev_b32_e32 v6, 8, v3
	s_movk_i32 s4, 0x7f
	v_cmp_gt_i16_sdwa s[6:7], v6, s4 src0_sel:BYTE_0 src1_sel:DWORD
	s_mov_b64 s[4:5], 0
                                        ; implicit-def: $sgpr10
	s_and_saveexec_b64 s[8:9], s[6:7]
	s_xor_b64 s[6:7], exec, s[8:9]
	s_cbranch_execz .LBB2_1837
; %bb.37677:
	s_getpc_b64 s[14:15]
.Lpost_getpc22422:
	s_add_u32 s14, s14, (.LBB2_16173-.Lpost_getpc22422)&4294967295
	s_addc_u32 s15, s15, (.LBB2_16173-.Lpost_getpc22422)>>32
	s_setpc_b64 s[14:15]
.LBB2_1837:
	s_or_saveexec_b64 s[6:7], s[6:7]
	v_mov_b32_e32 v12, s10
	s_xor_b64 exec, exec, s[6:7]
	s_cbranch_execz .LBB2_1838
; %bb.37679:
	s_getpc_b64 s[14:15]
.Lpost_getpc22423:
	s_add_u32 s14, s14, (.LBB2_16176-.Lpost_getpc22423)&4294967295
	s_addc_u32 s15, s15, (.LBB2_16176-.Lpost_getpc22423)>>32
	s_setpc_b64 s[14:15]
.LBB2_1838:
	s_or_b64 exec, exec, s[6:7]
	s_and_saveexec_b64 s[6:7], s[4:5]
	s_cbranch_execz .LBB2_1840
.LBB2_1839:
	v_bfe_u32 v12, v3, 8, 3
	v_ffbh_u32_e32 v14, v12
	v_min_u32_e32 v14, 32, v14
	v_lshrrev_b16_e32 v13, 3, v6
	v_subrev_u32_e32 v15, 28, v14
	v_and_b32_e32 v13, 15, v13
	v_lshlrev_b32_e32 v6, v15, v6
	v_sub_u32_e32 v14, 29, v14
	v_and_b32_e32 v6, 7, v6
	v_cmp_eq_u16_e32 vcc, 0, v13
	v_cndmask_b32_e32 v6, v12, v6, vcc
	v_cndmask_b32_e32 v12, v13, v14, vcc
	v_lshlrev_b32_e32 v13, 16, v3
	v_mov_b32_e32 v14, 0x3b800000
	v_lshlrev_b32_e32 v6, 20, v6
	v_and_b32_e32 v13, 0x80000000, v13
	v_lshl_add_u32 v12, v12, 23, v14
	v_or3_b32 v12, v13, v12, v6
.LBB2_1840:
	s_or_b64 exec, exec, s[6:7]
	s_nop 0
	v_mfma_f32_16x16x4f32 a[0:3], v2, v12, a[0:3]
	s_movk_i32 s4, 0xff
	v_and_b32_sdwa v6, v7, s4 dst_sel:DWORD dst_unused:UNUSED_PAD src0_sel:WORD_1 src1_sel:DWORD
	s_movk_i32 s4, 0x7f
	v_cmp_lt_i16_e32 vcc, s4, v6
	s_mov_b64 s[4:5], 0
                                        ; implicit-def: $sgpr10
	s_and_saveexec_b64 s[6:7], vcc
	s_xor_b64 s[6:7], exec, s[6:7]
	s_cbranch_execz .LBB2_1841
; %bb.37681:
	s_getpc_b64 s[14:15]
.Lpost_getpc22424:
	s_add_u32 s14, s14, (.LBB2_16177-.Lpost_getpc22424)&4294967295
	s_addc_u32 s15, s15, (.LBB2_16177-.Lpost_getpc22424)>>32
	s_setpc_b64 s[14:15]
.LBB2_1841:
	s_or_saveexec_b64 s[6:7], s[6:7]
	v_mov_b32_e32 v2, s10
	s_xor_b64 exec, exec, s[6:7]
	s_cbranch_execz .LBB2_1842
; %bb.37683:
	s_getpc_b64 s[14:15]
.Lpost_getpc22425:
	s_add_u32 s14, s14, (.LBB2_16180-.Lpost_getpc22425)&4294967295
	s_addc_u32 s15, s15, (.LBB2_16180-.Lpost_getpc22425)>>32
	s_setpc_b64 s[14:15]
.LBB2_1842:
	s_or_b64 exec, exec, s[6:7]
	s_and_saveexec_b64 s[6:7], s[4:5]
	s_cbranch_execz .LBB2_1844
.LBB2_1843:
	v_bfe_u32 v2, v7, 16, 3
	v_ffbh_u32_e32 v13, v2
	v_min_u32_e32 v13, 32, v13
	v_lshrrev_b32_e32 v6, 19, v7
	v_subrev_u32_e32 v14, 28, v13
	v_and_b32_e32 v6, 15, v6
	v_lshlrev_b32_sdwa v14, v14, v7 dst_sel:DWORD dst_unused:UNUSED_PAD src0_sel:DWORD src1_sel:WORD_1
	v_bfe_u32 v12, v7, 19, 4
	v_sub_u32_e32 v13, 29, v13
	v_and_b32_e32 v14, 7, v14
	v_cmp_eq_u16_e32 vcc, 0, v6
	v_cndmask_b32_e32 v2, v2, v14, vcc
	v_cndmask_b32_e32 v6, v12, v13, vcc
	v_lshlrev_b32_e32 v12, 8, v7
	v_mov_b32_e32 v13, 0x3b800000
	v_lshlrev_b32_e32 v2, 20, v2
	v_and_b32_e32 v12, 0x80000000, v12
	v_lshl_add_u32 v6, v6, 23, v13
	v_or3_b32 v2, v12, v6, v2
.LBB2_1844:
	s_or_b64 exec, exec, s[6:7]
	s_movk_i32 s4, 0xff
	v_and_b32_sdwa v6, v3, s4 dst_sel:DWORD dst_unused:UNUSED_PAD src0_sel:WORD_1 src1_sel:DWORD
	s_movk_i32 s4, 0x7f
	v_cmp_lt_i16_e32 vcc, s4, v6
	s_mov_b64 s[4:5], 0
                                        ; implicit-def: $sgpr10
	s_and_saveexec_b64 s[6:7], vcc
	s_xor_b64 s[6:7], exec, s[6:7]
	s_cbranch_execz .LBB2_1845
; %bb.37685:
	s_getpc_b64 s[14:15]
.Lpost_getpc22426:
	s_add_u32 s14, s14, (.LBB2_16181-.Lpost_getpc22426)&4294967295
	s_addc_u32 s15, s15, (.LBB2_16181-.Lpost_getpc22426)>>32
	s_setpc_b64 s[14:15]
.LBB2_1845:
	s_or_saveexec_b64 s[6:7], s[6:7]
	v_mov_b32_e32 v12, s10
	s_xor_b64 exec, exec, s[6:7]
	s_cbranch_execz .LBB2_1846
; %bb.37687:
	s_getpc_b64 s[14:15]
.Lpost_getpc22427:
	s_add_u32 s14, s14, (.LBB2_16184-.Lpost_getpc22427)&4294967295
	s_addc_u32 s15, s15, (.LBB2_16184-.Lpost_getpc22427)>>32
	s_setpc_b64 s[14:15]
.LBB2_1846:
	s_or_b64 exec, exec, s[6:7]
	s_and_saveexec_b64 s[6:7], s[4:5]
	s_cbranch_execz .LBB2_1848
.LBB2_1847:
	v_bfe_u32 v6, v3, 16, 3
	v_ffbh_u32_e32 v14, v6
	v_min_u32_e32 v14, 32, v14
	v_lshrrev_b32_e32 v12, 19, v3
	v_subrev_u32_e32 v15, 28, v14
	v_and_b32_e32 v12, 15, v12
	v_lshlrev_b32_sdwa v15, v15, v3 dst_sel:DWORD dst_unused:UNUSED_PAD src0_sel:DWORD src1_sel:WORD_1
	v_bfe_u32 v13, v3, 19, 4
	v_sub_u32_e32 v14, 29, v14
	v_and_b32_e32 v15, 7, v15
	v_cmp_eq_u16_e32 vcc, 0, v12
	v_cndmask_b32_e32 v6, v6, v15, vcc
	v_cndmask_b32_e32 v12, v13, v14, vcc
	v_lshlrev_b32_e32 v13, 8, v3
	v_mov_b32_e32 v14, 0x3b800000
	v_lshlrev_b32_e32 v6, 20, v6
	v_and_b32_e32 v13, 0x80000000, v13
	v_lshl_add_u32 v12, v12, 23, v14
	v_or3_b32 v12, v13, v12, v6
.LBB2_1848:
	s_or_b64 exec, exec, s[6:7]
	s_nop 0
	v_mfma_f32_16x16x4f32 a[0:3], v2, v12, a[0:3]
	s_movk_i32 s4, 0x7f
	v_cmp_gt_i16_sdwa s[6:7], v7, s4 src0_sel:BYTE_3 src1_sel:DWORD
	s_mov_b64 s[4:5], 0
                                        ; implicit-def: $sgpr10
	s_and_saveexec_b64 s[8:9], s[6:7]
	s_xor_b64 s[6:7], exec, s[8:9]
	s_cbranch_execz .LBB2_1849
; %bb.37689:
	s_getpc_b64 s[14:15]
.Lpost_getpc22428:
	s_add_u32 s14, s14, (.LBB2_16185-.Lpost_getpc22428)&4294967295
	s_addc_u32 s15, s15, (.LBB2_16185-.Lpost_getpc22428)>>32
	s_setpc_b64 s[14:15]
.LBB2_1849:
	s_or_saveexec_b64 s[6:7], s[6:7]
	v_mov_b32_e32 v2, s10
	s_xor_b64 exec, exec, s[6:7]
	s_cbranch_execz .LBB2_1850
; %bb.37691:
	s_getpc_b64 s[14:15]
.Lpost_getpc22429:
	s_add_u32 s14, s14, (.LBB2_16188-.Lpost_getpc22429)&4294967295
	s_addc_u32 s15, s15, (.LBB2_16188-.Lpost_getpc22429)>>32
	s_setpc_b64 s[14:15]
.LBB2_1850:
	s_or_b64 exec, exec, s[6:7]
	s_and_saveexec_b64 s[6:7], s[4:5]
	s_cbranch_execz .LBB2_1852
.LBB2_1851:
	v_bfe_u32 v2, v7, 24, 3
	v_ffbh_u32_e32 v14, v2
	v_min_u32_e32 v14, 32, v14
	v_lshrrev_b32_e32 v12, 27, v7
	v_subrev_u32_e32 v15, 28, v14
	v_and_b32_e32 v6, 0x80000000, v7
	v_and_b32_e32 v12, 15, v12
	v_bfe_u32 v13, v7, 27, 4
	v_lshlrev_b32_sdwa v7, v15, v7 dst_sel:DWORD dst_unused:UNUSED_PAD src0_sel:DWORD src1_sel:BYTE_3
	v_sub_u32_e32 v14, 29, v14
	v_and_b32_e32 v7, 7, v7
	v_cmp_eq_u16_e32 vcc, 0, v12
	v_cndmask_b32_e32 v2, v2, v7, vcc
	v_cndmask_b32_e32 v7, v13, v14, vcc
	v_mov_b32_e32 v12, 0x3b800000
	v_lshlrev_b32_e32 v2, 20, v2
	v_lshl_add_u32 v7, v7, 23, v12
	v_or3_b32 v2, v6, v7, v2
.LBB2_1852:
	s_or_b64 exec, exec, s[6:7]
	s_movk_i32 s4, 0x7f
	v_cmp_gt_i16_sdwa s[6:7], v3, s4 src0_sel:BYTE_3 src1_sel:DWORD
	s_mov_b64 s[4:5], 0
                                        ; implicit-def: $sgpr10
	s_and_saveexec_b64 s[8:9], s[6:7]
	s_xor_b64 s[6:7], exec, s[8:9]
	s_cbranch_execz .LBB2_1853
; %bb.37693:
	s_getpc_b64 s[14:15]
.Lpost_getpc22430:
	s_add_u32 s14, s14, (.LBB2_16189-.Lpost_getpc22430)&4294967295
	s_addc_u32 s15, s15, (.LBB2_16189-.Lpost_getpc22430)>>32
	s_setpc_b64 s[14:15]
.LBB2_1853:
	s_or_saveexec_b64 s[6:7], s[6:7]
	v_mov_b32_e32 v6, s10
	s_xor_b64 exec, exec, s[6:7]
	s_cbranch_execz .LBB2_1854
; %bb.37695:
	s_getpc_b64 s[14:15]
.Lpost_getpc22431:
	s_add_u32 s14, s14, (.LBB2_16192-.Lpost_getpc22431)&4294967295
	s_addc_u32 s15, s15, (.LBB2_16192-.Lpost_getpc22431)>>32
	s_setpc_b64 s[14:15]
.LBB2_1854:
	s_or_b64 exec, exec, s[6:7]
	s_and_saveexec_b64 s[6:7], s[4:5]
	s_cbranch_execz .LBB2_1856
.LBB2_1855:
	v_bfe_u32 v6, v3, 24, 3
	v_ffbh_u32_e32 v14, v6
	v_min_u32_e32 v14, 32, v14
	v_lshrrev_b32_e32 v12, 27, v3
	v_subrev_u32_e32 v15, 28, v14
	v_and_b32_e32 v7, 0x80000000, v3
	v_and_b32_e32 v12, 15, v12
	v_bfe_u32 v13, v3, 27, 4
	v_lshlrev_b32_sdwa v3, v15, v3 dst_sel:DWORD dst_unused:UNUSED_PAD src0_sel:DWORD src1_sel:BYTE_3
	v_sub_u32_e32 v14, 29, v14
	v_and_b32_e32 v3, 7, v3
	v_cmp_eq_u16_e32 vcc, 0, v12
	v_cndmask_b32_e32 v3, v6, v3, vcc
	v_cndmask_b32_e32 v6, v13, v14, vcc
	v_mov_b32_e32 v12, 0x3b800000
	v_lshlrev_b32_e32 v3, 20, v3
	v_lshl_add_u32 v6, v6, 23, v12
	v_or3_b32 v6, v7, v6, v3
.LBB2_1856:
	s_or_b64 exec, exec, s[6:7]
	s_nop 0
	v_mfma_f32_16x16x4f32 a[0:3], v2, v6, a[0:3]
	s_movk_i32 s4, 0x7f
	v_cmp_gt_i16_sdwa s[6:7], v8, s4 src0_sel:BYTE_0 src1_sel:DWORD
	s_mov_b64 s[4:5], 0
                                        ; implicit-def: $sgpr10
	s_and_saveexec_b64 s[8:9], s[6:7]
	s_xor_b64 s[6:7], exec, s[8:9]
	s_cbranch_execz .LBB2_1857
; %bb.37697:
	s_getpc_b64 s[14:15]
.Lpost_getpc22432:
	s_add_u32 s14, s14, (.LBB2_16193-.Lpost_getpc22432)&4294967295
	s_addc_u32 s15, s15, (.LBB2_16193-.Lpost_getpc22432)>>32
	s_setpc_b64 s[14:15]
.LBB2_1857:
	s_or_saveexec_b64 s[6:7], s[6:7]
	v_mov_b32_e32 v2, s10
	s_xor_b64 exec, exec, s[6:7]
	s_cbranch_execz .LBB2_1858
; %bb.37699:
	s_getpc_b64 s[14:15]
.Lpost_getpc22433:
	s_add_u32 s14, s14, (.LBB2_16196-.Lpost_getpc22433)&4294967295
	s_addc_u32 s15, s15, (.LBB2_16196-.Lpost_getpc22433)>>32
	s_setpc_b64 s[14:15]
.LBB2_1858:
	s_or_b64 exec, exec, s[6:7]
	s_and_saveexec_b64 s[6:7], s[4:5]
	s_cbranch_execz .LBB2_1860
.LBB2_1859:
	v_and_b32_e32 v2, 7, v8
	v_ffbh_u32_e32 v6, v2
	v_min_u32_e32 v6, 32, v6
	v_lshrrev_b16_e32 v3, 3, v8
	v_subrev_u32_e32 v7, 28, v6
	v_and_b32_e32 v3, 15, v3
	v_lshlrev_b32_e32 v7, v7, v8
	v_sub_u32_e32 v6, 29, v6
	v_and_b32_e32 v7, 7, v7
	v_cmp_eq_u16_e32 vcc, 0, v3
	v_cndmask_b32_e32 v2, v2, v7, vcc
	v_cndmask_b32_e32 v3, v3, v6, vcc
	v_lshlrev_b32_e32 v6, 24, v8
	v_mov_b32_e32 v7, 0x3b800000
	v_lshlrev_b32_e32 v2, 20, v2
	v_and_b32_e32 v6, 0x80000000, v6
	v_lshl_add_u32 v3, v3, 23, v7
	v_or3_b32 v2, v6, v3, v2
.LBB2_1860:
	s_or_b64 exec, exec, s[6:7]
	s_movk_i32 s4, 0x7f
	v_cmp_gt_i16_sdwa s[6:7], v4, s4 src0_sel:BYTE_0 src1_sel:DWORD
	s_mov_b64 s[4:5], 0
                                        ; implicit-def: $sgpr10
	s_and_saveexec_b64 s[8:9], s[6:7]
	s_xor_b64 s[6:7], exec, s[8:9]
	s_cbranch_execz .LBB2_1861
; %bb.37701:
	s_getpc_b64 s[14:15]
.Lpost_getpc22434:
	s_add_u32 s14, s14, (.LBB2_16197-.Lpost_getpc22434)&4294967295
	s_addc_u32 s15, s15, (.LBB2_16197-.Lpost_getpc22434)>>32
	s_setpc_b64 s[14:15]
.LBB2_1861:
	s_or_saveexec_b64 s[6:7], s[6:7]
	v_mov_b32_e32 v3, s10
	s_xor_b64 exec, exec, s[6:7]
	s_cbranch_execz .LBB2_1862
; %bb.37703:
	s_getpc_b64 s[14:15]
.Lpost_getpc22435:
	s_add_u32 s14, s14, (.LBB2_16200-.Lpost_getpc22435)&4294967295
	s_addc_u32 s15, s15, (.LBB2_16200-.Lpost_getpc22435)>>32
	s_setpc_b64 s[14:15]
.LBB2_1862:
	s_or_b64 exec, exec, s[6:7]
	s_and_saveexec_b64 s[6:7], s[4:5]
	s_cbranch_execz .LBB2_1864
.LBB2_1863:
	v_and_b32_e32 v3, 7, v4
	v_ffbh_u32_e32 v7, v3
	v_min_u32_e32 v7, 32, v7
	v_lshrrev_b16_e32 v6, 3, v4
	v_subrev_u32_e32 v12, 28, v7
	v_and_b32_e32 v6, 15, v6
	v_lshlrev_b32_e32 v12, v12, v4
	v_sub_u32_e32 v7, 29, v7
	v_and_b32_e32 v12, 7, v12
	v_cmp_eq_u16_e32 vcc, 0, v6
	v_cndmask_b32_e32 v3, v3, v12, vcc
	v_cndmask_b32_e32 v6, v6, v7, vcc
	v_lshlrev_b32_e32 v7, 24, v4
	v_mov_b32_e32 v12, 0x3b800000
	v_lshlrev_b32_e32 v3, 20, v3
	v_and_b32_e32 v7, 0x80000000, v7
	v_lshl_add_u32 v6, v6, 23, v12
	v_or3_b32 v3, v7, v6, v3
.LBB2_1864:
	s_or_b64 exec, exec, s[6:7]
	s_nop 0
	v_mfma_f32_16x16x4f32 a[0:3], v2, v3, a[0:3]
	v_lshrrev_b32_e32 v3, 8, v8
	s_movk_i32 s4, 0x7f
	v_cmp_gt_i16_sdwa s[6:7], v3, s4 src0_sel:BYTE_0 src1_sel:DWORD
	s_mov_b64 s[4:5], 0
                                        ; implicit-def: $sgpr10
	s_and_saveexec_b64 s[8:9], s[6:7]
	s_xor_b64 s[6:7], exec, s[8:9]
	s_cbranch_execz .LBB2_1865
; %bb.37705:
	s_getpc_b64 s[14:15]
.Lpost_getpc22436:
	s_add_u32 s14, s14, (.LBB2_16201-.Lpost_getpc22436)&4294967295
	s_addc_u32 s15, s15, (.LBB2_16201-.Lpost_getpc22436)>>32
	s_setpc_b64 s[14:15]
.LBB2_1865:
	s_or_saveexec_b64 s[6:7], s[6:7]
	v_mov_b32_e32 v2, s10
	s_xor_b64 exec, exec, s[6:7]
	s_cbranch_execz .LBB2_1866
; %bb.37707:
	s_getpc_b64 s[14:15]
.Lpost_getpc22437:
	s_add_u32 s14, s14, (.LBB2_16204-.Lpost_getpc22437)&4294967295
	s_addc_u32 s15, s15, (.LBB2_16204-.Lpost_getpc22437)>>32
	s_setpc_b64 s[14:15]
.LBB2_1866:
	s_or_b64 exec, exec, s[6:7]
	s_and_saveexec_b64 s[6:7], s[4:5]
	s_cbranch_execz .LBB2_1868
.LBB2_1867:
	v_bfe_u32 v2, v8, 8, 3
	v_ffbh_u32_e32 v7, v2
	v_min_u32_e32 v7, 32, v7
	v_lshrrev_b16_e32 v6, 3, v3
	v_subrev_u32_e32 v12, 28, v7
	v_and_b32_e32 v6, 15, v6
	v_lshlrev_b32_e32 v3, v12, v3
	v_sub_u32_e32 v7, 29, v7
	v_and_b32_e32 v3, 7, v3
	v_cmp_eq_u16_e32 vcc, 0, v6
	v_cndmask_b32_e32 v2, v2, v3, vcc
	v_cndmask_b32_e32 v3, v6, v7, vcc
	v_lshlrev_b32_e32 v6, 16, v8
	v_mov_b32_e32 v7, 0x3b800000
	v_lshlrev_b32_e32 v2, 20, v2
	v_and_b32_e32 v6, 0x80000000, v6
	v_lshl_add_u32 v3, v3, 23, v7
	v_or3_b32 v2, v6, v3, v2
.LBB2_1868:
	s_or_b64 exec, exec, s[6:7]
	v_lshrrev_b32_e32 v3, 8, v4
	s_movk_i32 s4, 0x7f
	v_cmp_gt_i16_sdwa s[6:7], v3, s4 src0_sel:BYTE_0 src1_sel:DWORD
	s_mov_b64 s[4:5], 0
                                        ; implicit-def: $sgpr10
	s_and_saveexec_b64 s[8:9], s[6:7]
	s_xor_b64 s[6:7], exec, s[8:9]
	s_cbranch_execz .LBB2_1869
; %bb.37709:
	s_getpc_b64 s[14:15]
.Lpost_getpc22438:
	s_add_u32 s14, s14, (.LBB2_16205-.Lpost_getpc22438)&4294967295
	s_addc_u32 s15, s15, (.LBB2_16205-.Lpost_getpc22438)>>32
	s_setpc_b64 s[14:15]
.LBB2_1869:
	s_or_saveexec_b64 s[6:7], s[6:7]
	v_mov_b32_e32 v6, s10
	s_xor_b64 exec, exec, s[6:7]
	s_cbranch_execz .LBB2_1870
; %bb.37711:
	s_getpc_b64 s[14:15]
.Lpost_getpc22439:
	s_add_u32 s14, s14, (.LBB2_16208-.Lpost_getpc22439)&4294967295
	s_addc_u32 s15, s15, (.LBB2_16208-.Lpost_getpc22439)>>32
	s_setpc_b64 s[14:15]
.LBB2_1870:
	s_or_b64 exec, exec, s[6:7]
	s_and_saveexec_b64 s[6:7], s[4:5]
	s_cbranch_execz .LBB2_1872
.LBB2_1871:
	v_bfe_u32 v6, v4, 8, 3
	v_ffbh_u32_e32 v12, v6
	v_min_u32_e32 v12, 32, v12
	v_lshrrev_b16_e32 v7, 3, v3
	v_subrev_u32_e32 v13, 28, v12
	v_and_b32_e32 v7, 15, v7
	v_lshlrev_b32_e32 v3, v13, v3
	v_sub_u32_e32 v12, 29, v12
	v_and_b32_e32 v3, 7, v3
	v_cmp_eq_u16_e32 vcc, 0, v7
	v_cndmask_b32_e32 v3, v6, v3, vcc
	v_cndmask_b32_e32 v6, v7, v12, vcc
	v_lshlrev_b32_e32 v7, 16, v4
	v_mov_b32_e32 v12, 0x3b800000
	v_lshlrev_b32_e32 v3, 20, v3
	v_and_b32_e32 v7, 0x80000000, v7
	v_lshl_add_u32 v6, v6, 23, v12
	v_or3_b32 v6, v7, v6, v3
.LBB2_1872:
	s_or_b64 exec, exec, s[6:7]
	s_nop 0
	v_mfma_f32_16x16x4f32 a[0:3], v2, v6, a[0:3]
	s_movk_i32 s4, 0xff
	v_and_b32_sdwa v3, v8, s4 dst_sel:DWORD dst_unused:UNUSED_PAD src0_sel:WORD_1 src1_sel:DWORD
	s_movk_i32 s4, 0x7f
	v_cmp_lt_i16_e32 vcc, s4, v3
	s_mov_b64 s[4:5], 0
                                        ; implicit-def: $sgpr10
	s_and_saveexec_b64 s[6:7], vcc
	s_xor_b64 s[6:7], exec, s[6:7]
	s_cbranch_execz .LBB2_1873
; %bb.37713:
	s_getpc_b64 s[14:15]
.Lpost_getpc22440:
	s_add_u32 s14, s14, (.LBB2_16209-.Lpost_getpc22440)&4294967295
	s_addc_u32 s15, s15, (.LBB2_16209-.Lpost_getpc22440)>>32
	s_setpc_b64 s[14:15]
.LBB2_1873:
	s_or_saveexec_b64 s[6:7], s[6:7]
	v_mov_b32_e32 v2, s10
	s_xor_b64 exec, exec, s[6:7]
	s_cbranch_execz .LBB2_1874
; %bb.37715:
	s_getpc_b64 s[14:15]
.Lpost_getpc22441:
	s_add_u32 s14, s14, (.LBB2_16212-.Lpost_getpc22441)&4294967295
	s_addc_u32 s15, s15, (.LBB2_16212-.Lpost_getpc22441)>>32
	s_setpc_b64 s[14:15]
.LBB2_1874:
	s_or_b64 exec, exec, s[6:7]
	s_and_saveexec_b64 s[6:7], s[4:5]
	s_cbranch_execz .LBB2_1876
.LBB2_1875:
	v_bfe_u32 v2, v8, 16, 3
	v_ffbh_u32_e32 v7, v2
	v_min_u32_e32 v7, 32, v7
	v_lshrrev_b32_e32 v3, 19, v8
	v_subrev_u32_e32 v12, 28, v7
	v_and_b32_e32 v3, 15, v3
	v_lshlrev_b32_sdwa v12, v12, v8 dst_sel:DWORD dst_unused:UNUSED_PAD src0_sel:DWORD src1_sel:WORD_1
	v_bfe_u32 v6, v8, 19, 4
	v_sub_u32_e32 v7, 29, v7
	v_and_b32_e32 v12, 7, v12
	v_cmp_eq_u16_e32 vcc, 0, v3
	v_cndmask_b32_e32 v2, v2, v12, vcc
	v_cndmask_b32_e32 v3, v6, v7, vcc
	v_lshlrev_b32_e32 v6, 8, v8
	v_mov_b32_e32 v7, 0x3b800000
	v_lshlrev_b32_e32 v2, 20, v2
	v_and_b32_e32 v6, 0x80000000, v6
	v_lshl_add_u32 v3, v3, 23, v7
	v_or3_b32 v2, v6, v3, v2
.LBB2_1876:
	s_or_b64 exec, exec, s[6:7]
	s_movk_i32 s4, 0xff
	v_and_b32_sdwa v3, v4, s4 dst_sel:DWORD dst_unused:UNUSED_PAD src0_sel:WORD_1 src1_sel:DWORD
	s_movk_i32 s4, 0x7f
	v_cmp_lt_i16_e32 vcc, s4, v3
	s_mov_b64 s[4:5], 0
                                        ; implicit-def: $sgpr10
	s_and_saveexec_b64 s[6:7], vcc
	s_xor_b64 s[6:7], exec, s[6:7]
	s_cbranch_execz .LBB2_1877
; %bb.37717:
	s_getpc_b64 s[14:15]
.Lpost_getpc22442:
	s_add_u32 s14, s14, (.LBB2_16213-.Lpost_getpc22442)&4294967295
	s_addc_u32 s15, s15, (.LBB2_16213-.Lpost_getpc22442)>>32
	s_setpc_b64 s[14:15]
.LBB2_1877:
	s_or_saveexec_b64 s[6:7], s[6:7]
	v_mov_b32_e32 v6, s10
	s_xor_b64 exec, exec, s[6:7]
	s_cbranch_execz .LBB2_1878
; %bb.37719:
	s_getpc_b64 s[14:15]
.Lpost_getpc22443:
	s_add_u32 s14, s14, (.LBB2_16216-.Lpost_getpc22443)&4294967295
	s_addc_u32 s15, s15, (.LBB2_16216-.Lpost_getpc22443)>>32
	s_setpc_b64 s[14:15]
.LBB2_1878:
	s_or_b64 exec, exec, s[6:7]
	s_and_saveexec_b64 s[6:7], s[4:5]
	s_cbranch_execz .LBB2_1880
.LBB2_1879:
	v_bfe_u32 v3, v4, 16, 3
	v_ffbh_u32_e32 v12, v3
	v_min_u32_e32 v12, 32, v12
	v_lshrrev_b32_e32 v6, 19, v4
	v_subrev_u32_e32 v13, 28, v12
	v_and_b32_e32 v6, 15, v6
	v_lshlrev_b32_sdwa v13, v13, v4 dst_sel:DWORD dst_unused:UNUSED_PAD src0_sel:DWORD src1_sel:WORD_1
	v_bfe_u32 v7, v4, 19, 4
	v_sub_u32_e32 v12, 29, v12
	v_and_b32_e32 v13, 7, v13
	v_cmp_eq_u16_e32 vcc, 0, v6
	v_cndmask_b32_e32 v3, v3, v13, vcc
	v_cndmask_b32_e32 v6, v7, v12, vcc
	v_lshlrev_b32_e32 v7, 8, v4
	v_mov_b32_e32 v12, 0x3b800000
	v_lshlrev_b32_e32 v3, 20, v3
	v_and_b32_e32 v7, 0x80000000, v7
	v_lshl_add_u32 v6, v6, 23, v12
	v_or3_b32 v6, v7, v6, v3
.LBB2_1880:
	s_or_b64 exec, exec, s[6:7]
	s_nop 0
	v_mfma_f32_16x16x4f32 a[0:3], v2, v6, a[0:3]
	s_movk_i32 s4, 0x7f
	v_cmp_gt_i16_sdwa s[6:7], v8, s4 src0_sel:BYTE_3 src1_sel:DWORD
	s_mov_b64 s[4:5], 0
                                        ; implicit-def: $sgpr10
	s_and_saveexec_b64 s[8:9], s[6:7]
	s_xor_b64 s[6:7], exec, s[8:9]
	s_cbranch_execz .LBB2_1881
; %bb.37721:
	s_getpc_b64 s[14:15]
.Lpost_getpc22444:
	s_add_u32 s14, s14, (.LBB2_16217-.Lpost_getpc22444)&4294967295
	s_addc_u32 s15, s15, (.LBB2_16217-.Lpost_getpc22444)>>32
	s_setpc_b64 s[14:15]
.LBB2_1881:
	s_or_saveexec_b64 s[6:7], s[6:7]
	v_mov_b32_e32 v2, s10
	s_xor_b64 exec, exec, s[6:7]
	s_cbranch_execz .LBB2_1882
; %bb.37723:
	s_getpc_b64 s[14:15]
.Lpost_getpc22445:
	s_add_u32 s14, s14, (.LBB2_16220-.Lpost_getpc22445)&4294967295
	s_addc_u32 s15, s15, (.LBB2_16220-.Lpost_getpc22445)>>32
	s_setpc_b64 s[14:15]
.LBB2_1882:
	s_or_b64 exec, exec, s[6:7]
	s_and_saveexec_b64 s[6:7], s[4:5]
	s_cbranch_execz .LBB2_1884
.LBB2_1883:
	v_bfe_u32 v2, v8, 24, 3
	v_ffbh_u32_e32 v12, v2
	v_min_u32_e32 v12, 32, v12
	v_lshrrev_b32_e32 v6, 27, v8
	v_subrev_u32_e32 v13, 28, v12
	v_and_b32_e32 v3, 0x80000000, v8
	v_and_b32_e32 v6, 15, v6
	v_bfe_u32 v7, v8, 27, 4
	v_lshlrev_b32_sdwa v8, v13, v8 dst_sel:DWORD dst_unused:UNUSED_PAD src0_sel:DWORD src1_sel:BYTE_3
	v_sub_u32_e32 v12, 29, v12
	v_and_b32_e32 v8, 7, v8
	v_cmp_eq_u16_e32 vcc, 0, v6
	v_cndmask_b32_e32 v2, v2, v8, vcc
	v_cndmask_b32_e32 v6, v7, v12, vcc
	v_mov_b32_e32 v7, 0x3b800000
	v_lshlrev_b32_e32 v2, 20, v2
	v_lshl_add_u32 v6, v6, 23, v7
	v_or3_b32 v2, v3, v6, v2
.LBB2_1884:
	s_or_b64 exec, exec, s[6:7]
	s_movk_i32 s4, 0x7f
	v_cmp_gt_i16_sdwa s[6:7], v4, s4 src0_sel:BYTE_3 src1_sel:DWORD
	s_mov_b64 s[4:5], 0
                                        ; implicit-def: $sgpr10
	s_and_saveexec_b64 s[8:9], s[6:7]
	s_xor_b64 s[6:7], exec, s[8:9]
	s_cbranch_execz .LBB2_1885
; %bb.37725:
	s_getpc_b64 s[14:15]
.Lpost_getpc22446:
	s_add_u32 s14, s14, (.LBB2_16221-.Lpost_getpc22446)&4294967295
	s_addc_u32 s15, s15, (.LBB2_16221-.Lpost_getpc22446)>>32
	s_setpc_b64 s[14:15]
.LBB2_1885:
	s_or_saveexec_b64 s[6:7], s[6:7]
	v_mov_b32_e32 v3, s10
	s_xor_b64 exec, exec, s[6:7]
	s_cbranch_execz .LBB2_1886
; %bb.37727:
	s_getpc_b64 s[14:15]
.Lpost_getpc22447:
	s_add_u32 s14, s14, (.LBB2_16224-.Lpost_getpc22447)&4294967295
	s_addc_u32 s15, s15, (.LBB2_16224-.Lpost_getpc22447)>>32
	s_setpc_b64 s[14:15]
.LBB2_1886:
	s_or_b64 exec, exec, s[6:7]
	s_and_saveexec_b64 s[6:7], s[4:5]
	s_cbranch_execz .LBB2_1888
.LBB2_1887:
	v_bfe_u32 v3, v4, 24, 3
	v_ffbh_u32_e32 v12, v3
	v_min_u32_e32 v12, 32, v12
	v_lshrrev_b32_e32 v7, 27, v4
	v_subrev_u32_e32 v13, 28, v12
	v_and_b32_e32 v6, 0x80000000, v4
	v_and_b32_e32 v7, 15, v7
	v_bfe_u32 v8, v4, 27, 4
	v_lshlrev_b32_sdwa v4, v13, v4 dst_sel:DWORD dst_unused:UNUSED_PAD src0_sel:DWORD src1_sel:BYTE_3
	v_sub_u32_e32 v12, 29, v12
	v_and_b32_e32 v4, 7, v4
	v_cmp_eq_u16_e32 vcc, 0, v7
	v_cndmask_b32_e32 v3, v3, v4, vcc
	v_cndmask_b32_e32 v4, v8, v12, vcc
	v_mov_b32_e32 v7, 0x3b800000
	v_lshlrev_b32_e32 v3, 20, v3
	v_lshl_add_u32 v4, v4, 23, v7
	v_or3_b32 v3, v6, v4, v3
.LBB2_1888:
	s_or_b64 exec, exec, s[6:7]
	s_nop 0
	v_mfma_f32_16x16x4f32 a[0:3], v2, v3, a[0:3]
	s_movk_i32 s4, 0x7f
	v_cmp_gt_i16_sdwa s[6:7], v9, s4 src0_sel:BYTE_0 src1_sel:DWORD
	s_mov_b64 s[4:5], 0
                                        ; implicit-def: $sgpr10
	s_and_saveexec_b64 s[8:9], s[6:7]
	s_xor_b64 s[6:7], exec, s[8:9]
	s_cbranch_execz .LBB2_1889
; %bb.37729:
	s_getpc_b64 s[14:15]
.Lpost_getpc22448:
	s_add_u32 s14, s14, (.LBB2_16225-.Lpost_getpc22448)&4294967295
	s_addc_u32 s15, s15, (.LBB2_16225-.Lpost_getpc22448)>>32
	s_setpc_b64 s[14:15]
.LBB2_1889:
	s_or_saveexec_b64 s[6:7], s[6:7]
	v_mov_b32_e32 v2, s10
	s_xor_b64 exec, exec, s[6:7]
	s_cbranch_execz .LBB2_1890
; %bb.37731:
	s_getpc_b64 s[14:15]
.Lpost_getpc22449:
	s_add_u32 s14, s14, (.LBB2_16228-.Lpost_getpc22449)&4294967295
	s_addc_u32 s15, s15, (.LBB2_16228-.Lpost_getpc22449)>>32
	s_setpc_b64 s[14:15]
.LBB2_1890:
	s_or_b64 exec, exec, s[6:7]
	s_and_saveexec_b64 s[6:7], s[4:5]
	s_cbranch_execz .LBB2_1892
.LBB2_1891:
	v_mov_b32_e32 v2, 8
	v_and_b32_e32 v3, 7, v9
	v_lshrrev_b32_sdwa v2, v2, v9 dst_sel:BYTE_1 dst_unused:UNUSED_PAD src0_sel:DWORD src1_sel:DWORD
	v_ffbh_u32_e32 v4, v3
	v_or_b32_sdwa v2, v9, v2 dst_sel:DWORD dst_unused:UNUSED_PAD src0_sel:BYTE_0 src1_sel:DWORD
	v_min_u32_e32 v4, 32, v4
	v_lshrrev_b16_e32 v2, 3, v2
	v_subrev_u32_e32 v6, 28, v4
	v_and_b32_e32 v2, 15, v2
	v_lshlrev_b32_e32 v6, v6, v9
	v_sub_u32_e32 v4, 29, v4
	v_and_b32_e32 v6, 7, v6
	v_cmp_eq_u16_e32 vcc, 0, v2
	v_cndmask_b32_e32 v3, v3, v6, vcc
	v_cndmask_b32_e32 v2, v2, v4, vcc
	v_lshlrev_b32_e32 v4, 24, v9
	v_mov_b32_e32 v6, 0x3b800000
	v_lshlrev_b32_e32 v3, 20, v3
	v_and_b32_e32 v4, 0x80000000, v4
	v_lshl_add_u32 v2, v2, 23, v6
	v_or3_b32 v2, v4, v2, v3
.LBB2_1892:
	s_or_b64 exec, exec, s[6:7]
	s_movk_i32 s4, 0x7f
	v_cmp_gt_i16_sdwa s[6:7], v5, s4 src0_sel:BYTE_0 src1_sel:DWORD
	s_mov_b64 s[4:5], 0
                                        ; implicit-def: $sgpr10
	s_and_saveexec_b64 s[8:9], s[6:7]
	s_xor_b64 s[6:7], exec, s[8:9]
	s_cbranch_execz .LBB2_1893
; %bb.37733:
	s_getpc_b64 s[14:15]
.Lpost_getpc22450:
	s_add_u32 s14, s14, (.LBB2_16229-.Lpost_getpc22450)&4294967295
	s_addc_u32 s15, s15, (.LBB2_16229-.Lpost_getpc22450)>>32
	s_setpc_b64 s[14:15]
.LBB2_1893:
	s_or_saveexec_b64 s[6:7], s[6:7]
	v_mov_b32_e32 v3, s10
	s_xor_b64 exec, exec, s[6:7]
	s_cbranch_execz .LBB2_1894
; %bb.37735:
	s_getpc_b64 s[14:15]
.Lpost_getpc22451:
	s_add_u32 s14, s14, (.LBB2_16232-.Lpost_getpc22451)&4294967295
	s_addc_u32 s15, s15, (.LBB2_16232-.Lpost_getpc22451)>>32
	s_setpc_b64 s[14:15]
.LBB2_1894:
	s_or_b64 exec, exec, s[6:7]
	s_and_saveexec_b64 s[6:7], s[4:5]
	s_cbranch_execz .LBB2_1896
.LBB2_1895:
	v_mov_b32_e32 v3, 8
	v_and_b32_e32 v4, 7, v5
	v_lshrrev_b32_sdwa v3, v3, v5 dst_sel:BYTE_1 dst_unused:UNUSED_PAD src0_sel:DWORD src1_sel:DWORD
	v_ffbh_u32_e32 v6, v4
	v_or_b32_sdwa v3, v5, v3 dst_sel:DWORD dst_unused:UNUSED_PAD src0_sel:BYTE_0 src1_sel:DWORD
	v_min_u32_e32 v6, 32, v6
	v_lshrrev_b16_e32 v3, 3, v3
	v_subrev_u32_e32 v7, 28, v6
	v_and_b32_e32 v3, 15, v3
	v_lshlrev_b32_e32 v7, v7, v5
	v_sub_u32_e32 v6, 29, v6
	v_and_b32_e32 v7, 7, v7
	v_cmp_eq_u16_e32 vcc, 0, v3
	v_cndmask_b32_e32 v4, v4, v7, vcc
	v_cndmask_b32_e32 v3, v3, v6, vcc
	v_lshlrev_b32_e32 v6, 24, v5
	v_mov_b32_e32 v7, 0x3b800000
	v_lshlrev_b32_e32 v4, 20, v4
	v_and_b32_e32 v6, 0x80000000, v6
	v_lshl_add_u32 v3, v3, 23, v7
	v_or3_b32 v3, v6, v3, v4
.LBB2_1896:
	s_or_b64 exec, exec, s[6:7]
	s_nop 0
	v_mfma_f32_16x16x4f32 a[0:3], v2, v3, a[0:3]
	v_lshrrev_b32_e32 v3, 8, v9
	s_movk_i32 s4, 0x7f
	v_cmp_gt_i16_sdwa s[6:7], v3, s4 src0_sel:BYTE_0 src1_sel:DWORD
	s_mov_b64 s[4:5], 0
                                        ; implicit-def: $sgpr10
	s_and_saveexec_b64 s[8:9], s[6:7]
	s_xor_b64 s[6:7], exec, s[8:9]
	s_cbranch_execz .LBB2_1897
; %bb.37737:
	s_getpc_b64 s[14:15]
.Lpost_getpc22452:
	s_add_u32 s14, s14, (.LBB2_16233-.Lpost_getpc22452)&4294967295
	s_addc_u32 s15, s15, (.LBB2_16233-.Lpost_getpc22452)>>32
	s_setpc_b64 s[14:15]
.LBB2_1897:
	s_or_saveexec_b64 s[6:7], s[6:7]
	v_mov_b32_e32 v2, s10
	s_xor_b64 exec, exec, s[6:7]
	s_cbranch_execz .LBB2_1898
; %bb.37739:
	s_getpc_b64 s[14:15]
.Lpost_getpc22453:
	s_add_u32 s14, s14, (.LBB2_16236-.Lpost_getpc22453)&4294967295
	s_addc_u32 s15, s15, (.LBB2_16236-.Lpost_getpc22453)>>32
	s_setpc_b64 s[14:15]
.LBB2_1898:
	s_or_b64 exec, exec, s[6:7]
	s_and_saveexec_b64 s[6:7], s[4:5]
	s_cbranch_execz .LBB2_1900
.LBB2_1899:
	v_bfe_u32 v2, v9, 8, 3
	v_ffbh_u32_e32 v6, v2
	v_min_u32_e32 v6, 32, v6
	v_lshrrev_b16_e32 v4, 3, v3
	v_subrev_u32_e32 v7, 28, v6
	v_and_b32_e32 v4, 15, v4
	v_lshlrev_b32_e32 v3, v7, v3
	v_sub_u32_e32 v6, 29, v6
	v_and_b32_e32 v3, 7, v3
	v_cmp_eq_u16_e32 vcc, 0, v4
	v_cndmask_b32_e32 v2, v2, v3, vcc
	v_cndmask_b32_e32 v3, v4, v6, vcc
	v_lshlrev_b32_e32 v4, 16, v9
	v_mov_b32_e32 v6, 0x3b800000
	v_lshlrev_b32_e32 v2, 20, v2
	v_and_b32_e32 v4, 0x80000000, v4
	v_lshl_add_u32 v3, v3, 23, v6
	v_or3_b32 v2, v4, v3, v2
.LBB2_1900:
	s_or_b64 exec, exec, s[6:7]
	v_lshrrev_b32_e32 v3, 8, v5
	s_movk_i32 s4, 0x7f
	v_cmp_gt_i16_sdwa s[6:7], v3, s4 src0_sel:BYTE_0 src1_sel:DWORD
	s_mov_b64 s[4:5], 0
                                        ; implicit-def: $sgpr10
	s_and_saveexec_b64 s[8:9], s[6:7]
	s_xor_b64 s[6:7], exec, s[8:9]
	s_cbranch_execz .LBB2_1901
; %bb.37741:
	s_getpc_b64 s[14:15]
.Lpost_getpc22454:
	s_add_u32 s14, s14, (.LBB2_16237-.Lpost_getpc22454)&4294967295
	s_addc_u32 s15, s15, (.LBB2_16237-.Lpost_getpc22454)>>32
	s_setpc_b64 s[14:15]
.LBB2_1901:
	s_or_saveexec_b64 s[6:7], s[6:7]
	v_mov_b32_e32 v4, s10
	s_xor_b64 exec, exec, s[6:7]
	s_cbranch_execz .LBB2_1902
; %bb.37743:
	s_getpc_b64 s[14:15]
.Lpost_getpc22455:
	s_add_u32 s14, s14, (.LBB2_16240-.Lpost_getpc22455)&4294967295
	s_addc_u32 s15, s15, (.LBB2_16240-.Lpost_getpc22455)>>32
	s_setpc_b64 s[14:15]
.LBB2_1902:
	s_or_b64 exec, exec, s[6:7]
	s_and_saveexec_b64 s[6:7], s[4:5]
	s_cbranch_execz .LBB2_1904
.LBB2_1903:
	v_bfe_u32 v4, v5, 8, 3
	v_ffbh_u32_e32 v7, v4
	v_min_u32_e32 v7, 32, v7
	v_lshrrev_b16_e32 v6, 3, v3
	v_subrev_u32_e32 v8, 28, v7
	v_and_b32_e32 v6, 15, v6
	v_lshlrev_b32_e32 v3, v8, v3
	v_sub_u32_e32 v7, 29, v7
	v_and_b32_e32 v3, 7, v3
	v_cmp_eq_u16_e32 vcc, 0, v6
	v_cndmask_b32_e32 v3, v4, v3, vcc
	v_cndmask_b32_e32 v4, v6, v7, vcc
	v_lshlrev_b32_e32 v6, 16, v5
	v_mov_b32_e32 v7, 0x3b800000
	v_lshlrev_b32_e32 v3, 20, v3
	v_and_b32_e32 v6, 0x80000000, v6
	v_lshl_add_u32 v4, v4, 23, v7
	v_or3_b32 v4, v6, v4, v3
.LBB2_1904:
	s_or_b64 exec, exec, s[6:7]
	s_nop 0
	v_mfma_f32_16x16x4f32 a[0:3], v2, v4, a[0:3]
	s_movk_i32 s4, 0xff
	v_and_b32_sdwa v3, v9, s4 dst_sel:DWORD dst_unused:UNUSED_PAD src0_sel:WORD_1 src1_sel:DWORD
	s_movk_i32 s4, 0x7f
	v_cmp_lt_i16_e32 vcc, s4, v3
	s_mov_b64 s[4:5], 0
                                        ; implicit-def: $sgpr10
	s_and_saveexec_b64 s[6:7], vcc
	s_xor_b64 s[6:7], exec, s[6:7]
	s_cbranch_execz .LBB2_1905
; %bb.37745:
	s_getpc_b64 s[14:15]
.Lpost_getpc22456:
	s_add_u32 s14, s14, (.LBB2_16241-.Lpost_getpc22456)&4294967295
	s_addc_u32 s15, s15, (.LBB2_16241-.Lpost_getpc22456)>>32
	s_setpc_b64 s[14:15]
.LBB2_1905:
	s_or_saveexec_b64 s[6:7], s[6:7]
	v_mov_b32_e32 v2, s10
	s_xor_b64 exec, exec, s[6:7]
	s_cbranch_execz .LBB2_1906
; %bb.37747:
	s_getpc_b64 s[14:15]
.Lpost_getpc22457:
	s_add_u32 s14, s14, (.LBB2_16244-.Lpost_getpc22457)&4294967295
	s_addc_u32 s15, s15, (.LBB2_16244-.Lpost_getpc22457)>>32
	s_setpc_b64 s[14:15]
.LBB2_1906:
	s_or_b64 exec, exec, s[6:7]
	s_and_saveexec_b64 s[6:7], s[4:5]
	s_cbranch_execz .LBB2_1908
.LBB2_1907:
	v_bfe_u32 v2, v9, 16, 3
	v_ffbh_u32_e32 v6, v2
	v_min_u32_e32 v6, 32, v6
	v_lshrrev_b32_e32 v3, 19, v9
	v_subrev_u32_e32 v7, 28, v6
	v_and_b32_e32 v3, 15, v3
	v_lshlrev_b32_sdwa v7, v7, v9 dst_sel:DWORD dst_unused:UNUSED_PAD src0_sel:DWORD src1_sel:WORD_1
	v_bfe_u32 v4, v9, 19, 4
	v_sub_u32_e32 v6, 29, v6
	v_and_b32_e32 v7, 7, v7
	v_cmp_eq_u16_e32 vcc, 0, v3
	v_cndmask_b32_e32 v2, v2, v7, vcc
	v_cndmask_b32_e32 v3, v4, v6, vcc
	v_lshlrev_b32_e32 v4, 8, v9
	v_mov_b32_e32 v6, 0x3b800000
	v_lshlrev_b32_e32 v2, 20, v2
	v_and_b32_e32 v4, 0x80000000, v4
	v_lshl_add_u32 v3, v3, 23, v6
	v_or3_b32 v2, v4, v3, v2
.LBB2_1908:
	s_or_b64 exec, exec, s[6:7]
	s_movk_i32 s4, 0xff
	v_and_b32_sdwa v3, v5, s4 dst_sel:DWORD dst_unused:UNUSED_PAD src0_sel:WORD_1 src1_sel:DWORD
	s_movk_i32 s4, 0x7f
	v_cmp_lt_i16_e32 vcc, s4, v3
	s_mov_b64 s[4:5], 0
                                        ; implicit-def: $sgpr10
	s_and_saveexec_b64 s[6:7], vcc
	s_xor_b64 s[6:7], exec, s[6:7]
	s_cbranch_execz .LBB2_1909
; %bb.37749:
	s_getpc_b64 s[14:15]
.Lpost_getpc22458:
	s_add_u32 s14, s14, (.LBB2_16245-.Lpost_getpc22458)&4294967295
	s_addc_u32 s15, s15, (.LBB2_16245-.Lpost_getpc22458)>>32
	s_setpc_b64 s[14:15]
.LBB2_1909:
	s_or_saveexec_b64 s[6:7], s[6:7]
	v_mov_b32_e32 v4, s10
	s_xor_b64 exec, exec, s[6:7]
	s_cbranch_execz .LBB2_1910
; %bb.37751:
	s_getpc_b64 s[14:15]
.Lpost_getpc22459:
	s_add_u32 s14, s14, (.LBB2_16248-.Lpost_getpc22459)&4294967295
	s_addc_u32 s15, s15, (.LBB2_16248-.Lpost_getpc22459)>>32
	s_setpc_b64 s[14:15]
.LBB2_1910:
	s_or_b64 exec, exec, s[6:7]
	s_and_saveexec_b64 s[6:7], s[4:5]
	s_cbranch_execz .LBB2_1912
.LBB2_1911:
	v_bfe_u32 v3, v5, 16, 3
	v_ffbh_u32_e32 v7, v3
	v_min_u32_e32 v7, 32, v7
	v_lshrrev_b32_e32 v4, 19, v5
	v_subrev_u32_e32 v8, 28, v7
	v_and_b32_e32 v4, 15, v4
	v_lshlrev_b32_sdwa v8, v8, v5 dst_sel:DWORD dst_unused:UNUSED_PAD src0_sel:DWORD src1_sel:WORD_1
	v_bfe_u32 v6, v5, 19, 4
	v_sub_u32_e32 v7, 29, v7
	v_and_b32_e32 v8, 7, v8
	v_cmp_eq_u16_e32 vcc, 0, v4
	v_cndmask_b32_e32 v3, v3, v8, vcc
	v_cndmask_b32_e32 v4, v6, v7, vcc
	v_lshlrev_b32_e32 v6, 8, v5
	v_mov_b32_e32 v7, 0x3b800000
	v_lshlrev_b32_e32 v3, 20, v3
	v_and_b32_e32 v6, 0x80000000, v6
	v_lshl_add_u32 v4, v4, 23, v7
	v_or3_b32 v4, v6, v4, v3
.LBB2_1912:
	s_or_b64 exec, exec, s[6:7]
	s_nop 0
	v_mfma_f32_16x16x4f32 a[0:3], v2, v4, a[0:3]
	s_movk_i32 s4, 0x7f
	v_cmp_gt_i16_sdwa s[6:7], v9, s4 src0_sel:BYTE_3 src1_sel:DWORD
	s_mov_b64 s[4:5], 0
                                        ; implicit-def: $sgpr10
	s_and_saveexec_b64 s[8:9], s[6:7]
	s_xor_b64 s[6:7], exec, s[8:9]
	s_cbranch_execz .LBB2_1913
; %bb.37753:
	s_getpc_b64 s[14:15]
.Lpost_getpc22460:
	s_add_u32 s14, s14, (.LBB2_16249-.Lpost_getpc22460)&4294967295
	s_addc_u32 s15, s15, (.LBB2_16249-.Lpost_getpc22460)>>32
	s_setpc_b64 s[14:15]
.LBB2_1913:
	s_or_saveexec_b64 s[6:7], s[6:7]
	v_mov_b32_e32 v2, s10
	s_xor_b64 exec, exec, s[6:7]
	s_cbranch_execz .LBB2_1914
; %bb.37755:
	s_getpc_b64 s[14:15]
.Lpost_getpc22461:
	s_add_u32 s14, s14, (.LBB2_16252-.Lpost_getpc22461)&4294967295
	s_addc_u32 s15, s15, (.LBB2_16252-.Lpost_getpc22461)>>32
	s_setpc_b64 s[14:15]
.LBB2_1914:
	s_or_b64 exec, exec, s[6:7]
	s_and_saveexec_b64 s[6:7], s[4:5]
	s_cbranch_execz .LBB2_1916
.LBB2_1915:
	v_bfe_u32 v2, v9, 24, 3
	v_ffbh_u32_e32 v7, v2
	v_min_u32_e32 v7, 32, v7
	v_lshrrev_b32_e32 v4, 27, v9
	v_subrev_u32_e32 v8, 28, v7
	v_and_b32_e32 v4, 15, v4
	v_lshlrev_b32_sdwa v8, v8, v9 dst_sel:DWORD dst_unused:UNUSED_PAD src0_sel:DWORD src1_sel:BYTE_3
	v_bfe_u32 v6, v9, 27, 4
	v_sub_u32_e32 v7, 29, v7
	v_and_b32_e32 v8, 7, v8
	v_cmp_eq_u16_e32 vcc, 0, v4
	v_cndmask_b32_e32 v2, v2, v8, vcc
	v_cndmask_b32_e32 v4, v6, v7, vcc
	v_mov_b32_e32 v6, 0x3b800000
	v_and_b32_e32 v3, 0x80000000, v9
	v_lshlrev_b32_e32 v2, 20, v2
	v_lshl_add_u32 v4, v4, 23, v6
	v_or3_b32 v2, v3, v4, v2
.LBB2_1916:
	s_or_b64 exec, exec, s[6:7]
	s_movk_i32 s4, 0x7f
	v_cmp_gt_i16_sdwa s[6:7], v5, s4 src0_sel:BYTE_3 src1_sel:DWORD
	s_mov_b64 s[4:5], 0
                                        ; implicit-def: $sgpr10
	s_and_saveexec_b64 s[8:9], s[6:7]
	s_xor_b64 s[6:7], exec, s[8:9]
	s_cbranch_execz .LBB2_1917
; %bb.37757:
	s_getpc_b64 s[14:15]
.Lpost_getpc22462:
	s_add_u32 s14, s14, (.LBB2_16253-.Lpost_getpc22462)&4294967295
	s_addc_u32 s15, s15, (.LBB2_16253-.Lpost_getpc22462)>>32
	s_setpc_b64 s[14:15]
.LBB2_1917:
	s_or_saveexec_b64 s[6:7], s[6:7]
	v_mov_b32_e32 v3, s10
	s_xor_b64 exec, exec, s[6:7]
	s_cbranch_execz .LBB2_1918
; %bb.37759:
	s_getpc_b64 s[14:15]
.Lpost_getpc22463:
	s_add_u32 s14, s14, (.LBB2_16256-.Lpost_getpc22463)&4294967295
	s_addc_u32 s15, s15, (.LBB2_16256-.Lpost_getpc22463)>>32
	s_setpc_b64 s[14:15]
.LBB2_1918:
	s_or_b64 exec, exec, s[6:7]
	s_and_saveexec_b64 s[6:7], s[4:5]
	s_cbranch_execz .LBB2_1920
.LBB2_1919:
	v_bfe_u32 v3, v5, 24, 3
	v_ffbh_u32_e32 v8, v3
	v_min_u32_e32 v8, 32, v8
	v_lshrrev_b32_e32 v6, 27, v5
	v_subrev_u32_e32 v9, 28, v8
	v_and_b32_e32 v4, 0x80000000, v5
	v_and_b32_e32 v6, 15, v6
	v_bfe_u32 v7, v5, 27, 4
	v_lshlrev_b32_sdwa v5, v9, v5 dst_sel:DWORD dst_unused:UNUSED_PAD src0_sel:DWORD src1_sel:BYTE_3
	v_sub_u32_e32 v8, 29, v8
	v_and_b32_e32 v5, 7, v5
	v_cmp_eq_u16_e32 vcc, 0, v6
	v_cndmask_b32_e32 v3, v3, v5, vcc
	v_cndmask_b32_e32 v5, v7, v8, vcc
	v_mov_b32_e32 v6, 0x3b800000
	v_lshlrev_b32_e32 v3, 20, v3
	v_lshl_add_u32 v5, v5, 23, v6
	v_or3_b32 v3, v4, v5, v3
.LBB2_1920:
	s_or_b64 exec, exec, s[6:7]
	s_nop 0
	v_mfma_f32_16x16x4f32 a[0:3], v2, v3, a[0:3]
	s_movk_i32 s4, 0x7f
                                        ; implicit-def: $sgpr10
	s_nop 7
	s_nop 1
	flat_store_dwordx4 v[10:11], a[0:3] offset:224
	flat_load_dwordx4 v[12:15], v[0:1]
	s_nop 0
	flat_load_dwordx2 v[10:11], v[0:1] offset:16
	s_waitcnt vmcnt(0) lgkmcnt(0)
	flat_load_dwordx4 v[6:9], v[12:13] offset:16
	flat_load_dwordx4 v[2:5], v[14:15] offset:112
	s_waitcnt vmcnt(0) lgkmcnt(0)
	v_cmp_gt_i16_sdwa s[6:7], v6, s4 src0_sel:BYTE_0 src1_sel:DWORD
	s_mov_b64 s[4:5], 0
	s_and_saveexec_b64 s[8:9], s[6:7]
	s_xor_b64 s[6:7], exec, s[8:9]
	s_cbranch_execz .LBB2_1921
; %bb.37761:
	s_getpc_b64 s[14:15]
.Lpost_getpc22464:
	s_add_u32 s14, s14, (.LBB2_16257-.Lpost_getpc22464)&4294967295
	s_addc_u32 s15, s15, (.LBB2_16257-.Lpost_getpc22464)>>32
	s_setpc_b64 s[14:15]
.LBB2_1921:
	s_or_saveexec_b64 s[6:7], s[6:7]
	v_mov_b32_e32 v12, s10
	s_xor_b64 exec, exec, s[6:7]
	s_cbranch_execz .LBB2_1922
; %bb.37763:
	s_getpc_b64 s[14:15]
.Lpost_getpc22465:
	s_add_u32 s14, s14, (.LBB2_16260-.Lpost_getpc22465)&4294967295
	s_addc_u32 s15, s15, (.LBB2_16260-.Lpost_getpc22465)>>32
	s_setpc_b64 s[14:15]
.LBB2_1922:
	s_or_b64 exec, exec, s[6:7]
	s_and_saveexec_b64 s[6:7], s[4:5]
	s_cbranch_execz .LBB2_1924
.LBB2_1923:
	v_and_b32_e32 v12, 7, v6
	v_ffbh_u32_e32 v14, v12
	v_min_u32_e32 v14, 32, v14
	v_lshrrev_b16_e32 v13, 3, v6
	v_subrev_u32_e32 v15, 28, v14
	v_and_b32_e32 v13, 15, v13
	v_lshlrev_b32_e32 v15, v15, v6
	v_sub_u32_e32 v14, 29, v14
	v_and_b32_e32 v15, 7, v15
	v_cmp_eq_u16_e32 vcc, 0, v13
	v_cndmask_b32_e32 v12, v12, v15, vcc
	v_cndmask_b32_e32 v13, v13, v14, vcc
	v_lshlrev_b32_e32 v14, 24, v6
	v_mov_b32_e32 v15, 0x3b800000
	v_lshlrev_b32_e32 v12, 20, v12
	v_and_b32_e32 v14, 0x80000000, v14
	v_lshl_add_u32 v13, v13, 23, v15
	v_or3_b32 v12, v14, v13, v12
.LBB2_1924:
	s_or_b64 exec, exec, s[6:7]
	s_movk_i32 s4, 0x7f
	v_cmp_gt_i16_sdwa s[6:7], v2, s4 src0_sel:BYTE_0 src1_sel:DWORD
	s_mov_b64 s[4:5], 0
                                        ; implicit-def: $sgpr10
	s_and_saveexec_b64 s[8:9], s[6:7]
	s_xor_b64 s[6:7], exec, s[8:9]
	s_cbranch_execz .LBB2_1925
; %bb.37765:
	s_getpc_b64 s[14:15]
.Lpost_getpc22466:
	s_add_u32 s14, s14, (.LBB2_16261-.Lpost_getpc22466)&4294967295
	s_addc_u32 s15, s15, (.LBB2_16261-.Lpost_getpc22466)>>32
	s_setpc_b64 s[14:15]
.LBB2_1925:
	s_or_saveexec_b64 s[6:7], s[6:7]
	v_mov_b32_e32 v13, s10
	s_xor_b64 exec, exec, s[6:7]
	s_cbranch_execz .LBB2_1926
; %bb.37767:
	s_getpc_b64 s[14:15]
.Lpost_getpc22467:
	s_add_u32 s14, s14, (.LBB2_16264-.Lpost_getpc22467)&4294967295
	s_addc_u32 s15, s15, (.LBB2_16264-.Lpost_getpc22467)>>32
	s_setpc_b64 s[14:15]
.LBB2_1926:
	s_or_b64 exec, exec, s[6:7]
	s_and_saveexec_b64 s[6:7], s[4:5]
	s_cbranch_execz .LBB2_1928
.LBB2_1927:
	v_and_b32_e32 v13, 7, v2
	v_ffbh_u32_e32 v15, v13
	v_min_u32_e32 v15, 32, v15
	v_lshrrev_b16_e32 v14, 3, v2
	v_subrev_u32_e32 v16, 28, v15
	v_and_b32_e32 v14, 15, v14
	v_lshlrev_b32_e32 v16, v16, v2
	v_sub_u32_e32 v15, 29, v15
	v_and_b32_e32 v16, 7, v16
	v_cmp_eq_u16_e32 vcc, 0, v14
	v_cndmask_b32_e32 v13, v13, v16, vcc
	v_cndmask_b32_e32 v14, v14, v15, vcc
	v_lshlrev_b32_e32 v15, 24, v2
	v_mov_b32_e32 v16, 0x3b800000
	v_lshlrev_b32_e32 v13, 20, v13
	v_and_b32_e32 v15, 0x80000000, v15
	v_lshl_add_u32 v14, v14, 23, v16
	v_or3_b32 v13, v15, v14, v13
.LBB2_1928:
	s_or_b64 exec, exec, s[6:7]
	flat_load_dwordx4 a[0:3], v[10:11] offset:240
	s_movk_i32 s4, 0x7f
                                        ; implicit-def: $sgpr10
	s_waitcnt vmcnt(0) lgkmcnt(0)
	v_mfma_f32_16x16x4f32 a[0:3], v12, v13, a[0:3]
	v_lshrrev_b32_e32 v13, 8, v6
	v_cmp_gt_i16_sdwa s[6:7], v13, s4 src0_sel:BYTE_0 src1_sel:DWORD
	s_mov_b64 s[4:5], 0
	s_and_saveexec_b64 s[8:9], s[6:7]
	s_xor_b64 s[6:7], exec, s[8:9]
	s_cbranch_execz .LBB2_1929
; %bb.37769:
	s_getpc_b64 s[14:15]
.Lpost_getpc22468:
	s_add_u32 s14, s14, (.LBB2_16265-.Lpost_getpc22468)&4294967295
	s_addc_u32 s15, s15, (.LBB2_16265-.Lpost_getpc22468)>>32
	s_setpc_b64 s[14:15]
.LBB2_1929:
	s_or_saveexec_b64 s[6:7], s[6:7]
	v_mov_b32_e32 v12, s10
	s_xor_b64 exec, exec, s[6:7]
	s_cbranch_execz .LBB2_1930
; %bb.37771:
	s_getpc_b64 s[14:15]
.Lpost_getpc22469:
	s_add_u32 s14, s14, (.LBB2_16268-.Lpost_getpc22469)&4294967295
	s_addc_u32 s15, s15, (.LBB2_16268-.Lpost_getpc22469)>>32
	s_setpc_b64 s[14:15]
.LBB2_1930:
	s_or_b64 exec, exec, s[6:7]
	s_and_saveexec_b64 s[6:7], s[4:5]
	s_cbranch_execz .LBB2_1932
.LBB2_1931:
	v_bfe_u32 v12, v6, 8, 3
	v_ffbh_u32_e32 v15, v12
	v_min_u32_e32 v15, 32, v15
	v_lshrrev_b16_e32 v14, 3, v13
	v_subrev_u32_e32 v16, 28, v15
	v_and_b32_e32 v14, 15, v14
	v_lshlrev_b32_e32 v13, v16, v13
	v_sub_u32_e32 v15, 29, v15
	v_and_b32_e32 v13, 7, v13
	v_cmp_eq_u16_e32 vcc, 0, v14
	v_cndmask_b32_e32 v12, v12, v13, vcc
	v_cndmask_b32_e32 v13, v14, v15, vcc
	v_lshlrev_b32_e32 v14, 16, v6
	v_mov_b32_e32 v15, 0x3b800000
	v_lshlrev_b32_e32 v12, 20, v12
	v_and_b32_e32 v14, 0x80000000, v14
	v_lshl_add_u32 v13, v13, 23, v15
	v_or3_b32 v12, v14, v13, v12
.LBB2_1932:
	s_or_b64 exec, exec, s[6:7]
	v_lshrrev_b32_e32 v13, 8, v2
	s_movk_i32 s4, 0x7f
	v_cmp_gt_i16_sdwa s[6:7], v13, s4 src0_sel:BYTE_0 src1_sel:DWORD
	s_mov_b64 s[4:5], 0
                                        ; implicit-def: $sgpr10
	s_and_saveexec_b64 s[8:9], s[6:7]
	s_xor_b64 s[6:7], exec, s[8:9]
	s_cbranch_execz .LBB2_1933
; %bb.37773:
	s_getpc_b64 s[14:15]
.Lpost_getpc22470:
	s_add_u32 s14, s14, (.LBB2_16269-.Lpost_getpc22470)&4294967295
	s_addc_u32 s15, s15, (.LBB2_16269-.Lpost_getpc22470)>>32
	s_setpc_b64 s[14:15]
.LBB2_1933:
	s_or_saveexec_b64 s[6:7], s[6:7]
	v_mov_b32_e32 v14, s10
	s_xor_b64 exec, exec, s[6:7]
	s_cbranch_execz .LBB2_1934
; %bb.37775:
	s_getpc_b64 s[14:15]
.Lpost_getpc22471:
	s_add_u32 s14, s14, (.LBB2_16272-.Lpost_getpc22471)&4294967295
	s_addc_u32 s15, s15, (.LBB2_16272-.Lpost_getpc22471)>>32
	s_setpc_b64 s[14:15]
.LBB2_1934:
	s_or_b64 exec, exec, s[6:7]
	s_and_saveexec_b64 s[6:7], s[4:5]
	s_cbranch_execz .LBB2_1936
.LBB2_1935:
	v_bfe_u32 v14, v2, 8, 3
	v_ffbh_u32_e32 v16, v14
	v_min_u32_e32 v16, 32, v16
	v_lshrrev_b16_e32 v15, 3, v13
	v_subrev_u32_e32 v17, 28, v16
	v_and_b32_e32 v15, 15, v15
	v_lshlrev_b32_e32 v13, v17, v13
	v_sub_u32_e32 v16, 29, v16
	v_and_b32_e32 v13, 7, v13
	v_cmp_eq_u16_e32 vcc, 0, v15
	v_cndmask_b32_e32 v13, v14, v13, vcc
	v_cndmask_b32_e32 v14, v15, v16, vcc
	v_lshlrev_b32_e32 v15, 16, v2
	v_mov_b32_e32 v16, 0x3b800000
	v_lshlrev_b32_e32 v13, 20, v13
	v_and_b32_e32 v15, 0x80000000, v15
	v_lshl_add_u32 v14, v14, 23, v16
	v_or3_b32 v14, v15, v14, v13
.LBB2_1936:
	s_or_b64 exec, exec, s[6:7]
	s_nop 0
	v_mfma_f32_16x16x4f32 a[0:3], v12, v14, a[0:3]
	s_movk_i32 s4, 0xff
	v_and_b32_sdwa v13, v6, s4 dst_sel:DWORD dst_unused:UNUSED_PAD src0_sel:WORD_1 src1_sel:DWORD
	s_movk_i32 s4, 0x7f
	v_cmp_lt_i16_e32 vcc, s4, v13
	s_mov_b64 s[4:5], 0
                                        ; implicit-def: $sgpr10
	s_and_saveexec_b64 s[6:7], vcc
	s_xor_b64 s[6:7], exec, s[6:7]
	s_cbranch_execz .LBB2_1937
; %bb.37777:
	s_getpc_b64 s[14:15]
.Lpost_getpc22472:
	s_add_u32 s14, s14, (.LBB2_16273-.Lpost_getpc22472)&4294967295
	s_addc_u32 s15, s15, (.LBB2_16273-.Lpost_getpc22472)>>32
	s_setpc_b64 s[14:15]
.LBB2_1937:
	s_or_saveexec_b64 s[6:7], s[6:7]
	v_mov_b32_e32 v12, s10
	s_xor_b64 exec, exec, s[6:7]
	s_cbranch_execz .LBB2_1938
; %bb.37779:
	s_getpc_b64 s[14:15]
.Lpost_getpc22473:
	s_add_u32 s14, s14, (.LBB2_16276-.Lpost_getpc22473)&4294967295
	s_addc_u32 s15, s15, (.LBB2_16276-.Lpost_getpc22473)>>32
	s_setpc_b64 s[14:15]
.LBB2_1938:
	s_or_b64 exec, exec, s[6:7]
	s_and_saveexec_b64 s[6:7], s[4:5]
	s_cbranch_execz .LBB2_1940
.LBB2_1939:
	v_bfe_u32 v12, v6, 16, 3
	v_ffbh_u32_e32 v15, v12
	v_min_u32_e32 v15, 32, v15
	v_lshrrev_b32_e32 v13, 19, v6
	v_subrev_u32_e32 v16, 28, v15
	v_and_b32_e32 v13, 15, v13
	v_lshlrev_b32_sdwa v16, v16, v6 dst_sel:DWORD dst_unused:UNUSED_PAD src0_sel:DWORD src1_sel:WORD_1
	v_bfe_u32 v14, v6, 19, 4
	v_sub_u32_e32 v15, 29, v15
	v_and_b32_e32 v16, 7, v16
	v_cmp_eq_u16_e32 vcc, 0, v13
	v_cndmask_b32_e32 v12, v12, v16, vcc
	v_cndmask_b32_e32 v13, v14, v15, vcc
	v_lshlrev_b32_e32 v14, 8, v6
	v_mov_b32_e32 v15, 0x3b800000
	v_lshlrev_b32_e32 v12, 20, v12
	v_and_b32_e32 v14, 0x80000000, v14
	v_lshl_add_u32 v13, v13, 23, v15
	v_or3_b32 v12, v14, v13, v12
.LBB2_1940:
	s_or_b64 exec, exec, s[6:7]
	s_movk_i32 s4, 0xff
	v_and_b32_sdwa v13, v2, s4 dst_sel:DWORD dst_unused:UNUSED_PAD src0_sel:WORD_1 src1_sel:DWORD
	s_movk_i32 s4, 0x7f
	v_cmp_lt_i16_e32 vcc, s4, v13
	s_mov_b64 s[4:5], 0
                                        ; implicit-def: $sgpr10
	s_and_saveexec_b64 s[6:7], vcc
	s_xor_b64 s[6:7], exec, s[6:7]
	s_cbranch_execz .LBB2_1941
; %bb.37781:
	s_getpc_b64 s[14:15]
.Lpost_getpc22474:
	s_add_u32 s14, s14, (.LBB2_16277-.Lpost_getpc22474)&4294967295
	s_addc_u32 s15, s15, (.LBB2_16277-.Lpost_getpc22474)>>32
	s_setpc_b64 s[14:15]
.LBB2_1941:
	s_or_saveexec_b64 s[6:7], s[6:7]
	v_mov_b32_e32 v14, s10
	s_xor_b64 exec, exec, s[6:7]
	s_cbranch_execz .LBB2_1942
; %bb.37783:
	s_getpc_b64 s[14:15]
.Lpost_getpc22475:
	s_add_u32 s14, s14, (.LBB2_16280-.Lpost_getpc22475)&4294967295
	s_addc_u32 s15, s15, (.LBB2_16280-.Lpost_getpc22475)>>32
	s_setpc_b64 s[14:15]
.LBB2_1942:
	s_or_b64 exec, exec, s[6:7]
	s_and_saveexec_b64 s[6:7], s[4:5]
	s_cbranch_execz .LBB2_1944
.LBB2_1943:
	v_bfe_u32 v13, v2, 16, 3
	v_ffbh_u32_e32 v16, v13
	v_min_u32_e32 v16, 32, v16
	v_lshrrev_b32_e32 v14, 19, v2
	v_subrev_u32_e32 v17, 28, v16
	v_and_b32_e32 v14, 15, v14
	v_lshlrev_b32_sdwa v17, v17, v2 dst_sel:DWORD dst_unused:UNUSED_PAD src0_sel:DWORD src1_sel:WORD_1
	v_bfe_u32 v15, v2, 19, 4
	v_sub_u32_e32 v16, 29, v16
	v_and_b32_e32 v17, 7, v17
	v_cmp_eq_u16_e32 vcc, 0, v14
	v_cndmask_b32_e32 v13, v13, v17, vcc
	v_cndmask_b32_e32 v14, v15, v16, vcc
	v_lshlrev_b32_e32 v15, 8, v2
	v_mov_b32_e32 v16, 0x3b800000
	v_lshlrev_b32_e32 v13, 20, v13
	v_and_b32_e32 v15, 0x80000000, v15
	v_lshl_add_u32 v14, v14, 23, v16
	v_or3_b32 v14, v15, v14, v13
.LBB2_1944:
	s_or_b64 exec, exec, s[6:7]
	s_nop 0
	v_mfma_f32_16x16x4f32 a[0:3], v12, v14, a[0:3]
	s_movk_i32 s4, 0x7f
	v_cmp_gt_i16_sdwa s[6:7], v6, s4 src0_sel:BYTE_3 src1_sel:DWORD
	s_mov_b64 s[4:5], 0
                                        ; implicit-def: $sgpr10
	s_and_saveexec_b64 s[8:9], s[6:7]
	s_xor_b64 s[6:7], exec, s[8:9]
	s_cbranch_execz .LBB2_1945
; %bb.37785:
	s_getpc_b64 s[14:15]
.Lpost_getpc22476:
	s_add_u32 s14, s14, (.LBB2_16281-.Lpost_getpc22476)&4294967295
	s_addc_u32 s15, s15, (.LBB2_16281-.Lpost_getpc22476)>>32
	s_setpc_b64 s[14:15]
.LBB2_1945:
	s_or_saveexec_b64 s[6:7], s[6:7]
	v_mov_b32_e32 v12, s10
	s_xor_b64 exec, exec, s[6:7]
	s_cbranch_execz .LBB2_1946
; %bb.37787:
	s_getpc_b64 s[14:15]
.Lpost_getpc22477:
	s_add_u32 s14, s14, (.LBB2_16284-.Lpost_getpc22477)&4294967295
	s_addc_u32 s15, s15, (.LBB2_16284-.Lpost_getpc22477)>>32
	s_setpc_b64 s[14:15]
.LBB2_1946:
	s_or_b64 exec, exec, s[6:7]
	s_and_saveexec_b64 s[6:7], s[4:5]
	s_cbranch_execz .LBB2_1948
.LBB2_1947:
	v_bfe_u32 v12, v6, 24, 3
	v_ffbh_u32_e32 v16, v12
	v_min_u32_e32 v16, 32, v16
	v_lshrrev_b32_e32 v14, 27, v6
	v_subrev_u32_e32 v17, 28, v16
	v_and_b32_e32 v13, 0x80000000, v6
	v_and_b32_e32 v14, 15, v14
	v_bfe_u32 v15, v6, 27, 4
	v_lshlrev_b32_sdwa v6, v17, v6 dst_sel:DWORD dst_unused:UNUSED_PAD src0_sel:DWORD src1_sel:BYTE_3
	v_sub_u32_e32 v16, 29, v16
	v_and_b32_e32 v6, 7, v6
	v_cmp_eq_u16_e32 vcc, 0, v14
	v_cndmask_b32_e32 v6, v12, v6, vcc
	v_cndmask_b32_e32 v12, v15, v16, vcc
	v_mov_b32_e32 v14, 0x3b800000
	v_lshlrev_b32_e32 v6, 20, v6
	v_lshl_add_u32 v12, v12, 23, v14
	v_or3_b32 v12, v13, v12, v6
.LBB2_1948:
	s_or_b64 exec, exec, s[6:7]
	s_movk_i32 s4, 0x7f
	v_cmp_gt_i16_sdwa s[6:7], v2, s4 src0_sel:BYTE_3 src1_sel:DWORD
	s_mov_b64 s[4:5], 0
                                        ; implicit-def: $sgpr10
	s_and_saveexec_b64 s[8:9], s[6:7]
	s_xor_b64 s[6:7], exec, s[8:9]
	s_cbranch_execz .LBB2_1949
; %bb.37789:
	s_getpc_b64 s[14:15]
.Lpost_getpc22478:
	s_add_u32 s14, s14, (.LBB2_16285-.Lpost_getpc22478)&4294967295
	s_addc_u32 s15, s15, (.LBB2_16285-.Lpost_getpc22478)>>32
	s_setpc_b64 s[14:15]
.LBB2_1949:
	s_or_saveexec_b64 s[6:7], s[6:7]
	v_mov_b32_e32 v6, s10
	s_xor_b64 exec, exec, s[6:7]
	s_cbranch_execz .LBB2_1950
; %bb.37791:
	s_getpc_b64 s[14:15]
.Lpost_getpc22479:
	s_add_u32 s14, s14, (.LBB2_16288-.Lpost_getpc22479)&4294967295
	s_addc_u32 s15, s15, (.LBB2_16288-.Lpost_getpc22479)>>32
	s_setpc_b64 s[14:15]
.LBB2_1950:
	s_or_b64 exec, exec, s[6:7]
	s_and_saveexec_b64 s[6:7], s[4:5]
	s_cbranch_execz .LBB2_1952
.LBB2_1951:
	v_bfe_u32 v6, v2, 24, 3
	v_ffbh_u32_e32 v16, v6
	v_min_u32_e32 v16, 32, v16
	v_lshrrev_b32_e32 v14, 27, v2
	v_subrev_u32_e32 v17, 28, v16
	v_and_b32_e32 v13, 0x80000000, v2
	v_and_b32_e32 v14, 15, v14
	v_bfe_u32 v15, v2, 27, 4
	v_lshlrev_b32_sdwa v2, v17, v2 dst_sel:DWORD dst_unused:UNUSED_PAD src0_sel:DWORD src1_sel:BYTE_3
	v_sub_u32_e32 v16, 29, v16
	v_and_b32_e32 v2, 7, v2
	v_cmp_eq_u16_e32 vcc, 0, v14
	v_cndmask_b32_e32 v2, v6, v2, vcc
	v_cndmask_b32_e32 v6, v15, v16, vcc
	v_mov_b32_e32 v14, 0x3b800000
	v_lshlrev_b32_e32 v2, 20, v2
	v_lshl_add_u32 v6, v6, 23, v14
	v_or3_b32 v6, v13, v6, v2
.LBB2_1952:
	s_or_b64 exec, exec, s[6:7]
	s_nop 0
	v_mfma_f32_16x16x4f32 a[0:3], v12, v6, a[0:3]
	s_movk_i32 s4, 0x7f
	v_cmp_gt_i16_sdwa s[6:7], v7, s4 src0_sel:BYTE_0 src1_sel:DWORD
	s_mov_b64 s[4:5], 0
                                        ; implicit-def: $sgpr10
	s_and_saveexec_b64 s[8:9], s[6:7]
	s_xor_b64 s[6:7], exec, s[8:9]
	s_cbranch_execz .LBB2_1953
; %bb.37793:
	s_getpc_b64 s[14:15]
.Lpost_getpc22480:
	s_add_u32 s14, s14, (.LBB2_16289-.Lpost_getpc22480)&4294967295
	s_addc_u32 s15, s15, (.LBB2_16289-.Lpost_getpc22480)>>32
	s_setpc_b64 s[14:15]
.LBB2_1953:
	s_or_saveexec_b64 s[6:7], s[6:7]
	v_mov_b32_e32 v2, s10
	s_xor_b64 exec, exec, s[6:7]
	s_cbranch_execz .LBB2_1954
; %bb.37795:
	s_getpc_b64 s[14:15]
.Lpost_getpc22481:
	s_add_u32 s14, s14, (.LBB2_16292-.Lpost_getpc22481)&4294967295
	s_addc_u32 s15, s15, (.LBB2_16292-.Lpost_getpc22481)>>32
	s_setpc_b64 s[14:15]
.LBB2_1954:
	s_or_b64 exec, exec, s[6:7]
	s_and_saveexec_b64 s[6:7], s[4:5]
	s_cbranch_execz .LBB2_1956
.LBB2_1955:
	v_and_b32_e32 v2, 7, v7
	v_ffbh_u32_e32 v12, v2
	v_min_u32_e32 v12, 32, v12
	v_lshrrev_b16_e32 v6, 3, v7
	v_subrev_u32_e32 v13, 28, v12
	v_and_b32_e32 v6, 15, v6
	v_lshlrev_b32_e32 v13, v13, v7
	v_sub_u32_e32 v12, 29, v12
	v_and_b32_e32 v13, 7, v13
	v_cmp_eq_u16_e32 vcc, 0, v6
	v_cndmask_b32_e32 v2, v2, v13, vcc
	v_cndmask_b32_e32 v6, v6, v12, vcc
	v_lshlrev_b32_e32 v12, 24, v7
	v_mov_b32_e32 v13, 0x3b800000
	v_lshlrev_b32_e32 v2, 20, v2
	v_and_b32_e32 v12, 0x80000000, v12
	v_lshl_add_u32 v6, v6, 23, v13
	v_or3_b32 v2, v12, v6, v2
.LBB2_1956:
	s_or_b64 exec, exec, s[6:7]
	s_movk_i32 s4, 0x7f
	v_cmp_gt_i16_sdwa s[6:7], v3, s4 src0_sel:BYTE_0 src1_sel:DWORD
	s_mov_b64 s[4:5], 0
                                        ; implicit-def: $sgpr10
	s_and_saveexec_b64 s[8:9], s[6:7]
	s_xor_b64 s[6:7], exec, s[8:9]
	s_cbranch_execz .LBB2_1957
; %bb.37797:
	s_getpc_b64 s[14:15]
.Lpost_getpc22482:
	s_add_u32 s14, s14, (.LBB2_16293-.Lpost_getpc22482)&4294967295
	s_addc_u32 s15, s15, (.LBB2_16293-.Lpost_getpc22482)>>32
	s_setpc_b64 s[14:15]
.LBB2_1957:
	s_or_saveexec_b64 s[6:7], s[6:7]
	v_mov_b32_e32 v6, s10
	s_xor_b64 exec, exec, s[6:7]
	s_cbranch_execz .LBB2_1958
; %bb.37799:
	s_getpc_b64 s[14:15]
.Lpost_getpc22483:
	s_add_u32 s14, s14, (.LBB2_16296-.Lpost_getpc22483)&4294967295
	s_addc_u32 s15, s15, (.LBB2_16296-.Lpost_getpc22483)>>32
	s_setpc_b64 s[14:15]
.LBB2_1958:
	s_or_b64 exec, exec, s[6:7]
	s_and_saveexec_b64 s[6:7], s[4:5]
	s_cbranch_execz .LBB2_1960
.LBB2_1959:
	v_and_b32_e32 v6, 7, v3
	v_ffbh_u32_e32 v13, v6
	v_min_u32_e32 v13, 32, v13
	v_lshrrev_b16_e32 v12, 3, v3
	v_subrev_u32_e32 v14, 28, v13
	v_and_b32_e32 v12, 15, v12
	v_lshlrev_b32_e32 v14, v14, v3
	v_sub_u32_e32 v13, 29, v13
	v_and_b32_e32 v14, 7, v14
	v_cmp_eq_u16_e32 vcc, 0, v12
	v_cndmask_b32_e32 v6, v6, v14, vcc
	v_cndmask_b32_e32 v12, v12, v13, vcc
	v_lshlrev_b32_e32 v13, 24, v3
	v_mov_b32_e32 v14, 0x3b800000
	v_lshlrev_b32_e32 v6, 20, v6
	v_and_b32_e32 v13, 0x80000000, v13
	v_lshl_add_u32 v12, v12, 23, v14
	v_or3_b32 v6, v13, v12, v6
.LBB2_1960:
	s_or_b64 exec, exec, s[6:7]
	s_nop 0
	v_mfma_f32_16x16x4f32 a[0:3], v2, v6, a[0:3]
	v_lshrrev_b32_e32 v6, 8, v7
	s_movk_i32 s4, 0x7f
	v_cmp_gt_i16_sdwa s[6:7], v6, s4 src0_sel:BYTE_0 src1_sel:DWORD
	s_mov_b64 s[4:5], 0
                                        ; implicit-def: $sgpr10
	s_and_saveexec_b64 s[8:9], s[6:7]
	s_xor_b64 s[6:7], exec, s[8:9]
	s_cbranch_execz .LBB2_1961
; %bb.37801:
	s_getpc_b64 s[14:15]
.Lpost_getpc22484:
	s_add_u32 s14, s14, (.LBB2_16297-.Lpost_getpc22484)&4294967295
	s_addc_u32 s15, s15, (.LBB2_16297-.Lpost_getpc22484)>>32
	s_setpc_b64 s[14:15]
.LBB2_1961:
	s_or_saveexec_b64 s[6:7], s[6:7]
	v_mov_b32_e32 v2, s10
	s_xor_b64 exec, exec, s[6:7]
	s_cbranch_execz .LBB2_1962
; %bb.37803:
	s_getpc_b64 s[14:15]
.Lpost_getpc22485:
	s_add_u32 s14, s14, (.LBB2_16300-.Lpost_getpc22485)&4294967295
	s_addc_u32 s15, s15, (.LBB2_16300-.Lpost_getpc22485)>>32
	s_setpc_b64 s[14:15]
.LBB2_1962:
	s_or_b64 exec, exec, s[6:7]
	s_and_saveexec_b64 s[6:7], s[4:5]
	s_cbranch_execz .LBB2_1964
.LBB2_1963:
	v_bfe_u32 v2, v7, 8, 3
	v_ffbh_u32_e32 v13, v2
	v_min_u32_e32 v13, 32, v13
	v_lshrrev_b16_e32 v12, 3, v6
	v_subrev_u32_e32 v14, 28, v13
	v_and_b32_e32 v12, 15, v12
	v_lshlrev_b32_e32 v6, v14, v6
	v_sub_u32_e32 v13, 29, v13
	v_and_b32_e32 v6, 7, v6
	v_cmp_eq_u16_e32 vcc, 0, v12
	v_cndmask_b32_e32 v2, v2, v6, vcc
	v_cndmask_b32_e32 v6, v12, v13, vcc
	v_lshlrev_b32_e32 v12, 16, v7
	v_mov_b32_e32 v13, 0x3b800000
	v_lshlrev_b32_e32 v2, 20, v2
	v_and_b32_e32 v12, 0x80000000, v12
	v_lshl_add_u32 v6, v6, 23, v13
	v_or3_b32 v2, v12, v6, v2
.LBB2_1964:
	s_or_b64 exec, exec, s[6:7]
	v_lshrrev_b32_e32 v6, 8, v3
	s_movk_i32 s4, 0x7f
	v_cmp_gt_i16_sdwa s[6:7], v6, s4 src0_sel:BYTE_0 src1_sel:DWORD
	s_mov_b64 s[4:5], 0
                                        ; implicit-def: $sgpr10
	s_and_saveexec_b64 s[8:9], s[6:7]
	s_xor_b64 s[6:7], exec, s[8:9]
	s_cbranch_execz .LBB2_1965
; %bb.37805:
	s_getpc_b64 s[14:15]
.Lpost_getpc22486:
	s_add_u32 s14, s14, (.LBB2_16301-.Lpost_getpc22486)&4294967295
	s_addc_u32 s15, s15, (.LBB2_16301-.Lpost_getpc22486)>>32
	s_setpc_b64 s[14:15]
.LBB2_1965:
	s_or_saveexec_b64 s[6:7], s[6:7]
	v_mov_b32_e32 v12, s10
	s_xor_b64 exec, exec, s[6:7]
	s_cbranch_execz .LBB2_1966
; %bb.37807:
	s_getpc_b64 s[14:15]
.Lpost_getpc22487:
	s_add_u32 s14, s14, (.LBB2_16304-.Lpost_getpc22487)&4294967295
	s_addc_u32 s15, s15, (.LBB2_16304-.Lpost_getpc22487)>>32
	s_setpc_b64 s[14:15]
.LBB2_1966:
	s_or_b64 exec, exec, s[6:7]
	s_and_saveexec_b64 s[6:7], s[4:5]
	s_cbranch_execz .LBB2_1968
.LBB2_1967:
	v_bfe_u32 v12, v3, 8, 3
	v_ffbh_u32_e32 v14, v12
	v_min_u32_e32 v14, 32, v14
	v_lshrrev_b16_e32 v13, 3, v6
	v_subrev_u32_e32 v15, 28, v14
	v_and_b32_e32 v13, 15, v13
	v_lshlrev_b32_e32 v6, v15, v6
	v_sub_u32_e32 v14, 29, v14
	v_and_b32_e32 v6, 7, v6
	v_cmp_eq_u16_e32 vcc, 0, v13
	v_cndmask_b32_e32 v6, v12, v6, vcc
	v_cndmask_b32_e32 v12, v13, v14, vcc
	v_lshlrev_b32_e32 v13, 16, v3
	v_mov_b32_e32 v14, 0x3b800000
	v_lshlrev_b32_e32 v6, 20, v6
	v_and_b32_e32 v13, 0x80000000, v13
	v_lshl_add_u32 v12, v12, 23, v14
	v_or3_b32 v12, v13, v12, v6
.LBB2_1968:
	s_or_b64 exec, exec, s[6:7]
	s_nop 0
	v_mfma_f32_16x16x4f32 a[0:3], v2, v12, a[0:3]
	s_movk_i32 s4, 0xff
	v_and_b32_sdwa v6, v7, s4 dst_sel:DWORD dst_unused:UNUSED_PAD src0_sel:WORD_1 src1_sel:DWORD
	s_movk_i32 s4, 0x7f
	v_cmp_lt_i16_e32 vcc, s4, v6
	s_mov_b64 s[4:5], 0
                                        ; implicit-def: $sgpr10
	s_and_saveexec_b64 s[6:7], vcc
	s_xor_b64 s[6:7], exec, s[6:7]
	s_cbranch_execz .LBB2_1969
; %bb.37809:
	s_getpc_b64 s[14:15]
.Lpost_getpc22488:
	s_add_u32 s14, s14, (.LBB2_16305-.Lpost_getpc22488)&4294967295
	s_addc_u32 s15, s15, (.LBB2_16305-.Lpost_getpc22488)>>32
	s_setpc_b64 s[14:15]
.LBB2_1969:
	s_or_saveexec_b64 s[6:7], s[6:7]
	v_mov_b32_e32 v2, s10
	s_xor_b64 exec, exec, s[6:7]
	s_cbranch_execz .LBB2_1970
; %bb.37811:
	s_getpc_b64 s[14:15]
.Lpost_getpc22489:
	s_add_u32 s14, s14, (.LBB2_16308-.Lpost_getpc22489)&4294967295
	s_addc_u32 s15, s15, (.LBB2_16308-.Lpost_getpc22489)>>32
	s_setpc_b64 s[14:15]
.LBB2_1970:
	s_or_b64 exec, exec, s[6:7]
	s_and_saveexec_b64 s[6:7], s[4:5]
	s_cbranch_execz .LBB2_1972
.LBB2_1971:
	v_bfe_u32 v2, v7, 16, 3
	v_ffbh_u32_e32 v13, v2
	v_min_u32_e32 v13, 32, v13
	v_lshrrev_b32_e32 v6, 19, v7
	v_subrev_u32_e32 v14, 28, v13
	v_and_b32_e32 v6, 15, v6
	v_lshlrev_b32_sdwa v14, v14, v7 dst_sel:DWORD dst_unused:UNUSED_PAD src0_sel:DWORD src1_sel:WORD_1
	v_bfe_u32 v12, v7, 19, 4
	v_sub_u32_e32 v13, 29, v13
	v_and_b32_e32 v14, 7, v14
	v_cmp_eq_u16_e32 vcc, 0, v6
	v_cndmask_b32_e32 v2, v2, v14, vcc
	v_cndmask_b32_e32 v6, v12, v13, vcc
	v_lshlrev_b32_e32 v12, 8, v7
	v_mov_b32_e32 v13, 0x3b800000
	v_lshlrev_b32_e32 v2, 20, v2
	v_and_b32_e32 v12, 0x80000000, v12
	v_lshl_add_u32 v6, v6, 23, v13
	v_or3_b32 v2, v12, v6, v2
.LBB2_1972:
	s_or_b64 exec, exec, s[6:7]
	s_movk_i32 s4, 0xff
	v_and_b32_sdwa v6, v3, s4 dst_sel:DWORD dst_unused:UNUSED_PAD src0_sel:WORD_1 src1_sel:DWORD
	s_movk_i32 s4, 0x7f
	v_cmp_lt_i16_e32 vcc, s4, v6
	s_mov_b64 s[4:5], 0
                                        ; implicit-def: $sgpr10
	s_and_saveexec_b64 s[6:7], vcc
	s_xor_b64 s[6:7], exec, s[6:7]
	s_cbranch_execz .LBB2_1973
; %bb.37813:
	s_getpc_b64 s[14:15]
.Lpost_getpc22490:
	s_add_u32 s14, s14, (.LBB2_16309-.Lpost_getpc22490)&4294967295
	s_addc_u32 s15, s15, (.LBB2_16309-.Lpost_getpc22490)>>32
	s_setpc_b64 s[14:15]
.LBB2_1973:
	s_or_saveexec_b64 s[6:7], s[6:7]
	v_mov_b32_e32 v12, s10
	s_xor_b64 exec, exec, s[6:7]
	s_cbranch_execz .LBB2_1974
; %bb.37815:
	s_getpc_b64 s[14:15]
.Lpost_getpc22491:
	s_add_u32 s14, s14, (.LBB2_16312-.Lpost_getpc22491)&4294967295
	s_addc_u32 s15, s15, (.LBB2_16312-.Lpost_getpc22491)>>32
	s_setpc_b64 s[14:15]
.LBB2_1974:
	s_or_b64 exec, exec, s[6:7]
	s_and_saveexec_b64 s[6:7], s[4:5]
	s_cbranch_execz .LBB2_1976
.LBB2_1975:
	v_bfe_u32 v6, v3, 16, 3
	v_ffbh_u32_e32 v14, v6
	v_min_u32_e32 v14, 32, v14
	v_lshrrev_b32_e32 v12, 19, v3
	v_subrev_u32_e32 v15, 28, v14
	v_and_b32_e32 v12, 15, v12
	v_lshlrev_b32_sdwa v15, v15, v3 dst_sel:DWORD dst_unused:UNUSED_PAD src0_sel:DWORD src1_sel:WORD_1
	v_bfe_u32 v13, v3, 19, 4
	v_sub_u32_e32 v14, 29, v14
	v_and_b32_e32 v15, 7, v15
	v_cmp_eq_u16_e32 vcc, 0, v12
	v_cndmask_b32_e32 v6, v6, v15, vcc
	v_cndmask_b32_e32 v12, v13, v14, vcc
	v_lshlrev_b32_e32 v13, 8, v3
	v_mov_b32_e32 v14, 0x3b800000
	v_lshlrev_b32_e32 v6, 20, v6
	v_and_b32_e32 v13, 0x80000000, v13
	v_lshl_add_u32 v12, v12, 23, v14
	v_or3_b32 v12, v13, v12, v6
.LBB2_1976:
	s_or_b64 exec, exec, s[6:7]
	s_nop 0
	v_mfma_f32_16x16x4f32 a[0:3], v2, v12, a[0:3]
	s_movk_i32 s4, 0x7f
	v_cmp_gt_i16_sdwa s[6:7], v7, s4 src0_sel:BYTE_3 src1_sel:DWORD
	s_mov_b64 s[4:5], 0
                                        ; implicit-def: $sgpr10
	s_and_saveexec_b64 s[8:9], s[6:7]
	s_xor_b64 s[6:7], exec, s[8:9]
	s_cbranch_execz .LBB2_1977
; %bb.37817:
	s_getpc_b64 s[14:15]
.Lpost_getpc22492:
	s_add_u32 s14, s14, (.LBB2_16313-.Lpost_getpc22492)&4294967295
	s_addc_u32 s15, s15, (.LBB2_16313-.Lpost_getpc22492)>>32
	s_setpc_b64 s[14:15]
.LBB2_1977:
	s_or_saveexec_b64 s[6:7], s[6:7]
	v_mov_b32_e32 v2, s10
	s_xor_b64 exec, exec, s[6:7]
	s_cbranch_execz .LBB2_1978
; %bb.37819:
	s_getpc_b64 s[14:15]
.Lpost_getpc22493:
	s_add_u32 s14, s14, (.LBB2_16316-.Lpost_getpc22493)&4294967295
	s_addc_u32 s15, s15, (.LBB2_16316-.Lpost_getpc22493)>>32
	s_setpc_b64 s[14:15]
.LBB2_1978:
	s_or_b64 exec, exec, s[6:7]
	s_and_saveexec_b64 s[6:7], s[4:5]
	s_cbranch_execz .LBB2_1980
.LBB2_1979:
	v_bfe_u32 v2, v7, 24, 3
	v_ffbh_u32_e32 v14, v2
	v_min_u32_e32 v14, 32, v14
	v_lshrrev_b32_e32 v12, 27, v7
	v_subrev_u32_e32 v15, 28, v14
	v_and_b32_e32 v6, 0x80000000, v7
	v_and_b32_e32 v12, 15, v12
	v_bfe_u32 v13, v7, 27, 4
	v_lshlrev_b32_sdwa v7, v15, v7 dst_sel:DWORD dst_unused:UNUSED_PAD src0_sel:DWORD src1_sel:BYTE_3
	v_sub_u32_e32 v14, 29, v14
	v_and_b32_e32 v7, 7, v7
	v_cmp_eq_u16_e32 vcc, 0, v12
	v_cndmask_b32_e32 v2, v2, v7, vcc
	v_cndmask_b32_e32 v7, v13, v14, vcc
	v_mov_b32_e32 v12, 0x3b800000
	v_lshlrev_b32_e32 v2, 20, v2
	v_lshl_add_u32 v7, v7, 23, v12
	v_or3_b32 v2, v6, v7, v2
.LBB2_1980:
	s_or_b64 exec, exec, s[6:7]
	s_movk_i32 s4, 0x7f
	v_cmp_gt_i16_sdwa s[6:7], v3, s4 src0_sel:BYTE_3 src1_sel:DWORD
	s_mov_b64 s[4:5], 0
                                        ; implicit-def: $sgpr10
	s_and_saveexec_b64 s[8:9], s[6:7]
	s_xor_b64 s[6:7], exec, s[8:9]
	s_cbranch_execz .LBB2_1981
; %bb.37821:
	s_getpc_b64 s[14:15]
.Lpost_getpc22494:
	s_add_u32 s14, s14, (.LBB2_16317-.Lpost_getpc22494)&4294967295
	s_addc_u32 s15, s15, (.LBB2_16317-.Lpost_getpc22494)>>32
	s_setpc_b64 s[14:15]
.LBB2_1981:
	s_or_saveexec_b64 s[6:7], s[6:7]
	v_mov_b32_e32 v6, s10
	s_xor_b64 exec, exec, s[6:7]
	s_cbranch_execz .LBB2_1982
; %bb.37823:
	s_getpc_b64 s[14:15]
.Lpost_getpc22495:
	s_add_u32 s14, s14, (.LBB2_16320-.Lpost_getpc22495)&4294967295
	s_addc_u32 s15, s15, (.LBB2_16320-.Lpost_getpc22495)>>32
	s_setpc_b64 s[14:15]
.LBB2_1982:
	s_or_b64 exec, exec, s[6:7]
	s_and_saveexec_b64 s[6:7], s[4:5]
	s_cbranch_execz .LBB2_1984
.LBB2_1983:
	v_bfe_u32 v6, v3, 24, 3
	v_ffbh_u32_e32 v14, v6
	v_min_u32_e32 v14, 32, v14
	v_lshrrev_b32_e32 v12, 27, v3
	v_subrev_u32_e32 v15, 28, v14
	v_and_b32_e32 v7, 0x80000000, v3
	v_and_b32_e32 v12, 15, v12
	v_bfe_u32 v13, v3, 27, 4
	v_lshlrev_b32_sdwa v3, v15, v3 dst_sel:DWORD dst_unused:UNUSED_PAD src0_sel:DWORD src1_sel:BYTE_3
	v_sub_u32_e32 v14, 29, v14
	v_and_b32_e32 v3, 7, v3
	v_cmp_eq_u16_e32 vcc, 0, v12
	v_cndmask_b32_e32 v3, v6, v3, vcc
	v_cndmask_b32_e32 v6, v13, v14, vcc
	v_mov_b32_e32 v12, 0x3b800000
	v_lshlrev_b32_e32 v3, 20, v3
	v_lshl_add_u32 v6, v6, 23, v12
	v_or3_b32 v6, v7, v6, v3
.LBB2_1984:
	s_or_b64 exec, exec, s[6:7]
	s_nop 0
	v_mfma_f32_16x16x4f32 a[0:3], v2, v6, a[0:3]
	s_movk_i32 s4, 0x7f
	v_cmp_gt_i16_sdwa s[6:7], v8, s4 src0_sel:BYTE_0 src1_sel:DWORD
	s_mov_b64 s[4:5], 0
                                        ; implicit-def: $sgpr10
	s_and_saveexec_b64 s[8:9], s[6:7]
	s_xor_b64 s[6:7], exec, s[8:9]
	s_cbranch_execz .LBB2_1985
; %bb.37825:
	s_getpc_b64 s[14:15]
.Lpost_getpc22496:
	s_add_u32 s14, s14, (.LBB2_16321-.Lpost_getpc22496)&4294967295
	s_addc_u32 s15, s15, (.LBB2_16321-.Lpost_getpc22496)>>32
	s_setpc_b64 s[14:15]
.LBB2_1985:
	s_or_saveexec_b64 s[6:7], s[6:7]
	v_mov_b32_e32 v2, s10
	s_xor_b64 exec, exec, s[6:7]
	s_cbranch_execz .LBB2_1986
; %bb.37827:
	s_getpc_b64 s[14:15]
.Lpost_getpc22497:
	s_add_u32 s14, s14, (.LBB2_16324-.Lpost_getpc22497)&4294967295
	s_addc_u32 s15, s15, (.LBB2_16324-.Lpost_getpc22497)>>32
	s_setpc_b64 s[14:15]
.LBB2_1986:
	s_or_b64 exec, exec, s[6:7]
	s_and_saveexec_b64 s[6:7], s[4:5]
	s_cbranch_execz .LBB2_1988
.LBB2_1987:
	v_and_b32_e32 v2, 7, v8
	v_ffbh_u32_e32 v6, v2
	v_min_u32_e32 v6, 32, v6
	v_lshrrev_b16_e32 v3, 3, v8
	v_subrev_u32_e32 v7, 28, v6
	v_and_b32_e32 v3, 15, v3
	v_lshlrev_b32_e32 v7, v7, v8
	v_sub_u32_e32 v6, 29, v6
	v_and_b32_e32 v7, 7, v7
	v_cmp_eq_u16_e32 vcc, 0, v3
	v_cndmask_b32_e32 v2, v2, v7, vcc
	v_cndmask_b32_e32 v3, v3, v6, vcc
	v_lshlrev_b32_e32 v6, 24, v8
	v_mov_b32_e32 v7, 0x3b800000
	v_lshlrev_b32_e32 v2, 20, v2
	v_and_b32_e32 v6, 0x80000000, v6
	v_lshl_add_u32 v3, v3, 23, v7
	v_or3_b32 v2, v6, v3, v2
.LBB2_1988:
	s_or_b64 exec, exec, s[6:7]
	s_movk_i32 s4, 0x7f
	v_cmp_gt_i16_sdwa s[6:7], v4, s4 src0_sel:BYTE_0 src1_sel:DWORD
	s_mov_b64 s[4:5], 0
                                        ; implicit-def: $sgpr10
	s_and_saveexec_b64 s[8:9], s[6:7]
	s_xor_b64 s[6:7], exec, s[8:9]
	s_cbranch_execz .LBB2_1989
; %bb.37829:
	s_getpc_b64 s[14:15]
.Lpost_getpc22498:
	s_add_u32 s14, s14, (.LBB2_16325-.Lpost_getpc22498)&4294967295
	s_addc_u32 s15, s15, (.LBB2_16325-.Lpost_getpc22498)>>32
	s_setpc_b64 s[14:15]
.LBB2_1989:
	s_or_saveexec_b64 s[6:7], s[6:7]
	v_mov_b32_e32 v3, s10
	s_xor_b64 exec, exec, s[6:7]
	s_cbranch_execz .LBB2_1990
; %bb.37831:
	s_getpc_b64 s[14:15]
.Lpost_getpc22499:
	s_add_u32 s14, s14, (.LBB2_16328-.Lpost_getpc22499)&4294967295
	s_addc_u32 s15, s15, (.LBB2_16328-.Lpost_getpc22499)>>32
	s_setpc_b64 s[14:15]
.LBB2_1990:
	s_or_b64 exec, exec, s[6:7]
	s_and_saveexec_b64 s[6:7], s[4:5]
	s_cbranch_execz .LBB2_1992
.LBB2_1991:
	v_and_b32_e32 v3, 7, v4
	v_ffbh_u32_e32 v7, v3
	v_min_u32_e32 v7, 32, v7
	v_lshrrev_b16_e32 v6, 3, v4
	v_subrev_u32_e32 v12, 28, v7
	v_and_b32_e32 v6, 15, v6
	v_lshlrev_b32_e32 v12, v12, v4
	v_sub_u32_e32 v7, 29, v7
	v_and_b32_e32 v12, 7, v12
	v_cmp_eq_u16_e32 vcc, 0, v6
	v_cndmask_b32_e32 v3, v3, v12, vcc
	v_cndmask_b32_e32 v6, v6, v7, vcc
	v_lshlrev_b32_e32 v7, 24, v4
	v_mov_b32_e32 v12, 0x3b800000
	v_lshlrev_b32_e32 v3, 20, v3
	v_and_b32_e32 v7, 0x80000000, v7
	v_lshl_add_u32 v6, v6, 23, v12
	v_or3_b32 v3, v7, v6, v3
.LBB2_1992:
	s_or_b64 exec, exec, s[6:7]
	s_nop 0
	v_mfma_f32_16x16x4f32 a[0:3], v2, v3, a[0:3]
	v_lshrrev_b32_e32 v3, 8, v8
	s_movk_i32 s4, 0x7f
	v_cmp_gt_i16_sdwa s[6:7], v3, s4 src0_sel:BYTE_0 src1_sel:DWORD
	s_mov_b64 s[4:5], 0
                                        ; implicit-def: $sgpr10
	s_and_saveexec_b64 s[8:9], s[6:7]
	s_xor_b64 s[6:7], exec, s[8:9]
	s_cbranch_execz .LBB2_1993
; %bb.37833:
	s_getpc_b64 s[14:15]
.Lpost_getpc22500:
	s_add_u32 s14, s14, (.LBB2_16329-.Lpost_getpc22500)&4294967295
	s_addc_u32 s15, s15, (.LBB2_16329-.Lpost_getpc22500)>>32
	s_setpc_b64 s[14:15]
.LBB2_1993:
	s_or_saveexec_b64 s[6:7], s[6:7]
	v_mov_b32_e32 v2, s10
	s_xor_b64 exec, exec, s[6:7]
	s_cbranch_execz .LBB2_1994
; %bb.37835:
	s_getpc_b64 s[14:15]
.Lpost_getpc22501:
	s_add_u32 s14, s14, (.LBB2_16332-.Lpost_getpc22501)&4294967295
	s_addc_u32 s15, s15, (.LBB2_16332-.Lpost_getpc22501)>>32
	s_setpc_b64 s[14:15]
.LBB2_1994:
	s_or_b64 exec, exec, s[6:7]
	s_and_saveexec_b64 s[6:7], s[4:5]
	s_cbranch_execz .LBB2_1996
.LBB2_1995:
	v_bfe_u32 v2, v8, 8, 3
	v_ffbh_u32_e32 v7, v2
	v_min_u32_e32 v7, 32, v7
	v_lshrrev_b16_e32 v6, 3, v3
	v_subrev_u32_e32 v12, 28, v7
	v_and_b32_e32 v6, 15, v6
	v_lshlrev_b32_e32 v3, v12, v3
	v_sub_u32_e32 v7, 29, v7
	v_and_b32_e32 v3, 7, v3
	v_cmp_eq_u16_e32 vcc, 0, v6
	v_cndmask_b32_e32 v2, v2, v3, vcc
	v_cndmask_b32_e32 v3, v6, v7, vcc
	v_lshlrev_b32_e32 v6, 16, v8
	v_mov_b32_e32 v7, 0x3b800000
	v_lshlrev_b32_e32 v2, 20, v2
	v_and_b32_e32 v6, 0x80000000, v6
	v_lshl_add_u32 v3, v3, 23, v7
	v_or3_b32 v2, v6, v3, v2
.LBB2_1996:
	s_or_b64 exec, exec, s[6:7]
	v_lshrrev_b32_e32 v3, 8, v4
	s_movk_i32 s4, 0x7f
	v_cmp_gt_i16_sdwa s[6:7], v3, s4 src0_sel:BYTE_0 src1_sel:DWORD
	s_mov_b64 s[4:5], 0
                                        ; implicit-def: $sgpr10
	s_and_saveexec_b64 s[8:9], s[6:7]
	s_xor_b64 s[6:7], exec, s[8:9]
	s_cbranch_execz .LBB2_1997
; %bb.37837:
	s_getpc_b64 s[14:15]
.Lpost_getpc22502:
	s_add_u32 s14, s14, (.LBB2_16333-.Lpost_getpc22502)&4294967295
	s_addc_u32 s15, s15, (.LBB2_16333-.Lpost_getpc22502)>>32
	s_setpc_b64 s[14:15]
.LBB2_1997:
	s_or_saveexec_b64 s[6:7], s[6:7]
	v_mov_b32_e32 v6, s10
	s_xor_b64 exec, exec, s[6:7]
	s_cbranch_execz .LBB2_1998
; %bb.37839:
	s_getpc_b64 s[14:15]
.Lpost_getpc22503:
	s_add_u32 s14, s14, (.LBB2_16336-.Lpost_getpc22503)&4294967295
	s_addc_u32 s15, s15, (.LBB2_16336-.Lpost_getpc22503)>>32
	s_setpc_b64 s[14:15]
.LBB2_1998:
	s_or_b64 exec, exec, s[6:7]
	s_and_saveexec_b64 s[6:7], s[4:5]
	s_cbranch_execz .LBB2_2000
.LBB2_1999:
	v_bfe_u32 v6, v4, 8, 3
	v_ffbh_u32_e32 v12, v6
	v_min_u32_e32 v12, 32, v12
	v_lshrrev_b16_e32 v7, 3, v3
	v_subrev_u32_e32 v13, 28, v12
	v_and_b32_e32 v7, 15, v7
	v_lshlrev_b32_e32 v3, v13, v3
	v_sub_u32_e32 v12, 29, v12
	v_and_b32_e32 v3, 7, v3
	v_cmp_eq_u16_e32 vcc, 0, v7
	v_cndmask_b32_e32 v3, v6, v3, vcc
	v_cndmask_b32_e32 v6, v7, v12, vcc
	v_lshlrev_b32_e32 v7, 16, v4
	v_mov_b32_e32 v12, 0x3b800000
	v_lshlrev_b32_e32 v3, 20, v3
	v_and_b32_e32 v7, 0x80000000, v7
	v_lshl_add_u32 v6, v6, 23, v12
	v_or3_b32 v6, v7, v6, v3
.LBB2_2000:
	s_or_b64 exec, exec, s[6:7]
	s_nop 0
	v_mfma_f32_16x16x4f32 a[0:3], v2, v6, a[0:3]
	s_movk_i32 s4, 0xff
	v_and_b32_sdwa v3, v8, s4 dst_sel:DWORD dst_unused:UNUSED_PAD src0_sel:WORD_1 src1_sel:DWORD
	s_movk_i32 s4, 0x7f
	v_cmp_lt_i16_e32 vcc, s4, v3
	s_mov_b64 s[4:5], 0
                                        ; implicit-def: $sgpr10
	s_and_saveexec_b64 s[6:7], vcc
	s_xor_b64 s[6:7], exec, s[6:7]
	s_cbranch_execz .LBB2_2001
; %bb.37841:
	s_getpc_b64 s[14:15]
.Lpost_getpc22504:
	s_add_u32 s14, s14, (.LBB2_16337-.Lpost_getpc22504)&4294967295
	s_addc_u32 s15, s15, (.LBB2_16337-.Lpost_getpc22504)>>32
	s_setpc_b64 s[14:15]
.LBB2_2001:
	s_or_saveexec_b64 s[6:7], s[6:7]
	v_mov_b32_e32 v2, s10
	s_xor_b64 exec, exec, s[6:7]
	s_cbranch_execz .LBB2_2002
; %bb.37843:
	s_getpc_b64 s[14:15]
.Lpost_getpc22505:
	s_add_u32 s14, s14, (.LBB2_16340-.Lpost_getpc22505)&4294967295
	s_addc_u32 s15, s15, (.LBB2_16340-.Lpost_getpc22505)>>32
	s_setpc_b64 s[14:15]
.LBB2_2002:
	s_or_b64 exec, exec, s[6:7]
	s_and_saveexec_b64 s[6:7], s[4:5]
	s_cbranch_execz .LBB2_2004
.LBB2_2003:
	v_bfe_u32 v2, v8, 16, 3
	v_ffbh_u32_e32 v7, v2
	v_min_u32_e32 v7, 32, v7
	v_lshrrev_b32_e32 v3, 19, v8
	v_subrev_u32_e32 v12, 28, v7
	v_and_b32_e32 v3, 15, v3
	v_lshlrev_b32_sdwa v12, v12, v8 dst_sel:DWORD dst_unused:UNUSED_PAD src0_sel:DWORD src1_sel:WORD_1
	v_bfe_u32 v6, v8, 19, 4
	v_sub_u32_e32 v7, 29, v7
	v_and_b32_e32 v12, 7, v12
	v_cmp_eq_u16_e32 vcc, 0, v3
	v_cndmask_b32_e32 v2, v2, v12, vcc
	v_cndmask_b32_e32 v3, v6, v7, vcc
	v_lshlrev_b32_e32 v6, 8, v8
	v_mov_b32_e32 v7, 0x3b800000
	v_lshlrev_b32_e32 v2, 20, v2
	v_and_b32_e32 v6, 0x80000000, v6
	v_lshl_add_u32 v3, v3, 23, v7
	v_or3_b32 v2, v6, v3, v2
.LBB2_2004:
	s_or_b64 exec, exec, s[6:7]
	s_movk_i32 s4, 0xff
	v_and_b32_sdwa v3, v4, s4 dst_sel:DWORD dst_unused:UNUSED_PAD src0_sel:WORD_1 src1_sel:DWORD
	s_movk_i32 s4, 0x7f
	v_cmp_lt_i16_e32 vcc, s4, v3
	s_mov_b64 s[4:5], 0
                                        ; implicit-def: $sgpr10
	s_and_saveexec_b64 s[6:7], vcc
	s_xor_b64 s[6:7], exec, s[6:7]
	s_cbranch_execz .LBB2_2005
; %bb.37845:
	s_getpc_b64 s[14:15]
.Lpost_getpc22506:
	s_add_u32 s14, s14, (.LBB2_16341-.Lpost_getpc22506)&4294967295
	s_addc_u32 s15, s15, (.LBB2_16341-.Lpost_getpc22506)>>32
	s_setpc_b64 s[14:15]
.LBB2_2005:
	s_or_saveexec_b64 s[6:7], s[6:7]
	v_mov_b32_e32 v6, s10
	s_xor_b64 exec, exec, s[6:7]
	s_cbranch_execz .LBB2_2006
; %bb.37847:
	s_getpc_b64 s[14:15]
.Lpost_getpc22507:
	s_add_u32 s14, s14, (.LBB2_16344-.Lpost_getpc22507)&4294967295
	s_addc_u32 s15, s15, (.LBB2_16344-.Lpost_getpc22507)>>32
	s_setpc_b64 s[14:15]
.LBB2_2006:
	s_or_b64 exec, exec, s[6:7]
	s_and_saveexec_b64 s[6:7], s[4:5]
	s_cbranch_execz .LBB2_2008
.LBB2_2007:
	v_bfe_u32 v3, v4, 16, 3
	v_ffbh_u32_e32 v12, v3
	v_min_u32_e32 v12, 32, v12
	v_lshrrev_b32_e32 v6, 19, v4
	v_subrev_u32_e32 v13, 28, v12
	v_and_b32_e32 v6, 15, v6
	v_lshlrev_b32_sdwa v13, v13, v4 dst_sel:DWORD dst_unused:UNUSED_PAD src0_sel:DWORD src1_sel:WORD_1
	v_bfe_u32 v7, v4, 19, 4
	v_sub_u32_e32 v12, 29, v12
	v_and_b32_e32 v13, 7, v13
	v_cmp_eq_u16_e32 vcc, 0, v6
	v_cndmask_b32_e32 v3, v3, v13, vcc
	v_cndmask_b32_e32 v6, v7, v12, vcc
	v_lshlrev_b32_e32 v7, 8, v4
	v_mov_b32_e32 v12, 0x3b800000
	v_lshlrev_b32_e32 v3, 20, v3
	v_and_b32_e32 v7, 0x80000000, v7
	v_lshl_add_u32 v6, v6, 23, v12
	v_or3_b32 v6, v7, v6, v3
.LBB2_2008:
	s_or_b64 exec, exec, s[6:7]
	s_nop 0
	v_mfma_f32_16x16x4f32 a[0:3], v2, v6, a[0:3]
	s_movk_i32 s4, 0x7f
	v_cmp_gt_i16_sdwa s[6:7], v8, s4 src0_sel:BYTE_3 src1_sel:DWORD
	s_mov_b64 s[4:5], 0
                                        ; implicit-def: $sgpr10
	s_and_saveexec_b64 s[8:9], s[6:7]
	s_xor_b64 s[6:7], exec, s[8:9]
	s_cbranch_execz .LBB2_2009
; %bb.37849:
	s_getpc_b64 s[14:15]
.Lpost_getpc22508:
	s_add_u32 s14, s14, (.LBB2_16345-.Lpost_getpc22508)&4294967295
	s_addc_u32 s15, s15, (.LBB2_16345-.Lpost_getpc22508)>>32
	s_setpc_b64 s[14:15]
.LBB2_2009:
	s_or_saveexec_b64 s[6:7], s[6:7]
	v_mov_b32_e32 v2, s10
	s_xor_b64 exec, exec, s[6:7]
	s_cbranch_execz .LBB2_2010
; %bb.37851:
	s_getpc_b64 s[14:15]
.Lpost_getpc22509:
	s_add_u32 s14, s14, (.LBB2_16348-.Lpost_getpc22509)&4294967295
	s_addc_u32 s15, s15, (.LBB2_16348-.Lpost_getpc22509)>>32
	s_setpc_b64 s[14:15]
.LBB2_2010:
	s_or_b64 exec, exec, s[6:7]
	s_and_saveexec_b64 s[6:7], s[4:5]
	s_cbranch_execz .LBB2_2012
.LBB2_2011:
	v_bfe_u32 v2, v8, 24, 3
	v_ffbh_u32_e32 v12, v2
	v_min_u32_e32 v12, 32, v12
	v_lshrrev_b32_e32 v6, 27, v8
	v_subrev_u32_e32 v13, 28, v12
	v_and_b32_e32 v3, 0x80000000, v8
	v_and_b32_e32 v6, 15, v6
	v_bfe_u32 v7, v8, 27, 4
	v_lshlrev_b32_sdwa v8, v13, v8 dst_sel:DWORD dst_unused:UNUSED_PAD src0_sel:DWORD src1_sel:BYTE_3
	v_sub_u32_e32 v12, 29, v12
	v_and_b32_e32 v8, 7, v8
	v_cmp_eq_u16_e32 vcc, 0, v6
	v_cndmask_b32_e32 v2, v2, v8, vcc
	v_cndmask_b32_e32 v6, v7, v12, vcc
	v_mov_b32_e32 v7, 0x3b800000
	v_lshlrev_b32_e32 v2, 20, v2
	v_lshl_add_u32 v6, v6, 23, v7
	v_or3_b32 v2, v3, v6, v2
.LBB2_2012:
	s_or_b64 exec, exec, s[6:7]
	s_movk_i32 s4, 0x7f
	v_cmp_gt_i16_sdwa s[6:7], v4, s4 src0_sel:BYTE_3 src1_sel:DWORD
	s_mov_b64 s[4:5], 0
                                        ; implicit-def: $sgpr10
	s_and_saveexec_b64 s[8:9], s[6:7]
	s_xor_b64 s[6:7], exec, s[8:9]
	s_cbranch_execz .LBB2_2013
; %bb.37853:
	s_getpc_b64 s[14:15]
.Lpost_getpc22510:
	s_add_u32 s14, s14, (.LBB2_16349-.Lpost_getpc22510)&4294967295
	s_addc_u32 s15, s15, (.LBB2_16349-.Lpost_getpc22510)>>32
	s_setpc_b64 s[14:15]
.LBB2_2013:
	s_or_saveexec_b64 s[6:7], s[6:7]
	v_mov_b32_e32 v3, s10
	s_xor_b64 exec, exec, s[6:7]
	s_cbranch_execz .LBB2_2014
; %bb.37855:
	s_getpc_b64 s[14:15]
.Lpost_getpc22511:
	s_add_u32 s14, s14, (.LBB2_16352-.Lpost_getpc22511)&4294967295
	s_addc_u32 s15, s15, (.LBB2_16352-.Lpost_getpc22511)>>32
	s_setpc_b64 s[14:15]
.LBB2_2014:
	s_or_b64 exec, exec, s[6:7]
	s_and_saveexec_b64 s[6:7], s[4:5]
	s_cbranch_execz .LBB2_2016
.LBB2_2015:
	v_bfe_u32 v3, v4, 24, 3
	v_ffbh_u32_e32 v12, v3
	v_min_u32_e32 v12, 32, v12
	v_lshrrev_b32_e32 v7, 27, v4
	v_subrev_u32_e32 v13, 28, v12
	v_and_b32_e32 v6, 0x80000000, v4
	v_and_b32_e32 v7, 15, v7
	v_bfe_u32 v8, v4, 27, 4
	v_lshlrev_b32_sdwa v4, v13, v4 dst_sel:DWORD dst_unused:UNUSED_PAD src0_sel:DWORD src1_sel:BYTE_3
	v_sub_u32_e32 v12, 29, v12
	v_and_b32_e32 v4, 7, v4
	v_cmp_eq_u16_e32 vcc, 0, v7
	v_cndmask_b32_e32 v3, v3, v4, vcc
	v_cndmask_b32_e32 v4, v8, v12, vcc
	v_mov_b32_e32 v7, 0x3b800000
	v_lshlrev_b32_e32 v3, 20, v3
	v_lshl_add_u32 v4, v4, 23, v7
	v_or3_b32 v3, v6, v4, v3
.LBB2_2016:
	s_or_b64 exec, exec, s[6:7]
	s_nop 0
	v_mfma_f32_16x16x4f32 a[0:3], v2, v3, a[0:3]
	s_movk_i32 s4, 0x7f
	v_cmp_gt_i16_sdwa s[6:7], v9, s4 src0_sel:BYTE_0 src1_sel:DWORD
	s_mov_b64 s[4:5], 0
                                        ; implicit-def: $sgpr10
	s_and_saveexec_b64 s[8:9], s[6:7]
	s_xor_b64 s[6:7], exec, s[8:9]
	s_cbranch_execz .LBB2_2017
; %bb.37857:
	s_getpc_b64 s[14:15]
.Lpost_getpc22512:
	s_add_u32 s14, s14, (.LBB2_16353-.Lpost_getpc22512)&4294967295
	s_addc_u32 s15, s15, (.LBB2_16353-.Lpost_getpc22512)>>32
	s_setpc_b64 s[14:15]
.LBB2_2017:
	s_or_saveexec_b64 s[6:7], s[6:7]
	v_mov_b32_e32 v2, s10
	s_xor_b64 exec, exec, s[6:7]
	s_cbranch_execz .LBB2_2018
; %bb.37859:
	s_getpc_b64 s[14:15]
.Lpost_getpc22513:
	s_add_u32 s14, s14, (.LBB2_16356-.Lpost_getpc22513)&4294967295
	s_addc_u32 s15, s15, (.LBB2_16356-.Lpost_getpc22513)>>32
	s_setpc_b64 s[14:15]
.LBB2_2018:
	s_or_b64 exec, exec, s[6:7]
	s_and_saveexec_b64 s[6:7], s[4:5]
	s_cbranch_execz .LBB2_2020
.LBB2_2019:
	v_mov_b32_e32 v2, 8
	v_and_b32_e32 v3, 7, v9
	v_lshrrev_b32_sdwa v2, v2, v9 dst_sel:BYTE_1 dst_unused:UNUSED_PAD src0_sel:DWORD src1_sel:DWORD
	v_ffbh_u32_e32 v4, v3
	v_or_b32_sdwa v2, v9, v2 dst_sel:DWORD dst_unused:UNUSED_PAD src0_sel:BYTE_0 src1_sel:DWORD
	v_min_u32_e32 v4, 32, v4
	v_lshrrev_b16_e32 v2, 3, v2
	v_subrev_u32_e32 v6, 28, v4
	v_and_b32_e32 v2, 15, v2
	v_lshlrev_b32_e32 v6, v6, v9
	v_sub_u32_e32 v4, 29, v4
	v_and_b32_e32 v6, 7, v6
	v_cmp_eq_u16_e32 vcc, 0, v2
	v_cndmask_b32_e32 v3, v3, v6, vcc
	v_cndmask_b32_e32 v2, v2, v4, vcc
	v_lshlrev_b32_e32 v4, 24, v9
	v_mov_b32_e32 v6, 0x3b800000
	v_lshlrev_b32_e32 v3, 20, v3
	v_and_b32_e32 v4, 0x80000000, v4
	v_lshl_add_u32 v2, v2, 23, v6
	v_or3_b32 v2, v4, v2, v3
.LBB2_2020:
	s_or_b64 exec, exec, s[6:7]
	s_movk_i32 s4, 0x7f
	v_cmp_gt_i16_sdwa s[6:7], v5, s4 src0_sel:BYTE_0 src1_sel:DWORD
	s_mov_b64 s[4:5], 0
                                        ; implicit-def: $sgpr10
	s_and_saveexec_b64 s[8:9], s[6:7]
	s_xor_b64 s[6:7], exec, s[8:9]
	s_cbranch_execz .LBB2_2021
; %bb.37861:
	s_getpc_b64 s[14:15]
.Lpost_getpc22514:
	s_add_u32 s14, s14, (.LBB2_16357-.Lpost_getpc22514)&4294967295
	s_addc_u32 s15, s15, (.LBB2_16357-.Lpost_getpc22514)>>32
	s_setpc_b64 s[14:15]
.LBB2_2021:
	s_or_saveexec_b64 s[6:7], s[6:7]
	v_mov_b32_e32 v3, s10
	s_xor_b64 exec, exec, s[6:7]
	s_cbranch_execz .LBB2_2022
; %bb.37863:
	s_getpc_b64 s[14:15]
.Lpost_getpc22515:
	s_add_u32 s14, s14, (.LBB2_16360-.Lpost_getpc22515)&4294967295
	s_addc_u32 s15, s15, (.LBB2_16360-.Lpost_getpc22515)>>32
	s_setpc_b64 s[14:15]
.LBB2_2022:
	s_or_b64 exec, exec, s[6:7]
	s_and_saveexec_b64 s[6:7], s[4:5]
	s_cbranch_execz .LBB2_2024
.LBB2_2023:
	v_mov_b32_e32 v3, 8
	v_and_b32_e32 v4, 7, v5
	v_lshrrev_b32_sdwa v3, v3, v5 dst_sel:BYTE_1 dst_unused:UNUSED_PAD src0_sel:DWORD src1_sel:DWORD
	v_ffbh_u32_e32 v6, v4
	v_or_b32_sdwa v3, v5, v3 dst_sel:DWORD dst_unused:UNUSED_PAD src0_sel:BYTE_0 src1_sel:DWORD
	v_min_u32_e32 v6, 32, v6
	v_lshrrev_b16_e32 v3, 3, v3
	v_subrev_u32_e32 v7, 28, v6
	v_and_b32_e32 v3, 15, v3
	v_lshlrev_b32_e32 v7, v7, v5
	v_sub_u32_e32 v6, 29, v6
	v_and_b32_e32 v7, 7, v7
	v_cmp_eq_u16_e32 vcc, 0, v3
	v_cndmask_b32_e32 v4, v4, v7, vcc
	v_cndmask_b32_e32 v3, v3, v6, vcc
	v_lshlrev_b32_e32 v6, 24, v5
	v_mov_b32_e32 v7, 0x3b800000
	v_lshlrev_b32_e32 v4, 20, v4
	v_and_b32_e32 v6, 0x80000000, v6
	v_lshl_add_u32 v3, v3, 23, v7
	v_or3_b32 v3, v6, v3, v4
.LBB2_2024:
	s_or_b64 exec, exec, s[6:7]
	s_nop 0
	v_mfma_f32_16x16x4f32 a[0:3], v2, v3, a[0:3]
	v_lshrrev_b32_e32 v3, 8, v9
	s_movk_i32 s4, 0x7f
	v_cmp_gt_i16_sdwa s[6:7], v3, s4 src0_sel:BYTE_0 src1_sel:DWORD
	s_mov_b64 s[4:5], 0
                                        ; implicit-def: $sgpr10
	s_and_saveexec_b64 s[8:9], s[6:7]
	s_xor_b64 s[6:7], exec, s[8:9]
	s_cbranch_execz .LBB2_2025
; %bb.37865:
	s_getpc_b64 s[14:15]
.Lpost_getpc22516:
	s_add_u32 s14, s14, (.LBB2_16361-.Lpost_getpc22516)&4294967295
	s_addc_u32 s15, s15, (.LBB2_16361-.Lpost_getpc22516)>>32
	s_setpc_b64 s[14:15]
.LBB2_2025:
	s_or_saveexec_b64 s[6:7], s[6:7]
	v_mov_b32_e32 v2, s10
	s_xor_b64 exec, exec, s[6:7]
	s_cbranch_execz .LBB2_2026
; %bb.37867:
	s_getpc_b64 s[14:15]
.Lpost_getpc22517:
	s_add_u32 s14, s14, (.LBB2_16364-.Lpost_getpc22517)&4294967295
	s_addc_u32 s15, s15, (.LBB2_16364-.Lpost_getpc22517)>>32
	s_setpc_b64 s[14:15]
.LBB2_2026:
	s_or_b64 exec, exec, s[6:7]
	s_and_saveexec_b64 s[6:7], s[4:5]
	s_cbranch_execz .LBB2_2028
.LBB2_2027:
	v_bfe_u32 v2, v9, 8, 3
	v_ffbh_u32_e32 v6, v2
	v_min_u32_e32 v6, 32, v6
	v_lshrrev_b16_e32 v4, 3, v3
	v_subrev_u32_e32 v7, 28, v6
	v_and_b32_e32 v4, 15, v4
	v_lshlrev_b32_e32 v3, v7, v3
	v_sub_u32_e32 v6, 29, v6
	v_and_b32_e32 v3, 7, v3
	v_cmp_eq_u16_e32 vcc, 0, v4
	v_cndmask_b32_e32 v2, v2, v3, vcc
	v_cndmask_b32_e32 v3, v4, v6, vcc
	v_lshlrev_b32_e32 v4, 16, v9
	v_mov_b32_e32 v6, 0x3b800000
	v_lshlrev_b32_e32 v2, 20, v2
	v_and_b32_e32 v4, 0x80000000, v4
	v_lshl_add_u32 v3, v3, 23, v6
	v_or3_b32 v2, v4, v3, v2
.LBB2_2028:
	s_or_b64 exec, exec, s[6:7]
	v_lshrrev_b32_e32 v3, 8, v5
	s_movk_i32 s4, 0x7f
	v_cmp_gt_i16_sdwa s[6:7], v3, s4 src0_sel:BYTE_0 src1_sel:DWORD
	s_mov_b64 s[4:5], 0
                                        ; implicit-def: $sgpr10
	s_and_saveexec_b64 s[8:9], s[6:7]
	s_xor_b64 s[6:7], exec, s[8:9]
	s_cbranch_execz .LBB2_2029
; %bb.37869:
	s_getpc_b64 s[14:15]
.Lpost_getpc22518:
	s_add_u32 s14, s14, (.LBB2_16365-.Lpost_getpc22518)&4294967295
	s_addc_u32 s15, s15, (.LBB2_16365-.Lpost_getpc22518)>>32
	s_setpc_b64 s[14:15]
.LBB2_2029:
	s_or_saveexec_b64 s[6:7], s[6:7]
	v_mov_b32_e32 v4, s10
	s_xor_b64 exec, exec, s[6:7]
	s_cbranch_execz .LBB2_2030
; %bb.37871:
	s_getpc_b64 s[14:15]
.Lpost_getpc22519:
	s_add_u32 s14, s14, (.LBB2_16368-.Lpost_getpc22519)&4294967295
	s_addc_u32 s15, s15, (.LBB2_16368-.Lpost_getpc22519)>>32
	s_setpc_b64 s[14:15]
.LBB2_2030:
	s_or_b64 exec, exec, s[6:7]
	s_and_saveexec_b64 s[6:7], s[4:5]
	s_cbranch_execz .LBB2_2032
.LBB2_2031:
	v_bfe_u32 v4, v5, 8, 3
	v_ffbh_u32_e32 v7, v4
	v_min_u32_e32 v7, 32, v7
	v_lshrrev_b16_e32 v6, 3, v3
	v_subrev_u32_e32 v8, 28, v7
	v_and_b32_e32 v6, 15, v6
	v_lshlrev_b32_e32 v3, v8, v3
	v_sub_u32_e32 v7, 29, v7
	v_and_b32_e32 v3, 7, v3
	v_cmp_eq_u16_e32 vcc, 0, v6
	v_cndmask_b32_e32 v3, v4, v3, vcc
	v_cndmask_b32_e32 v4, v6, v7, vcc
	v_lshlrev_b32_e32 v6, 16, v5
	v_mov_b32_e32 v7, 0x3b800000
	v_lshlrev_b32_e32 v3, 20, v3
	v_and_b32_e32 v6, 0x80000000, v6
	v_lshl_add_u32 v4, v4, 23, v7
	v_or3_b32 v4, v6, v4, v3
.LBB2_2032:
	s_or_b64 exec, exec, s[6:7]
	s_nop 0
	v_mfma_f32_16x16x4f32 a[0:3], v2, v4, a[0:3]
	s_movk_i32 s4, 0xff
	v_and_b32_sdwa v3, v9, s4 dst_sel:DWORD dst_unused:UNUSED_PAD src0_sel:WORD_1 src1_sel:DWORD
	s_movk_i32 s4, 0x7f
	v_cmp_lt_i16_e32 vcc, s4, v3
	s_mov_b64 s[4:5], 0
                                        ; implicit-def: $sgpr10
	s_and_saveexec_b64 s[6:7], vcc
	s_xor_b64 s[6:7], exec, s[6:7]
	s_cbranch_execz .LBB2_2033
; %bb.37873:
	s_getpc_b64 s[14:15]
.Lpost_getpc22520:
	s_add_u32 s14, s14, (.LBB2_16369-.Lpost_getpc22520)&4294967295
	s_addc_u32 s15, s15, (.LBB2_16369-.Lpost_getpc22520)>>32
	s_setpc_b64 s[14:15]
.LBB2_2033:
	s_or_saveexec_b64 s[6:7], s[6:7]
	v_mov_b32_e32 v2, s10
	s_xor_b64 exec, exec, s[6:7]
	s_cbranch_execz .LBB2_2034
; %bb.37875:
	s_getpc_b64 s[14:15]
.Lpost_getpc22521:
	s_add_u32 s14, s14, (.LBB2_16372-.Lpost_getpc22521)&4294967295
	s_addc_u32 s15, s15, (.LBB2_16372-.Lpost_getpc22521)>>32
	s_setpc_b64 s[14:15]
.LBB2_2034:
	s_or_b64 exec, exec, s[6:7]
	s_and_saveexec_b64 s[6:7], s[4:5]
	s_cbranch_execz .LBB2_2036
.LBB2_2035:
	v_bfe_u32 v2, v9, 16, 3
	v_ffbh_u32_e32 v6, v2
	v_min_u32_e32 v6, 32, v6
	v_lshrrev_b32_e32 v3, 19, v9
	v_subrev_u32_e32 v7, 28, v6
	v_and_b32_e32 v3, 15, v3
	v_lshlrev_b32_sdwa v7, v7, v9 dst_sel:DWORD dst_unused:UNUSED_PAD src0_sel:DWORD src1_sel:WORD_1
	v_bfe_u32 v4, v9, 19, 4
	v_sub_u32_e32 v6, 29, v6
	v_and_b32_e32 v7, 7, v7
	v_cmp_eq_u16_e32 vcc, 0, v3
	v_cndmask_b32_e32 v2, v2, v7, vcc
	v_cndmask_b32_e32 v3, v4, v6, vcc
	v_lshlrev_b32_e32 v4, 8, v9
	v_mov_b32_e32 v6, 0x3b800000
	v_lshlrev_b32_e32 v2, 20, v2
	v_and_b32_e32 v4, 0x80000000, v4
	v_lshl_add_u32 v3, v3, 23, v6
	v_or3_b32 v2, v4, v3, v2
.LBB2_2036:
	s_or_b64 exec, exec, s[6:7]
	s_movk_i32 s4, 0xff
	v_and_b32_sdwa v3, v5, s4 dst_sel:DWORD dst_unused:UNUSED_PAD src0_sel:WORD_1 src1_sel:DWORD
	s_movk_i32 s4, 0x7f
	v_cmp_lt_i16_e32 vcc, s4, v3
	s_mov_b64 s[4:5], 0
                                        ; implicit-def: $sgpr10
	s_and_saveexec_b64 s[6:7], vcc
	s_xor_b64 s[6:7], exec, s[6:7]
	s_cbranch_execz .LBB2_2037
; %bb.37877:
	s_getpc_b64 s[14:15]
.Lpost_getpc22522:
	s_add_u32 s14, s14, (.LBB2_16373-.Lpost_getpc22522)&4294967295
	s_addc_u32 s15, s15, (.LBB2_16373-.Lpost_getpc22522)>>32
	s_setpc_b64 s[14:15]
.LBB2_2037:
	s_or_saveexec_b64 s[6:7], s[6:7]
	v_mov_b32_e32 v4, s10
	s_xor_b64 exec, exec, s[6:7]
	s_cbranch_execz .LBB2_2038
; %bb.37879:
	s_getpc_b64 s[14:15]
.Lpost_getpc22523:
	s_add_u32 s14, s14, (.LBB2_16376-.Lpost_getpc22523)&4294967295
	s_addc_u32 s15, s15, (.LBB2_16376-.Lpost_getpc22523)>>32
	s_setpc_b64 s[14:15]
.LBB2_2038:
	s_or_b64 exec, exec, s[6:7]
	s_and_saveexec_b64 s[6:7], s[4:5]
	s_cbranch_execz .LBB2_2040
.LBB2_2039:
	v_bfe_u32 v3, v5, 16, 3
	v_ffbh_u32_e32 v7, v3
	v_min_u32_e32 v7, 32, v7
	v_lshrrev_b32_e32 v4, 19, v5
	v_subrev_u32_e32 v8, 28, v7
	v_and_b32_e32 v4, 15, v4
	v_lshlrev_b32_sdwa v8, v8, v5 dst_sel:DWORD dst_unused:UNUSED_PAD src0_sel:DWORD src1_sel:WORD_1
	v_bfe_u32 v6, v5, 19, 4
	v_sub_u32_e32 v7, 29, v7
	v_and_b32_e32 v8, 7, v8
	v_cmp_eq_u16_e32 vcc, 0, v4
	v_cndmask_b32_e32 v3, v3, v8, vcc
	v_cndmask_b32_e32 v4, v6, v7, vcc
	v_lshlrev_b32_e32 v6, 8, v5
	v_mov_b32_e32 v7, 0x3b800000
	v_lshlrev_b32_e32 v3, 20, v3
	v_and_b32_e32 v6, 0x80000000, v6
	v_lshl_add_u32 v4, v4, 23, v7
	v_or3_b32 v4, v6, v4, v3
.LBB2_2040:
	s_or_b64 exec, exec, s[6:7]
	s_nop 0
	v_mfma_f32_16x16x4f32 a[0:3], v2, v4, a[0:3]
	s_movk_i32 s4, 0x7f
	v_cmp_gt_i16_sdwa s[6:7], v9, s4 src0_sel:BYTE_3 src1_sel:DWORD
	s_mov_b64 s[4:5], 0
                                        ; implicit-def: $sgpr10
	s_and_saveexec_b64 s[8:9], s[6:7]
	s_xor_b64 s[6:7], exec, s[8:9]
	s_cbranch_execz .LBB2_2041
; %bb.37881:
	s_getpc_b64 s[14:15]
.Lpost_getpc22524:
	s_add_u32 s14, s14, (.LBB2_16377-.Lpost_getpc22524)&4294967295
	s_addc_u32 s15, s15, (.LBB2_16377-.Lpost_getpc22524)>>32
	s_setpc_b64 s[14:15]
.LBB2_2041:
	s_or_saveexec_b64 s[6:7], s[6:7]
	v_mov_b32_e32 v2, s10
	s_xor_b64 exec, exec, s[6:7]
	s_cbranch_execz .LBB2_2042
; %bb.37883:
	s_getpc_b64 s[14:15]
.Lpost_getpc22525:
	s_add_u32 s14, s14, (.LBB2_16380-.Lpost_getpc22525)&4294967295
	s_addc_u32 s15, s15, (.LBB2_16380-.Lpost_getpc22525)>>32
	s_setpc_b64 s[14:15]
.LBB2_2042:
	s_or_b64 exec, exec, s[6:7]
	s_and_saveexec_b64 s[6:7], s[4:5]
	s_cbranch_execz .LBB2_2044
.LBB2_2043:
	v_bfe_u32 v2, v9, 24, 3
	v_ffbh_u32_e32 v7, v2
	v_min_u32_e32 v7, 32, v7
	v_lshrrev_b32_e32 v4, 27, v9
	v_subrev_u32_e32 v8, 28, v7
	v_and_b32_e32 v4, 15, v4
	v_lshlrev_b32_sdwa v8, v8, v9 dst_sel:DWORD dst_unused:UNUSED_PAD src0_sel:DWORD src1_sel:BYTE_3
	v_bfe_u32 v6, v9, 27, 4
	v_sub_u32_e32 v7, 29, v7
	v_and_b32_e32 v8, 7, v8
	v_cmp_eq_u16_e32 vcc, 0, v4
	v_cndmask_b32_e32 v2, v2, v8, vcc
	v_cndmask_b32_e32 v4, v6, v7, vcc
	v_mov_b32_e32 v6, 0x3b800000
	v_and_b32_e32 v3, 0x80000000, v9
	v_lshlrev_b32_e32 v2, 20, v2
	v_lshl_add_u32 v4, v4, 23, v6
	v_or3_b32 v2, v3, v4, v2
.LBB2_2044:
	s_or_b64 exec, exec, s[6:7]
	s_movk_i32 s4, 0x7f
	v_cmp_gt_i16_sdwa s[6:7], v5, s4 src0_sel:BYTE_3 src1_sel:DWORD
	s_mov_b64 s[4:5], 0
                                        ; implicit-def: $sgpr10
	s_and_saveexec_b64 s[8:9], s[6:7]
	s_xor_b64 s[6:7], exec, s[8:9]
	s_cbranch_execz .LBB2_2045
; %bb.37885:
	s_getpc_b64 s[14:15]
.Lpost_getpc22526:
	s_add_u32 s14, s14, (.LBB2_16381-.Lpost_getpc22526)&4294967295
	s_addc_u32 s15, s15, (.LBB2_16381-.Lpost_getpc22526)>>32
	s_setpc_b64 s[14:15]
.LBB2_2045:
	s_or_saveexec_b64 s[6:7], s[6:7]
	v_mov_b32_e32 v3, s10
	s_xor_b64 exec, exec, s[6:7]
	s_cbranch_execz .LBB2_2046
; %bb.37887:
	s_getpc_b64 s[14:15]
.Lpost_getpc22527:
	s_add_u32 s14, s14, (.LBB2_16384-.Lpost_getpc22527)&4294967295
	s_addc_u32 s15, s15, (.LBB2_16384-.Lpost_getpc22527)>>32
	s_setpc_b64 s[14:15]
.LBB2_2046:
	s_or_b64 exec, exec, s[6:7]
	s_and_saveexec_b64 s[6:7], s[4:5]
	s_cbranch_execz .LBB2_2048
.LBB2_2047:
	v_bfe_u32 v3, v5, 24, 3
	v_ffbh_u32_e32 v8, v3
	v_min_u32_e32 v8, 32, v8
	v_lshrrev_b32_e32 v6, 27, v5
	v_subrev_u32_e32 v9, 28, v8
	v_and_b32_e32 v4, 0x80000000, v5
	v_and_b32_e32 v6, 15, v6
	v_bfe_u32 v7, v5, 27, 4
	v_lshlrev_b32_sdwa v5, v9, v5 dst_sel:DWORD dst_unused:UNUSED_PAD src0_sel:DWORD src1_sel:BYTE_3
	v_sub_u32_e32 v8, 29, v8
	v_and_b32_e32 v5, 7, v5
	v_cmp_eq_u16_e32 vcc, 0, v6
	v_cndmask_b32_e32 v3, v3, v5, vcc
	v_cndmask_b32_e32 v5, v7, v8, vcc
	v_mov_b32_e32 v6, 0x3b800000
	v_lshlrev_b32_e32 v3, 20, v3
	v_lshl_add_u32 v5, v5, 23, v6
	v_or3_b32 v3, v4, v5, v3
.LBB2_2048:
	s_or_b64 exec, exec, s[6:7]
	s_nop 0
	v_mfma_f32_16x16x4f32 a[0:3], v2, v3, a[0:3]
	s_movk_i32 s4, 0x7f
                                        ; implicit-def: $sgpr10
	s_nop 7
	s_nop 1
	flat_store_dwordx4 v[10:11], a[0:3] offset:240
	flat_load_dwordx4 v[12:15], v[0:1]
	s_nop 0
	flat_load_dwordx2 v[10:11], v[0:1] offset:16
	s_waitcnt vmcnt(0) lgkmcnt(0)
	flat_load_dwordx4 v[6:9], v[12:13] offset:32
	flat_load_dwordx4 v[2:5], v[14:15]
	s_waitcnt vmcnt(0) lgkmcnt(0)
	v_cmp_gt_i16_sdwa s[6:7], v6, s4 src0_sel:BYTE_0 src1_sel:DWORD
	s_mov_b64 s[4:5], 0
	s_and_saveexec_b64 s[8:9], s[6:7]
	s_xor_b64 s[6:7], exec, s[8:9]
	s_cbranch_execz .LBB2_2049
; %bb.37889:
	s_getpc_b64 s[14:15]
.Lpost_getpc22528:
	s_add_u32 s14, s14, (.LBB2_16385-.Lpost_getpc22528)&4294967295
	s_addc_u32 s15, s15, (.LBB2_16385-.Lpost_getpc22528)>>32
	s_setpc_b64 s[14:15]
.LBB2_2049:
	s_or_saveexec_b64 s[6:7], s[6:7]
	v_mov_b32_e32 v12, s10
	s_xor_b64 exec, exec, s[6:7]
	s_cbranch_execz .LBB2_2050
; %bb.37891:
	s_getpc_b64 s[14:15]
.Lpost_getpc22529:
	s_add_u32 s14, s14, (.LBB2_16388-.Lpost_getpc22529)&4294967295
	s_addc_u32 s15, s15, (.LBB2_16388-.Lpost_getpc22529)>>32
	s_setpc_b64 s[14:15]
.LBB2_2050:
	s_or_b64 exec, exec, s[6:7]
	s_and_saveexec_b64 s[6:7], s[4:5]
	s_cbranch_execz .LBB2_2052
.LBB2_2051:
	v_and_b32_e32 v12, 7, v6
	v_ffbh_u32_e32 v14, v12
	v_min_u32_e32 v14, 32, v14
	v_lshrrev_b16_e32 v13, 3, v6
	v_subrev_u32_e32 v15, 28, v14
	v_and_b32_e32 v13, 15, v13
	v_lshlrev_b32_e32 v15, v15, v6
	v_sub_u32_e32 v14, 29, v14
	v_and_b32_e32 v15, 7, v15
	v_cmp_eq_u16_e32 vcc, 0, v13
	v_cndmask_b32_e32 v12, v12, v15, vcc
	v_cndmask_b32_e32 v13, v13, v14, vcc
	v_lshlrev_b32_e32 v14, 24, v6
	v_mov_b32_e32 v15, 0x3b800000
	v_lshlrev_b32_e32 v12, 20, v12
	v_and_b32_e32 v14, 0x80000000, v14
	v_lshl_add_u32 v13, v13, 23, v15
	v_or3_b32 v12, v14, v13, v12
.LBB2_2052:
	s_or_b64 exec, exec, s[6:7]
	s_movk_i32 s4, 0x7f
	v_cmp_gt_i16_sdwa s[6:7], v2, s4 src0_sel:BYTE_0 src1_sel:DWORD
	s_mov_b64 s[4:5], 0
                                        ; implicit-def: $sgpr10
	s_and_saveexec_b64 s[8:9], s[6:7]
	s_xor_b64 s[6:7], exec, s[8:9]
	s_cbranch_execz .LBB2_2053
; %bb.37893:
	s_getpc_b64 s[14:15]
.Lpost_getpc22530:
	s_add_u32 s14, s14, (.LBB2_16389-.Lpost_getpc22530)&4294967295
	s_addc_u32 s15, s15, (.LBB2_16389-.Lpost_getpc22530)>>32
	s_setpc_b64 s[14:15]
.LBB2_2053:
	s_or_saveexec_b64 s[6:7], s[6:7]
	v_mov_b32_e32 v13, s10
	s_xor_b64 exec, exec, s[6:7]
	s_cbranch_execz .LBB2_2054
; %bb.37895:
	s_getpc_b64 s[14:15]
.Lpost_getpc22531:
	s_add_u32 s14, s14, (.LBB2_16392-.Lpost_getpc22531)&4294967295
	s_addc_u32 s15, s15, (.LBB2_16392-.Lpost_getpc22531)>>32
	s_setpc_b64 s[14:15]
.LBB2_2054:
	s_or_b64 exec, exec, s[6:7]
	s_and_saveexec_b64 s[6:7], s[4:5]
	s_cbranch_execz .LBB2_2056
.LBB2_2055:
	v_and_b32_e32 v13, 7, v2
	v_ffbh_u32_e32 v15, v13
	v_min_u32_e32 v15, 32, v15
	v_lshrrev_b16_e32 v14, 3, v2
	v_subrev_u32_e32 v16, 28, v15
	v_and_b32_e32 v14, 15, v14
	v_lshlrev_b32_e32 v16, v16, v2
	v_sub_u32_e32 v15, 29, v15
	v_and_b32_e32 v16, 7, v16
	v_cmp_eq_u16_e32 vcc, 0, v14
	v_cndmask_b32_e32 v13, v13, v16, vcc
	v_cndmask_b32_e32 v14, v14, v15, vcc
	v_lshlrev_b32_e32 v15, 24, v2
	v_mov_b32_e32 v16, 0x3b800000
	v_lshlrev_b32_e32 v13, 20, v13
	v_and_b32_e32 v15, 0x80000000, v15
	v_lshl_add_u32 v14, v14, 23, v16
	v_or3_b32 v13, v15, v14, v13
.LBB2_2056:
	s_or_b64 exec, exec, s[6:7]
	flat_load_dwordx4 a[0:3], v[10:11] offset:256
	s_movk_i32 s4, 0x7f
                                        ; implicit-def: $sgpr10
	s_waitcnt vmcnt(0) lgkmcnt(0)
	v_mfma_f32_16x16x4f32 a[0:3], v12, v13, a[0:3]
	v_lshrrev_b32_e32 v13, 8, v6
	v_cmp_gt_i16_sdwa s[6:7], v13, s4 src0_sel:BYTE_0 src1_sel:DWORD
	s_mov_b64 s[4:5], 0
	s_and_saveexec_b64 s[8:9], s[6:7]
	s_xor_b64 s[6:7], exec, s[8:9]
	s_cbranch_execz .LBB2_2057
; %bb.37897:
	s_getpc_b64 s[14:15]
.Lpost_getpc22532:
	s_add_u32 s14, s14, (.LBB2_16393-.Lpost_getpc22532)&4294967295
	s_addc_u32 s15, s15, (.LBB2_16393-.Lpost_getpc22532)>>32
	s_setpc_b64 s[14:15]
.LBB2_2057:
	s_or_saveexec_b64 s[6:7], s[6:7]
	v_mov_b32_e32 v12, s10
	s_xor_b64 exec, exec, s[6:7]
	s_cbranch_execz .LBB2_2058
; %bb.37899:
	s_getpc_b64 s[14:15]
.Lpost_getpc22533:
	s_add_u32 s14, s14, (.LBB2_16396-.Lpost_getpc22533)&4294967295
	s_addc_u32 s15, s15, (.LBB2_16396-.Lpost_getpc22533)>>32
	s_setpc_b64 s[14:15]
.LBB2_2058:
	s_or_b64 exec, exec, s[6:7]
	s_and_saveexec_b64 s[6:7], s[4:5]
	s_cbranch_execz .LBB2_2060
.LBB2_2059:
	v_bfe_u32 v12, v6, 8, 3
	v_ffbh_u32_e32 v15, v12
	v_min_u32_e32 v15, 32, v15
	v_lshrrev_b16_e32 v14, 3, v13
	v_subrev_u32_e32 v16, 28, v15
	v_and_b32_e32 v14, 15, v14
	v_lshlrev_b32_e32 v13, v16, v13
	v_sub_u32_e32 v15, 29, v15
	v_and_b32_e32 v13, 7, v13
	v_cmp_eq_u16_e32 vcc, 0, v14
	v_cndmask_b32_e32 v12, v12, v13, vcc
	v_cndmask_b32_e32 v13, v14, v15, vcc
	v_lshlrev_b32_e32 v14, 16, v6
	v_mov_b32_e32 v15, 0x3b800000
	v_lshlrev_b32_e32 v12, 20, v12
	v_and_b32_e32 v14, 0x80000000, v14
	v_lshl_add_u32 v13, v13, 23, v15
	v_or3_b32 v12, v14, v13, v12
.LBB2_2060:
	s_or_b64 exec, exec, s[6:7]
	v_lshrrev_b32_e32 v13, 8, v2
	s_movk_i32 s4, 0x7f
	v_cmp_gt_i16_sdwa s[6:7], v13, s4 src0_sel:BYTE_0 src1_sel:DWORD
	s_mov_b64 s[4:5], 0
                                        ; implicit-def: $sgpr10
	s_and_saveexec_b64 s[8:9], s[6:7]
	s_xor_b64 s[6:7], exec, s[8:9]
	s_cbranch_execz .LBB2_2061
; %bb.37901:
	s_getpc_b64 s[14:15]
.Lpost_getpc22534:
	s_add_u32 s14, s14, (.LBB2_16397-.Lpost_getpc22534)&4294967295
	s_addc_u32 s15, s15, (.LBB2_16397-.Lpost_getpc22534)>>32
	s_setpc_b64 s[14:15]
.LBB2_2061:
	s_or_saveexec_b64 s[6:7], s[6:7]
	v_mov_b32_e32 v14, s10
	s_xor_b64 exec, exec, s[6:7]
	s_cbranch_execz .LBB2_2062
; %bb.37903:
	s_getpc_b64 s[14:15]
.Lpost_getpc22535:
	s_add_u32 s14, s14, (.LBB2_16400-.Lpost_getpc22535)&4294967295
	s_addc_u32 s15, s15, (.LBB2_16400-.Lpost_getpc22535)>>32
	s_setpc_b64 s[14:15]
.LBB2_2062:
	s_or_b64 exec, exec, s[6:7]
	s_and_saveexec_b64 s[6:7], s[4:5]
	s_cbranch_execz .LBB2_2064
.LBB2_2063:
	v_bfe_u32 v14, v2, 8, 3
	v_ffbh_u32_e32 v16, v14
	v_min_u32_e32 v16, 32, v16
	v_lshrrev_b16_e32 v15, 3, v13
	v_subrev_u32_e32 v17, 28, v16
	v_and_b32_e32 v15, 15, v15
	v_lshlrev_b32_e32 v13, v17, v13
	v_sub_u32_e32 v16, 29, v16
	v_and_b32_e32 v13, 7, v13
	v_cmp_eq_u16_e32 vcc, 0, v15
	v_cndmask_b32_e32 v13, v14, v13, vcc
	v_cndmask_b32_e32 v14, v15, v16, vcc
	v_lshlrev_b32_e32 v15, 16, v2
	v_mov_b32_e32 v16, 0x3b800000
	v_lshlrev_b32_e32 v13, 20, v13
	v_and_b32_e32 v15, 0x80000000, v15
	v_lshl_add_u32 v14, v14, 23, v16
	v_or3_b32 v14, v15, v14, v13
.LBB2_2064:
	s_or_b64 exec, exec, s[6:7]
	s_nop 0
	v_mfma_f32_16x16x4f32 a[0:3], v12, v14, a[0:3]
	s_movk_i32 s4, 0xff
	v_and_b32_sdwa v13, v6, s4 dst_sel:DWORD dst_unused:UNUSED_PAD src0_sel:WORD_1 src1_sel:DWORD
	s_movk_i32 s4, 0x7f
	v_cmp_lt_i16_e32 vcc, s4, v13
	s_mov_b64 s[4:5], 0
                                        ; implicit-def: $sgpr10
	s_and_saveexec_b64 s[6:7], vcc
	s_xor_b64 s[6:7], exec, s[6:7]
	s_cbranch_execz .LBB2_2065
; %bb.37905:
	s_getpc_b64 s[14:15]
.Lpost_getpc22536:
	s_add_u32 s14, s14, (.LBB2_16401-.Lpost_getpc22536)&4294967295
	s_addc_u32 s15, s15, (.LBB2_16401-.Lpost_getpc22536)>>32
	s_setpc_b64 s[14:15]
.LBB2_2065:
	s_or_saveexec_b64 s[6:7], s[6:7]
	v_mov_b32_e32 v12, s10
	s_xor_b64 exec, exec, s[6:7]
	s_cbranch_execz .LBB2_2066
; %bb.37907:
	s_getpc_b64 s[14:15]
.Lpost_getpc22537:
	s_add_u32 s14, s14, (.LBB2_16404-.Lpost_getpc22537)&4294967295
	s_addc_u32 s15, s15, (.LBB2_16404-.Lpost_getpc22537)>>32
	s_setpc_b64 s[14:15]
.LBB2_2066:
	s_or_b64 exec, exec, s[6:7]
	s_and_saveexec_b64 s[6:7], s[4:5]
	s_cbranch_execz .LBB2_2068
.LBB2_2067:
	v_bfe_u32 v12, v6, 16, 3
	v_ffbh_u32_e32 v15, v12
	v_min_u32_e32 v15, 32, v15
	v_lshrrev_b32_e32 v13, 19, v6
	v_subrev_u32_e32 v16, 28, v15
	v_and_b32_e32 v13, 15, v13
	v_lshlrev_b32_sdwa v16, v16, v6 dst_sel:DWORD dst_unused:UNUSED_PAD src0_sel:DWORD src1_sel:WORD_1
	v_bfe_u32 v14, v6, 19, 4
	v_sub_u32_e32 v15, 29, v15
	v_and_b32_e32 v16, 7, v16
	v_cmp_eq_u16_e32 vcc, 0, v13
	v_cndmask_b32_e32 v12, v12, v16, vcc
	v_cndmask_b32_e32 v13, v14, v15, vcc
	v_lshlrev_b32_e32 v14, 8, v6
	v_mov_b32_e32 v15, 0x3b800000
	v_lshlrev_b32_e32 v12, 20, v12
	v_and_b32_e32 v14, 0x80000000, v14
	v_lshl_add_u32 v13, v13, 23, v15
	v_or3_b32 v12, v14, v13, v12
.LBB2_2068:
	s_or_b64 exec, exec, s[6:7]
	s_movk_i32 s4, 0xff
	v_and_b32_sdwa v13, v2, s4 dst_sel:DWORD dst_unused:UNUSED_PAD src0_sel:WORD_1 src1_sel:DWORD
	s_movk_i32 s4, 0x7f
	v_cmp_lt_i16_e32 vcc, s4, v13
	s_mov_b64 s[4:5], 0
                                        ; implicit-def: $sgpr10
	s_and_saveexec_b64 s[6:7], vcc
	s_xor_b64 s[6:7], exec, s[6:7]
	s_cbranch_execz .LBB2_2069
; %bb.37909:
	s_getpc_b64 s[14:15]
.Lpost_getpc22538:
	s_add_u32 s14, s14, (.LBB2_16405-.Lpost_getpc22538)&4294967295
	s_addc_u32 s15, s15, (.LBB2_16405-.Lpost_getpc22538)>>32
	s_setpc_b64 s[14:15]
.LBB2_2069:
	s_or_saveexec_b64 s[6:7], s[6:7]
	v_mov_b32_e32 v14, s10
	s_xor_b64 exec, exec, s[6:7]
	s_cbranch_execz .LBB2_2070
; %bb.37911:
	s_getpc_b64 s[14:15]
.Lpost_getpc22539:
	s_add_u32 s14, s14, (.LBB2_16408-.Lpost_getpc22539)&4294967295
	s_addc_u32 s15, s15, (.LBB2_16408-.Lpost_getpc22539)>>32
	s_setpc_b64 s[14:15]
.LBB2_2070:
	s_or_b64 exec, exec, s[6:7]
	s_and_saveexec_b64 s[6:7], s[4:5]
	s_cbranch_execz .LBB2_2072
.LBB2_2071:
	v_bfe_u32 v13, v2, 16, 3
	v_ffbh_u32_e32 v16, v13
	v_min_u32_e32 v16, 32, v16
	v_lshrrev_b32_e32 v14, 19, v2
	v_subrev_u32_e32 v17, 28, v16
	v_and_b32_e32 v14, 15, v14
	v_lshlrev_b32_sdwa v17, v17, v2 dst_sel:DWORD dst_unused:UNUSED_PAD src0_sel:DWORD src1_sel:WORD_1
	v_bfe_u32 v15, v2, 19, 4
	v_sub_u32_e32 v16, 29, v16
	v_and_b32_e32 v17, 7, v17
	v_cmp_eq_u16_e32 vcc, 0, v14
	v_cndmask_b32_e32 v13, v13, v17, vcc
	v_cndmask_b32_e32 v14, v15, v16, vcc
	v_lshlrev_b32_e32 v15, 8, v2
	v_mov_b32_e32 v16, 0x3b800000
	v_lshlrev_b32_e32 v13, 20, v13
	v_and_b32_e32 v15, 0x80000000, v15
	v_lshl_add_u32 v14, v14, 23, v16
	v_or3_b32 v14, v15, v14, v13
.LBB2_2072:
	s_or_b64 exec, exec, s[6:7]
	s_nop 0
	v_mfma_f32_16x16x4f32 a[0:3], v12, v14, a[0:3]
	s_movk_i32 s4, 0x7f
	v_cmp_gt_i16_sdwa s[6:7], v6, s4 src0_sel:BYTE_3 src1_sel:DWORD
	s_mov_b64 s[4:5], 0
                                        ; implicit-def: $sgpr10
	s_and_saveexec_b64 s[8:9], s[6:7]
	s_xor_b64 s[6:7], exec, s[8:9]
	s_cbranch_execz .LBB2_2073
; %bb.37913:
	s_getpc_b64 s[14:15]
.Lpost_getpc22540:
	s_add_u32 s14, s14, (.LBB2_16409-.Lpost_getpc22540)&4294967295
	s_addc_u32 s15, s15, (.LBB2_16409-.Lpost_getpc22540)>>32
	s_setpc_b64 s[14:15]
.LBB2_2073:
	s_or_saveexec_b64 s[6:7], s[6:7]
	v_mov_b32_e32 v12, s10
	s_xor_b64 exec, exec, s[6:7]
	s_cbranch_execz .LBB2_2074
; %bb.37915:
	s_getpc_b64 s[14:15]
.Lpost_getpc22541:
	s_add_u32 s14, s14, (.LBB2_16412-.Lpost_getpc22541)&4294967295
	s_addc_u32 s15, s15, (.LBB2_16412-.Lpost_getpc22541)>>32
	s_setpc_b64 s[14:15]
.LBB2_2074:
	s_or_b64 exec, exec, s[6:7]
	s_and_saveexec_b64 s[6:7], s[4:5]
	s_cbranch_execz .LBB2_2076
.LBB2_2075:
	v_bfe_u32 v12, v6, 24, 3
	v_ffbh_u32_e32 v16, v12
	v_min_u32_e32 v16, 32, v16
	v_lshrrev_b32_e32 v14, 27, v6
	v_subrev_u32_e32 v17, 28, v16
	v_and_b32_e32 v13, 0x80000000, v6
	v_and_b32_e32 v14, 15, v14
	v_bfe_u32 v15, v6, 27, 4
	v_lshlrev_b32_sdwa v6, v17, v6 dst_sel:DWORD dst_unused:UNUSED_PAD src0_sel:DWORD src1_sel:BYTE_3
	v_sub_u32_e32 v16, 29, v16
	v_and_b32_e32 v6, 7, v6
	v_cmp_eq_u16_e32 vcc, 0, v14
	v_cndmask_b32_e32 v6, v12, v6, vcc
	v_cndmask_b32_e32 v12, v15, v16, vcc
	v_mov_b32_e32 v14, 0x3b800000
	v_lshlrev_b32_e32 v6, 20, v6
	v_lshl_add_u32 v12, v12, 23, v14
	v_or3_b32 v12, v13, v12, v6
.LBB2_2076:
	s_or_b64 exec, exec, s[6:7]
	s_movk_i32 s4, 0x7f
	v_cmp_gt_i16_sdwa s[6:7], v2, s4 src0_sel:BYTE_3 src1_sel:DWORD
	s_mov_b64 s[4:5], 0
                                        ; implicit-def: $sgpr10
	s_and_saveexec_b64 s[8:9], s[6:7]
	s_xor_b64 s[6:7], exec, s[8:9]
	s_cbranch_execz .LBB2_2077
; %bb.37917:
	s_getpc_b64 s[14:15]
.Lpost_getpc22542:
	s_add_u32 s14, s14, (.LBB2_16413-.Lpost_getpc22542)&4294967295
	s_addc_u32 s15, s15, (.LBB2_16413-.Lpost_getpc22542)>>32
	s_setpc_b64 s[14:15]
.LBB2_2077:
	s_or_saveexec_b64 s[6:7], s[6:7]
	v_mov_b32_e32 v6, s10
	s_xor_b64 exec, exec, s[6:7]
	s_cbranch_execz .LBB2_2078
; %bb.37919:
	s_getpc_b64 s[14:15]
.Lpost_getpc22543:
	s_add_u32 s14, s14, (.LBB2_16416-.Lpost_getpc22543)&4294967295
	s_addc_u32 s15, s15, (.LBB2_16416-.Lpost_getpc22543)>>32
	s_setpc_b64 s[14:15]
.LBB2_2078:
	s_or_b64 exec, exec, s[6:7]
	s_and_saveexec_b64 s[6:7], s[4:5]
	s_cbranch_execz .LBB2_2080
.LBB2_2079:
	v_bfe_u32 v6, v2, 24, 3
	v_ffbh_u32_e32 v16, v6
	v_min_u32_e32 v16, 32, v16
	v_lshrrev_b32_e32 v14, 27, v2
	v_subrev_u32_e32 v17, 28, v16
	v_and_b32_e32 v13, 0x80000000, v2
	v_and_b32_e32 v14, 15, v14
	v_bfe_u32 v15, v2, 27, 4
	v_lshlrev_b32_sdwa v2, v17, v2 dst_sel:DWORD dst_unused:UNUSED_PAD src0_sel:DWORD src1_sel:BYTE_3
	v_sub_u32_e32 v16, 29, v16
	v_and_b32_e32 v2, 7, v2
	v_cmp_eq_u16_e32 vcc, 0, v14
	v_cndmask_b32_e32 v2, v6, v2, vcc
	v_cndmask_b32_e32 v6, v15, v16, vcc
	v_mov_b32_e32 v14, 0x3b800000
	v_lshlrev_b32_e32 v2, 20, v2
	v_lshl_add_u32 v6, v6, 23, v14
	v_or3_b32 v6, v13, v6, v2
.LBB2_2080:
	s_or_b64 exec, exec, s[6:7]
	s_nop 0
	v_mfma_f32_16x16x4f32 a[0:3], v12, v6, a[0:3]
	s_movk_i32 s4, 0x7f
	v_cmp_gt_i16_sdwa s[6:7], v7, s4 src0_sel:BYTE_0 src1_sel:DWORD
	s_mov_b64 s[4:5], 0
                                        ; implicit-def: $sgpr10
	s_and_saveexec_b64 s[8:9], s[6:7]
	s_xor_b64 s[6:7], exec, s[8:9]
	s_cbranch_execz .LBB2_2081
; %bb.37921:
	s_getpc_b64 s[14:15]
.Lpost_getpc22544:
	s_add_u32 s14, s14, (.LBB2_16417-.Lpost_getpc22544)&4294967295
	s_addc_u32 s15, s15, (.LBB2_16417-.Lpost_getpc22544)>>32
	s_setpc_b64 s[14:15]
.LBB2_2081:
	s_or_saveexec_b64 s[6:7], s[6:7]
	v_mov_b32_e32 v2, s10
	s_xor_b64 exec, exec, s[6:7]
	s_cbranch_execz .LBB2_2082
; %bb.37923:
	s_getpc_b64 s[14:15]
.Lpost_getpc22545:
	s_add_u32 s14, s14, (.LBB2_16420-.Lpost_getpc22545)&4294967295
	s_addc_u32 s15, s15, (.LBB2_16420-.Lpost_getpc22545)>>32
	s_setpc_b64 s[14:15]
.LBB2_2082:
	s_or_b64 exec, exec, s[6:7]
	s_and_saveexec_b64 s[6:7], s[4:5]
	s_cbranch_execz .LBB2_2084
.LBB2_2083:
	v_and_b32_e32 v2, 7, v7
	v_ffbh_u32_e32 v12, v2
	v_min_u32_e32 v12, 32, v12
	v_lshrrev_b16_e32 v6, 3, v7
	v_subrev_u32_e32 v13, 28, v12
	v_and_b32_e32 v6, 15, v6
	v_lshlrev_b32_e32 v13, v13, v7
	v_sub_u32_e32 v12, 29, v12
	v_and_b32_e32 v13, 7, v13
	v_cmp_eq_u16_e32 vcc, 0, v6
	v_cndmask_b32_e32 v2, v2, v13, vcc
	v_cndmask_b32_e32 v6, v6, v12, vcc
	v_lshlrev_b32_e32 v12, 24, v7
	v_mov_b32_e32 v13, 0x3b800000
	v_lshlrev_b32_e32 v2, 20, v2
	v_and_b32_e32 v12, 0x80000000, v12
	v_lshl_add_u32 v6, v6, 23, v13
	v_or3_b32 v2, v12, v6, v2
.LBB2_2084:
	s_or_b64 exec, exec, s[6:7]
	s_movk_i32 s4, 0x7f
	v_cmp_gt_i16_sdwa s[6:7], v3, s4 src0_sel:BYTE_0 src1_sel:DWORD
	s_mov_b64 s[4:5], 0
                                        ; implicit-def: $sgpr10
	s_and_saveexec_b64 s[8:9], s[6:7]
	s_xor_b64 s[6:7], exec, s[8:9]
	s_cbranch_execz .LBB2_2085
; %bb.37925:
	s_getpc_b64 s[14:15]
.Lpost_getpc22546:
	s_add_u32 s14, s14, (.LBB2_16421-.Lpost_getpc22546)&4294967295
	s_addc_u32 s15, s15, (.LBB2_16421-.Lpost_getpc22546)>>32
	s_setpc_b64 s[14:15]
.LBB2_2085:
	s_or_saveexec_b64 s[6:7], s[6:7]
	v_mov_b32_e32 v6, s10
	s_xor_b64 exec, exec, s[6:7]
	s_cbranch_execz .LBB2_2086
; %bb.37927:
	s_getpc_b64 s[14:15]
.Lpost_getpc22547:
	s_add_u32 s14, s14, (.LBB2_16424-.Lpost_getpc22547)&4294967295
	s_addc_u32 s15, s15, (.LBB2_16424-.Lpost_getpc22547)>>32
	s_setpc_b64 s[14:15]
.LBB2_2086:
	s_or_b64 exec, exec, s[6:7]
	s_and_saveexec_b64 s[6:7], s[4:5]
	s_cbranch_execz .LBB2_2088
.LBB2_2087:
	v_and_b32_e32 v6, 7, v3
	v_ffbh_u32_e32 v13, v6
	v_min_u32_e32 v13, 32, v13
	v_lshrrev_b16_e32 v12, 3, v3
	v_subrev_u32_e32 v14, 28, v13
	v_and_b32_e32 v12, 15, v12
	v_lshlrev_b32_e32 v14, v14, v3
	v_sub_u32_e32 v13, 29, v13
	v_and_b32_e32 v14, 7, v14
	v_cmp_eq_u16_e32 vcc, 0, v12
	v_cndmask_b32_e32 v6, v6, v14, vcc
	v_cndmask_b32_e32 v12, v12, v13, vcc
	v_lshlrev_b32_e32 v13, 24, v3
	v_mov_b32_e32 v14, 0x3b800000
	v_lshlrev_b32_e32 v6, 20, v6
	v_and_b32_e32 v13, 0x80000000, v13
	v_lshl_add_u32 v12, v12, 23, v14
	v_or3_b32 v6, v13, v12, v6
.LBB2_2088:
	s_or_b64 exec, exec, s[6:7]
	s_nop 0
	v_mfma_f32_16x16x4f32 a[0:3], v2, v6, a[0:3]
	v_lshrrev_b32_e32 v6, 8, v7
	s_movk_i32 s4, 0x7f
	v_cmp_gt_i16_sdwa s[6:7], v6, s4 src0_sel:BYTE_0 src1_sel:DWORD
	s_mov_b64 s[4:5], 0
                                        ; implicit-def: $sgpr10
	s_and_saveexec_b64 s[8:9], s[6:7]
	s_xor_b64 s[6:7], exec, s[8:9]
	s_cbranch_execz .LBB2_2089
; %bb.37929:
	s_getpc_b64 s[14:15]
.Lpost_getpc22548:
	s_add_u32 s14, s14, (.LBB2_16425-.Lpost_getpc22548)&4294967295
	s_addc_u32 s15, s15, (.LBB2_16425-.Lpost_getpc22548)>>32
	s_setpc_b64 s[14:15]
.LBB2_2089:
	s_or_saveexec_b64 s[6:7], s[6:7]
	v_mov_b32_e32 v2, s10
	s_xor_b64 exec, exec, s[6:7]
	s_cbranch_execz .LBB2_2090
; %bb.37931:
	s_getpc_b64 s[14:15]
.Lpost_getpc22549:
	s_add_u32 s14, s14, (.LBB2_16428-.Lpost_getpc22549)&4294967295
	s_addc_u32 s15, s15, (.LBB2_16428-.Lpost_getpc22549)>>32
	s_setpc_b64 s[14:15]
.LBB2_2090:
	s_or_b64 exec, exec, s[6:7]
	s_and_saveexec_b64 s[6:7], s[4:5]
	s_cbranch_execz .LBB2_2092
.LBB2_2091:
	v_bfe_u32 v2, v7, 8, 3
	v_ffbh_u32_e32 v13, v2
	v_min_u32_e32 v13, 32, v13
	v_lshrrev_b16_e32 v12, 3, v6
	v_subrev_u32_e32 v14, 28, v13
	v_and_b32_e32 v12, 15, v12
	v_lshlrev_b32_e32 v6, v14, v6
	v_sub_u32_e32 v13, 29, v13
	v_and_b32_e32 v6, 7, v6
	v_cmp_eq_u16_e32 vcc, 0, v12
	v_cndmask_b32_e32 v2, v2, v6, vcc
	v_cndmask_b32_e32 v6, v12, v13, vcc
	v_lshlrev_b32_e32 v12, 16, v7
	v_mov_b32_e32 v13, 0x3b800000
	v_lshlrev_b32_e32 v2, 20, v2
	v_and_b32_e32 v12, 0x80000000, v12
	v_lshl_add_u32 v6, v6, 23, v13
	v_or3_b32 v2, v12, v6, v2
.LBB2_2092:
	s_or_b64 exec, exec, s[6:7]
	v_lshrrev_b32_e32 v6, 8, v3
	s_movk_i32 s4, 0x7f
	v_cmp_gt_i16_sdwa s[6:7], v6, s4 src0_sel:BYTE_0 src1_sel:DWORD
	s_mov_b64 s[4:5], 0
                                        ; implicit-def: $sgpr10
	s_and_saveexec_b64 s[8:9], s[6:7]
	s_xor_b64 s[6:7], exec, s[8:9]
	s_cbranch_execz .LBB2_2093
; %bb.37933:
	s_getpc_b64 s[14:15]
.Lpost_getpc22550:
	s_add_u32 s14, s14, (.LBB2_16429-.Lpost_getpc22550)&4294967295
	s_addc_u32 s15, s15, (.LBB2_16429-.Lpost_getpc22550)>>32
	s_setpc_b64 s[14:15]
.LBB2_2093:
	s_or_saveexec_b64 s[6:7], s[6:7]
	v_mov_b32_e32 v12, s10
	s_xor_b64 exec, exec, s[6:7]
	s_cbranch_execz .LBB2_2094
; %bb.37935:
	s_getpc_b64 s[14:15]
.Lpost_getpc22551:
	s_add_u32 s14, s14, (.LBB2_16432-.Lpost_getpc22551)&4294967295
	s_addc_u32 s15, s15, (.LBB2_16432-.Lpost_getpc22551)>>32
	s_setpc_b64 s[14:15]
.LBB2_2094:
	s_or_b64 exec, exec, s[6:7]
	s_and_saveexec_b64 s[6:7], s[4:5]
	s_cbranch_execz .LBB2_2096
.LBB2_2095:
	v_bfe_u32 v12, v3, 8, 3
	v_ffbh_u32_e32 v14, v12
	v_min_u32_e32 v14, 32, v14
	v_lshrrev_b16_e32 v13, 3, v6
	v_subrev_u32_e32 v15, 28, v14
	v_and_b32_e32 v13, 15, v13
	v_lshlrev_b32_e32 v6, v15, v6
	v_sub_u32_e32 v14, 29, v14
	v_and_b32_e32 v6, 7, v6
	v_cmp_eq_u16_e32 vcc, 0, v13
	v_cndmask_b32_e32 v6, v12, v6, vcc
	v_cndmask_b32_e32 v12, v13, v14, vcc
	v_lshlrev_b32_e32 v13, 16, v3
	v_mov_b32_e32 v14, 0x3b800000
	v_lshlrev_b32_e32 v6, 20, v6
	v_and_b32_e32 v13, 0x80000000, v13
	v_lshl_add_u32 v12, v12, 23, v14
	v_or3_b32 v12, v13, v12, v6
.LBB2_2096:
	s_or_b64 exec, exec, s[6:7]
	s_nop 0
	v_mfma_f32_16x16x4f32 a[0:3], v2, v12, a[0:3]
	s_movk_i32 s4, 0xff
	v_and_b32_sdwa v6, v7, s4 dst_sel:DWORD dst_unused:UNUSED_PAD src0_sel:WORD_1 src1_sel:DWORD
	s_movk_i32 s4, 0x7f
	v_cmp_lt_i16_e32 vcc, s4, v6
	s_mov_b64 s[4:5], 0
                                        ; implicit-def: $sgpr10
	s_and_saveexec_b64 s[6:7], vcc
	s_xor_b64 s[6:7], exec, s[6:7]
	s_cbranch_execz .LBB2_2097
; %bb.37937:
	s_getpc_b64 s[14:15]
.Lpost_getpc22552:
	s_add_u32 s14, s14, (.LBB2_16433-.Lpost_getpc22552)&4294967295
	s_addc_u32 s15, s15, (.LBB2_16433-.Lpost_getpc22552)>>32
	s_setpc_b64 s[14:15]
.LBB2_2097:
	s_or_saveexec_b64 s[6:7], s[6:7]
	v_mov_b32_e32 v2, s10
	s_xor_b64 exec, exec, s[6:7]
	s_cbranch_execz .LBB2_2098
; %bb.37939:
	s_getpc_b64 s[14:15]
.Lpost_getpc22553:
	s_add_u32 s14, s14, (.LBB2_16436-.Lpost_getpc22553)&4294967295
	s_addc_u32 s15, s15, (.LBB2_16436-.Lpost_getpc22553)>>32
	s_setpc_b64 s[14:15]
.LBB2_2098:
	s_or_b64 exec, exec, s[6:7]
	s_and_saveexec_b64 s[6:7], s[4:5]
	s_cbranch_execz .LBB2_2100
.LBB2_2099:
	v_bfe_u32 v2, v7, 16, 3
	v_ffbh_u32_e32 v13, v2
	v_min_u32_e32 v13, 32, v13
	v_lshrrev_b32_e32 v6, 19, v7
	v_subrev_u32_e32 v14, 28, v13
	v_and_b32_e32 v6, 15, v6
	v_lshlrev_b32_sdwa v14, v14, v7 dst_sel:DWORD dst_unused:UNUSED_PAD src0_sel:DWORD src1_sel:WORD_1
	v_bfe_u32 v12, v7, 19, 4
	v_sub_u32_e32 v13, 29, v13
	v_and_b32_e32 v14, 7, v14
	v_cmp_eq_u16_e32 vcc, 0, v6
	v_cndmask_b32_e32 v2, v2, v14, vcc
	v_cndmask_b32_e32 v6, v12, v13, vcc
	v_lshlrev_b32_e32 v12, 8, v7
	v_mov_b32_e32 v13, 0x3b800000
	v_lshlrev_b32_e32 v2, 20, v2
	v_and_b32_e32 v12, 0x80000000, v12
	v_lshl_add_u32 v6, v6, 23, v13
	v_or3_b32 v2, v12, v6, v2
.LBB2_2100:
	s_or_b64 exec, exec, s[6:7]
	s_movk_i32 s4, 0xff
	v_and_b32_sdwa v6, v3, s4 dst_sel:DWORD dst_unused:UNUSED_PAD src0_sel:WORD_1 src1_sel:DWORD
	s_movk_i32 s4, 0x7f
	v_cmp_lt_i16_e32 vcc, s4, v6
	s_mov_b64 s[4:5], 0
                                        ; implicit-def: $sgpr10
	s_and_saveexec_b64 s[6:7], vcc
	s_xor_b64 s[6:7], exec, s[6:7]
	s_cbranch_execz .LBB2_2101
; %bb.37941:
	s_getpc_b64 s[14:15]
.Lpost_getpc22554:
	s_add_u32 s14, s14, (.LBB2_16437-.Lpost_getpc22554)&4294967295
	s_addc_u32 s15, s15, (.LBB2_16437-.Lpost_getpc22554)>>32
	s_setpc_b64 s[14:15]
.LBB2_2101:
	s_or_saveexec_b64 s[6:7], s[6:7]
	v_mov_b32_e32 v12, s10
	s_xor_b64 exec, exec, s[6:7]
	s_cbranch_execz .LBB2_2102
; %bb.37943:
	s_getpc_b64 s[14:15]
.Lpost_getpc22555:
	s_add_u32 s14, s14, (.LBB2_16440-.Lpost_getpc22555)&4294967295
	s_addc_u32 s15, s15, (.LBB2_16440-.Lpost_getpc22555)>>32
	s_setpc_b64 s[14:15]
.LBB2_2102:
	s_or_b64 exec, exec, s[6:7]
	s_and_saveexec_b64 s[6:7], s[4:5]
	s_cbranch_execz .LBB2_2104
.LBB2_2103:
	v_bfe_u32 v6, v3, 16, 3
	v_ffbh_u32_e32 v14, v6
	v_min_u32_e32 v14, 32, v14
	v_lshrrev_b32_e32 v12, 19, v3
	v_subrev_u32_e32 v15, 28, v14
	v_and_b32_e32 v12, 15, v12
	v_lshlrev_b32_sdwa v15, v15, v3 dst_sel:DWORD dst_unused:UNUSED_PAD src0_sel:DWORD src1_sel:WORD_1
	v_bfe_u32 v13, v3, 19, 4
	v_sub_u32_e32 v14, 29, v14
	v_and_b32_e32 v15, 7, v15
	v_cmp_eq_u16_e32 vcc, 0, v12
	v_cndmask_b32_e32 v6, v6, v15, vcc
	v_cndmask_b32_e32 v12, v13, v14, vcc
	v_lshlrev_b32_e32 v13, 8, v3
	v_mov_b32_e32 v14, 0x3b800000
	v_lshlrev_b32_e32 v6, 20, v6
	v_and_b32_e32 v13, 0x80000000, v13
	v_lshl_add_u32 v12, v12, 23, v14
	v_or3_b32 v12, v13, v12, v6
.LBB2_2104:
	s_or_b64 exec, exec, s[6:7]
	s_nop 0
	v_mfma_f32_16x16x4f32 a[0:3], v2, v12, a[0:3]
	s_movk_i32 s4, 0x7f
	v_cmp_gt_i16_sdwa s[6:7], v7, s4 src0_sel:BYTE_3 src1_sel:DWORD
	s_mov_b64 s[4:5], 0
                                        ; implicit-def: $sgpr10
	s_and_saveexec_b64 s[8:9], s[6:7]
	s_xor_b64 s[6:7], exec, s[8:9]
	s_cbranch_execz .LBB2_2105
; %bb.37945:
	s_getpc_b64 s[14:15]
.Lpost_getpc22556:
	s_add_u32 s14, s14, (.LBB2_16441-.Lpost_getpc22556)&4294967295
	s_addc_u32 s15, s15, (.LBB2_16441-.Lpost_getpc22556)>>32
	s_setpc_b64 s[14:15]
.LBB2_2105:
	s_or_saveexec_b64 s[6:7], s[6:7]
	v_mov_b32_e32 v2, s10
	s_xor_b64 exec, exec, s[6:7]
	s_cbranch_execz .LBB2_2106
; %bb.37947:
	s_getpc_b64 s[14:15]
.Lpost_getpc22557:
	s_add_u32 s14, s14, (.LBB2_16444-.Lpost_getpc22557)&4294967295
	s_addc_u32 s15, s15, (.LBB2_16444-.Lpost_getpc22557)>>32
	s_setpc_b64 s[14:15]
.LBB2_2106:
	s_or_b64 exec, exec, s[6:7]
	s_and_saveexec_b64 s[6:7], s[4:5]
	s_cbranch_execz .LBB2_2108
.LBB2_2107:
	v_bfe_u32 v2, v7, 24, 3
	v_ffbh_u32_e32 v14, v2
	v_min_u32_e32 v14, 32, v14
	v_lshrrev_b32_e32 v12, 27, v7
	v_subrev_u32_e32 v15, 28, v14
	v_and_b32_e32 v6, 0x80000000, v7
	v_and_b32_e32 v12, 15, v12
	v_bfe_u32 v13, v7, 27, 4
	v_lshlrev_b32_sdwa v7, v15, v7 dst_sel:DWORD dst_unused:UNUSED_PAD src0_sel:DWORD src1_sel:BYTE_3
	v_sub_u32_e32 v14, 29, v14
	v_and_b32_e32 v7, 7, v7
	v_cmp_eq_u16_e32 vcc, 0, v12
	v_cndmask_b32_e32 v2, v2, v7, vcc
	v_cndmask_b32_e32 v7, v13, v14, vcc
	v_mov_b32_e32 v12, 0x3b800000
	v_lshlrev_b32_e32 v2, 20, v2
	v_lshl_add_u32 v7, v7, 23, v12
	v_or3_b32 v2, v6, v7, v2
.LBB2_2108:
	s_or_b64 exec, exec, s[6:7]
	s_movk_i32 s4, 0x7f
	v_cmp_gt_i16_sdwa s[6:7], v3, s4 src0_sel:BYTE_3 src1_sel:DWORD
	s_mov_b64 s[4:5], 0
                                        ; implicit-def: $sgpr10
	s_and_saveexec_b64 s[8:9], s[6:7]
	s_xor_b64 s[6:7], exec, s[8:9]
	s_cbranch_execz .LBB2_2109
; %bb.37949:
	s_getpc_b64 s[14:15]
.Lpost_getpc22558:
	s_add_u32 s14, s14, (.LBB2_16445-.Lpost_getpc22558)&4294967295
	s_addc_u32 s15, s15, (.LBB2_16445-.Lpost_getpc22558)>>32
	s_setpc_b64 s[14:15]
.LBB2_2109:
	s_or_saveexec_b64 s[6:7], s[6:7]
	v_mov_b32_e32 v6, s10
	s_xor_b64 exec, exec, s[6:7]
	s_cbranch_execz .LBB2_2110
; %bb.37951:
	s_getpc_b64 s[14:15]
.Lpost_getpc22559:
	s_add_u32 s14, s14, (.LBB2_16448-.Lpost_getpc22559)&4294967295
	s_addc_u32 s15, s15, (.LBB2_16448-.Lpost_getpc22559)>>32
	s_setpc_b64 s[14:15]
.LBB2_2110:
	s_or_b64 exec, exec, s[6:7]
	s_and_saveexec_b64 s[6:7], s[4:5]
	s_cbranch_execz .LBB2_2112
.LBB2_2111:
	v_bfe_u32 v6, v3, 24, 3
	v_ffbh_u32_e32 v14, v6
	v_min_u32_e32 v14, 32, v14
	v_lshrrev_b32_e32 v12, 27, v3
	v_subrev_u32_e32 v15, 28, v14
	v_and_b32_e32 v7, 0x80000000, v3
	v_and_b32_e32 v12, 15, v12
	v_bfe_u32 v13, v3, 27, 4
	v_lshlrev_b32_sdwa v3, v15, v3 dst_sel:DWORD dst_unused:UNUSED_PAD src0_sel:DWORD src1_sel:BYTE_3
	v_sub_u32_e32 v14, 29, v14
	v_and_b32_e32 v3, 7, v3
	v_cmp_eq_u16_e32 vcc, 0, v12
	v_cndmask_b32_e32 v3, v6, v3, vcc
	v_cndmask_b32_e32 v6, v13, v14, vcc
	v_mov_b32_e32 v12, 0x3b800000
	v_lshlrev_b32_e32 v3, 20, v3
	v_lshl_add_u32 v6, v6, 23, v12
	v_or3_b32 v6, v7, v6, v3
.LBB2_2112:
	s_or_b64 exec, exec, s[6:7]
	s_nop 0
	v_mfma_f32_16x16x4f32 a[0:3], v2, v6, a[0:3]
	s_movk_i32 s4, 0x7f
	v_cmp_gt_i16_sdwa s[6:7], v8, s4 src0_sel:BYTE_0 src1_sel:DWORD
	s_mov_b64 s[4:5], 0
                                        ; implicit-def: $sgpr10
	s_and_saveexec_b64 s[8:9], s[6:7]
	s_xor_b64 s[6:7], exec, s[8:9]
	s_cbranch_execz .LBB2_2113
; %bb.37953:
	s_getpc_b64 s[14:15]
.Lpost_getpc22560:
	s_add_u32 s14, s14, (.LBB2_16449-.Lpost_getpc22560)&4294967295
	s_addc_u32 s15, s15, (.LBB2_16449-.Lpost_getpc22560)>>32
	s_setpc_b64 s[14:15]
.LBB2_2113:
	s_or_saveexec_b64 s[6:7], s[6:7]
	v_mov_b32_e32 v2, s10
	s_xor_b64 exec, exec, s[6:7]
	s_cbranch_execz .LBB2_2114
; %bb.37955:
	s_getpc_b64 s[14:15]
.Lpost_getpc22561:
	s_add_u32 s14, s14, (.LBB2_16452-.Lpost_getpc22561)&4294967295
	s_addc_u32 s15, s15, (.LBB2_16452-.Lpost_getpc22561)>>32
	s_setpc_b64 s[14:15]
.LBB2_2114:
	s_or_b64 exec, exec, s[6:7]
	s_and_saveexec_b64 s[6:7], s[4:5]
	s_cbranch_execz .LBB2_2116
.LBB2_2115:
	v_and_b32_e32 v2, 7, v8
	v_ffbh_u32_e32 v6, v2
	v_min_u32_e32 v6, 32, v6
	v_lshrrev_b16_e32 v3, 3, v8
	v_subrev_u32_e32 v7, 28, v6
	v_and_b32_e32 v3, 15, v3
	v_lshlrev_b32_e32 v7, v7, v8
	v_sub_u32_e32 v6, 29, v6
	v_and_b32_e32 v7, 7, v7
	v_cmp_eq_u16_e32 vcc, 0, v3
	v_cndmask_b32_e32 v2, v2, v7, vcc
	v_cndmask_b32_e32 v3, v3, v6, vcc
	v_lshlrev_b32_e32 v6, 24, v8
	v_mov_b32_e32 v7, 0x3b800000
	v_lshlrev_b32_e32 v2, 20, v2
	v_and_b32_e32 v6, 0x80000000, v6
	v_lshl_add_u32 v3, v3, 23, v7
	v_or3_b32 v2, v6, v3, v2
.LBB2_2116:
	s_or_b64 exec, exec, s[6:7]
	s_movk_i32 s4, 0x7f
	v_cmp_gt_i16_sdwa s[6:7], v4, s4 src0_sel:BYTE_0 src1_sel:DWORD
	s_mov_b64 s[4:5], 0
                                        ; implicit-def: $sgpr10
	s_and_saveexec_b64 s[8:9], s[6:7]
	s_xor_b64 s[6:7], exec, s[8:9]
	s_cbranch_execz .LBB2_2117
; %bb.37957:
	s_getpc_b64 s[14:15]
.Lpost_getpc22562:
	s_add_u32 s14, s14, (.LBB2_16453-.Lpost_getpc22562)&4294967295
	s_addc_u32 s15, s15, (.LBB2_16453-.Lpost_getpc22562)>>32
	s_setpc_b64 s[14:15]
.LBB2_2117:
	s_or_saveexec_b64 s[6:7], s[6:7]
	v_mov_b32_e32 v3, s10
	s_xor_b64 exec, exec, s[6:7]
	s_cbranch_execz .LBB2_2118
; %bb.37959:
	s_getpc_b64 s[14:15]
.Lpost_getpc22563:
	s_add_u32 s14, s14, (.LBB2_16456-.Lpost_getpc22563)&4294967295
	s_addc_u32 s15, s15, (.LBB2_16456-.Lpost_getpc22563)>>32
	s_setpc_b64 s[14:15]
.LBB2_2118:
	s_or_b64 exec, exec, s[6:7]
	s_and_saveexec_b64 s[6:7], s[4:5]
	s_cbranch_execz .LBB2_2120
.LBB2_2119:
	v_and_b32_e32 v3, 7, v4
	v_ffbh_u32_e32 v7, v3
	v_min_u32_e32 v7, 32, v7
	v_lshrrev_b16_e32 v6, 3, v4
	v_subrev_u32_e32 v12, 28, v7
	v_and_b32_e32 v6, 15, v6
	v_lshlrev_b32_e32 v12, v12, v4
	v_sub_u32_e32 v7, 29, v7
	v_and_b32_e32 v12, 7, v12
	v_cmp_eq_u16_e32 vcc, 0, v6
	v_cndmask_b32_e32 v3, v3, v12, vcc
	v_cndmask_b32_e32 v6, v6, v7, vcc
	v_lshlrev_b32_e32 v7, 24, v4
	v_mov_b32_e32 v12, 0x3b800000
	v_lshlrev_b32_e32 v3, 20, v3
	v_and_b32_e32 v7, 0x80000000, v7
	v_lshl_add_u32 v6, v6, 23, v12
	v_or3_b32 v3, v7, v6, v3
.LBB2_2120:
	s_or_b64 exec, exec, s[6:7]
	s_nop 0
	v_mfma_f32_16x16x4f32 a[0:3], v2, v3, a[0:3]
	v_lshrrev_b32_e32 v3, 8, v8
	s_movk_i32 s4, 0x7f
	v_cmp_gt_i16_sdwa s[6:7], v3, s4 src0_sel:BYTE_0 src1_sel:DWORD
	s_mov_b64 s[4:5], 0
                                        ; implicit-def: $sgpr10
	s_and_saveexec_b64 s[8:9], s[6:7]
	s_xor_b64 s[6:7], exec, s[8:9]
	s_cbranch_execz .LBB2_2121
; %bb.37961:
	s_getpc_b64 s[14:15]
.Lpost_getpc22564:
	s_add_u32 s14, s14, (.LBB2_16457-.Lpost_getpc22564)&4294967295
	s_addc_u32 s15, s15, (.LBB2_16457-.Lpost_getpc22564)>>32
	s_setpc_b64 s[14:15]
.LBB2_2121:
	s_or_saveexec_b64 s[6:7], s[6:7]
	v_mov_b32_e32 v2, s10
	s_xor_b64 exec, exec, s[6:7]
	s_cbranch_execz .LBB2_2122
; %bb.37963:
	s_getpc_b64 s[14:15]
.Lpost_getpc22565:
	s_add_u32 s14, s14, (.LBB2_16460-.Lpost_getpc22565)&4294967295
	s_addc_u32 s15, s15, (.LBB2_16460-.Lpost_getpc22565)>>32
	s_setpc_b64 s[14:15]
.LBB2_2122:
	s_or_b64 exec, exec, s[6:7]
	s_and_saveexec_b64 s[6:7], s[4:5]
	s_cbranch_execz .LBB2_2124
.LBB2_2123:
	v_bfe_u32 v2, v8, 8, 3
	v_ffbh_u32_e32 v7, v2
	v_min_u32_e32 v7, 32, v7
	v_lshrrev_b16_e32 v6, 3, v3
	v_subrev_u32_e32 v12, 28, v7
	v_and_b32_e32 v6, 15, v6
	v_lshlrev_b32_e32 v3, v12, v3
	v_sub_u32_e32 v7, 29, v7
	v_and_b32_e32 v3, 7, v3
	v_cmp_eq_u16_e32 vcc, 0, v6
	v_cndmask_b32_e32 v2, v2, v3, vcc
	v_cndmask_b32_e32 v3, v6, v7, vcc
	v_lshlrev_b32_e32 v6, 16, v8
	v_mov_b32_e32 v7, 0x3b800000
	v_lshlrev_b32_e32 v2, 20, v2
	v_and_b32_e32 v6, 0x80000000, v6
	v_lshl_add_u32 v3, v3, 23, v7
	v_or3_b32 v2, v6, v3, v2
.LBB2_2124:
	s_or_b64 exec, exec, s[6:7]
	v_lshrrev_b32_e32 v3, 8, v4
	s_movk_i32 s4, 0x7f
	v_cmp_gt_i16_sdwa s[6:7], v3, s4 src0_sel:BYTE_0 src1_sel:DWORD
	s_mov_b64 s[4:5], 0
                                        ; implicit-def: $sgpr10
	s_and_saveexec_b64 s[8:9], s[6:7]
	s_xor_b64 s[6:7], exec, s[8:9]
	s_cbranch_execz .LBB2_2125
; %bb.37965:
	s_getpc_b64 s[14:15]
.Lpost_getpc22566:
	s_add_u32 s14, s14, (.LBB2_16461-.Lpost_getpc22566)&4294967295
	s_addc_u32 s15, s15, (.LBB2_16461-.Lpost_getpc22566)>>32
	s_setpc_b64 s[14:15]
.LBB2_2125:
	s_or_saveexec_b64 s[6:7], s[6:7]
	v_mov_b32_e32 v6, s10
	s_xor_b64 exec, exec, s[6:7]
	s_cbranch_execz .LBB2_2126
; %bb.37967:
	s_getpc_b64 s[14:15]
.Lpost_getpc22567:
	s_add_u32 s14, s14, (.LBB2_16464-.Lpost_getpc22567)&4294967295
	s_addc_u32 s15, s15, (.LBB2_16464-.Lpost_getpc22567)>>32
	s_setpc_b64 s[14:15]
.LBB2_2126:
	s_or_b64 exec, exec, s[6:7]
	s_and_saveexec_b64 s[6:7], s[4:5]
	s_cbranch_execz .LBB2_2128
.LBB2_2127:
	v_bfe_u32 v6, v4, 8, 3
	v_ffbh_u32_e32 v12, v6
	v_min_u32_e32 v12, 32, v12
	v_lshrrev_b16_e32 v7, 3, v3
	v_subrev_u32_e32 v13, 28, v12
	v_and_b32_e32 v7, 15, v7
	v_lshlrev_b32_e32 v3, v13, v3
	v_sub_u32_e32 v12, 29, v12
	v_and_b32_e32 v3, 7, v3
	v_cmp_eq_u16_e32 vcc, 0, v7
	v_cndmask_b32_e32 v3, v6, v3, vcc
	v_cndmask_b32_e32 v6, v7, v12, vcc
	v_lshlrev_b32_e32 v7, 16, v4
	v_mov_b32_e32 v12, 0x3b800000
	v_lshlrev_b32_e32 v3, 20, v3
	v_and_b32_e32 v7, 0x80000000, v7
	v_lshl_add_u32 v6, v6, 23, v12
	v_or3_b32 v6, v7, v6, v3
.LBB2_2128:
	s_or_b64 exec, exec, s[6:7]
	s_nop 0
	v_mfma_f32_16x16x4f32 a[0:3], v2, v6, a[0:3]
	s_movk_i32 s4, 0xff
	v_and_b32_sdwa v3, v8, s4 dst_sel:DWORD dst_unused:UNUSED_PAD src0_sel:WORD_1 src1_sel:DWORD
	s_movk_i32 s4, 0x7f
	v_cmp_lt_i16_e32 vcc, s4, v3
	s_mov_b64 s[4:5], 0
                                        ; implicit-def: $sgpr10
	s_and_saveexec_b64 s[6:7], vcc
	s_xor_b64 s[6:7], exec, s[6:7]
	s_cbranch_execz .LBB2_2129
; %bb.37969:
	s_getpc_b64 s[14:15]
.Lpost_getpc22568:
	s_add_u32 s14, s14, (.LBB2_16465-.Lpost_getpc22568)&4294967295
	s_addc_u32 s15, s15, (.LBB2_16465-.Lpost_getpc22568)>>32
	s_setpc_b64 s[14:15]
.LBB2_2129:
	s_or_saveexec_b64 s[6:7], s[6:7]
	v_mov_b32_e32 v2, s10
	s_xor_b64 exec, exec, s[6:7]
	s_cbranch_execz .LBB2_2130
; %bb.37971:
	s_getpc_b64 s[14:15]
.Lpost_getpc22569:
	s_add_u32 s14, s14, (.LBB2_16468-.Lpost_getpc22569)&4294967295
	s_addc_u32 s15, s15, (.LBB2_16468-.Lpost_getpc22569)>>32
	s_setpc_b64 s[14:15]
.LBB2_2130:
	s_or_b64 exec, exec, s[6:7]
	s_and_saveexec_b64 s[6:7], s[4:5]
	s_cbranch_execz .LBB2_2132
.LBB2_2131:
	v_bfe_u32 v2, v8, 16, 3
	v_ffbh_u32_e32 v7, v2
	v_min_u32_e32 v7, 32, v7
	v_lshrrev_b32_e32 v3, 19, v8
	v_subrev_u32_e32 v12, 28, v7
	v_and_b32_e32 v3, 15, v3
	v_lshlrev_b32_sdwa v12, v12, v8 dst_sel:DWORD dst_unused:UNUSED_PAD src0_sel:DWORD src1_sel:WORD_1
	v_bfe_u32 v6, v8, 19, 4
	v_sub_u32_e32 v7, 29, v7
	v_and_b32_e32 v12, 7, v12
	v_cmp_eq_u16_e32 vcc, 0, v3
	v_cndmask_b32_e32 v2, v2, v12, vcc
	v_cndmask_b32_e32 v3, v6, v7, vcc
	v_lshlrev_b32_e32 v6, 8, v8
	v_mov_b32_e32 v7, 0x3b800000
	v_lshlrev_b32_e32 v2, 20, v2
	v_and_b32_e32 v6, 0x80000000, v6
	v_lshl_add_u32 v3, v3, 23, v7
	v_or3_b32 v2, v6, v3, v2
.LBB2_2132:
	s_or_b64 exec, exec, s[6:7]
	s_movk_i32 s4, 0xff
	v_and_b32_sdwa v3, v4, s4 dst_sel:DWORD dst_unused:UNUSED_PAD src0_sel:WORD_1 src1_sel:DWORD
	s_movk_i32 s4, 0x7f
	v_cmp_lt_i16_e32 vcc, s4, v3
	s_mov_b64 s[4:5], 0
                                        ; implicit-def: $sgpr10
	s_and_saveexec_b64 s[6:7], vcc
	s_xor_b64 s[6:7], exec, s[6:7]
	s_cbranch_execz .LBB2_2133
; %bb.37973:
	s_getpc_b64 s[14:15]
.Lpost_getpc22570:
	s_add_u32 s14, s14, (.LBB2_16469-.Lpost_getpc22570)&4294967295
	s_addc_u32 s15, s15, (.LBB2_16469-.Lpost_getpc22570)>>32
	s_setpc_b64 s[14:15]
.LBB2_2133:
	s_or_saveexec_b64 s[6:7], s[6:7]
	v_mov_b32_e32 v6, s10
	s_xor_b64 exec, exec, s[6:7]
	s_cbranch_execz .LBB2_2134
; %bb.37975:
	s_getpc_b64 s[14:15]
.Lpost_getpc22571:
	s_add_u32 s14, s14, (.LBB2_16472-.Lpost_getpc22571)&4294967295
	s_addc_u32 s15, s15, (.LBB2_16472-.Lpost_getpc22571)>>32
	s_setpc_b64 s[14:15]
.LBB2_2134:
	s_or_b64 exec, exec, s[6:7]
	s_and_saveexec_b64 s[6:7], s[4:5]
	s_cbranch_execz .LBB2_2136
.LBB2_2135:
	v_bfe_u32 v3, v4, 16, 3
	v_ffbh_u32_e32 v12, v3
	v_min_u32_e32 v12, 32, v12
	v_lshrrev_b32_e32 v6, 19, v4
	v_subrev_u32_e32 v13, 28, v12
	v_and_b32_e32 v6, 15, v6
	v_lshlrev_b32_sdwa v13, v13, v4 dst_sel:DWORD dst_unused:UNUSED_PAD src0_sel:DWORD src1_sel:WORD_1
	v_bfe_u32 v7, v4, 19, 4
	v_sub_u32_e32 v12, 29, v12
	v_and_b32_e32 v13, 7, v13
	v_cmp_eq_u16_e32 vcc, 0, v6
	v_cndmask_b32_e32 v3, v3, v13, vcc
	v_cndmask_b32_e32 v6, v7, v12, vcc
	v_lshlrev_b32_e32 v7, 8, v4
	v_mov_b32_e32 v12, 0x3b800000
	v_lshlrev_b32_e32 v3, 20, v3
	v_and_b32_e32 v7, 0x80000000, v7
	v_lshl_add_u32 v6, v6, 23, v12
	v_or3_b32 v6, v7, v6, v3
.LBB2_2136:
	s_or_b64 exec, exec, s[6:7]
	s_nop 0
	v_mfma_f32_16x16x4f32 a[0:3], v2, v6, a[0:3]
	s_movk_i32 s4, 0x7f
	v_cmp_gt_i16_sdwa s[6:7], v8, s4 src0_sel:BYTE_3 src1_sel:DWORD
	s_mov_b64 s[4:5], 0
                                        ; implicit-def: $sgpr10
	s_and_saveexec_b64 s[8:9], s[6:7]
	s_xor_b64 s[6:7], exec, s[8:9]
	s_cbranch_execz .LBB2_2137
; %bb.37977:
	s_getpc_b64 s[14:15]
.Lpost_getpc22572:
	s_add_u32 s14, s14, (.LBB2_16473-.Lpost_getpc22572)&4294967295
	s_addc_u32 s15, s15, (.LBB2_16473-.Lpost_getpc22572)>>32
	s_setpc_b64 s[14:15]
.LBB2_2137:
	s_or_saveexec_b64 s[6:7], s[6:7]
	v_mov_b32_e32 v2, s10
	s_xor_b64 exec, exec, s[6:7]
	s_cbranch_execz .LBB2_2138
; %bb.37979:
	s_getpc_b64 s[14:15]
.Lpost_getpc22573:
	s_add_u32 s14, s14, (.LBB2_16476-.Lpost_getpc22573)&4294967295
	s_addc_u32 s15, s15, (.LBB2_16476-.Lpost_getpc22573)>>32
	s_setpc_b64 s[14:15]
.LBB2_2138:
	s_or_b64 exec, exec, s[6:7]
	s_and_saveexec_b64 s[6:7], s[4:5]
	s_cbranch_execz .LBB2_2140
.LBB2_2139:
	v_bfe_u32 v2, v8, 24, 3
	v_ffbh_u32_e32 v12, v2
	v_min_u32_e32 v12, 32, v12
	v_lshrrev_b32_e32 v6, 27, v8
	v_subrev_u32_e32 v13, 28, v12
	v_and_b32_e32 v3, 0x80000000, v8
	v_and_b32_e32 v6, 15, v6
	v_bfe_u32 v7, v8, 27, 4
	v_lshlrev_b32_sdwa v8, v13, v8 dst_sel:DWORD dst_unused:UNUSED_PAD src0_sel:DWORD src1_sel:BYTE_3
	v_sub_u32_e32 v12, 29, v12
	v_and_b32_e32 v8, 7, v8
	v_cmp_eq_u16_e32 vcc, 0, v6
	v_cndmask_b32_e32 v2, v2, v8, vcc
	v_cndmask_b32_e32 v6, v7, v12, vcc
	v_mov_b32_e32 v7, 0x3b800000
	v_lshlrev_b32_e32 v2, 20, v2
	v_lshl_add_u32 v6, v6, 23, v7
	v_or3_b32 v2, v3, v6, v2
.LBB2_2140:
	s_or_b64 exec, exec, s[6:7]
	s_movk_i32 s4, 0x7f
	v_cmp_gt_i16_sdwa s[6:7], v4, s4 src0_sel:BYTE_3 src1_sel:DWORD
	s_mov_b64 s[4:5], 0
                                        ; implicit-def: $sgpr10
	s_and_saveexec_b64 s[8:9], s[6:7]
	s_xor_b64 s[6:7], exec, s[8:9]
	s_cbranch_execz .LBB2_2141
; %bb.37981:
	s_getpc_b64 s[14:15]
.Lpost_getpc22574:
	s_add_u32 s14, s14, (.LBB2_16477-.Lpost_getpc22574)&4294967295
	s_addc_u32 s15, s15, (.LBB2_16477-.Lpost_getpc22574)>>32
	s_setpc_b64 s[14:15]
.LBB2_2141:
	s_or_saveexec_b64 s[6:7], s[6:7]
	v_mov_b32_e32 v3, s10
	s_xor_b64 exec, exec, s[6:7]
	s_cbranch_execz .LBB2_2142
; %bb.37983:
	s_getpc_b64 s[14:15]
.Lpost_getpc22575:
	s_add_u32 s14, s14, (.LBB2_16480-.Lpost_getpc22575)&4294967295
	s_addc_u32 s15, s15, (.LBB2_16480-.Lpost_getpc22575)>>32
	s_setpc_b64 s[14:15]
.LBB2_2142:
	s_or_b64 exec, exec, s[6:7]
	s_and_saveexec_b64 s[6:7], s[4:5]
	s_cbranch_execz .LBB2_2144
.LBB2_2143:
	v_bfe_u32 v3, v4, 24, 3
	v_ffbh_u32_e32 v12, v3
	v_min_u32_e32 v12, 32, v12
	v_lshrrev_b32_e32 v7, 27, v4
	v_subrev_u32_e32 v13, 28, v12
	v_and_b32_e32 v6, 0x80000000, v4
	v_and_b32_e32 v7, 15, v7
	v_bfe_u32 v8, v4, 27, 4
	v_lshlrev_b32_sdwa v4, v13, v4 dst_sel:DWORD dst_unused:UNUSED_PAD src0_sel:DWORD src1_sel:BYTE_3
	v_sub_u32_e32 v12, 29, v12
	v_and_b32_e32 v4, 7, v4
	v_cmp_eq_u16_e32 vcc, 0, v7
	v_cndmask_b32_e32 v3, v3, v4, vcc
	v_cndmask_b32_e32 v4, v8, v12, vcc
	v_mov_b32_e32 v7, 0x3b800000
	v_lshlrev_b32_e32 v3, 20, v3
	v_lshl_add_u32 v4, v4, 23, v7
	v_or3_b32 v3, v6, v4, v3
.LBB2_2144:
	s_or_b64 exec, exec, s[6:7]
	s_nop 0
	v_mfma_f32_16x16x4f32 a[0:3], v2, v3, a[0:3]
	s_movk_i32 s4, 0x7f
	v_cmp_gt_i16_sdwa s[6:7], v9, s4 src0_sel:BYTE_0 src1_sel:DWORD
	s_mov_b64 s[4:5], 0
                                        ; implicit-def: $sgpr10
	s_and_saveexec_b64 s[8:9], s[6:7]
	s_xor_b64 s[6:7], exec, s[8:9]
	s_cbranch_execz .LBB2_2145
; %bb.37985:
	s_getpc_b64 s[14:15]
.Lpost_getpc22576:
	s_add_u32 s14, s14, (.LBB2_16481-.Lpost_getpc22576)&4294967295
	s_addc_u32 s15, s15, (.LBB2_16481-.Lpost_getpc22576)>>32
	s_setpc_b64 s[14:15]
.LBB2_2145:
	s_or_saveexec_b64 s[6:7], s[6:7]
	v_mov_b32_e32 v2, s10
	s_xor_b64 exec, exec, s[6:7]
	s_cbranch_execz .LBB2_2146
; %bb.37987:
	s_getpc_b64 s[14:15]
.Lpost_getpc22577:
	s_add_u32 s14, s14, (.LBB2_16484-.Lpost_getpc22577)&4294967295
	s_addc_u32 s15, s15, (.LBB2_16484-.Lpost_getpc22577)>>32
	s_setpc_b64 s[14:15]
.LBB2_2146:
	s_or_b64 exec, exec, s[6:7]
	s_and_saveexec_b64 s[6:7], s[4:5]
	s_cbranch_execz .LBB2_2148
.LBB2_2147:
	v_mov_b32_e32 v2, 8
	v_and_b32_e32 v3, 7, v9
	v_lshrrev_b32_sdwa v2, v2, v9 dst_sel:BYTE_1 dst_unused:UNUSED_PAD src0_sel:DWORD src1_sel:DWORD
	v_ffbh_u32_e32 v4, v3
	v_or_b32_sdwa v2, v9, v2 dst_sel:DWORD dst_unused:UNUSED_PAD src0_sel:BYTE_0 src1_sel:DWORD
	v_min_u32_e32 v4, 32, v4
	v_lshrrev_b16_e32 v2, 3, v2
	v_subrev_u32_e32 v6, 28, v4
	v_and_b32_e32 v2, 15, v2
	v_lshlrev_b32_e32 v6, v6, v9
	v_sub_u32_e32 v4, 29, v4
	v_and_b32_e32 v6, 7, v6
	v_cmp_eq_u16_e32 vcc, 0, v2
	v_cndmask_b32_e32 v3, v3, v6, vcc
	v_cndmask_b32_e32 v2, v2, v4, vcc
	v_lshlrev_b32_e32 v4, 24, v9
	v_mov_b32_e32 v6, 0x3b800000
	v_lshlrev_b32_e32 v3, 20, v3
	v_and_b32_e32 v4, 0x80000000, v4
	v_lshl_add_u32 v2, v2, 23, v6
	v_or3_b32 v2, v4, v2, v3
.LBB2_2148:
	s_or_b64 exec, exec, s[6:7]
	s_movk_i32 s4, 0x7f
	v_cmp_gt_i16_sdwa s[6:7], v5, s4 src0_sel:BYTE_0 src1_sel:DWORD
	s_mov_b64 s[4:5], 0
                                        ; implicit-def: $sgpr10
	s_and_saveexec_b64 s[8:9], s[6:7]
	s_xor_b64 s[6:7], exec, s[8:9]
	s_cbranch_execz .LBB2_2149
; %bb.37989:
	s_getpc_b64 s[14:15]
.Lpost_getpc22578:
	s_add_u32 s14, s14, (.LBB2_16485-.Lpost_getpc22578)&4294967295
	s_addc_u32 s15, s15, (.LBB2_16485-.Lpost_getpc22578)>>32
	s_setpc_b64 s[14:15]
.LBB2_2149:
	s_or_saveexec_b64 s[6:7], s[6:7]
	v_mov_b32_e32 v3, s10
	s_xor_b64 exec, exec, s[6:7]
	s_cbranch_execz .LBB2_2150
; %bb.37991:
	s_getpc_b64 s[14:15]
.Lpost_getpc22579:
	s_add_u32 s14, s14, (.LBB2_16488-.Lpost_getpc22579)&4294967295
	s_addc_u32 s15, s15, (.LBB2_16488-.Lpost_getpc22579)>>32
	s_setpc_b64 s[14:15]
.LBB2_2150:
	s_or_b64 exec, exec, s[6:7]
	s_and_saveexec_b64 s[6:7], s[4:5]
	s_cbranch_execz .LBB2_2152
.LBB2_2151:
	v_mov_b32_e32 v3, 8
	v_and_b32_e32 v4, 7, v5
	v_lshrrev_b32_sdwa v3, v3, v5 dst_sel:BYTE_1 dst_unused:UNUSED_PAD src0_sel:DWORD src1_sel:DWORD
	v_ffbh_u32_e32 v6, v4
	v_or_b32_sdwa v3, v5, v3 dst_sel:DWORD dst_unused:UNUSED_PAD src0_sel:BYTE_0 src1_sel:DWORD
	v_min_u32_e32 v6, 32, v6
	v_lshrrev_b16_e32 v3, 3, v3
	v_subrev_u32_e32 v7, 28, v6
	v_and_b32_e32 v3, 15, v3
	v_lshlrev_b32_e32 v7, v7, v5
	v_sub_u32_e32 v6, 29, v6
	v_and_b32_e32 v7, 7, v7
	v_cmp_eq_u16_e32 vcc, 0, v3
	v_cndmask_b32_e32 v4, v4, v7, vcc
	v_cndmask_b32_e32 v3, v3, v6, vcc
	v_lshlrev_b32_e32 v6, 24, v5
	v_mov_b32_e32 v7, 0x3b800000
	v_lshlrev_b32_e32 v4, 20, v4
	v_and_b32_e32 v6, 0x80000000, v6
	v_lshl_add_u32 v3, v3, 23, v7
	v_or3_b32 v3, v6, v3, v4
.LBB2_2152:
	s_or_b64 exec, exec, s[6:7]
	s_nop 0
	v_mfma_f32_16x16x4f32 a[0:3], v2, v3, a[0:3]
	v_lshrrev_b32_e32 v3, 8, v9
	s_movk_i32 s4, 0x7f
	v_cmp_gt_i16_sdwa s[6:7], v3, s4 src0_sel:BYTE_0 src1_sel:DWORD
	s_mov_b64 s[4:5], 0
                                        ; implicit-def: $sgpr10
	s_and_saveexec_b64 s[8:9], s[6:7]
	s_xor_b64 s[6:7], exec, s[8:9]
	s_cbranch_execz .LBB2_2153
; %bb.37993:
	s_getpc_b64 s[14:15]
.Lpost_getpc22580:
	s_add_u32 s14, s14, (.LBB2_16489-.Lpost_getpc22580)&4294967295
	s_addc_u32 s15, s15, (.LBB2_16489-.Lpost_getpc22580)>>32
	s_setpc_b64 s[14:15]
.LBB2_2153:
	s_or_saveexec_b64 s[6:7], s[6:7]
	v_mov_b32_e32 v2, s10
	s_xor_b64 exec, exec, s[6:7]
	s_cbranch_execz .LBB2_2154
; %bb.37995:
	s_getpc_b64 s[14:15]
.Lpost_getpc22581:
	s_add_u32 s14, s14, (.LBB2_16492-.Lpost_getpc22581)&4294967295
	s_addc_u32 s15, s15, (.LBB2_16492-.Lpost_getpc22581)>>32
	s_setpc_b64 s[14:15]
.LBB2_2154:
	s_or_b64 exec, exec, s[6:7]
	s_and_saveexec_b64 s[6:7], s[4:5]
	s_cbranch_execz .LBB2_2156
.LBB2_2155:
	v_bfe_u32 v2, v9, 8, 3
	v_ffbh_u32_e32 v6, v2
	v_min_u32_e32 v6, 32, v6
	v_lshrrev_b16_e32 v4, 3, v3
	v_subrev_u32_e32 v7, 28, v6
	v_and_b32_e32 v4, 15, v4
	v_lshlrev_b32_e32 v3, v7, v3
	v_sub_u32_e32 v6, 29, v6
	v_and_b32_e32 v3, 7, v3
	v_cmp_eq_u16_e32 vcc, 0, v4
	v_cndmask_b32_e32 v2, v2, v3, vcc
	v_cndmask_b32_e32 v3, v4, v6, vcc
	v_lshlrev_b32_e32 v4, 16, v9
	v_mov_b32_e32 v6, 0x3b800000
	v_lshlrev_b32_e32 v2, 20, v2
	v_and_b32_e32 v4, 0x80000000, v4
	v_lshl_add_u32 v3, v3, 23, v6
	v_or3_b32 v2, v4, v3, v2
.LBB2_2156:
	s_or_b64 exec, exec, s[6:7]
	v_lshrrev_b32_e32 v3, 8, v5
	s_movk_i32 s4, 0x7f
	v_cmp_gt_i16_sdwa s[6:7], v3, s4 src0_sel:BYTE_0 src1_sel:DWORD
	s_mov_b64 s[4:5], 0
                                        ; implicit-def: $sgpr10
	s_and_saveexec_b64 s[8:9], s[6:7]
	s_xor_b64 s[6:7], exec, s[8:9]
	s_cbranch_execz .LBB2_2157
; %bb.37997:
	s_getpc_b64 s[14:15]
.Lpost_getpc22582:
	s_add_u32 s14, s14, (.LBB2_16493-.Lpost_getpc22582)&4294967295
	s_addc_u32 s15, s15, (.LBB2_16493-.Lpost_getpc22582)>>32
	s_setpc_b64 s[14:15]
.LBB2_2157:
	s_or_saveexec_b64 s[6:7], s[6:7]
	v_mov_b32_e32 v4, s10
	s_xor_b64 exec, exec, s[6:7]
	s_cbranch_execz .LBB2_2158
; %bb.37999:
	s_getpc_b64 s[14:15]
.Lpost_getpc22583:
	s_add_u32 s14, s14, (.LBB2_16496-.Lpost_getpc22583)&4294967295
	s_addc_u32 s15, s15, (.LBB2_16496-.Lpost_getpc22583)>>32
	s_setpc_b64 s[14:15]
.LBB2_2158:
	s_or_b64 exec, exec, s[6:7]
	s_and_saveexec_b64 s[6:7], s[4:5]
	s_cbranch_execz .LBB2_2160
.LBB2_2159:
	v_bfe_u32 v4, v5, 8, 3
	v_ffbh_u32_e32 v7, v4
	v_min_u32_e32 v7, 32, v7
	v_lshrrev_b16_e32 v6, 3, v3
	v_subrev_u32_e32 v8, 28, v7
	v_and_b32_e32 v6, 15, v6
	v_lshlrev_b32_e32 v3, v8, v3
	v_sub_u32_e32 v7, 29, v7
	v_and_b32_e32 v3, 7, v3
	v_cmp_eq_u16_e32 vcc, 0, v6
	v_cndmask_b32_e32 v3, v4, v3, vcc
	v_cndmask_b32_e32 v4, v6, v7, vcc
	v_lshlrev_b32_e32 v6, 16, v5
	v_mov_b32_e32 v7, 0x3b800000
	v_lshlrev_b32_e32 v3, 20, v3
	v_and_b32_e32 v6, 0x80000000, v6
	v_lshl_add_u32 v4, v4, 23, v7
	v_or3_b32 v4, v6, v4, v3
.LBB2_2160:
	s_or_b64 exec, exec, s[6:7]
	s_nop 0
	v_mfma_f32_16x16x4f32 a[0:3], v2, v4, a[0:3]
	s_movk_i32 s4, 0xff
	v_and_b32_sdwa v3, v9, s4 dst_sel:DWORD dst_unused:UNUSED_PAD src0_sel:WORD_1 src1_sel:DWORD
	s_movk_i32 s4, 0x7f
	v_cmp_lt_i16_e32 vcc, s4, v3
	s_mov_b64 s[4:5], 0
                                        ; implicit-def: $sgpr10
	s_and_saveexec_b64 s[6:7], vcc
	s_xor_b64 s[6:7], exec, s[6:7]
	s_cbranch_execz .LBB2_2161
; %bb.38001:
	s_getpc_b64 s[14:15]
.Lpost_getpc22584:
	s_add_u32 s14, s14, (.LBB2_16497-.Lpost_getpc22584)&4294967295
	s_addc_u32 s15, s15, (.LBB2_16497-.Lpost_getpc22584)>>32
	s_setpc_b64 s[14:15]
.LBB2_2161:
	s_or_saveexec_b64 s[6:7], s[6:7]
	v_mov_b32_e32 v2, s10
	s_xor_b64 exec, exec, s[6:7]
	s_cbranch_execz .LBB2_2162
; %bb.38003:
	s_getpc_b64 s[14:15]
.Lpost_getpc22585:
	s_add_u32 s14, s14, (.LBB2_16500-.Lpost_getpc22585)&4294967295
	s_addc_u32 s15, s15, (.LBB2_16500-.Lpost_getpc22585)>>32
	s_setpc_b64 s[14:15]
.LBB2_2162:
	s_or_b64 exec, exec, s[6:7]
	s_and_saveexec_b64 s[6:7], s[4:5]
	s_cbranch_execz .LBB2_2164
.LBB2_2163:
	v_bfe_u32 v2, v9, 16, 3
	v_ffbh_u32_e32 v6, v2
	v_min_u32_e32 v6, 32, v6
	v_lshrrev_b32_e32 v3, 19, v9
	v_subrev_u32_e32 v7, 28, v6
	v_and_b32_e32 v3, 15, v3
	v_lshlrev_b32_sdwa v7, v7, v9 dst_sel:DWORD dst_unused:UNUSED_PAD src0_sel:DWORD src1_sel:WORD_1
	v_bfe_u32 v4, v9, 19, 4
	v_sub_u32_e32 v6, 29, v6
	v_and_b32_e32 v7, 7, v7
	v_cmp_eq_u16_e32 vcc, 0, v3
	v_cndmask_b32_e32 v2, v2, v7, vcc
	v_cndmask_b32_e32 v3, v4, v6, vcc
	v_lshlrev_b32_e32 v4, 8, v9
	v_mov_b32_e32 v6, 0x3b800000
	v_lshlrev_b32_e32 v2, 20, v2
	v_and_b32_e32 v4, 0x80000000, v4
	v_lshl_add_u32 v3, v3, 23, v6
	v_or3_b32 v2, v4, v3, v2
.LBB2_2164:
	s_or_b64 exec, exec, s[6:7]
	s_movk_i32 s4, 0xff
	v_and_b32_sdwa v3, v5, s4 dst_sel:DWORD dst_unused:UNUSED_PAD src0_sel:WORD_1 src1_sel:DWORD
	s_movk_i32 s4, 0x7f
	v_cmp_lt_i16_e32 vcc, s4, v3
	s_mov_b64 s[4:5], 0
                                        ; implicit-def: $sgpr10
	s_and_saveexec_b64 s[6:7], vcc
	s_xor_b64 s[6:7], exec, s[6:7]
	s_cbranch_execz .LBB2_2165
; %bb.38005:
	s_getpc_b64 s[14:15]
.Lpost_getpc22586:
	s_add_u32 s14, s14, (.LBB2_16501-.Lpost_getpc22586)&4294967295
	s_addc_u32 s15, s15, (.LBB2_16501-.Lpost_getpc22586)>>32
	s_setpc_b64 s[14:15]
.LBB2_2165:
	s_or_saveexec_b64 s[6:7], s[6:7]
	v_mov_b32_e32 v4, s10
	s_xor_b64 exec, exec, s[6:7]
	s_cbranch_execz .LBB2_2166
; %bb.38007:
	s_getpc_b64 s[14:15]
.Lpost_getpc22587:
	s_add_u32 s14, s14, (.LBB2_16504-.Lpost_getpc22587)&4294967295
	s_addc_u32 s15, s15, (.LBB2_16504-.Lpost_getpc22587)>>32
	s_setpc_b64 s[14:15]
.LBB2_2166:
	s_or_b64 exec, exec, s[6:7]
	s_and_saveexec_b64 s[6:7], s[4:5]
	s_cbranch_execz .LBB2_2168
.LBB2_2167:
	v_bfe_u32 v3, v5, 16, 3
	v_ffbh_u32_e32 v7, v3
	v_min_u32_e32 v7, 32, v7
	v_lshrrev_b32_e32 v4, 19, v5
	v_subrev_u32_e32 v8, 28, v7
	v_and_b32_e32 v4, 15, v4
	v_lshlrev_b32_sdwa v8, v8, v5 dst_sel:DWORD dst_unused:UNUSED_PAD src0_sel:DWORD src1_sel:WORD_1
	v_bfe_u32 v6, v5, 19, 4
	v_sub_u32_e32 v7, 29, v7
	v_and_b32_e32 v8, 7, v8
	v_cmp_eq_u16_e32 vcc, 0, v4
	v_cndmask_b32_e32 v3, v3, v8, vcc
	v_cndmask_b32_e32 v4, v6, v7, vcc
	v_lshlrev_b32_e32 v6, 8, v5
	v_mov_b32_e32 v7, 0x3b800000
	v_lshlrev_b32_e32 v3, 20, v3
	v_and_b32_e32 v6, 0x80000000, v6
	v_lshl_add_u32 v4, v4, 23, v7
	v_or3_b32 v4, v6, v4, v3
.LBB2_2168:
	s_or_b64 exec, exec, s[6:7]
	s_nop 0
	v_mfma_f32_16x16x4f32 a[0:3], v2, v4, a[0:3]
	s_movk_i32 s4, 0x7f
	v_cmp_gt_i16_sdwa s[6:7], v9, s4 src0_sel:BYTE_3 src1_sel:DWORD
	s_mov_b64 s[4:5], 0
                                        ; implicit-def: $sgpr10
	s_and_saveexec_b64 s[8:9], s[6:7]
	s_xor_b64 s[6:7], exec, s[8:9]
	s_cbranch_execz .LBB2_2169
; %bb.38009:
	s_getpc_b64 s[14:15]
.Lpost_getpc22588:
	s_add_u32 s14, s14, (.LBB2_16505-.Lpost_getpc22588)&4294967295
	s_addc_u32 s15, s15, (.LBB2_16505-.Lpost_getpc22588)>>32
	s_setpc_b64 s[14:15]
.LBB2_2169:
	s_or_saveexec_b64 s[6:7], s[6:7]
	v_mov_b32_e32 v2, s10
	s_xor_b64 exec, exec, s[6:7]
	s_cbranch_execz .LBB2_2170
; %bb.38011:
	s_getpc_b64 s[14:15]
.Lpost_getpc22589:
	s_add_u32 s14, s14, (.LBB2_16508-.Lpost_getpc22589)&4294967295
	s_addc_u32 s15, s15, (.LBB2_16508-.Lpost_getpc22589)>>32
	s_setpc_b64 s[14:15]
.LBB2_2170:
	s_or_b64 exec, exec, s[6:7]
	s_and_saveexec_b64 s[6:7], s[4:5]
	s_cbranch_execz .LBB2_2172
.LBB2_2171:
	v_bfe_u32 v2, v9, 24, 3
	v_ffbh_u32_e32 v7, v2
	v_min_u32_e32 v7, 32, v7
	v_lshrrev_b32_e32 v4, 27, v9
	v_subrev_u32_e32 v8, 28, v7
	v_and_b32_e32 v4, 15, v4
	v_lshlrev_b32_sdwa v8, v8, v9 dst_sel:DWORD dst_unused:UNUSED_PAD src0_sel:DWORD src1_sel:BYTE_3
	v_bfe_u32 v6, v9, 27, 4
	v_sub_u32_e32 v7, 29, v7
	v_and_b32_e32 v8, 7, v8
	v_cmp_eq_u16_e32 vcc, 0, v4
	v_cndmask_b32_e32 v2, v2, v8, vcc
	v_cndmask_b32_e32 v4, v6, v7, vcc
	v_mov_b32_e32 v6, 0x3b800000
	v_and_b32_e32 v3, 0x80000000, v9
	v_lshlrev_b32_e32 v2, 20, v2
	v_lshl_add_u32 v4, v4, 23, v6
	v_or3_b32 v2, v3, v4, v2
.LBB2_2172:
	s_or_b64 exec, exec, s[6:7]
	s_movk_i32 s4, 0x7f
	v_cmp_gt_i16_sdwa s[6:7], v5, s4 src0_sel:BYTE_3 src1_sel:DWORD
	s_mov_b64 s[4:5], 0
                                        ; implicit-def: $sgpr10
	s_and_saveexec_b64 s[8:9], s[6:7]
	s_xor_b64 s[6:7], exec, s[8:9]
	s_cbranch_execz .LBB2_2173
; %bb.38013:
	s_getpc_b64 s[14:15]
.Lpost_getpc22590:
	s_add_u32 s14, s14, (.LBB2_16509-.Lpost_getpc22590)&4294967295
	s_addc_u32 s15, s15, (.LBB2_16509-.Lpost_getpc22590)>>32
	s_setpc_b64 s[14:15]
.LBB2_2173:
	s_or_saveexec_b64 s[6:7], s[6:7]
	v_mov_b32_e32 v3, s10
	s_xor_b64 exec, exec, s[6:7]
	s_cbranch_execz .LBB2_2174
; %bb.38015:
	s_getpc_b64 s[14:15]
.Lpost_getpc22591:
	s_add_u32 s14, s14, (.LBB2_16512-.Lpost_getpc22591)&4294967295
	s_addc_u32 s15, s15, (.LBB2_16512-.Lpost_getpc22591)>>32
	s_setpc_b64 s[14:15]
.LBB2_2174:
	s_or_b64 exec, exec, s[6:7]
	s_and_saveexec_b64 s[6:7], s[4:5]
	s_cbranch_execz .LBB2_2176
.LBB2_2175:
	v_bfe_u32 v3, v5, 24, 3
	v_ffbh_u32_e32 v8, v3
	v_min_u32_e32 v8, 32, v8
	v_lshrrev_b32_e32 v6, 27, v5
	v_subrev_u32_e32 v9, 28, v8
	v_and_b32_e32 v4, 0x80000000, v5
	v_and_b32_e32 v6, 15, v6
	v_bfe_u32 v7, v5, 27, 4
	v_lshlrev_b32_sdwa v5, v9, v5 dst_sel:DWORD dst_unused:UNUSED_PAD src0_sel:DWORD src1_sel:BYTE_3
	v_sub_u32_e32 v8, 29, v8
	v_and_b32_e32 v5, 7, v5
	v_cmp_eq_u16_e32 vcc, 0, v6
	v_cndmask_b32_e32 v3, v3, v5, vcc
	v_cndmask_b32_e32 v5, v7, v8, vcc
	v_mov_b32_e32 v6, 0x3b800000
	v_lshlrev_b32_e32 v3, 20, v3
	v_lshl_add_u32 v5, v5, 23, v6
	v_or3_b32 v3, v4, v5, v3
.LBB2_2176:
	s_or_b64 exec, exec, s[6:7]
	s_nop 0
	v_mfma_f32_16x16x4f32 a[0:3], v2, v3, a[0:3]
	s_movk_i32 s4, 0x7f
                                        ; implicit-def: $sgpr10
	s_nop 7
	s_nop 1
	flat_store_dwordx4 v[10:11], a[0:3] offset:256
	flat_load_dwordx4 v[12:15], v[0:1]
	s_nop 0
	flat_load_dwordx2 v[10:11], v[0:1] offset:16
	s_waitcnt vmcnt(0) lgkmcnt(0)
	flat_load_dwordx4 v[6:9], v[12:13] offset:32
	flat_load_dwordx4 v[2:5], v[14:15] offset:16
	s_waitcnt vmcnt(0) lgkmcnt(0)
	v_cmp_gt_i16_sdwa s[6:7], v6, s4 src0_sel:BYTE_0 src1_sel:DWORD
	s_mov_b64 s[4:5], 0
	s_and_saveexec_b64 s[8:9], s[6:7]
	s_xor_b64 s[6:7], exec, s[8:9]
	s_cbranch_execz .LBB2_2177
; %bb.38017:
	s_getpc_b64 s[14:15]
.Lpost_getpc22592:
	s_add_u32 s14, s14, (.LBB2_16513-.Lpost_getpc22592)&4294967295
	s_addc_u32 s15, s15, (.LBB2_16513-.Lpost_getpc22592)>>32
	s_setpc_b64 s[14:15]
.LBB2_2177:
	s_or_saveexec_b64 s[6:7], s[6:7]
	v_mov_b32_e32 v12, s10
	s_xor_b64 exec, exec, s[6:7]
	s_cbranch_execz .LBB2_2178
; %bb.38019:
	s_getpc_b64 s[14:15]
.Lpost_getpc22593:
	s_add_u32 s14, s14, (.LBB2_16516-.Lpost_getpc22593)&4294967295
	s_addc_u32 s15, s15, (.LBB2_16516-.Lpost_getpc22593)>>32
	s_setpc_b64 s[14:15]
.LBB2_2178:
	s_or_b64 exec, exec, s[6:7]
	s_and_saveexec_b64 s[6:7], s[4:5]
	s_cbranch_execz .LBB2_2180
.LBB2_2179:
	v_and_b32_e32 v12, 7, v6
	v_ffbh_u32_e32 v14, v12
	v_min_u32_e32 v14, 32, v14
	v_lshrrev_b16_e32 v13, 3, v6
	v_subrev_u32_e32 v15, 28, v14
	v_and_b32_e32 v13, 15, v13
	v_lshlrev_b32_e32 v15, v15, v6
	v_sub_u32_e32 v14, 29, v14
	v_and_b32_e32 v15, 7, v15
	v_cmp_eq_u16_e32 vcc, 0, v13
	v_cndmask_b32_e32 v12, v12, v15, vcc
	v_cndmask_b32_e32 v13, v13, v14, vcc
	v_lshlrev_b32_e32 v14, 24, v6
	v_mov_b32_e32 v15, 0x3b800000
	v_lshlrev_b32_e32 v12, 20, v12
	v_and_b32_e32 v14, 0x80000000, v14
	v_lshl_add_u32 v13, v13, 23, v15
	v_or3_b32 v12, v14, v13, v12
.LBB2_2180:
	s_or_b64 exec, exec, s[6:7]
	s_movk_i32 s4, 0x7f
	v_cmp_gt_i16_sdwa s[6:7], v2, s4 src0_sel:BYTE_0 src1_sel:DWORD
	s_mov_b64 s[4:5], 0
                                        ; implicit-def: $sgpr10
	s_and_saveexec_b64 s[8:9], s[6:7]
	s_xor_b64 s[6:7], exec, s[8:9]
	s_cbranch_execz .LBB2_2181
; %bb.38021:
	s_getpc_b64 s[14:15]
.Lpost_getpc22594:
	s_add_u32 s14, s14, (.LBB2_16517-.Lpost_getpc22594)&4294967295
	s_addc_u32 s15, s15, (.LBB2_16517-.Lpost_getpc22594)>>32
	s_setpc_b64 s[14:15]
.LBB2_2181:
	s_or_saveexec_b64 s[6:7], s[6:7]
	v_mov_b32_e32 v13, s10
	s_xor_b64 exec, exec, s[6:7]
	s_cbranch_execz .LBB2_2182
; %bb.38023:
	s_getpc_b64 s[14:15]
.Lpost_getpc22595:
	s_add_u32 s14, s14, (.LBB2_16520-.Lpost_getpc22595)&4294967295
	s_addc_u32 s15, s15, (.LBB2_16520-.Lpost_getpc22595)>>32
	s_setpc_b64 s[14:15]
.LBB2_2182:
	s_or_b64 exec, exec, s[6:7]
	s_and_saveexec_b64 s[6:7], s[4:5]
	s_cbranch_execz .LBB2_2184
.LBB2_2183:
	v_and_b32_e32 v13, 7, v2
	v_ffbh_u32_e32 v15, v13
	v_min_u32_e32 v15, 32, v15
	v_lshrrev_b16_e32 v14, 3, v2
	v_subrev_u32_e32 v16, 28, v15
	v_and_b32_e32 v14, 15, v14
	v_lshlrev_b32_e32 v16, v16, v2
	v_sub_u32_e32 v15, 29, v15
	v_and_b32_e32 v16, 7, v16
	v_cmp_eq_u16_e32 vcc, 0, v14
	v_cndmask_b32_e32 v13, v13, v16, vcc
	v_cndmask_b32_e32 v14, v14, v15, vcc
	v_lshlrev_b32_e32 v15, 24, v2
	v_mov_b32_e32 v16, 0x3b800000
	v_lshlrev_b32_e32 v13, 20, v13
	v_and_b32_e32 v15, 0x80000000, v15
	v_lshl_add_u32 v14, v14, 23, v16
	v_or3_b32 v13, v15, v14, v13
.LBB2_2184:
	s_or_b64 exec, exec, s[6:7]
	flat_load_dwordx4 a[0:3], v[10:11] offset:272
	s_movk_i32 s4, 0x7f
                                        ; implicit-def: $sgpr10
	s_waitcnt vmcnt(0) lgkmcnt(0)
	v_mfma_f32_16x16x4f32 a[0:3], v12, v13, a[0:3]
	v_lshrrev_b32_e32 v13, 8, v6
	v_cmp_gt_i16_sdwa s[6:7], v13, s4 src0_sel:BYTE_0 src1_sel:DWORD
	s_mov_b64 s[4:5], 0
	s_and_saveexec_b64 s[8:9], s[6:7]
	s_xor_b64 s[6:7], exec, s[8:9]
	s_cbranch_execz .LBB2_2185
; %bb.38025:
	s_getpc_b64 s[14:15]
.Lpost_getpc22596:
	s_add_u32 s14, s14, (.LBB2_16521-.Lpost_getpc22596)&4294967295
	s_addc_u32 s15, s15, (.LBB2_16521-.Lpost_getpc22596)>>32
	s_setpc_b64 s[14:15]
.LBB2_2185:
	s_or_saveexec_b64 s[6:7], s[6:7]
	v_mov_b32_e32 v12, s10
	s_xor_b64 exec, exec, s[6:7]
	s_cbranch_execz .LBB2_2186
; %bb.38027:
	s_getpc_b64 s[14:15]
.Lpost_getpc22597:
	s_add_u32 s14, s14, (.LBB2_16524-.Lpost_getpc22597)&4294967295
	s_addc_u32 s15, s15, (.LBB2_16524-.Lpost_getpc22597)>>32
	s_setpc_b64 s[14:15]
.LBB2_2186:
	s_or_b64 exec, exec, s[6:7]
	s_and_saveexec_b64 s[6:7], s[4:5]
	s_cbranch_execz .LBB2_2188
.LBB2_2187:
	v_bfe_u32 v12, v6, 8, 3
	v_ffbh_u32_e32 v15, v12
	v_min_u32_e32 v15, 32, v15
	v_lshrrev_b16_e32 v14, 3, v13
	v_subrev_u32_e32 v16, 28, v15
	v_and_b32_e32 v14, 15, v14
	v_lshlrev_b32_e32 v13, v16, v13
	v_sub_u32_e32 v15, 29, v15
	v_and_b32_e32 v13, 7, v13
	v_cmp_eq_u16_e32 vcc, 0, v14
	v_cndmask_b32_e32 v12, v12, v13, vcc
	v_cndmask_b32_e32 v13, v14, v15, vcc
	v_lshlrev_b32_e32 v14, 16, v6
	v_mov_b32_e32 v15, 0x3b800000
	v_lshlrev_b32_e32 v12, 20, v12
	v_and_b32_e32 v14, 0x80000000, v14
	v_lshl_add_u32 v13, v13, 23, v15
	v_or3_b32 v12, v14, v13, v12
.LBB2_2188:
	s_or_b64 exec, exec, s[6:7]
	v_lshrrev_b32_e32 v13, 8, v2
	s_movk_i32 s4, 0x7f
	v_cmp_gt_i16_sdwa s[6:7], v13, s4 src0_sel:BYTE_0 src1_sel:DWORD
	s_mov_b64 s[4:5], 0
                                        ; implicit-def: $sgpr10
	s_and_saveexec_b64 s[8:9], s[6:7]
	s_xor_b64 s[6:7], exec, s[8:9]
	s_cbranch_execz .LBB2_2189
; %bb.38029:
	s_getpc_b64 s[14:15]
.Lpost_getpc22598:
	s_add_u32 s14, s14, (.LBB2_16525-.Lpost_getpc22598)&4294967295
	s_addc_u32 s15, s15, (.LBB2_16525-.Lpost_getpc22598)>>32
	s_setpc_b64 s[14:15]
.LBB2_2189:
	s_or_saveexec_b64 s[6:7], s[6:7]
	v_mov_b32_e32 v14, s10
	s_xor_b64 exec, exec, s[6:7]
	s_cbranch_execz .LBB2_2190
; %bb.38031:
	s_getpc_b64 s[14:15]
.Lpost_getpc22599:
	s_add_u32 s14, s14, (.LBB2_16528-.Lpost_getpc22599)&4294967295
	s_addc_u32 s15, s15, (.LBB2_16528-.Lpost_getpc22599)>>32
	s_setpc_b64 s[14:15]
.LBB2_2190:
	s_or_b64 exec, exec, s[6:7]
	s_and_saveexec_b64 s[6:7], s[4:5]
	s_cbranch_execz .LBB2_2192
.LBB2_2191:
	v_bfe_u32 v14, v2, 8, 3
	v_ffbh_u32_e32 v16, v14
	v_min_u32_e32 v16, 32, v16
	v_lshrrev_b16_e32 v15, 3, v13
	v_subrev_u32_e32 v17, 28, v16
	v_and_b32_e32 v15, 15, v15
	v_lshlrev_b32_e32 v13, v17, v13
	v_sub_u32_e32 v16, 29, v16
	v_and_b32_e32 v13, 7, v13
	v_cmp_eq_u16_e32 vcc, 0, v15
	v_cndmask_b32_e32 v13, v14, v13, vcc
	v_cndmask_b32_e32 v14, v15, v16, vcc
	v_lshlrev_b32_e32 v15, 16, v2
	v_mov_b32_e32 v16, 0x3b800000
	v_lshlrev_b32_e32 v13, 20, v13
	v_and_b32_e32 v15, 0x80000000, v15
	v_lshl_add_u32 v14, v14, 23, v16
	v_or3_b32 v14, v15, v14, v13
.LBB2_2192:
	s_or_b64 exec, exec, s[6:7]
	s_nop 0
	v_mfma_f32_16x16x4f32 a[0:3], v12, v14, a[0:3]
	s_movk_i32 s4, 0xff
	v_and_b32_sdwa v13, v6, s4 dst_sel:DWORD dst_unused:UNUSED_PAD src0_sel:WORD_1 src1_sel:DWORD
	s_movk_i32 s4, 0x7f
	v_cmp_lt_i16_e32 vcc, s4, v13
	s_mov_b64 s[4:5], 0
                                        ; implicit-def: $sgpr10
	s_and_saveexec_b64 s[6:7], vcc
	s_xor_b64 s[6:7], exec, s[6:7]
	s_cbranch_execz .LBB2_2193
; %bb.38033:
	s_getpc_b64 s[14:15]
.Lpost_getpc22600:
	s_add_u32 s14, s14, (.LBB2_16529-.Lpost_getpc22600)&4294967295
	s_addc_u32 s15, s15, (.LBB2_16529-.Lpost_getpc22600)>>32
	s_setpc_b64 s[14:15]
.LBB2_2193:
	s_or_saveexec_b64 s[6:7], s[6:7]
	v_mov_b32_e32 v12, s10
	s_xor_b64 exec, exec, s[6:7]
	s_cbranch_execz .LBB2_2194
; %bb.38035:
	s_getpc_b64 s[14:15]
.Lpost_getpc22601:
	s_add_u32 s14, s14, (.LBB2_16532-.Lpost_getpc22601)&4294967295
	s_addc_u32 s15, s15, (.LBB2_16532-.Lpost_getpc22601)>>32
	s_setpc_b64 s[14:15]
.LBB2_2194:
	s_or_b64 exec, exec, s[6:7]
	s_and_saveexec_b64 s[6:7], s[4:5]
	s_cbranch_execz .LBB2_2196
.LBB2_2195:
	v_bfe_u32 v12, v6, 16, 3
	v_ffbh_u32_e32 v15, v12
	v_min_u32_e32 v15, 32, v15
	v_lshrrev_b32_e32 v13, 19, v6
	v_subrev_u32_e32 v16, 28, v15
	v_and_b32_e32 v13, 15, v13
	v_lshlrev_b32_sdwa v16, v16, v6 dst_sel:DWORD dst_unused:UNUSED_PAD src0_sel:DWORD src1_sel:WORD_1
	v_bfe_u32 v14, v6, 19, 4
	v_sub_u32_e32 v15, 29, v15
	v_and_b32_e32 v16, 7, v16
	v_cmp_eq_u16_e32 vcc, 0, v13
	v_cndmask_b32_e32 v12, v12, v16, vcc
	v_cndmask_b32_e32 v13, v14, v15, vcc
	v_lshlrev_b32_e32 v14, 8, v6
	v_mov_b32_e32 v15, 0x3b800000
	v_lshlrev_b32_e32 v12, 20, v12
	v_and_b32_e32 v14, 0x80000000, v14
	v_lshl_add_u32 v13, v13, 23, v15
	v_or3_b32 v12, v14, v13, v12
.LBB2_2196:
	s_or_b64 exec, exec, s[6:7]
	s_movk_i32 s4, 0xff
	v_and_b32_sdwa v13, v2, s4 dst_sel:DWORD dst_unused:UNUSED_PAD src0_sel:WORD_1 src1_sel:DWORD
	s_movk_i32 s4, 0x7f
	v_cmp_lt_i16_e32 vcc, s4, v13
	s_mov_b64 s[4:5], 0
                                        ; implicit-def: $sgpr10
	s_and_saveexec_b64 s[6:7], vcc
	s_xor_b64 s[6:7], exec, s[6:7]
	s_cbranch_execz .LBB2_2197
; %bb.38037:
	s_getpc_b64 s[14:15]
.Lpost_getpc22602:
	s_add_u32 s14, s14, (.LBB2_16533-.Lpost_getpc22602)&4294967295
	s_addc_u32 s15, s15, (.LBB2_16533-.Lpost_getpc22602)>>32
	s_setpc_b64 s[14:15]
.LBB2_2197:
	s_or_saveexec_b64 s[6:7], s[6:7]
	v_mov_b32_e32 v14, s10
	s_xor_b64 exec, exec, s[6:7]
	s_cbranch_execz .LBB2_2198
; %bb.38039:
	s_getpc_b64 s[14:15]
.Lpost_getpc22603:
	s_add_u32 s14, s14, (.LBB2_16536-.Lpost_getpc22603)&4294967295
	s_addc_u32 s15, s15, (.LBB2_16536-.Lpost_getpc22603)>>32
	s_setpc_b64 s[14:15]
.LBB2_2198:
	s_or_b64 exec, exec, s[6:7]
	s_and_saveexec_b64 s[6:7], s[4:5]
	s_cbranch_execz .LBB2_2200
.LBB2_2199:
	v_bfe_u32 v13, v2, 16, 3
	v_ffbh_u32_e32 v16, v13
	v_min_u32_e32 v16, 32, v16
	v_lshrrev_b32_e32 v14, 19, v2
	v_subrev_u32_e32 v17, 28, v16
	v_and_b32_e32 v14, 15, v14
	v_lshlrev_b32_sdwa v17, v17, v2 dst_sel:DWORD dst_unused:UNUSED_PAD src0_sel:DWORD src1_sel:WORD_1
	v_bfe_u32 v15, v2, 19, 4
	v_sub_u32_e32 v16, 29, v16
	v_and_b32_e32 v17, 7, v17
	v_cmp_eq_u16_e32 vcc, 0, v14
	v_cndmask_b32_e32 v13, v13, v17, vcc
	v_cndmask_b32_e32 v14, v15, v16, vcc
	v_lshlrev_b32_e32 v15, 8, v2
	v_mov_b32_e32 v16, 0x3b800000
	v_lshlrev_b32_e32 v13, 20, v13
	v_and_b32_e32 v15, 0x80000000, v15
	v_lshl_add_u32 v14, v14, 23, v16
	v_or3_b32 v14, v15, v14, v13
.LBB2_2200:
	s_or_b64 exec, exec, s[6:7]
	s_nop 0
	v_mfma_f32_16x16x4f32 a[0:3], v12, v14, a[0:3]
	s_movk_i32 s4, 0x7f
	v_cmp_gt_i16_sdwa s[6:7], v6, s4 src0_sel:BYTE_3 src1_sel:DWORD
	s_mov_b64 s[4:5], 0
                                        ; implicit-def: $sgpr10
	s_and_saveexec_b64 s[8:9], s[6:7]
	s_xor_b64 s[6:7], exec, s[8:9]
	s_cbranch_execz .LBB2_2201
; %bb.38041:
	s_getpc_b64 s[14:15]
.Lpost_getpc22604:
	s_add_u32 s14, s14, (.LBB2_16537-.Lpost_getpc22604)&4294967295
	s_addc_u32 s15, s15, (.LBB2_16537-.Lpost_getpc22604)>>32
	s_setpc_b64 s[14:15]
.LBB2_2201:
	s_or_saveexec_b64 s[6:7], s[6:7]
	v_mov_b32_e32 v12, s10
	s_xor_b64 exec, exec, s[6:7]
	s_cbranch_execz .LBB2_2202
; %bb.38043:
	s_getpc_b64 s[14:15]
.Lpost_getpc22605:
	s_add_u32 s14, s14, (.LBB2_16540-.Lpost_getpc22605)&4294967295
	s_addc_u32 s15, s15, (.LBB2_16540-.Lpost_getpc22605)>>32
	s_setpc_b64 s[14:15]
.LBB2_2202:
	s_or_b64 exec, exec, s[6:7]
	s_and_saveexec_b64 s[6:7], s[4:5]
	s_cbranch_execz .LBB2_2204
.LBB2_2203:
	v_bfe_u32 v12, v6, 24, 3
	v_ffbh_u32_e32 v16, v12
	v_min_u32_e32 v16, 32, v16
	v_lshrrev_b32_e32 v14, 27, v6
	v_subrev_u32_e32 v17, 28, v16
	v_and_b32_e32 v13, 0x80000000, v6
	v_and_b32_e32 v14, 15, v14
	v_bfe_u32 v15, v6, 27, 4
	v_lshlrev_b32_sdwa v6, v17, v6 dst_sel:DWORD dst_unused:UNUSED_PAD src0_sel:DWORD src1_sel:BYTE_3
	v_sub_u32_e32 v16, 29, v16
	v_and_b32_e32 v6, 7, v6
	v_cmp_eq_u16_e32 vcc, 0, v14
	v_cndmask_b32_e32 v6, v12, v6, vcc
	v_cndmask_b32_e32 v12, v15, v16, vcc
	v_mov_b32_e32 v14, 0x3b800000
	v_lshlrev_b32_e32 v6, 20, v6
	v_lshl_add_u32 v12, v12, 23, v14
	v_or3_b32 v12, v13, v12, v6
.LBB2_2204:
	s_or_b64 exec, exec, s[6:7]
	s_movk_i32 s4, 0x7f
	v_cmp_gt_i16_sdwa s[6:7], v2, s4 src0_sel:BYTE_3 src1_sel:DWORD
	s_mov_b64 s[4:5], 0
                                        ; implicit-def: $sgpr10
	s_and_saveexec_b64 s[8:9], s[6:7]
	s_xor_b64 s[6:7], exec, s[8:9]
	s_cbranch_execz .LBB2_2205
; %bb.38045:
	s_getpc_b64 s[14:15]
.Lpost_getpc22606:
	s_add_u32 s14, s14, (.LBB2_16541-.Lpost_getpc22606)&4294967295
	s_addc_u32 s15, s15, (.LBB2_16541-.Lpost_getpc22606)>>32
	s_setpc_b64 s[14:15]
.LBB2_2205:
	s_or_saveexec_b64 s[6:7], s[6:7]
	v_mov_b32_e32 v6, s10
	s_xor_b64 exec, exec, s[6:7]
	s_cbranch_execz .LBB2_2206
; %bb.38047:
	s_getpc_b64 s[14:15]
.Lpost_getpc22607:
	s_add_u32 s14, s14, (.LBB2_16544-.Lpost_getpc22607)&4294967295
	s_addc_u32 s15, s15, (.LBB2_16544-.Lpost_getpc22607)>>32
	s_setpc_b64 s[14:15]
.LBB2_2206:
	s_or_b64 exec, exec, s[6:7]
	s_and_saveexec_b64 s[6:7], s[4:5]
	s_cbranch_execz .LBB2_2208
.LBB2_2207:
	v_bfe_u32 v6, v2, 24, 3
	v_ffbh_u32_e32 v16, v6
	v_min_u32_e32 v16, 32, v16
	v_lshrrev_b32_e32 v14, 27, v2
	v_subrev_u32_e32 v17, 28, v16
	v_and_b32_e32 v13, 0x80000000, v2
	v_and_b32_e32 v14, 15, v14
	v_bfe_u32 v15, v2, 27, 4
	v_lshlrev_b32_sdwa v2, v17, v2 dst_sel:DWORD dst_unused:UNUSED_PAD src0_sel:DWORD src1_sel:BYTE_3
	v_sub_u32_e32 v16, 29, v16
	v_and_b32_e32 v2, 7, v2
	v_cmp_eq_u16_e32 vcc, 0, v14
	v_cndmask_b32_e32 v2, v6, v2, vcc
	v_cndmask_b32_e32 v6, v15, v16, vcc
	v_mov_b32_e32 v14, 0x3b800000
	v_lshlrev_b32_e32 v2, 20, v2
	v_lshl_add_u32 v6, v6, 23, v14
	v_or3_b32 v6, v13, v6, v2
.LBB2_2208:
	s_or_b64 exec, exec, s[6:7]
	s_nop 0
	v_mfma_f32_16x16x4f32 a[0:3], v12, v6, a[0:3]
	s_movk_i32 s4, 0x7f
	v_cmp_gt_i16_sdwa s[6:7], v7, s4 src0_sel:BYTE_0 src1_sel:DWORD
	s_mov_b64 s[4:5], 0
                                        ; implicit-def: $sgpr10
	s_and_saveexec_b64 s[8:9], s[6:7]
	s_xor_b64 s[6:7], exec, s[8:9]
	s_cbranch_execz .LBB2_2209
; %bb.38049:
	s_getpc_b64 s[14:15]
.Lpost_getpc22608:
	s_add_u32 s14, s14, (.LBB2_16545-.Lpost_getpc22608)&4294967295
	s_addc_u32 s15, s15, (.LBB2_16545-.Lpost_getpc22608)>>32
	s_setpc_b64 s[14:15]
.LBB2_2209:
	s_or_saveexec_b64 s[6:7], s[6:7]
	v_mov_b32_e32 v2, s10
	s_xor_b64 exec, exec, s[6:7]
	s_cbranch_execz .LBB2_2210
; %bb.38051:
	s_getpc_b64 s[14:15]
.Lpost_getpc22609:
	s_add_u32 s14, s14, (.LBB2_16548-.Lpost_getpc22609)&4294967295
	s_addc_u32 s15, s15, (.LBB2_16548-.Lpost_getpc22609)>>32
	s_setpc_b64 s[14:15]
.LBB2_2210:
	s_or_b64 exec, exec, s[6:7]
	s_and_saveexec_b64 s[6:7], s[4:5]
	s_cbranch_execz .LBB2_2212
.LBB2_2211:
	v_and_b32_e32 v2, 7, v7
	v_ffbh_u32_e32 v12, v2
	v_min_u32_e32 v12, 32, v12
	v_lshrrev_b16_e32 v6, 3, v7
	v_subrev_u32_e32 v13, 28, v12
	v_and_b32_e32 v6, 15, v6
	v_lshlrev_b32_e32 v13, v13, v7
	v_sub_u32_e32 v12, 29, v12
	v_and_b32_e32 v13, 7, v13
	v_cmp_eq_u16_e32 vcc, 0, v6
	v_cndmask_b32_e32 v2, v2, v13, vcc
	v_cndmask_b32_e32 v6, v6, v12, vcc
	v_lshlrev_b32_e32 v12, 24, v7
	v_mov_b32_e32 v13, 0x3b800000
	v_lshlrev_b32_e32 v2, 20, v2
	v_and_b32_e32 v12, 0x80000000, v12
	v_lshl_add_u32 v6, v6, 23, v13
	v_or3_b32 v2, v12, v6, v2
.LBB2_2212:
	s_or_b64 exec, exec, s[6:7]
	s_movk_i32 s4, 0x7f
	v_cmp_gt_i16_sdwa s[6:7], v3, s4 src0_sel:BYTE_0 src1_sel:DWORD
	s_mov_b64 s[4:5], 0
                                        ; implicit-def: $sgpr10
	s_and_saveexec_b64 s[8:9], s[6:7]
	s_xor_b64 s[6:7], exec, s[8:9]
	s_cbranch_execz .LBB2_2213
; %bb.38053:
	s_getpc_b64 s[14:15]
.Lpost_getpc22610:
	s_add_u32 s14, s14, (.LBB2_16549-.Lpost_getpc22610)&4294967295
	s_addc_u32 s15, s15, (.LBB2_16549-.Lpost_getpc22610)>>32
	s_setpc_b64 s[14:15]
.LBB2_2213:
	s_or_saveexec_b64 s[6:7], s[6:7]
	v_mov_b32_e32 v6, s10
	s_xor_b64 exec, exec, s[6:7]
	s_cbranch_execz .LBB2_2214
; %bb.38055:
	s_getpc_b64 s[14:15]
.Lpost_getpc22611:
	s_add_u32 s14, s14, (.LBB2_16552-.Lpost_getpc22611)&4294967295
	s_addc_u32 s15, s15, (.LBB2_16552-.Lpost_getpc22611)>>32
	s_setpc_b64 s[14:15]
.LBB2_2214:
	s_or_b64 exec, exec, s[6:7]
	s_and_saveexec_b64 s[6:7], s[4:5]
	s_cbranch_execz .LBB2_2216
.LBB2_2215:
	v_and_b32_e32 v6, 7, v3
	v_ffbh_u32_e32 v13, v6
	v_min_u32_e32 v13, 32, v13
	v_lshrrev_b16_e32 v12, 3, v3
	v_subrev_u32_e32 v14, 28, v13
	v_and_b32_e32 v12, 15, v12
	v_lshlrev_b32_e32 v14, v14, v3
	v_sub_u32_e32 v13, 29, v13
	v_and_b32_e32 v14, 7, v14
	v_cmp_eq_u16_e32 vcc, 0, v12
	v_cndmask_b32_e32 v6, v6, v14, vcc
	v_cndmask_b32_e32 v12, v12, v13, vcc
	v_lshlrev_b32_e32 v13, 24, v3
	v_mov_b32_e32 v14, 0x3b800000
	v_lshlrev_b32_e32 v6, 20, v6
	v_and_b32_e32 v13, 0x80000000, v13
	v_lshl_add_u32 v12, v12, 23, v14
	v_or3_b32 v6, v13, v12, v6
.LBB2_2216:
	s_or_b64 exec, exec, s[6:7]
	s_nop 0
	v_mfma_f32_16x16x4f32 a[0:3], v2, v6, a[0:3]
	v_lshrrev_b32_e32 v6, 8, v7
	s_movk_i32 s4, 0x7f
	v_cmp_gt_i16_sdwa s[6:7], v6, s4 src0_sel:BYTE_0 src1_sel:DWORD
	s_mov_b64 s[4:5], 0
                                        ; implicit-def: $sgpr10
	s_and_saveexec_b64 s[8:9], s[6:7]
	s_xor_b64 s[6:7], exec, s[8:9]
	s_cbranch_execz .LBB2_2217
; %bb.38057:
	s_getpc_b64 s[14:15]
.Lpost_getpc22612:
	s_add_u32 s14, s14, (.LBB2_16553-.Lpost_getpc22612)&4294967295
	s_addc_u32 s15, s15, (.LBB2_16553-.Lpost_getpc22612)>>32
	s_setpc_b64 s[14:15]
.LBB2_2217:
	s_or_saveexec_b64 s[6:7], s[6:7]
	v_mov_b32_e32 v2, s10
	s_xor_b64 exec, exec, s[6:7]
	s_cbranch_execz .LBB2_2218
; %bb.38059:
	s_getpc_b64 s[14:15]
.Lpost_getpc22613:
	s_add_u32 s14, s14, (.LBB2_16556-.Lpost_getpc22613)&4294967295
	s_addc_u32 s15, s15, (.LBB2_16556-.Lpost_getpc22613)>>32
	s_setpc_b64 s[14:15]
.LBB2_2218:
	s_or_b64 exec, exec, s[6:7]
	s_and_saveexec_b64 s[6:7], s[4:5]
	s_cbranch_execz .LBB2_2220
.LBB2_2219:
	v_bfe_u32 v2, v7, 8, 3
	v_ffbh_u32_e32 v13, v2
	v_min_u32_e32 v13, 32, v13
	v_lshrrev_b16_e32 v12, 3, v6
	v_subrev_u32_e32 v14, 28, v13
	v_and_b32_e32 v12, 15, v12
	v_lshlrev_b32_e32 v6, v14, v6
	v_sub_u32_e32 v13, 29, v13
	v_and_b32_e32 v6, 7, v6
	v_cmp_eq_u16_e32 vcc, 0, v12
	v_cndmask_b32_e32 v2, v2, v6, vcc
	v_cndmask_b32_e32 v6, v12, v13, vcc
	v_lshlrev_b32_e32 v12, 16, v7
	v_mov_b32_e32 v13, 0x3b800000
	v_lshlrev_b32_e32 v2, 20, v2
	v_and_b32_e32 v12, 0x80000000, v12
	v_lshl_add_u32 v6, v6, 23, v13
	v_or3_b32 v2, v12, v6, v2
.LBB2_2220:
	s_or_b64 exec, exec, s[6:7]
	v_lshrrev_b32_e32 v6, 8, v3
	s_movk_i32 s4, 0x7f
	v_cmp_gt_i16_sdwa s[6:7], v6, s4 src0_sel:BYTE_0 src1_sel:DWORD
	s_mov_b64 s[4:5], 0
                                        ; implicit-def: $sgpr10
	s_and_saveexec_b64 s[8:9], s[6:7]
	s_xor_b64 s[6:7], exec, s[8:9]
	s_cbranch_execz .LBB2_2221
; %bb.38061:
	s_getpc_b64 s[14:15]
.Lpost_getpc22614:
	s_add_u32 s14, s14, (.LBB2_16557-.Lpost_getpc22614)&4294967295
	s_addc_u32 s15, s15, (.LBB2_16557-.Lpost_getpc22614)>>32
	s_setpc_b64 s[14:15]
.LBB2_2221:
	s_or_saveexec_b64 s[6:7], s[6:7]
	v_mov_b32_e32 v12, s10
	s_xor_b64 exec, exec, s[6:7]
	s_cbranch_execz .LBB2_2222
; %bb.38063:
	s_getpc_b64 s[14:15]
.Lpost_getpc22615:
	s_add_u32 s14, s14, (.LBB2_16560-.Lpost_getpc22615)&4294967295
	s_addc_u32 s15, s15, (.LBB2_16560-.Lpost_getpc22615)>>32
	s_setpc_b64 s[14:15]
.LBB2_2222:
	s_or_b64 exec, exec, s[6:7]
	s_and_saveexec_b64 s[6:7], s[4:5]
	s_cbranch_execz .LBB2_2224
.LBB2_2223:
	v_bfe_u32 v12, v3, 8, 3
	v_ffbh_u32_e32 v14, v12
	v_min_u32_e32 v14, 32, v14
	v_lshrrev_b16_e32 v13, 3, v6
	v_subrev_u32_e32 v15, 28, v14
	v_and_b32_e32 v13, 15, v13
	v_lshlrev_b32_e32 v6, v15, v6
	v_sub_u32_e32 v14, 29, v14
	v_and_b32_e32 v6, 7, v6
	v_cmp_eq_u16_e32 vcc, 0, v13
	v_cndmask_b32_e32 v6, v12, v6, vcc
	v_cndmask_b32_e32 v12, v13, v14, vcc
	v_lshlrev_b32_e32 v13, 16, v3
	v_mov_b32_e32 v14, 0x3b800000
	v_lshlrev_b32_e32 v6, 20, v6
	v_and_b32_e32 v13, 0x80000000, v13
	v_lshl_add_u32 v12, v12, 23, v14
	v_or3_b32 v12, v13, v12, v6
.LBB2_2224:
	s_or_b64 exec, exec, s[6:7]
	s_nop 0
	v_mfma_f32_16x16x4f32 a[0:3], v2, v12, a[0:3]
	s_movk_i32 s4, 0xff
	v_and_b32_sdwa v6, v7, s4 dst_sel:DWORD dst_unused:UNUSED_PAD src0_sel:WORD_1 src1_sel:DWORD
	s_movk_i32 s4, 0x7f
	v_cmp_lt_i16_e32 vcc, s4, v6
	s_mov_b64 s[4:5], 0
                                        ; implicit-def: $sgpr10
	s_and_saveexec_b64 s[6:7], vcc
	s_xor_b64 s[6:7], exec, s[6:7]
	s_cbranch_execz .LBB2_2225
; %bb.38065:
	s_getpc_b64 s[14:15]
.Lpost_getpc22616:
	s_add_u32 s14, s14, (.LBB2_16561-.Lpost_getpc22616)&4294967295
	s_addc_u32 s15, s15, (.LBB2_16561-.Lpost_getpc22616)>>32
	s_setpc_b64 s[14:15]
.LBB2_2225:
	s_or_saveexec_b64 s[6:7], s[6:7]
	v_mov_b32_e32 v2, s10
	s_xor_b64 exec, exec, s[6:7]
	s_cbranch_execz .LBB2_2226
; %bb.38067:
	s_getpc_b64 s[14:15]
.Lpost_getpc22617:
	s_add_u32 s14, s14, (.LBB2_16564-.Lpost_getpc22617)&4294967295
	s_addc_u32 s15, s15, (.LBB2_16564-.Lpost_getpc22617)>>32
	s_setpc_b64 s[14:15]
.LBB2_2226:
	s_or_b64 exec, exec, s[6:7]
	s_and_saveexec_b64 s[6:7], s[4:5]
	s_cbranch_execz .LBB2_2228
.LBB2_2227:
	v_bfe_u32 v2, v7, 16, 3
	v_ffbh_u32_e32 v13, v2
	v_min_u32_e32 v13, 32, v13
	v_lshrrev_b32_e32 v6, 19, v7
	v_subrev_u32_e32 v14, 28, v13
	v_and_b32_e32 v6, 15, v6
	v_lshlrev_b32_sdwa v14, v14, v7 dst_sel:DWORD dst_unused:UNUSED_PAD src0_sel:DWORD src1_sel:WORD_1
	v_bfe_u32 v12, v7, 19, 4
	v_sub_u32_e32 v13, 29, v13
	v_and_b32_e32 v14, 7, v14
	v_cmp_eq_u16_e32 vcc, 0, v6
	v_cndmask_b32_e32 v2, v2, v14, vcc
	v_cndmask_b32_e32 v6, v12, v13, vcc
	v_lshlrev_b32_e32 v12, 8, v7
	v_mov_b32_e32 v13, 0x3b800000
	v_lshlrev_b32_e32 v2, 20, v2
	v_and_b32_e32 v12, 0x80000000, v12
	v_lshl_add_u32 v6, v6, 23, v13
	v_or3_b32 v2, v12, v6, v2
.LBB2_2228:
	s_or_b64 exec, exec, s[6:7]
	s_movk_i32 s4, 0xff
	v_and_b32_sdwa v6, v3, s4 dst_sel:DWORD dst_unused:UNUSED_PAD src0_sel:WORD_1 src1_sel:DWORD
	s_movk_i32 s4, 0x7f
	v_cmp_lt_i16_e32 vcc, s4, v6
	s_mov_b64 s[4:5], 0
                                        ; implicit-def: $sgpr10
	s_and_saveexec_b64 s[6:7], vcc
	s_xor_b64 s[6:7], exec, s[6:7]
	s_cbranch_execz .LBB2_2229
; %bb.38069:
	s_getpc_b64 s[14:15]
.Lpost_getpc22618:
	s_add_u32 s14, s14, (.LBB2_16565-.Lpost_getpc22618)&4294967295
	s_addc_u32 s15, s15, (.LBB2_16565-.Lpost_getpc22618)>>32
	s_setpc_b64 s[14:15]
.LBB2_2229:
	s_or_saveexec_b64 s[6:7], s[6:7]
	v_mov_b32_e32 v12, s10
	s_xor_b64 exec, exec, s[6:7]
	s_cbranch_execz .LBB2_2230
; %bb.38071:
	s_getpc_b64 s[14:15]
.Lpost_getpc22619:
	s_add_u32 s14, s14, (.LBB2_16568-.Lpost_getpc22619)&4294967295
	s_addc_u32 s15, s15, (.LBB2_16568-.Lpost_getpc22619)>>32
	s_setpc_b64 s[14:15]
.LBB2_2230:
	s_or_b64 exec, exec, s[6:7]
	s_and_saveexec_b64 s[6:7], s[4:5]
	s_cbranch_execz .LBB2_2232
.LBB2_2231:
	v_bfe_u32 v6, v3, 16, 3
	v_ffbh_u32_e32 v14, v6
	v_min_u32_e32 v14, 32, v14
	v_lshrrev_b32_e32 v12, 19, v3
	v_subrev_u32_e32 v15, 28, v14
	v_and_b32_e32 v12, 15, v12
	v_lshlrev_b32_sdwa v15, v15, v3 dst_sel:DWORD dst_unused:UNUSED_PAD src0_sel:DWORD src1_sel:WORD_1
	v_bfe_u32 v13, v3, 19, 4
	v_sub_u32_e32 v14, 29, v14
	v_and_b32_e32 v15, 7, v15
	v_cmp_eq_u16_e32 vcc, 0, v12
	v_cndmask_b32_e32 v6, v6, v15, vcc
	v_cndmask_b32_e32 v12, v13, v14, vcc
	v_lshlrev_b32_e32 v13, 8, v3
	v_mov_b32_e32 v14, 0x3b800000
	v_lshlrev_b32_e32 v6, 20, v6
	v_and_b32_e32 v13, 0x80000000, v13
	v_lshl_add_u32 v12, v12, 23, v14
	v_or3_b32 v12, v13, v12, v6
.LBB2_2232:
	s_or_b64 exec, exec, s[6:7]
	s_nop 0
	v_mfma_f32_16x16x4f32 a[0:3], v2, v12, a[0:3]
	s_movk_i32 s4, 0x7f
	v_cmp_gt_i16_sdwa s[6:7], v7, s4 src0_sel:BYTE_3 src1_sel:DWORD
	s_mov_b64 s[4:5], 0
                                        ; implicit-def: $sgpr10
	s_and_saveexec_b64 s[8:9], s[6:7]
	s_xor_b64 s[6:7], exec, s[8:9]
	s_cbranch_execz .LBB2_2233
; %bb.38073:
	s_getpc_b64 s[14:15]
.Lpost_getpc22620:
	s_add_u32 s14, s14, (.LBB2_16569-.Lpost_getpc22620)&4294967295
	s_addc_u32 s15, s15, (.LBB2_16569-.Lpost_getpc22620)>>32
	s_setpc_b64 s[14:15]
.LBB2_2233:
	s_or_saveexec_b64 s[6:7], s[6:7]
	v_mov_b32_e32 v2, s10
	s_xor_b64 exec, exec, s[6:7]
	s_cbranch_execz .LBB2_2234
; %bb.38075:
	s_getpc_b64 s[14:15]
.Lpost_getpc22621:
	s_add_u32 s14, s14, (.LBB2_16572-.Lpost_getpc22621)&4294967295
	s_addc_u32 s15, s15, (.LBB2_16572-.Lpost_getpc22621)>>32
	s_setpc_b64 s[14:15]
.LBB2_2234:
	s_or_b64 exec, exec, s[6:7]
	s_and_saveexec_b64 s[6:7], s[4:5]
	s_cbranch_execz .LBB2_2236
.LBB2_2235:
	v_bfe_u32 v2, v7, 24, 3
	v_ffbh_u32_e32 v14, v2
	v_min_u32_e32 v14, 32, v14
	v_lshrrev_b32_e32 v12, 27, v7
	v_subrev_u32_e32 v15, 28, v14
	v_and_b32_e32 v6, 0x80000000, v7
	v_and_b32_e32 v12, 15, v12
	v_bfe_u32 v13, v7, 27, 4
	v_lshlrev_b32_sdwa v7, v15, v7 dst_sel:DWORD dst_unused:UNUSED_PAD src0_sel:DWORD src1_sel:BYTE_3
	v_sub_u32_e32 v14, 29, v14
	v_and_b32_e32 v7, 7, v7
	v_cmp_eq_u16_e32 vcc, 0, v12
	v_cndmask_b32_e32 v2, v2, v7, vcc
	v_cndmask_b32_e32 v7, v13, v14, vcc
	v_mov_b32_e32 v12, 0x3b800000
	v_lshlrev_b32_e32 v2, 20, v2
	v_lshl_add_u32 v7, v7, 23, v12
	v_or3_b32 v2, v6, v7, v2
.LBB2_2236:
	s_or_b64 exec, exec, s[6:7]
	s_movk_i32 s4, 0x7f
	v_cmp_gt_i16_sdwa s[6:7], v3, s4 src0_sel:BYTE_3 src1_sel:DWORD
	s_mov_b64 s[4:5], 0
                                        ; implicit-def: $sgpr10
	s_and_saveexec_b64 s[8:9], s[6:7]
	s_xor_b64 s[6:7], exec, s[8:9]
	s_cbranch_execz .LBB2_2237
; %bb.38077:
	s_getpc_b64 s[14:15]
.Lpost_getpc22622:
	s_add_u32 s14, s14, (.LBB2_16573-.Lpost_getpc22622)&4294967295
	s_addc_u32 s15, s15, (.LBB2_16573-.Lpost_getpc22622)>>32
	s_setpc_b64 s[14:15]
.LBB2_2237:
	s_or_saveexec_b64 s[6:7], s[6:7]
	v_mov_b32_e32 v6, s10
	s_xor_b64 exec, exec, s[6:7]
	s_cbranch_execz .LBB2_2238
; %bb.38079:
	s_getpc_b64 s[14:15]
.Lpost_getpc22623:
	s_add_u32 s14, s14, (.LBB2_16576-.Lpost_getpc22623)&4294967295
	s_addc_u32 s15, s15, (.LBB2_16576-.Lpost_getpc22623)>>32
	s_setpc_b64 s[14:15]
.LBB2_2238:
	s_or_b64 exec, exec, s[6:7]
	s_and_saveexec_b64 s[6:7], s[4:5]
	s_cbranch_execz .LBB2_2240
.LBB2_2239:
	v_bfe_u32 v6, v3, 24, 3
	v_ffbh_u32_e32 v14, v6
	v_min_u32_e32 v14, 32, v14
	v_lshrrev_b32_e32 v12, 27, v3
	v_subrev_u32_e32 v15, 28, v14
	v_and_b32_e32 v7, 0x80000000, v3
	v_and_b32_e32 v12, 15, v12
	v_bfe_u32 v13, v3, 27, 4
	v_lshlrev_b32_sdwa v3, v15, v3 dst_sel:DWORD dst_unused:UNUSED_PAD src0_sel:DWORD src1_sel:BYTE_3
	v_sub_u32_e32 v14, 29, v14
	v_and_b32_e32 v3, 7, v3
	v_cmp_eq_u16_e32 vcc, 0, v12
	v_cndmask_b32_e32 v3, v6, v3, vcc
	v_cndmask_b32_e32 v6, v13, v14, vcc
	v_mov_b32_e32 v12, 0x3b800000
	v_lshlrev_b32_e32 v3, 20, v3
	v_lshl_add_u32 v6, v6, 23, v12
	v_or3_b32 v6, v7, v6, v3
.LBB2_2240:
	s_or_b64 exec, exec, s[6:7]
	s_nop 0
	v_mfma_f32_16x16x4f32 a[0:3], v2, v6, a[0:3]
	s_movk_i32 s4, 0x7f
	v_cmp_gt_i16_sdwa s[6:7], v8, s4 src0_sel:BYTE_0 src1_sel:DWORD
	s_mov_b64 s[4:5], 0
                                        ; implicit-def: $sgpr10
	s_and_saveexec_b64 s[8:9], s[6:7]
	s_xor_b64 s[6:7], exec, s[8:9]
	s_cbranch_execz .LBB2_2241
; %bb.38081:
	s_getpc_b64 s[14:15]
.Lpost_getpc22624:
	s_add_u32 s14, s14, (.LBB2_16577-.Lpost_getpc22624)&4294967295
	s_addc_u32 s15, s15, (.LBB2_16577-.Lpost_getpc22624)>>32
	s_setpc_b64 s[14:15]
.LBB2_2241:
	s_or_saveexec_b64 s[6:7], s[6:7]
	v_mov_b32_e32 v2, s10
	s_xor_b64 exec, exec, s[6:7]
	s_cbranch_execz .LBB2_2242
; %bb.38083:
	s_getpc_b64 s[14:15]
.Lpost_getpc22625:
	s_add_u32 s14, s14, (.LBB2_16580-.Lpost_getpc22625)&4294967295
	s_addc_u32 s15, s15, (.LBB2_16580-.Lpost_getpc22625)>>32
	s_setpc_b64 s[14:15]
.LBB2_2242:
	s_or_b64 exec, exec, s[6:7]
	s_and_saveexec_b64 s[6:7], s[4:5]
	s_cbranch_execz .LBB2_2244
.LBB2_2243:
	v_and_b32_e32 v2, 7, v8
	v_ffbh_u32_e32 v6, v2
	v_min_u32_e32 v6, 32, v6
	v_lshrrev_b16_e32 v3, 3, v8
	v_subrev_u32_e32 v7, 28, v6
	v_and_b32_e32 v3, 15, v3
	v_lshlrev_b32_e32 v7, v7, v8
	v_sub_u32_e32 v6, 29, v6
	v_and_b32_e32 v7, 7, v7
	v_cmp_eq_u16_e32 vcc, 0, v3
	v_cndmask_b32_e32 v2, v2, v7, vcc
	v_cndmask_b32_e32 v3, v3, v6, vcc
	v_lshlrev_b32_e32 v6, 24, v8
	v_mov_b32_e32 v7, 0x3b800000
	v_lshlrev_b32_e32 v2, 20, v2
	v_and_b32_e32 v6, 0x80000000, v6
	v_lshl_add_u32 v3, v3, 23, v7
	v_or3_b32 v2, v6, v3, v2
.LBB2_2244:
	s_or_b64 exec, exec, s[6:7]
	s_movk_i32 s4, 0x7f
	v_cmp_gt_i16_sdwa s[6:7], v4, s4 src0_sel:BYTE_0 src1_sel:DWORD
	s_mov_b64 s[4:5], 0
                                        ; implicit-def: $sgpr10
	s_and_saveexec_b64 s[8:9], s[6:7]
	s_xor_b64 s[6:7], exec, s[8:9]
	s_cbranch_execz .LBB2_2245
; %bb.38085:
	s_getpc_b64 s[14:15]
.Lpost_getpc22626:
	s_add_u32 s14, s14, (.LBB2_16581-.Lpost_getpc22626)&4294967295
	s_addc_u32 s15, s15, (.LBB2_16581-.Lpost_getpc22626)>>32
	s_setpc_b64 s[14:15]
.LBB2_2245:
	s_or_saveexec_b64 s[6:7], s[6:7]
	v_mov_b32_e32 v3, s10
	s_xor_b64 exec, exec, s[6:7]
	s_cbranch_execz .LBB2_2246
; %bb.38087:
	s_getpc_b64 s[14:15]
.Lpost_getpc22627:
	s_add_u32 s14, s14, (.LBB2_16584-.Lpost_getpc22627)&4294967295
	s_addc_u32 s15, s15, (.LBB2_16584-.Lpost_getpc22627)>>32
	s_setpc_b64 s[14:15]
.LBB2_2246:
	s_or_b64 exec, exec, s[6:7]
	s_and_saveexec_b64 s[6:7], s[4:5]
	s_cbranch_execz .LBB2_2248
.LBB2_2247:
	v_and_b32_e32 v3, 7, v4
	v_ffbh_u32_e32 v7, v3
	v_min_u32_e32 v7, 32, v7
	v_lshrrev_b16_e32 v6, 3, v4
	v_subrev_u32_e32 v12, 28, v7
	v_and_b32_e32 v6, 15, v6
	v_lshlrev_b32_e32 v12, v12, v4
	v_sub_u32_e32 v7, 29, v7
	v_and_b32_e32 v12, 7, v12
	v_cmp_eq_u16_e32 vcc, 0, v6
	v_cndmask_b32_e32 v3, v3, v12, vcc
	v_cndmask_b32_e32 v6, v6, v7, vcc
	v_lshlrev_b32_e32 v7, 24, v4
	v_mov_b32_e32 v12, 0x3b800000
	v_lshlrev_b32_e32 v3, 20, v3
	v_and_b32_e32 v7, 0x80000000, v7
	v_lshl_add_u32 v6, v6, 23, v12
	v_or3_b32 v3, v7, v6, v3
.LBB2_2248:
	s_or_b64 exec, exec, s[6:7]
	s_nop 0
	v_mfma_f32_16x16x4f32 a[0:3], v2, v3, a[0:3]
	v_lshrrev_b32_e32 v3, 8, v8
	s_movk_i32 s4, 0x7f
	v_cmp_gt_i16_sdwa s[6:7], v3, s4 src0_sel:BYTE_0 src1_sel:DWORD
	s_mov_b64 s[4:5], 0
                                        ; implicit-def: $sgpr10
	s_and_saveexec_b64 s[8:9], s[6:7]
	s_xor_b64 s[6:7], exec, s[8:9]
	s_cbranch_execz .LBB2_2249
; %bb.38089:
	s_getpc_b64 s[14:15]
.Lpost_getpc22628:
	s_add_u32 s14, s14, (.LBB2_16585-.Lpost_getpc22628)&4294967295
	s_addc_u32 s15, s15, (.LBB2_16585-.Lpost_getpc22628)>>32
	s_setpc_b64 s[14:15]
.LBB2_2249:
	s_or_saveexec_b64 s[6:7], s[6:7]
	v_mov_b32_e32 v2, s10
	s_xor_b64 exec, exec, s[6:7]
	s_cbranch_execz .LBB2_2250
; %bb.38091:
	s_getpc_b64 s[14:15]
.Lpost_getpc22629:
	s_add_u32 s14, s14, (.LBB2_16588-.Lpost_getpc22629)&4294967295
	s_addc_u32 s15, s15, (.LBB2_16588-.Lpost_getpc22629)>>32
	s_setpc_b64 s[14:15]
.LBB2_2250:
	s_or_b64 exec, exec, s[6:7]
	s_and_saveexec_b64 s[6:7], s[4:5]
	s_cbranch_execz .LBB2_2252
.LBB2_2251:
	v_bfe_u32 v2, v8, 8, 3
	v_ffbh_u32_e32 v7, v2
	v_min_u32_e32 v7, 32, v7
	v_lshrrev_b16_e32 v6, 3, v3
	v_subrev_u32_e32 v12, 28, v7
	v_and_b32_e32 v6, 15, v6
	v_lshlrev_b32_e32 v3, v12, v3
	v_sub_u32_e32 v7, 29, v7
	v_and_b32_e32 v3, 7, v3
	v_cmp_eq_u16_e32 vcc, 0, v6
	v_cndmask_b32_e32 v2, v2, v3, vcc
	v_cndmask_b32_e32 v3, v6, v7, vcc
	v_lshlrev_b32_e32 v6, 16, v8
	v_mov_b32_e32 v7, 0x3b800000
	v_lshlrev_b32_e32 v2, 20, v2
	v_and_b32_e32 v6, 0x80000000, v6
	v_lshl_add_u32 v3, v3, 23, v7
	v_or3_b32 v2, v6, v3, v2
.LBB2_2252:
	s_or_b64 exec, exec, s[6:7]
	v_lshrrev_b32_e32 v3, 8, v4
	s_movk_i32 s4, 0x7f
	v_cmp_gt_i16_sdwa s[6:7], v3, s4 src0_sel:BYTE_0 src1_sel:DWORD
	s_mov_b64 s[4:5], 0
                                        ; implicit-def: $sgpr10
	s_and_saveexec_b64 s[8:9], s[6:7]
	s_xor_b64 s[6:7], exec, s[8:9]
	s_cbranch_execz .LBB2_2253
; %bb.38093:
	s_getpc_b64 s[14:15]
.Lpost_getpc22630:
	s_add_u32 s14, s14, (.LBB2_16589-.Lpost_getpc22630)&4294967295
	s_addc_u32 s15, s15, (.LBB2_16589-.Lpost_getpc22630)>>32
	s_setpc_b64 s[14:15]
.LBB2_2253:
	s_or_saveexec_b64 s[6:7], s[6:7]
	v_mov_b32_e32 v6, s10
	s_xor_b64 exec, exec, s[6:7]
	s_cbranch_execz .LBB2_2254
; %bb.38095:
	s_getpc_b64 s[14:15]
.Lpost_getpc22631:
	s_add_u32 s14, s14, (.LBB2_16592-.Lpost_getpc22631)&4294967295
	s_addc_u32 s15, s15, (.LBB2_16592-.Lpost_getpc22631)>>32
	s_setpc_b64 s[14:15]
.LBB2_2254:
	s_or_b64 exec, exec, s[6:7]
	s_and_saveexec_b64 s[6:7], s[4:5]
	s_cbranch_execz .LBB2_2256
.LBB2_2255:
	v_bfe_u32 v6, v4, 8, 3
	v_ffbh_u32_e32 v12, v6
	v_min_u32_e32 v12, 32, v12
	v_lshrrev_b16_e32 v7, 3, v3
	v_subrev_u32_e32 v13, 28, v12
	v_and_b32_e32 v7, 15, v7
	v_lshlrev_b32_e32 v3, v13, v3
	v_sub_u32_e32 v12, 29, v12
	v_and_b32_e32 v3, 7, v3
	v_cmp_eq_u16_e32 vcc, 0, v7
	v_cndmask_b32_e32 v3, v6, v3, vcc
	v_cndmask_b32_e32 v6, v7, v12, vcc
	v_lshlrev_b32_e32 v7, 16, v4
	v_mov_b32_e32 v12, 0x3b800000
	v_lshlrev_b32_e32 v3, 20, v3
	v_and_b32_e32 v7, 0x80000000, v7
	v_lshl_add_u32 v6, v6, 23, v12
	v_or3_b32 v6, v7, v6, v3
.LBB2_2256:
	s_or_b64 exec, exec, s[6:7]
	s_nop 0
	v_mfma_f32_16x16x4f32 a[0:3], v2, v6, a[0:3]
	s_movk_i32 s4, 0xff
	v_and_b32_sdwa v3, v8, s4 dst_sel:DWORD dst_unused:UNUSED_PAD src0_sel:WORD_1 src1_sel:DWORD
	s_movk_i32 s4, 0x7f
	v_cmp_lt_i16_e32 vcc, s4, v3
	s_mov_b64 s[4:5], 0
                                        ; implicit-def: $sgpr10
	s_and_saveexec_b64 s[6:7], vcc
	s_xor_b64 s[6:7], exec, s[6:7]
	s_cbranch_execz .LBB2_2257
; %bb.38097:
	s_getpc_b64 s[14:15]
.Lpost_getpc22632:
	s_add_u32 s14, s14, (.LBB2_16593-.Lpost_getpc22632)&4294967295
	s_addc_u32 s15, s15, (.LBB2_16593-.Lpost_getpc22632)>>32
	s_setpc_b64 s[14:15]
.LBB2_2257:
	s_or_saveexec_b64 s[6:7], s[6:7]
	v_mov_b32_e32 v2, s10
	s_xor_b64 exec, exec, s[6:7]
	s_cbranch_execz .LBB2_2258
; %bb.38099:
	s_getpc_b64 s[14:15]
.Lpost_getpc22633:
	s_add_u32 s14, s14, (.LBB2_16596-.Lpost_getpc22633)&4294967295
	s_addc_u32 s15, s15, (.LBB2_16596-.Lpost_getpc22633)>>32
	s_setpc_b64 s[14:15]
.LBB2_2258:
	s_or_b64 exec, exec, s[6:7]
	s_and_saveexec_b64 s[6:7], s[4:5]
	s_cbranch_execz .LBB2_2260
.LBB2_2259:
	v_bfe_u32 v2, v8, 16, 3
	v_ffbh_u32_e32 v7, v2
	v_min_u32_e32 v7, 32, v7
	v_lshrrev_b32_e32 v3, 19, v8
	v_subrev_u32_e32 v12, 28, v7
	v_and_b32_e32 v3, 15, v3
	v_lshlrev_b32_sdwa v12, v12, v8 dst_sel:DWORD dst_unused:UNUSED_PAD src0_sel:DWORD src1_sel:WORD_1
	v_bfe_u32 v6, v8, 19, 4
	v_sub_u32_e32 v7, 29, v7
	v_and_b32_e32 v12, 7, v12
	v_cmp_eq_u16_e32 vcc, 0, v3
	v_cndmask_b32_e32 v2, v2, v12, vcc
	v_cndmask_b32_e32 v3, v6, v7, vcc
	v_lshlrev_b32_e32 v6, 8, v8
	v_mov_b32_e32 v7, 0x3b800000
	v_lshlrev_b32_e32 v2, 20, v2
	v_and_b32_e32 v6, 0x80000000, v6
	v_lshl_add_u32 v3, v3, 23, v7
	v_or3_b32 v2, v6, v3, v2
.LBB2_2260:
	s_or_b64 exec, exec, s[6:7]
	s_movk_i32 s4, 0xff
	v_and_b32_sdwa v3, v4, s4 dst_sel:DWORD dst_unused:UNUSED_PAD src0_sel:WORD_1 src1_sel:DWORD
	s_movk_i32 s4, 0x7f
	v_cmp_lt_i16_e32 vcc, s4, v3
	s_mov_b64 s[4:5], 0
                                        ; implicit-def: $sgpr10
	s_and_saveexec_b64 s[6:7], vcc
	s_xor_b64 s[6:7], exec, s[6:7]
	s_cbranch_execz .LBB2_2261
; %bb.38101:
	s_getpc_b64 s[14:15]
.Lpost_getpc22634:
	s_add_u32 s14, s14, (.LBB2_16597-.Lpost_getpc22634)&4294967295
	s_addc_u32 s15, s15, (.LBB2_16597-.Lpost_getpc22634)>>32
	s_setpc_b64 s[14:15]
.LBB2_2261:
	s_or_saveexec_b64 s[6:7], s[6:7]
	v_mov_b32_e32 v6, s10
	s_xor_b64 exec, exec, s[6:7]
	s_cbranch_execz .LBB2_2262
; %bb.38103:
	s_getpc_b64 s[14:15]
.Lpost_getpc22635:
	s_add_u32 s14, s14, (.LBB2_16600-.Lpost_getpc22635)&4294967295
	s_addc_u32 s15, s15, (.LBB2_16600-.Lpost_getpc22635)>>32
	s_setpc_b64 s[14:15]
.LBB2_2262:
	s_or_b64 exec, exec, s[6:7]
	s_and_saveexec_b64 s[6:7], s[4:5]
	s_cbranch_execz .LBB2_2264
.LBB2_2263:
	v_bfe_u32 v3, v4, 16, 3
	v_ffbh_u32_e32 v12, v3
	v_min_u32_e32 v12, 32, v12
	v_lshrrev_b32_e32 v6, 19, v4
	v_subrev_u32_e32 v13, 28, v12
	v_and_b32_e32 v6, 15, v6
	v_lshlrev_b32_sdwa v13, v13, v4 dst_sel:DWORD dst_unused:UNUSED_PAD src0_sel:DWORD src1_sel:WORD_1
	v_bfe_u32 v7, v4, 19, 4
	v_sub_u32_e32 v12, 29, v12
	v_and_b32_e32 v13, 7, v13
	v_cmp_eq_u16_e32 vcc, 0, v6
	v_cndmask_b32_e32 v3, v3, v13, vcc
	v_cndmask_b32_e32 v6, v7, v12, vcc
	v_lshlrev_b32_e32 v7, 8, v4
	v_mov_b32_e32 v12, 0x3b800000
	v_lshlrev_b32_e32 v3, 20, v3
	v_and_b32_e32 v7, 0x80000000, v7
	v_lshl_add_u32 v6, v6, 23, v12
	v_or3_b32 v6, v7, v6, v3
.LBB2_2264:
	s_or_b64 exec, exec, s[6:7]
	s_nop 0
	v_mfma_f32_16x16x4f32 a[0:3], v2, v6, a[0:3]
	s_movk_i32 s4, 0x7f
	v_cmp_gt_i16_sdwa s[6:7], v8, s4 src0_sel:BYTE_3 src1_sel:DWORD
	s_mov_b64 s[4:5], 0
                                        ; implicit-def: $sgpr10
	s_and_saveexec_b64 s[8:9], s[6:7]
	s_xor_b64 s[6:7], exec, s[8:9]
	s_cbranch_execz .LBB2_2265
; %bb.38105:
	s_getpc_b64 s[14:15]
.Lpost_getpc22636:
	s_add_u32 s14, s14, (.LBB2_16601-.Lpost_getpc22636)&4294967295
	s_addc_u32 s15, s15, (.LBB2_16601-.Lpost_getpc22636)>>32
	s_setpc_b64 s[14:15]
.LBB2_2265:
	s_or_saveexec_b64 s[6:7], s[6:7]
	v_mov_b32_e32 v2, s10
	s_xor_b64 exec, exec, s[6:7]
	s_cbranch_execz .LBB2_2266
; %bb.38107:
	s_getpc_b64 s[14:15]
.Lpost_getpc22637:
	s_add_u32 s14, s14, (.LBB2_16604-.Lpost_getpc22637)&4294967295
	s_addc_u32 s15, s15, (.LBB2_16604-.Lpost_getpc22637)>>32
	s_setpc_b64 s[14:15]
.LBB2_2266:
	s_or_b64 exec, exec, s[6:7]
	s_and_saveexec_b64 s[6:7], s[4:5]
	s_cbranch_execz .LBB2_2268
.LBB2_2267:
	v_bfe_u32 v2, v8, 24, 3
	v_ffbh_u32_e32 v12, v2
	v_min_u32_e32 v12, 32, v12
	v_lshrrev_b32_e32 v6, 27, v8
	v_subrev_u32_e32 v13, 28, v12
	v_and_b32_e32 v3, 0x80000000, v8
	v_and_b32_e32 v6, 15, v6
	v_bfe_u32 v7, v8, 27, 4
	v_lshlrev_b32_sdwa v8, v13, v8 dst_sel:DWORD dst_unused:UNUSED_PAD src0_sel:DWORD src1_sel:BYTE_3
	v_sub_u32_e32 v12, 29, v12
	v_and_b32_e32 v8, 7, v8
	v_cmp_eq_u16_e32 vcc, 0, v6
	v_cndmask_b32_e32 v2, v2, v8, vcc
	v_cndmask_b32_e32 v6, v7, v12, vcc
	v_mov_b32_e32 v7, 0x3b800000
	v_lshlrev_b32_e32 v2, 20, v2
	v_lshl_add_u32 v6, v6, 23, v7
	v_or3_b32 v2, v3, v6, v2
.LBB2_2268:
	s_or_b64 exec, exec, s[6:7]
	s_movk_i32 s4, 0x7f
	v_cmp_gt_i16_sdwa s[6:7], v4, s4 src0_sel:BYTE_3 src1_sel:DWORD
	s_mov_b64 s[4:5], 0
                                        ; implicit-def: $sgpr10
	s_and_saveexec_b64 s[8:9], s[6:7]
	s_xor_b64 s[6:7], exec, s[8:9]
	s_cbranch_execz .LBB2_2269
; %bb.38109:
	s_getpc_b64 s[14:15]
.Lpost_getpc22638:
	s_add_u32 s14, s14, (.LBB2_16605-.Lpost_getpc22638)&4294967295
	s_addc_u32 s15, s15, (.LBB2_16605-.Lpost_getpc22638)>>32
	s_setpc_b64 s[14:15]
.LBB2_2269:
	s_or_saveexec_b64 s[6:7], s[6:7]
	v_mov_b32_e32 v3, s10
	s_xor_b64 exec, exec, s[6:7]
	s_cbranch_execz .LBB2_2270
; %bb.38111:
	s_getpc_b64 s[14:15]
.Lpost_getpc22639:
	s_add_u32 s14, s14, (.LBB2_16608-.Lpost_getpc22639)&4294967295
	s_addc_u32 s15, s15, (.LBB2_16608-.Lpost_getpc22639)>>32
	s_setpc_b64 s[14:15]
.LBB2_2270:
	s_or_b64 exec, exec, s[6:7]
	s_and_saveexec_b64 s[6:7], s[4:5]
	s_cbranch_execz .LBB2_2272
.LBB2_2271:
	v_bfe_u32 v3, v4, 24, 3
	v_ffbh_u32_e32 v12, v3
	v_min_u32_e32 v12, 32, v12
	v_lshrrev_b32_e32 v7, 27, v4
	v_subrev_u32_e32 v13, 28, v12
	v_and_b32_e32 v6, 0x80000000, v4
	v_and_b32_e32 v7, 15, v7
	v_bfe_u32 v8, v4, 27, 4
	v_lshlrev_b32_sdwa v4, v13, v4 dst_sel:DWORD dst_unused:UNUSED_PAD src0_sel:DWORD src1_sel:BYTE_3
	v_sub_u32_e32 v12, 29, v12
	v_and_b32_e32 v4, 7, v4
	v_cmp_eq_u16_e32 vcc, 0, v7
	v_cndmask_b32_e32 v3, v3, v4, vcc
	v_cndmask_b32_e32 v4, v8, v12, vcc
	v_mov_b32_e32 v7, 0x3b800000
	v_lshlrev_b32_e32 v3, 20, v3
	v_lshl_add_u32 v4, v4, 23, v7
	v_or3_b32 v3, v6, v4, v3
.LBB2_2272:
	s_or_b64 exec, exec, s[6:7]
	s_nop 0
	v_mfma_f32_16x16x4f32 a[0:3], v2, v3, a[0:3]
	s_movk_i32 s4, 0x7f
	v_cmp_gt_i16_sdwa s[6:7], v9, s4 src0_sel:BYTE_0 src1_sel:DWORD
	s_mov_b64 s[4:5], 0
                                        ; implicit-def: $sgpr10
	s_and_saveexec_b64 s[8:9], s[6:7]
	s_xor_b64 s[6:7], exec, s[8:9]
	s_cbranch_execz .LBB2_2273
; %bb.38113:
	s_getpc_b64 s[14:15]
.Lpost_getpc22640:
	s_add_u32 s14, s14, (.LBB2_16609-.Lpost_getpc22640)&4294967295
	s_addc_u32 s15, s15, (.LBB2_16609-.Lpost_getpc22640)>>32
	s_setpc_b64 s[14:15]
.LBB2_2273:
	s_or_saveexec_b64 s[6:7], s[6:7]
	v_mov_b32_e32 v2, s10
	s_xor_b64 exec, exec, s[6:7]
	s_cbranch_execz .LBB2_2274
; %bb.38115:
	s_getpc_b64 s[14:15]
.Lpost_getpc22641:
	s_add_u32 s14, s14, (.LBB2_16612-.Lpost_getpc22641)&4294967295
	s_addc_u32 s15, s15, (.LBB2_16612-.Lpost_getpc22641)>>32
	s_setpc_b64 s[14:15]
.LBB2_2274:
	s_or_b64 exec, exec, s[6:7]
	s_and_saveexec_b64 s[6:7], s[4:5]
	s_cbranch_execz .LBB2_2276
.LBB2_2275:
	v_mov_b32_e32 v2, 8
	v_and_b32_e32 v3, 7, v9
	v_lshrrev_b32_sdwa v2, v2, v9 dst_sel:BYTE_1 dst_unused:UNUSED_PAD src0_sel:DWORD src1_sel:DWORD
	v_ffbh_u32_e32 v4, v3
	v_or_b32_sdwa v2, v9, v2 dst_sel:DWORD dst_unused:UNUSED_PAD src0_sel:BYTE_0 src1_sel:DWORD
	v_min_u32_e32 v4, 32, v4
	v_lshrrev_b16_e32 v2, 3, v2
	v_subrev_u32_e32 v6, 28, v4
	v_and_b32_e32 v2, 15, v2
	v_lshlrev_b32_e32 v6, v6, v9
	v_sub_u32_e32 v4, 29, v4
	v_and_b32_e32 v6, 7, v6
	v_cmp_eq_u16_e32 vcc, 0, v2
	v_cndmask_b32_e32 v3, v3, v6, vcc
	v_cndmask_b32_e32 v2, v2, v4, vcc
	v_lshlrev_b32_e32 v4, 24, v9
	v_mov_b32_e32 v6, 0x3b800000
	v_lshlrev_b32_e32 v3, 20, v3
	v_and_b32_e32 v4, 0x80000000, v4
	v_lshl_add_u32 v2, v2, 23, v6
	v_or3_b32 v2, v4, v2, v3
.LBB2_2276:
	s_or_b64 exec, exec, s[6:7]
	s_movk_i32 s4, 0x7f
	v_cmp_gt_i16_sdwa s[6:7], v5, s4 src0_sel:BYTE_0 src1_sel:DWORD
	s_mov_b64 s[4:5], 0
                                        ; implicit-def: $sgpr10
	s_and_saveexec_b64 s[8:9], s[6:7]
	s_xor_b64 s[6:7], exec, s[8:9]
	s_cbranch_execz .LBB2_2277
; %bb.38117:
	s_getpc_b64 s[14:15]
.Lpost_getpc22642:
	s_add_u32 s14, s14, (.LBB2_16613-.Lpost_getpc22642)&4294967295
	s_addc_u32 s15, s15, (.LBB2_16613-.Lpost_getpc22642)>>32
	s_setpc_b64 s[14:15]
.LBB2_2277:
	s_or_saveexec_b64 s[6:7], s[6:7]
	v_mov_b32_e32 v3, s10
	s_xor_b64 exec, exec, s[6:7]
	s_cbranch_execz .LBB2_2278
; %bb.38119:
	s_getpc_b64 s[14:15]
.Lpost_getpc22643:
	s_add_u32 s14, s14, (.LBB2_16616-.Lpost_getpc22643)&4294967295
	s_addc_u32 s15, s15, (.LBB2_16616-.Lpost_getpc22643)>>32
	s_setpc_b64 s[14:15]
.LBB2_2278:
	s_or_b64 exec, exec, s[6:7]
	s_and_saveexec_b64 s[6:7], s[4:5]
	s_cbranch_execz .LBB2_2280
.LBB2_2279:
	v_mov_b32_e32 v3, 8
	v_and_b32_e32 v4, 7, v5
	v_lshrrev_b32_sdwa v3, v3, v5 dst_sel:BYTE_1 dst_unused:UNUSED_PAD src0_sel:DWORD src1_sel:DWORD
	v_ffbh_u32_e32 v6, v4
	v_or_b32_sdwa v3, v5, v3 dst_sel:DWORD dst_unused:UNUSED_PAD src0_sel:BYTE_0 src1_sel:DWORD
	v_min_u32_e32 v6, 32, v6
	v_lshrrev_b16_e32 v3, 3, v3
	v_subrev_u32_e32 v7, 28, v6
	v_and_b32_e32 v3, 15, v3
	v_lshlrev_b32_e32 v7, v7, v5
	v_sub_u32_e32 v6, 29, v6
	v_and_b32_e32 v7, 7, v7
	v_cmp_eq_u16_e32 vcc, 0, v3
	v_cndmask_b32_e32 v4, v4, v7, vcc
	v_cndmask_b32_e32 v3, v3, v6, vcc
	v_lshlrev_b32_e32 v6, 24, v5
	v_mov_b32_e32 v7, 0x3b800000
	v_lshlrev_b32_e32 v4, 20, v4
	v_and_b32_e32 v6, 0x80000000, v6
	v_lshl_add_u32 v3, v3, 23, v7
	v_or3_b32 v3, v6, v3, v4
.LBB2_2280:
	s_or_b64 exec, exec, s[6:7]
	s_nop 0
	v_mfma_f32_16x16x4f32 a[0:3], v2, v3, a[0:3]
	v_lshrrev_b32_e32 v3, 8, v9
	s_movk_i32 s4, 0x7f
	v_cmp_gt_i16_sdwa s[6:7], v3, s4 src0_sel:BYTE_0 src1_sel:DWORD
	s_mov_b64 s[4:5], 0
                                        ; implicit-def: $sgpr10
	s_and_saveexec_b64 s[8:9], s[6:7]
	s_xor_b64 s[6:7], exec, s[8:9]
	s_cbranch_execz .LBB2_2281
; %bb.38121:
	s_getpc_b64 s[14:15]
.Lpost_getpc22644:
	s_add_u32 s14, s14, (.LBB2_16617-.Lpost_getpc22644)&4294967295
	s_addc_u32 s15, s15, (.LBB2_16617-.Lpost_getpc22644)>>32
	s_setpc_b64 s[14:15]
.LBB2_2281:
	s_or_saveexec_b64 s[6:7], s[6:7]
	v_mov_b32_e32 v2, s10
	s_xor_b64 exec, exec, s[6:7]
	s_cbranch_execz .LBB2_2282
; %bb.38123:
	s_getpc_b64 s[14:15]
.Lpost_getpc22645:
	s_add_u32 s14, s14, (.LBB2_16620-.Lpost_getpc22645)&4294967295
	s_addc_u32 s15, s15, (.LBB2_16620-.Lpost_getpc22645)>>32
	s_setpc_b64 s[14:15]
.LBB2_2282:
	s_or_b64 exec, exec, s[6:7]
	s_and_saveexec_b64 s[6:7], s[4:5]
	s_cbranch_execz .LBB2_2284
.LBB2_2283:
	v_bfe_u32 v2, v9, 8, 3
	v_ffbh_u32_e32 v6, v2
	v_min_u32_e32 v6, 32, v6
	v_lshrrev_b16_e32 v4, 3, v3
	v_subrev_u32_e32 v7, 28, v6
	v_and_b32_e32 v4, 15, v4
	v_lshlrev_b32_e32 v3, v7, v3
	v_sub_u32_e32 v6, 29, v6
	v_and_b32_e32 v3, 7, v3
	v_cmp_eq_u16_e32 vcc, 0, v4
	v_cndmask_b32_e32 v2, v2, v3, vcc
	v_cndmask_b32_e32 v3, v4, v6, vcc
	v_lshlrev_b32_e32 v4, 16, v9
	v_mov_b32_e32 v6, 0x3b800000
	v_lshlrev_b32_e32 v2, 20, v2
	v_and_b32_e32 v4, 0x80000000, v4
	v_lshl_add_u32 v3, v3, 23, v6
	v_or3_b32 v2, v4, v3, v2
.LBB2_2284:
	s_or_b64 exec, exec, s[6:7]
	v_lshrrev_b32_e32 v3, 8, v5
	s_movk_i32 s4, 0x7f
	v_cmp_gt_i16_sdwa s[6:7], v3, s4 src0_sel:BYTE_0 src1_sel:DWORD
	s_mov_b64 s[4:5], 0
                                        ; implicit-def: $sgpr10
	s_and_saveexec_b64 s[8:9], s[6:7]
	s_xor_b64 s[6:7], exec, s[8:9]
	s_cbranch_execz .LBB2_2285
; %bb.38125:
	s_getpc_b64 s[14:15]
.Lpost_getpc22646:
	s_add_u32 s14, s14, (.LBB2_16621-.Lpost_getpc22646)&4294967295
	s_addc_u32 s15, s15, (.LBB2_16621-.Lpost_getpc22646)>>32
	s_setpc_b64 s[14:15]
.LBB2_2285:
	s_or_saveexec_b64 s[6:7], s[6:7]
	v_mov_b32_e32 v4, s10
	s_xor_b64 exec, exec, s[6:7]
	s_cbranch_execz .LBB2_2286
; %bb.38127:
	s_getpc_b64 s[14:15]
.Lpost_getpc22647:
	s_add_u32 s14, s14, (.LBB2_16624-.Lpost_getpc22647)&4294967295
	s_addc_u32 s15, s15, (.LBB2_16624-.Lpost_getpc22647)>>32
	s_setpc_b64 s[14:15]
.LBB2_2286:
	s_or_b64 exec, exec, s[6:7]
	s_and_saveexec_b64 s[6:7], s[4:5]
	s_cbranch_execz .LBB2_2288
.LBB2_2287:
	v_bfe_u32 v4, v5, 8, 3
	v_ffbh_u32_e32 v7, v4
	v_min_u32_e32 v7, 32, v7
	v_lshrrev_b16_e32 v6, 3, v3
	v_subrev_u32_e32 v8, 28, v7
	v_and_b32_e32 v6, 15, v6
	v_lshlrev_b32_e32 v3, v8, v3
	v_sub_u32_e32 v7, 29, v7
	v_and_b32_e32 v3, 7, v3
	v_cmp_eq_u16_e32 vcc, 0, v6
	v_cndmask_b32_e32 v3, v4, v3, vcc
	v_cndmask_b32_e32 v4, v6, v7, vcc
	v_lshlrev_b32_e32 v6, 16, v5
	v_mov_b32_e32 v7, 0x3b800000
	v_lshlrev_b32_e32 v3, 20, v3
	v_and_b32_e32 v6, 0x80000000, v6
	v_lshl_add_u32 v4, v4, 23, v7
	v_or3_b32 v4, v6, v4, v3
.LBB2_2288:
	s_or_b64 exec, exec, s[6:7]
	s_nop 0
	v_mfma_f32_16x16x4f32 a[0:3], v2, v4, a[0:3]
	s_movk_i32 s4, 0xff
	v_and_b32_sdwa v3, v9, s4 dst_sel:DWORD dst_unused:UNUSED_PAD src0_sel:WORD_1 src1_sel:DWORD
	s_movk_i32 s4, 0x7f
	v_cmp_lt_i16_e32 vcc, s4, v3
	s_mov_b64 s[4:5], 0
                                        ; implicit-def: $sgpr10
	s_and_saveexec_b64 s[6:7], vcc
	s_xor_b64 s[6:7], exec, s[6:7]
	s_cbranch_execz .LBB2_2289
; %bb.38129:
	s_getpc_b64 s[14:15]
.Lpost_getpc22648:
	s_add_u32 s14, s14, (.LBB2_16625-.Lpost_getpc22648)&4294967295
	s_addc_u32 s15, s15, (.LBB2_16625-.Lpost_getpc22648)>>32
	s_setpc_b64 s[14:15]
.LBB2_2289:
	s_or_saveexec_b64 s[6:7], s[6:7]
	v_mov_b32_e32 v2, s10
	s_xor_b64 exec, exec, s[6:7]
	s_cbranch_execz .LBB2_2290
; %bb.38131:
	s_getpc_b64 s[14:15]
.Lpost_getpc22649:
	s_add_u32 s14, s14, (.LBB2_16628-.Lpost_getpc22649)&4294967295
	s_addc_u32 s15, s15, (.LBB2_16628-.Lpost_getpc22649)>>32
	s_setpc_b64 s[14:15]
.LBB2_2290:
	s_or_b64 exec, exec, s[6:7]
	s_and_saveexec_b64 s[6:7], s[4:5]
	s_cbranch_execz .LBB2_2292
.LBB2_2291:
	v_bfe_u32 v2, v9, 16, 3
	v_ffbh_u32_e32 v6, v2
	v_min_u32_e32 v6, 32, v6
	v_lshrrev_b32_e32 v3, 19, v9
	v_subrev_u32_e32 v7, 28, v6
	v_and_b32_e32 v3, 15, v3
	v_lshlrev_b32_sdwa v7, v7, v9 dst_sel:DWORD dst_unused:UNUSED_PAD src0_sel:DWORD src1_sel:WORD_1
	v_bfe_u32 v4, v9, 19, 4
	v_sub_u32_e32 v6, 29, v6
	v_and_b32_e32 v7, 7, v7
	v_cmp_eq_u16_e32 vcc, 0, v3
	v_cndmask_b32_e32 v2, v2, v7, vcc
	v_cndmask_b32_e32 v3, v4, v6, vcc
	v_lshlrev_b32_e32 v4, 8, v9
	v_mov_b32_e32 v6, 0x3b800000
	v_lshlrev_b32_e32 v2, 20, v2
	v_and_b32_e32 v4, 0x80000000, v4
	v_lshl_add_u32 v3, v3, 23, v6
	v_or3_b32 v2, v4, v3, v2
.LBB2_2292:
	s_or_b64 exec, exec, s[6:7]
	s_movk_i32 s4, 0xff
	v_and_b32_sdwa v3, v5, s4 dst_sel:DWORD dst_unused:UNUSED_PAD src0_sel:WORD_1 src1_sel:DWORD
	s_movk_i32 s4, 0x7f
	v_cmp_lt_i16_e32 vcc, s4, v3
	s_mov_b64 s[4:5], 0
                                        ; implicit-def: $sgpr10
	s_and_saveexec_b64 s[6:7], vcc
	s_xor_b64 s[6:7], exec, s[6:7]
	s_cbranch_execz .LBB2_2293
; %bb.38133:
	s_getpc_b64 s[14:15]
.Lpost_getpc22650:
	s_add_u32 s14, s14, (.LBB2_16629-.Lpost_getpc22650)&4294967295
	s_addc_u32 s15, s15, (.LBB2_16629-.Lpost_getpc22650)>>32
	s_setpc_b64 s[14:15]
.LBB2_2293:
	s_or_saveexec_b64 s[6:7], s[6:7]
	v_mov_b32_e32 v4, s10
	s_xor_b64 exec, exec, s[6:7]
	s_cbranch_execz .LBB2_2294
; %bb.38135:
	s_getpc_b64 s[14:15]
.Lpost_getpc22651:
	s_add_u32 s14, s14, (.LBB2_16632-.Lpost_getpc22651)&4294967295
	s_addc_u32 s15, s15, (.LBB2_16632-.Lpost_getpc22651)>>32
	s_setpc_b64 s[14:15]
.LBB2_2294:
	s_or_b64 exec, exec, s[6:7]
	s_and_saveexec_b64 s[6:7], s[4:5]
	s_cbranch_execz .LBB2_2296
.LBB2_2295:
	v_bfe_u32 v3, v5, 16, 3
	v_ffbh_u32_e32 v7, v3
	v_min_u32_e32 v7, 32, v7
	v_lshrrev_b32_e32 v4, 19, v5
	v_subrev_u32_e32 v8, 28, v7
	v_and_b32_e32 v4, 15, v4
	v_lshlrev_b32_sdwa v8, v8, v5 dst_sel:DWORD dst_unused:UNUSED_PAD src0_sel:DWORD src1_sel:WORD_1
	v_bfe_u32 v6, v5, 19, 4
	v_sub_u32_e32 v7, 29, v7
	v_and_b32_e32 v8, 7, v8
	v_cmp_eq_u16_e32 vcc, 0, v4
	v_cndmask_b32_e32 v3, v3, v8, vcc
	v_cndmask_b32_e32 v4, v6, v7, vcc
	v_lshlrev_b32_e32 v6, 8, v5
	v_mov_b32_e32 v7, 0x3b800000
	v_lshlrev_b32_e32 v3, 20, v3
	v_and_b32_e32 v6, 0x80000000, v6
	v_lshl_add_u32 v4, v4, 23, v7
	v_or3_b32 v4, v6, v4, v3
.LBB2_2296:
	s_or_b64 exec, exec, s[6:7]
	s_nop 0
	v_mfma_f32_16x16x4f32 a[0:3], v2, v4, a[0:3]
	s_movk_i32 s4, 0x7f
	v_cmp_gt_i16_sdwa s[6:7], v9, s4 src0_sel:BYTE_3 src1_sel:DWORD
	s_mov_b64 s[4:5], 0
                                        ; implicit-def: $sgpr10
	s_and_saveexec_b64 s[8:9], s[6:7]
	s_xor_b64 s[6:7], exec, s[8:9]
	s_cbranch_execz .LBB2_2297
; %bb.38137:
	s_getpc_b64 s[14:15]
.Lpost_getpc22652:
	s_add_u32 s14, s14, (.LBB2_16633-.Lpost_getpc22652)&4294967295
	s_addc_u32 s15, s15, (.LBB2_16633-.Lpost_getpc22652)>>32
	s_setpc_b64 s[14:15]
.LBB2_2297:
	s_or_saveexec_b64 s[6:7], s[6:7]
	v_mov_b32_e32 v2, s10
	s_xor_b64 exec, exec, s[6:7]
	s_cbranch_execz .LBB2_2298
; %bb.38139:
	s_getpc_b64 s[14:15]
.Lpost_getpc22653:
	s_add_u32 s14, s14, (.LBB2_16636-.Lpost_getpc22653)&4294967295
	s_addc_u32 s15, s15, (.LBB2_16636-.Lpost_getpc22653)>>32
	s_setpc_b64 s[14:15]
.LBB2_2298:
	s_or_b64 exec, exec, s[6:7]
	s_and_saveexec_b64 s[6:7], s[4:5]
	s_cbranch_execz .LBB2_2300
.LBB2_2299:
	v_bfe_u32 v2, v9, 24, 3
	v_ffbh_u32_e32 v7, v2
	v_min_u32_e32 v7, 32, v7
	v_lshrrev_b32_e32 v4, 27, v9
	v_subrev_u32_e32 v8, 28, v7
	v_and_b32_e32 v4, 15, v4
	v_lshlrev_b32_sdwa v8, v8, v9 dst_sel:DWORD dst_unused:UNUSED_PAD src0_sel:DWORD src1_sel:BYTE_3
	v_bfe_u32 v6, v9, 27, 4
	v_sub_u32_e32 v7, 29, v7
	v_and_b32_e32 v8, 7, v8
	v_cmp_eq_u16_e32 vcc, 0, v4
	v_cndmask_b32_e32 v2, v2, v8, vcc
	v_cndmask_b32_e32 v4, v6, v7, vcc
	v_mov_b32_e32 v6, 0x3b800000
	v_and_b32_e32 v3, 0x80000000, v9
	v_lshlrev_b32_e32 v2, 20, v2
	v_lshl_add_u32 v4, v4, 23, v6
	v_or3_b32 v2, v3, v4, v2
.LBB2_2300:
	s_or_b64 exec, exec, s[6:7]
	s_movk_i32 s4, 0x7f
	v_cmp_gt_i16_sdwa s[6:7], v5, s4 src0_sel:BYTE_3 src1_sel:DWORD
	s_mov_b64 s[4:5], 0
                                        ; implicit-def: $sgpr10
	s_and_saveexec_b64 s[8:9], s[6:7]
	s_xor_b64 s[6:7], exec, s[8:9]
	s_cbranch_execz .LBB2_2301
; %bb.38141:
	s_getpc_b64 s[14:15]
.Lpost_getpc22654:
	s_add_u32 s14, s14, (.LBB2_16637-.Lpost_getpc22654)&4294967295
	s_addc_u32 s15, s15, (.LBB2_16637-.Lpost_getpc22654)>>32
	s_setpc_b64 s[14:15]
.LBB2_2301:
	s_or_saveexec_b64 s[6:7], s[6:7]
	v_mov_b32_e32 v3, s10
	s_xor_b64 exec, exec, s[6:7]
	s_cbranch_execz .LBB2_2302
; %bb.38143:
	s_getpc_b64 s[14:15]
.Lpost_getpc22655:
	s_add_u32 s14, s14, (.LBB2_16640-.Lpost_getpc22655)&4294967295
	s_addc_u32 s15, s15, (.LBB2_16640-.Lpost_getpc22655)>>32
	s_setpc_b64 s[14:15]
.LBB2_2302:
	s_or_b64 exec, exec, s[6:7]
	s_and_saveexec_b64 s[6:7], s[4:5]
	s_cbranch_execz .LBB2_2304
.LBB2_2303:
	v_bfe_u32 v3, v5, 24, 3
	v_ffbh_u32_e32 v8, v3
	v_min_u32_e32 v8, 32, v8
	v_lshrrev_b32_e32 v6, 27, v5
	v_subrev_u32_e32 v9, 28, v8
	v_and_b32_e32 v4, 0x80000000, v5
	v_and_b32_e32 v6, 15, v6
	v_bfe_u32 v7, v5, 27, 4
	v_lshlrev_b32_sdwa v5, v9, v5 dst_sel:DWORD dst_unused:UNUSED_PAD src0_sel:DWORD src1_sel:BYTE_3
	v_sub_u32_e32 v8, 29, v8
	v_and_b32_e32 v5, 7, v5
	v_cmp_eq_u16_e32 vcc, 0, v6
	v_cndmask_b32_e32 v3, v3, v5, vcc
	v_cndmask_b32_e32 v5, v7, v8, vcc
	v_mov_b32_e32 v6, 0x3b800000
	v_lshlrev_b32_e32 v3, 20, v3
	v_lshl_add_u32 v5, v5, 23, v6
	v_or3_b32 v3, v4, v5, v3
.LBB2_2304:
	s_or_b64 exec, exec, s[6:7]
	s_nop 0
	v_mfma_f32_16x16x4f32 a[0:3], v2, v3, a[0:3]
	s_movk_i32 s4, 0x7f
                                        ; implicit-def: $sgpr10
	s_nop 7
	s_nop 1
	flat_store_dwordx4 v[10:11], a[0:3] offset:272
	flat_load_dwordx4 v[12:15], v[0:1]
	s_nop 0
	flat_load_dwordx2 v[10:11], v[0:1] offset:16
	s_waitcnt vmcnt(0) lgkmcnt(0)
	flat_load_dwordx4 v[6:9], v[12:13] offset:32
	flat_load_dwordx4 v[2:5], v[14:15] offset:32
	s_waitcnt vmcnt(0) lgkmcnt(0)
	v_cmp_gt_i16_sdwa s[6:7], v6, s4 src0_sel:BYTE_0 src1_sel:DWORD
	s_mov_b64 s[4:5], 0
	s_and_saveexec_b64 s[8:9], s[6:7]
	s_xor_b64 s[6:7], exec, s[8:9]
	s_cbranch_execz .LBB2_2305
; %bb.38145:
	s_getpc_b64 s[14:15]
.Lpost_getpc22656:
	s_add_u32 s14, s14, (.LBB2_16641-.Lpost_getpc22656)&4294967295
	s_addc_u32 s15, s15, (.LBB2_16641-.Lpost_getpc22656)>>32
	s_setpc_b64 s[14:15]
.LBB2_2305:
	s_or_saveexec_b64 s[6:7], s[6:7]
	v_mov_b32_e32 v12, s10
	s_xor_b64 exec, exec, s[6:7]
	s_cbranch_execz .LBB2_2306
; %bb.38147:
	s_getpc_b64 s[14:15]
.Lpost_getpc22657:
	s_add_u32 s14, s14, (.LBB2_16644-.Lpost_getpc22657)&4294967295
	s_addc_u32 s15, s15, (.LBB2_16644-.Lpost_getpc22657)>>32
	s_setpc_b64 s[14:15]
.LBB2_2306:
	s_or_b64 exec, exec, s[6:7]
	s_and_saveexec_b64 s[6:7], s[4:5]
	s_cbranch_execz .LBB2_2308
.LBB2_2307:
	v_and_b32_e32 v12, 7, v6
	v_ffbh_u32_e32 v14, v12
	v_min_u32_e32 v14, 32, v14
	v_lshrrev_b16_e32 v13, 3, v6
	v_subrev_u32_e32 v15, 28, v14
	v_and_b32_e32 v13, 15, v13
	v_lshlrev_b32_e32 v15, v15, v6
	v_sub_u32_e32 v14, 29, v14
	v_and_b32_e32 v15, 7, v15
	v_cmp_eq_u16_e32 vcc, 0, v13
	v_cndmask_b32_e32 v12, v12, v15, vcc
	v_cndmask_b32_e32 v13, v13, v14, vcc
	v_lshlrev_b32_e32 v14, 24, v6
	v_mov_b32_e32 v15, 0x3b800000
	v_lshlrev_b32_e32 v12, 20, v12
	v_and_b32_e32 v14, 0x80000000, v14
	v_lshl_add_u32 v13, v13, 23, v15
	v_or3_b32 v12, v14, v13, v12
.LBB2_2308:
	s_or_b64 exec, exec, s[6:7]
	s_movk_i32 s4, 0x7f
	v_cmp_gt_i16_sdwa s[6:7], v2, s4 src0_sel:BYTE_0 src1_sel:DWORD
	s_mov_b64 s[4:5], 0
                                        ; implicit-def: $sgpr10
	s_and_saveexec_b64 s[8:9], s[6:7]
	s_xor_b64 s[6:7], exec, s[8:9]
	s_cbranch_execz .LBB2_2309
; %bb.38149:
	s_getpc_b64 s[14:15]
.Lpost_getpc22658:
	s_add_u32 s14, s14, (.LBB2_16645-.Lpost_getpc22658)&4294967295
	s_addc_u32 s15, s15, (.LBB2_16645-.Lpost_getpc22658)>>32
	s_setpc_b64 s[14:15]
.LBB2_2309:
	s_or_saveexec_b64 s[6:7], s[6:7]
	v_mov_b32_e32 v13, s10
	s_xor_b64 exec, exec, s[6:7]
	s_cbranch_execz .LBB2_2310
; %bb.38151:
	s_getpc_b64 s[14:15]
.Lpost_getpc22659:
	s_add_u32 s14, s14, (.LBB2_16648-.Lpost_getpc22659)&4294967295
	s_addc_u32 s15, s15, (.LBB2_16648-.Lpost_getpc22659)>>32
	s_setpc_b64 s[14:15]
.LBB2_2310:
	s_or_b64 exec, exec, s[6:7]
	s_and_saveexec_b64 s[6:7], s[4:5]
	s_cbranch_execz .LBB2_2312
.LBB2_2311:
	v_and_b32_e32 v13, 7, v2
	v_ffbh_u32_e32 v15, v13
	v_min_u32_e32 v15, 32, v15
	v_lshrrev_b16_e32 v14, 3, v2
	v_subrev_u32_e32 v16, 28, v15
	v_and_b32_e32 v14, 15, v14
	v_lshlrev_b32_e32 v16, v16, v2
	v_sub_u32_e32 v15, 29, v15
	v_and_b32_e32 v16, 7, v16
	v_cmp_eq_u16_e32 vcc, 0, v14
	v_cndmask_b32_e32 v13, v13, v16, vcc
	v_cndmask_b32_e32 v14, v14, v15, vcc
	v_lshlrev_b32_e32 v15, 24, v2
	v_mov_b32_e32 v16, 0x3b800000
	v_lshlrev_b32_e32 v13, 20, v13
	v_and_b32_e32 v15, 0x80000000, v15
	v_lshl_add_u32 v14, v14, 23, v16
	v_or3_b32 v13, v15, v14, v13
.LBB2_2312:
	s_or_b64 exec, exec, s[6:7]
	flat_load_dwordx4 a[0:3], v[10:11] offset:288
	s_movk_i32 s4, 0x7f
                                        ; implicit-def: $sgpr10
	s_waitcnt vmcnt(0) lgkmcnt(0)
	v_mfma_f32_16x16x4f32 a[0:3], v12, v13, a[0:3]
	v_lshrrev_b32_e32 v13, 8, v6
	v_cmp_gt_i16_sdwa s[6:7], v13, s4 src0_sel:BYTE_0 src1_sel:DWORD
	s_mov_b64 s[4:5], 0
	s_and_saveexec_b64 s[8:9], s[6:7]
	s_xor_b64 s[6:7], exec, s[8:9]
	s_cbranch_execz .LBB2_2313
; %bb.38153:
	s_getpc_b64 s[14:15]
.Lpost_getpc22660:
	s_add_u32 s14, s14, (.LBB2_16649-.Lpost_getpc22660)&4294967295
	s_addc_u32 s15, s15, (.LBB2_16649-.Lpost_getpc22660)>>32
	s_setpc_b64 s[14:15]
.LBB2_2313:
	s_or_saveexec_b64 s[6:7], s[6:7]
	v_mov_b32_e32 v12, s10
	s_xor_b64 exec, exec, s[6:7]
	s_cbranch_execz .LBB2_2314
; %bb.38155:
	s_getpc_b64 s[14:15]
.Lpost_getpc22661:
	s_add_u32 s14, s14, (.LBB2_16652-.Lpost_getpc22661)&4294967295
	s_addc_u32 s15, s15, (.LBB2_16652-.Lpost_getpc22661)>>32
	s_setpc_b64 s[14:15]
.LBB2_2314:
	s_or_b64 exec, exec, s[6:7]
	s_and_saveexec_b64 s[6:7], s[4:5]
	s_cbranch_execz .LBB2_2316
.LBB2_2315:
	v_bfe_u32 v12, v6, 8, 3
	v_ffbh_u32_e32 v15, v12
	v_min_u32_e32 v15, 32, v15
	v_lshrrev_b16_e32 v14, 3, v13
	v_subrev_u32_e32 v16, 28, v15
	v_and_b32_e32 v14, 15, v14
	v_lshlrev_b32_e32 v13, v16, v13
	v_sub_u32_e32 v15, 29, v15
	v_and_b32_e32 v13, 7, v13
	v_cmp_eq_u16_e32 vcc, 0, v14
	v_cndmask_b32_e32 v12, v12, v13, vcc
	v_cndmask_b32_e32 v13, v14, v15, vcc
	v_lshlrev_b32_e32 v14, 16, v6
	v_mov_b32_e32 v15, 0x3b800000
	v_lshlrev_b32_e32 v12, 20, v12
	v_and_b32_e32 v14, 0x80000000, v14
	v_lshl_add_u32 v13, v13, 23, v15
	v_or3_b32 v12, v14, v13, v12
.LBB2_2316:
	s_or_b64 exec, exec, s[6:7]
	v_lshrrev_b32_e32 v13, 8, v2
	s_movk_i32 s4, 0x7f
	v_cmp_gt_i16_sdwa s[6:7], v13, s4 src0_sel:BYTE_0 src1_sel:DWORD
	s_mov_b64 s[4:5], 0
                                        ; implicit-def: $sgpr10
	s_and_saveexec_b64 s[8:9], s[6:7]
	s_xor_b64 s[6:7], exec, s[8:9]
	s_cbranch_execz .LBB2_2317
; %bb.38157:
	s_getpc_b64 s[14:15]
.Lpost_getpc22662:
	s_add_u32 s14, s14, (.LBB2_16653-.Lpost_getpc22662)&4294967295
	s_addc_u32 s15, s15, (.LBB2_16653-.Lpost_getpc22662)>>32
	s_setpc_b64 s[14:15]
.LBB2_2317:
	s_or_saveexec_b64 s[6:7], s[6:7]
	v_mov_b32_e32 v14, s10
	s_xor_b64 exec, exec, s[6:7]
	s_cbranch_execz .LBB2_2318
; %bb.38159:
	s_getpc_b64 s[14:15]
.Lpost_getpc22663:
	s_add_u32 s14, s14, (.LBB2_16656-.Lpost_getpc22663)&4294967295
	s_addc_u32 s15, s15, (.LBB2_16656-.Lpost_getpc22663)>>32
	s_setpc_b64 s[14:15]
.LBB2_2318:
	s_or_b64 exec, exec, s[6:7]
	s_and_saveexec_b64 s[6:7], s[4:5]
	s_cbranch_execz .LBB2_2320
.LBB2_2319:
	v_bfe_u32 v14, v2, 8, 3
	v_ffbh_u32_e32 v16, v14
	v_min_u32_e32 v16, 32, v16
	v_lshrrev_b16_e32 v15, 3, v13
	v_subrev_u32_e32 v17, 28, v16
	v_and_b32_e32 v15, 15, v15
	v_lshlrev_b32_e32 v13, v17, v13
	v_sub_u32_e32 v16, 29, v16
	v_and_b32_e32 v13, 7, v13
	v_cmp_eq_u16_e32 vcc, 0, v15
	v_cndmask_b32_e32 v13, v14, v13, vcc
	v_cndmask_b32_e32 v14, v15, v16, vcc
	v_lshlrev_b32_e32 v15, 16, v2
	v_mov_b32_e32 v16, 0x3b800000
	v_lshlrev_b32_e32 v13, 20, v13
	v_and_b32_e32 v15, 0x80000000, v15
	v_lshl_add_u32 v14, v14, 23, v16
	v_or3_b32 v14, v15, v14, v13
.LBB2_2320:
	s_or_b64 exec, exec, s[6:7]
	s_nop 0
	v_mfma_f32_16x16x4f32 a[0:3], v12, v14, a[0:3]
	s_movk_i32 s4, 0xff
	v_and_b32_sdwa v13, v6, s4 dst_sel:DWORD dst_unused:UNUSED_PAD src0_sel:WORD_1 src1_sel:DWORD
	s_movk_i32 s4, 0x7f
	v_cmp_lt_i16_e32 vcc, s4, v13
	s_mov_b64 s[4:5], 0
                                        ; implicit-def: $sgpr10
	s_and_saveexec_b64 s[6:7], vcc
	s_xor_b64 s[6:7], exec, s[6:7]
	s_cbranch_execz .LBB2_2321
; %bb.38161:
	s_getpc_b64 s[14:15]
.Lpost_getpc22664:
	s_add_u32 s14, s14, (.LBB2_16657-.Lpost_getpc22664)&4294967295
	s_addc_u32 s15, s15, (.LBB2_16657-.Lpost_getpc22664)>>32
	s_setpc_b64 s[14:15]
.LBB2_2321:
	s_or_saveexec_b64 s[6:7], s[6:7]
	v_mov_b32_e32 v12, s10
	s_xor_b64 exec, exec, s[6:7]
	s_cbranch_execz .LBB2_2322
; %bb.38163:
	s_getpc_b64 s[14:15]
.Lpost_getpc22665:
	s_add_u32 s14, s14, (.LBB2_16660-.Lpost_getpc22665)&4294967295
	s_addc_u32 s15, s15, (.LBB2_16660-.Lpost_getpc22665)>>32
	s_setpc_b64 s[14:15]
.LBB2_2322:
	s_or_b64 exec, exec, s[6:7]
	s_and_saveexec_b64 s[6:7], s[4:5]
	s_cbranch_execz .LBB2_2324
.LBB2_2323:
	v_bfe_u32 v12, v6, 16, 3
	v_ffbh_u32_e32 v15, v12
	v_min_u32_e32 v15, 32, v15
	v_lshrrev_b32_e32 v13, 19, v6
	v_subrev_u32_e32 v16, 28, v15
	v_and_b32_e32 v13, 15, v13
	v_lshlrev_b32_sdwa v16, v16, v6 dst_sel:DWORD dst_unused:UNUSED_PAD src0_sel:DWORD src1_sel:WORD_1
	v_bfe_u32 v14, v6, 19, 4
	v_sub_u32_e32 v15, 29, v15
	v_and_b32_e32 v16, 7, v16
	v_cmp_eq_u16_e32 vcc, 0, v13
	v_cndmask_b32_e32 v12, v12, v16, vcc
	v_cndmask_b32_e32 v13, v14, v15, vcc
	v_lshlrev_b32_e32 v14, 8, v6
	v_mov_b32_e32 v15, 0x3b800000
	v_lshlrev_b32_e32 v12, 20, v12
	v_and_b32_e32 v14, 0x80000000, v14
	v_lshl_add_u32 v13, v13, 23, v15
	v_or3_b32 v12, v14, v13, v12
.LBB2_2324:
	s_or_b64 exec, exec, s[6:7]
	s_movk_i32 s4, 0xff
	v_and_b32_sdwa v13, v2, s4 dst_sel:DWORD dst_unused:UNUSED_PAD src0_sel:WORD_1 src1_sel:DWORD
	s_movk_i32 s4, 0x7f
	v_cmp_lt_i16_e32 vcc, s4, v13
	s_mov_b64 s[4:5], 0
                                        ; implicit-def: $sgpr10
	s_and_saveexec_b64 s[6:7], vcc
	s_xor_b64 s[6:7], exec, s[6:7]
	s_cbranch_execz .LBB2_2325
; %bb.38165:
	s_getpc_b64 s[14:15]
.Lpost_getpc22666:
	s_add_u32 s14, s14, (.LBB2_16661-.Lpost_getpc22666)&4294967295
	s_addc_u32 s15, s15, (.LBB2_16661-.Lpost_getpc22666)>>32
	s_setpc_b64 s[14:15]
.LBB2_2325:
	s_or_saveexec_b64 s[6:7], s[6:7]
	v_mov_b32_e32 v14, s10
	s_xor_b64 exec, exec, s[6:7]
	s_cbranch_execz .LBB2_2326
; %bb.38167:
	s_getpc_b64 s[14:15]
.Lpost_getpc22667:
	s_add_u32 s14, s14, (.LBB2_16664-.Lpost_getpc22667)&4294967295
	s_addc_u32 s15, s15, (.LBB2_16664-.Lpost_getpc22667)>>32
	s_setpc_b64 s[14:15]
.LBB2_2326:
	s_or_b64 exec, exec, s[6:7]
	s_and_saveexec_b64 s[6:7], s[4:5]
	s_cbranch_execz .LBB2_2328
.LBB2_2327:
	v_bfe_u32 v13, v2, 16, 3
	v_ffbh_u32_e32 v16, v13
	v_min_u32_e32 v16, 32, v16
	v_lshrrev_b32_e32 v14, 19, v2
	v_subrev_u32_e32 v17, 28, v16
	v_and_b32_e32 v14, 15, v14
	v_lshlrev_b32_sdwa v17, v17, v2 dst_sel:DWORD dst_unused:UNUSED_PAD src0_sel:DWORD src1_sel:WORD_1
	v_bfe_u32 v15, v2, 19, 4
	v_sub_u32_e32 v16, 29, v16
	v_and_b32_e32 v17, 7, v17
	v_cmp_eq_u16_e32 vcc, 0, v14
	v_cndmask_b32_e32 v13, v13, v17, vcc
	v_cndmask_b32_e32 v14, v15, v16, vcc
	v_lshlrev_b32_e32 v15, 8, v2
	v_mov_b32_e32 v16, 0x3b800000
	v_lshlrev_b32_e32 v13, 20, v13
	v_and_b32_e32 v15, 0x80000000, v15
	v_lshl_add_u32 v14, v14, 23, v16
	v_or3_b32 v14, v15, v14, v13
.LBB2_2328:
	s_or_b64 exec, exec, s[6:7]
	s_nop 0
	v_mfma_f32_16x16x4f32 a[0:3], v12, v14, a[0:3]
	s_movk_i32 s4, 0x7f
	v_cmp_gt_i16_sdwa s[6:7], v6, s4 src0_sel:BYTE_3 src1_sel:DWORD
	s_mov_b64 s[4:5], 0
                                        ; implicit-def: $sgpr10
	s_and_saveexec_b64 s[8:9], s[6:7]
	s_xor_b64 s[6:7], exec, s[8:9]
	s_cbranch_execz .LBB2_2329
; %bb.38169:
	s_getpc_b64 s[14:15]
.Lpost_getpc22668:
	s_add_u32 s14, s14, (.LBB2_16665-.Lpost_getpc22668)&4294967295
	s_addc_u32 s15, s15, (.LBB2_16665-.Lpost_getpc22668)>>32
	s_setpc_b64 s[14:15]
.LBB2_2329:
	s_or_saveexec_b64 s[6:7], s[6:7]
	v_mov_b32_e32 v12, s10
	s_xor_b64 exec, exec, s[6:7]
	s_cbranch_execz .LBB2_2330
; %bb.38171:
	s_getpc_b64 s[14:15]
.Lpost_getpc22669:
	s_add_u32 s14, s14, (.LBB2_16668-.Lpost_getpc22669)&4294967295
	s_addc_u32 s15, s15, (.LBB2_16668-.Lpost_getpc22669)>>32
	s_setpc_b64 s[14:15]
.LBB2_2330:
	s_or_b64 exec, exec, s[6:7]
	s_and_saveexec_b64 s[6:7], s[4:5]
	s_cbranch_execz .LBB2_2332
.LBB2_2331:
	v_bfe_u32 v12, v6, 24, 3
	v_ffbh_u32_e32 v16, v12
	v_min_u32_e32 v16, 32, v16
	v_lshrrev_b32_e32 v14, 27, v6
	v_subrev_u32_e32 v17, 28, v16
	v_and_b32_e32 v13, 0x80000000, v6
	v_and_b32_e32 v14, 15, v14
	v_bfe_u32 v15, v6, 27, 4
	v_lshlrev_b32_sdwa v6, v17, v6 dst_sel:DWORD dst_unused:UNUSED_PAD src0_sel:DWORD src1_sel:BYTE_3
	v_sub_u32_e32 v16, 29, v16
	v_and_b32_e32 v6, 7, v6
	v_cmp_eq_u16_e32 vcc, 0, v14
	v_cndmask_b32_e32 v6, v12, v6, vcc
	v_cndmask_b32_e32 v12, v15, v16, vcc
	v_mov_b32_e32 v14, 0x3b800000
	v_lshlrev_b32_e32 v6, 20, v6
	v_lshl_add_u32 v12, v12, 23, v14
	v_or3_b32 v12, v13, v12, v6
.LBB2_2332:
	s_or_b64 exec, exec, s[6:7]
	s_movk_i32 s4, 0x7f
	v_cmp_gt_i16_sdwa s[6:7], v2, s4 src0_sel:BYTE_3 src1_sel:DWORD
	s_mov_b64 s[4:5], 0
                                        ; implicit-def: $sgpr10
	s_and_saveexec_b64 s[8:9], s[6:7]
	s_xor_b64 s[6:7], exec, s[8:9]
	s_cbranch_execz .LBB2_2333
; %bb.38173:
	s_getpc_b64 s[14:15]
.Lpost_getpc22670:
	s_add_u32 s14, s14, (.LBB2_16669-.Lpost_getpc22670)&4294967295
	s_addc_u32 s15, s15, (.LBB2_16669-.Lpost_getpc22670)>>32
	s_setpc_b64 s[14:15]
.LBB2_2333:
	s_or_saveexec_b64 s[6:7], s[6:7]
	v_mov_b32_e32 v6, s10
	s_xor_b64 exec, exec, s[6:7]
	s_cbranch_execz .LBB2_2334
; %bb.38175:
	s_getpc_b64 s[14:15]
.Lpost_getpc22671:
	s_add_u32 s14, s14, (.LBB2_16672-.Lpost_getpc22671)&4294967295
	s_addc_u32 s15, s15, (.LBB2_16672-.Lpost_getpc22671)>>32
	s_setpc_b64 s[14:15]
.LBB2_2334:
	s_or_b64 exec, exec, s[6:7]
	s_and_saveexec_b64 s[6:7], s[4:5]
	s_cbranch_execz .LBB2_2336
.LBB2_2335:
	v_bfe_u32 v6, v2, 24, 3
	v_ffbh_u32_e32 v16, v6
	v_min_u32_e32 v16, 32, v16
	v_lshrrev_b32_e32 v14, 27, v2
	v_subrev_u32_e32 v17, 28, v16
	v_and_b32_e32 v13, 0x80000000, v2
	v_and_b32_e32 v14, 15, v14
	v_bfe_u32 v15, v2, 27, 4
	v_lshlrev_b32_sdwa v2, v17, v2 dst_sel:DWORD dst_unused:UNUSED_PAD src0_sel:DWORD src1_sel:BYTE_3
	v_sub_u32_e32 v16, 29, v16
	v_and_b32_e32 v2, 7, v2
	v_cmp_eq_u16_e32 vcc, 0, v14
	v_cndmask_b32_e32 v2, v6, v2, vcc
	v_cndmask_b32_e32 v6, v15, v16, vcc
	v_mov_b32_e32 v14, 0x3b800000
	v_lshlrev_b32_e32 v2, 20, v2
	v_lshl_add_u32 v6, v6, 23, v14
	v_or3_b32 v6, v13, v6, v2
.LBB2_2336:
	s_or_b64 exec, exec, s[6:7]
	s_nop 0
	v_mfma_f32_16x16x4f32 a[0:3], v12, v6, a[0:3]
	s_movk_i32 s4, 0x7f
	v_cmp_gt_i16_sdwa s[6:7], v7, s4 src0_sel:BYTE_0 src1_sel:DWORD
	s_mov_b64 s[4:5], 0
                                        ; implicit-def: $sgpr10
	s_and_saveexec_b64 s[8:9], s[6:7]
	s_xor_b64 s[6:7], exec, s[8:9]
	s_cbranch_execz .LBB2_2337
; %bb.38177:
	s_getpc_b64 s[14:15]
.Lpost_getpc22672:
	s_add_u32 s14, s14, (.LBB2_16673-.Lpost_getpc22672)&4294967295
	s_addc_u32 s15, s15, (.LBB2_16673-.Lpost_getpc22672)>>32
	s_setpc_b64 s[14:15]
.LBB2_2337:
	s_or_saveexec_b64 s[6:7], s[6:7]
	v_mov_b32_e32 v2, s10
	s_xor_b64 exec, exec, s[6:7]
	s_cbranch_execz .LBB2_2338
; %bb.38179:
	s_getpc_b64 s[14:15]
.Lpost_getpc22673:
	s_add_u32 s14, s14, (.LBB2_16676-.Lpost_getpc22673)&4294967295
	s_addc_u32 s15, s15, (.LBB2_16676-.Lpost_getpc22673)>>32
	s_setpc_b64 s[14:15]
.LBB2_2338:
	s_or_b64 exec, exec, s[6:7]
	s_and_saveexec_b64 s[6:7], s[4:5]
	s_cbranch_execz .LBB2_2340
.LBB2_2339:
	v_and_b32_e32 v2, 7, v7
	v_ffbh_u32_e32 v12, v2
	v_min_u32_e32 v12, 32, v12
	v_lshrrev_b16_e32 v6, 3, v7
	v_subrev_u32_e32 v13, 28, v12
	v_and_b32_e32 v6, 15, v6
	v_lshlrev_b32_e32 v13, v13, v7
	v_sub_u32_e32 v12, 29, v12
	v_and_b32_e32 v13, 7, v13
	v_cmp_eq_u16_e32 vcc, 0, v6
	v_cndmask_b32_e32 v2, v2, v13, vcc
	v_cndmask_b32_e32 v6, v6, v12, vcc
	v_lshlrev_b32_e32 v12, 24, v7
	v_mov_b32_e32 v13, 0x3b800000
	v_lshlrev_b32_e32 v2, 20, v2
	v_and_b32_e32 v12, 0x80000000, v12
	v_lshl_add_u32 v6, v6, 23, v13
	v_or3_b32 v2, v12, v6, v2
.LBB2_2340:
	s_or_b64 exec, exec, s[6:7]
	s_movk_i32 s4, 0x7f
	v_cmp_gt_i16_sdwa s[6:7], v3, s4 src0_sel:BYTE_0 src1_sel:DWORD
	s_mov_b64 s[4:5], 0
                                        ; implicit-def: $sgpr10
	s_and_saveexec_b64 s[8:9], s[6:7]
	s_xor_b64 s[6:7], exec, s[8:9]
	s_cbranch_execz .LBB2_2341
; %bb.38181:
	s_getpc_b64 s[14:15]
.Lpost_getpc22674:
	s_add_u32 s14, s14, (.LBB2_16677-.Lpost_getpc22674)&4294967295
	s_addc_u32 s15, s15, (.LBB2_16677-.Lpost_getpc22674)>>32
	s_setpc_b64 s[14:15]
.LBB2_2341:
	s_or_saveexec_b64 s[6:7], s[6:7]
	v_mov_b32_e32 v6, s10
	s_xor_b64 exec, exec, s[6:7]
	s_cbranch_execz .LBB2_2342
; %bb.38183:
	s_getpc_b64 s[14:15]
.Lpost_getpc22675:
	s_add_u32 s14, s14, (.LBB2_16680-.Lpost_getpc22675)&4294967295
	s_addc_u32 s15, s15, (.LBB2_16680-.Lpost_getpc22675)>>32
	s_setpc_b64 s[14:15]
.LBB2_2342:
	s_or_b64 exec, exec, s[6:7]
	s_and_saveexec_b64 s[6:7], s[4:5]
	s_cbranch_execz .LBB2_2344
.LBB2_2343:
	v_and_b32_e32 v6, 7, v3
	v_ffbh_u32_e32 v13, v6
	v_min_u32_e32 v13, 32, v13
	v_lshrrev_b16_e32 v12, 3, v3
	v_subrev_u32_e32 v14, 28, v13
	v_and_b32_e32 v12, 15, v12
	v_lshlrev_b32_e32 v14, v14, v3
	v_sub_u32_e32 v13, 29, v13
	v_and_b32_e32 v14, 7, v14
	v_cmp_eq_u16_e32 vcc, 0, v12
	v_cndmask_b32_e32 v6, v6, v14, vcc
	v_cndmask_b32_e32 v12, v12, v13, vcc
	v_lshlrev_b32_e32 v13, 24, v3
	v_mov_b32_e32 v14, 0x3b800000
	v_lshlrev_b32_e32 v6, 20, v6
	v_and_b32_e32 v13, 0x80000000, v13
	v_lshl_add_u32 v12, v12, 23, v14
	v_or3_b32 v6, v13, v12, v6
.LBB2_2344:
	s_or_b64 exec, exec, s[6:7]
	s_nop 0
	v_mfma_f32_16x16x4f32 a[0:3], v2, v6, a[0:3]
	v_lshrrev_b32_e32 v6, 8, v7
	s_movk_i32 s4, 0x7f
	v_cmp_gt_i16_sdwa s[6:7], v6, s4 src0_sel:BYTE_0 src1_sel:DWORD
	s_mov_b64 s[4:5], 0
                                        ; implicit-def: $sgpr10
	s_and_saveexec_b64 s[8:9], s[6:7]
	s_xor_b64 s[6:7], exec, s[8:9]
	s_cbranch_execz .LBB2_2345
; %bb.38185:
	s_getpc_b64 s[14:15]
.Lpost_getpc22676:
	s_add_u32 s14, s14, (.LBB2_16681-.Lpost_getpc22676)&4294967295
	s_addc_u32 s15, s15, (.LBB2_16681-.Lpost_getpc22676)>>32
	s_setpc_b64 s[14:15]
.LBB2_2345:
	s_or_saveexec_b64 s[6:7], s[6:7]
	v_mov_b32_e32 v2, s10
	s_xor_b64 exec, exec, s[6:7]
	s_cbranch_execz .LBB2_2346
; %bb.38187:
	s_getpc_b64 s[14:15]
.Lpost_getpc22677:
	s_add_u32 s14, s14, (.LBB2_16684-.Lpost_getpc22677)&4294967295
	s_addc_u32 s15, s15, (.LBB2_16684-.Lpost_getpc22677)>>32
	s_setpc_b64 s[14:15]
.LBB2_2346:
	s_or_b64 exec, exec, s[6:7]
	s_and_saveexec_b64 s[6:7], s[4:5]
	s_cbranch_execz .LBB2_2348
.LBB2_2347:
	v_bfe_u32 v2, v7, 8, 3
	v_ffbh_u32_e32 v13, v2
	v_min_u32_e32 v13, 32, v13
	v_lshrrev_b16_e32 v12, 3, v6
	v_subrev_u32_e32 v14, 28, v13
	v_and_b32_e32 v12, 15, v12
	v_lshlrev_b32_e32 v6, v14, v6
	v_sub_u32_e32 v13, 29, v13
	v_and_b32_e32 v6, 7, v6
	v_cmp_eq_u16_e32 vcc, 0, v12
	v_cndmask_b32_e32 v2, v2, v6, vcc
	v_cndmask_b32_e32 v6, v12, v13, vcc
	v_lshlrev_b32_e32 v12, 16, v7
	v_mov_b32_e32 v13, 0x3b800000
	v_lshlrev_b32_e32 v2, 20, v2
	v_and_b32_e32 v12, 0x80000000, v12
	v_lshl_add_u32 v6, v6, 23, v13
	v_or3_b32 v2, v12, v6, v2
.LBB2_2348:
	s_or_b64 exec, exec, s[6:7]
	v_lshrrev_b32_e32 v6, 8, v3
	s_movk_i32 s4, 0x7f
	v_cmp_gt_i16_sdwa s[6:7], v6, s4 src0_sel:BYTE_0 src1_sel:DWORD
	s_mov_b64 s[4:5], 0
                                        ; implicit-def: $sgpr10
	s_and_saveexec_b64 s[8:9], s[6:7]
	s_xor_b64 s[6:7], exec, s[8:9]
	s_cbranch_execz .LBB2_2349
; %bb.38189:
	s_getpc_b64 s[14:15]
.Lpost_getpc22678:
	s_add_u32 s14, s14, (.LBB2_16685-.Lpost_getpc22678)&4294967295
	s_addc_u32 s15, s15, (.LBB2_16685-.Lpost_getpc22678)>>32
	s_setpc_b64 s[14:15]
.LBB2_2349:
	s_or_saveexec_b64 s[6:7], s[6:7]
	v_mov_b32_e32 v12, s10
	s_xor_b64 exec, exec, s[6:7]
	s_cbranch_execz .LBB2_2350
; %bb.38191:
	s_getpc_b64 s[14:15]
.Lpost_getpc22679:
	s_add_u32 s14, s14, (.LBB2_16688-.Lpost_getpc22679)&4294967295
	s_addc_u32 s15, s15, (.LBB2_16688-.Lpost_getpc22679)>>32
	s_setpc_b64 s[14:15]
.LBB2_2350:
	s_or_b64 exec, exec, s[6:7]
	s_and_saveexec_b64 s[6:7], s[4:5]
	s_cbranch_execz .LBB2_2352
.LBB2_2351:
	v_bfe_u32 v12, v3, 8, 3
	v_ffbh_u32_e32 v14, v12
	v_min_u32_e32 v14, 32, v14
	v_lshrrev_b16_e32 v13, 3, v6
	v_subrev_u32_e32 v15, 28, v14
	v_and_b32_e32 v13, 15, v13
	v_lshlrev_b32_e32 v6, v15, v6
	v_sub_u32_e32 v14, 29, v14
	v_and_b32_e32 v6, 7, v6
	v_cmp_eq_u16_e32 vcc, 0, v13
	v_cndmask_b32_e32 v6, v12, v6, vcc
	v_cndmask_b32_e32 v12, v13, v14, vcc
	v_lshlrev_b32_e32 v13, 16, v3
	v_mov_b32_e32 v14, 0x3b800000
	v_lshlrev_b32_e32 v6, 20, v6
	v_and_b32_e32 v13, 0x80000000, v13
	v_lshl_add_u32 v12, v12, 23, v14
	v_or3_b32 v12, v13, v12, v6
.LBB2_2352:
	s_or_b64 exec, exec, s[6:7]
	s_nop 0
	v_mfma_f32_16x16x4f32 a[0:3], v2, v12, a[0:3]
	s_movk_i32 s4, 0xff
	v_and_b32_sdwa v6, v7, s4 dst_sel:DWORD dst_unused:UNUSED_PAD src0_sel:WORD_1 src1_sel:DWORD
	s_movk_i32 s4, 0x7f
	v_cmp_lt_i16_e32 vcc, s4, v6
	s_mov_b64 s[4:5], 0
                                        ; implicit-def: $sgpr10
	s_and_saveexec_b64 s[6:7], vcc
	s_xor_b64 s[6:7], exec, s[6:7]
	s_cbranch_execz .LBB2_2353
; %bb.38193:
	s_getpc_b64 s[14:15]
.Lpost_getpc22680:
	s_add_u32 s14, s14, (.LBB2_16689-.Lpost_getpc22680)&4294967295
	s_addc_u32 s15, s15, (.LBB2_16689-.Lpost_getpc22680)>>32
	s_setpc_b64 s[14:15]
.LBB2_2353:
	s_or_saveexec_b64 s[6:7], s[6:7]
	v_mov_b32_e32 v2, s10
	s_xor_b64 exec, exec, s[6:7]
	s_cbranch_execz .LBB2_2354
; %bb.38195:
	s_getpc_b64 s[14:15]
.Lpost_getpc22681:
	s_add_u32 s14, s14, (.LBB2_16692-.Lpost_getpc22681)&4294967295
	s_addc_u32 s15, s15, (.LBB2_16692-.Lpost_getpc22681)>>32
	s_setpc_b64 s[14:15]
.LBB2_2354:
	s_or_b64 exec, exec, s[6:7]
	s_and_saveexec_b64 s[6:7], s[4:5]
	s_cbranch_execz .LBB2_2356
.LBB2_2355:
	v_bfe_u32 v2, v7, 16, 3
	v_ffbh_u32_e32 v13, v2
	v_min_u32_e32 v13, 32, v13
	v_lshrrev_b32_e32 v6, 19, v7
	v_subrev_u32_e32 v14, 28, v13
	v_and_b32_e32 v6, 15, v6
	v_lshlrev_b32_sdwa v14, v14, v7 dst_sel:DWORD dst_unused:UNUSED_PAD src0_sel:DWORD src1_sel:WORD_1
	v_bfe_u32 v12, v7, 19, 4
	v_sub_u32_e32 v13, 29, v13
	v_and_b32_e32 v14, 7, v14
	v_cmp_eq_u16_e32 vcc, 0, v6
	v_cndmask_b32_e32 v2, v2, v14, vcc
	v_cndmask_b32_e32 v6, v12, v13, vcc
	v_lshlrev_b32_e32 v12, 8, v7
	v_mov_b32_e32 v13, 0x3b800000
	v_lshlrev_b32_e32 v2, 20, v2
	v_and_b32_e32 v12, 0x80000000, v12
	v_lshl_add_u32 v6, v6, 23, v13
	v_or3_b32 v2, v12, v6, v2
.LBB2_2356:
	s_or_b64 exec, exec, s[6:7]
	s_movk_i32 s4, 0xff
	v_and_b32_sdwa v6, v3, s4 dst_sel:DWORD dst_unused:UNUSED_PAD src0_sel:WORD_1 src1_sel:DWORD
	s_movk_i32 s4, 0x7f
	v_cmp_lt_i16_e32 vcc, s4, v6
	s_mov_b64 s[4:5], 0
                                        ; implicit-def: $sgpr10
	s_and_saveexec_b64 s[6:7], vcc
	s_xor_b64 s[6:7], exec, s[6:7]
	s_cbranch_execz .LBB2_2357
; %bb.38197:
	s_getpc_b64 s[14:15]
.Lpost_getpc22682:
	s_add_u32 s14, s14, (.LBB2_16693-.Lpost_getpc22682)&4294967295
	s_addc_u32 s15, s15, (.LBB2_16693-.Lpost_getpc22682)>>32
	s_setpc_b64 s[14:15]
.LBB2_2357:
	s_or_saveexec_b64 s[6:7], s[6:7]
	v_mov_b32_e32 v12, s10
	s_xor_b64 exec, exec, s[6:7]
	s_cbranch_execz .LBB2_2358
; %bb.38199:
	s_getpc_b64 s[14:15]
.Lpost_getpc22683:
	s_add_u32 s14, s14, (.LBB2_16696-.Lpost_getpc22683)&4294967295
	s_addc_u32 s15, s15, (.LBB2_16696-.Lpost_getpc22683)>>32
	s_setpc_b64 s[14:15]
.LBB2_2358:
	s_or_b64 exec, exec, s[6:7]
	s_and_saveexec_b64 s[6:7], s[4:5]
	s_cbranch_execz .LBB2_2360
.LBB2_2359:
	v_bfe_u32 v6, v3, 16, 3
	v_ffbh_u32_e32 v14, v6
	v_min_u32_e32 v14, 32, v14
	v_lshrrev_b32_e32 v12, 19, v3
	v_subrev_u32_e32 v15, 28, v14
	v_and_b32_e32 v12, 15, v12
	v_lshlrev_b32_sdwa v15, v15, v3 dst_sel:DWORD dst_unused:UNUSED_PAD src0_sel:DWORD src1_sel:WORD_1
	v_bfe_u32 v13, v3, 19, 4
	v_sub_u32_e32 v14, 29, v14
	v_and_b32_e32 v15, 7, v15
	v_cmp_eq_u16_e32 vcc, 0, v12
	v_cndmask_b32_e32 v6, v6, v15, vcc
	v_cndmask_b32_e32 v12, v13, v14, vcc
	v_lshlrev_b32_e32 v13, 8, v3
	v_mov_b32_e32 v14, 0x3b800000
	v_lshlrev_b32_e32 v6, 20, v6
	v_and_b32_e32 v13, 0x80000000, v13
	v_lshl_add_u32 v12, v12, 23, v14
	v_or3_b32 v12, v13, v12, v6
.LBB2_2360:
	s_or_b64 exec, exec, s[6:7]
	s_nop 0
	v_mfma_f32_16x16x4f32 a[0:3], v2, v12, a[0:3]
	s_movk_i32 s4, 0x7f
	v_cmp_gt_i16_sdwa s[6:7], v7, s4 src0_sel:BYTE_3 src1_sel:DWORD
	s_mov_b64 s[4:5], 0
                                        ; implicit-def: $sgpr10
	s_and_saveexec_b64 s[8:9], s[6:7]
	s_xor_b64 s[6:7], exec, s[8:9]
	s_cbranch_execz .LBB2_2361
; %bb.38201:
	s_getpc_b64 s[14:15]
.Lpost_getpc22684:
	s_add_u32 s14, s14, (.LBB2_16697-.Lpost_getpc22684)&4294967295
	s_addc_u32 s15, s15, (.LBB2_16697-.Lpost_getpc22684)>>32
	s_setpc_b64 s[14:15]
.LBB2_2361:
	s_or_saveexec_b64 s[6:7], s[6:7]
	v_mov_b32_e32 v2, s10
	s_xor_b64 exec, exec, s[6:7]
	s_cbranch_execz .LBB2_2362
; %bb.38203:
	s_getpc_b64 s[14:15]
.Lpost_getpc22685:
	s_add_u32 s14, s14, (.LBB2_16700-.Lpost_getpc22685)&4294967295
	s_addc_u32 s15, s15, (.LBB2_16700-.Lpost_getpc22685)>>32
	s_setpc_b64 s[14:15]
.LBB2_2362:
	s_or_b64 exec, exec, s[6:7]
	s_and_saveexec_b64 s[6:7], s[4:5]
	s_cbranch_execz .LBB2_2364
.LBB2_2363:
	v_bfe_u32 v2, v7, 24, 3
	v_ffbh_u32_e32 v14, v2
	v_min_u32_e32 v14, 32, v14
	v_lshrrev_b32_e32 v12, 27, v7
	v_subrev_u32_e32 v15, 28, v14
	v_and_b32_e32 v6, 0x80000000, v7
	v_and_b32_e32 v12, 15, v12
	v_bfe_u32 v13, v7, 27, 4
	v_lshlrev_b32_sdwa v7, v15, v7 dst_sel:DWORD dst_unused:UNUSED_PAD src0_sel:DWORD src1_sel:BYTE_3
	v_sub_u32_e32 v14, 29, v14
	v_and_b32_e32 v7, 7, v7
	v_cmp_eq_u16_e32 vcc, 0, v12
	v_cndmask_b32_e32 v2, v2, v7, vcc
	v_cndmask_b32_e32 v7, v13, v14, vcc
	v_mov_b32_e32 v12, 0x3b800000
	v_lshlrev_b32_e32 v2, 20, v2
	v_lshl_add_u32 v7, v7, 23, v12
	v_or3_b32 v2, v6, v7, v2
.LBB2_2364:
	s_or_b64 exec, exec, s[6:7]
	s_movk_i32 s4, 0x7f
	v_cmp_gt_i16_sdwa s[6:7], v3, s4 src0_sel:BYTE_3 src1_sel:DWORD
	s_mov_b64 s[4:5], 0
                                        ; implicit-def: $sgpr10
	s_and_saveexec_b64 s[8:9], s[6:7]
	s_xor_b64 s[6:7], exec, s[8:9]
	s_cbranch_execz .LBB2_2365
; %bb.38205:
	s_getpc_b64 s[14:15]
.Lpost_getpc22686:
	s_add_u32 s14, s14, (.LBB2_16701-.Lpost_getpc22686)&4294967295
	s_addc_u32 s15, s15, (.LBB2_16701-.Lpost_getpc22686)>>32
	s_setpc_b64 s[14:15]
.LBB2_2365:
	s_or_saveexec_b64 s[6:7], s[6:7]
	v_mov_b32_e32 v6, s10
	s_xor_b64 exec, exec, s[6:7]
	s_cbranch_execz .LBB2_2366
; %bb.38207:
	s_getpc_b64 s[14:15]
.Lpost_getpc22687:
	s_add_u32 s14, s14, (.LBB2_16704-.Lpost_getpc22687)&4294967295
	s_addc_u32 s15, s15, (.LBB2_16704-.Lpost_getpc22687)>>32
	s_setpc_b64 s[14:15]
.LBB2_2366:
	s_or_b64 exec, exec, s[6:7]
	s_and_saveexec_b64 s[6:7], s[4:5]
	s_cbranch_execz .LBB2_2368
.LBB2_2367:
	v_bfe_u32 v6, v3, 24, 3
	v_ffbh_u32_e32 v14, v6
	v_min_u32_e32 v14, 32, v14
	v_lshrrev_b32_e32 v12, 27, v3
	v_subrev_u32_e32 v15, 28, v14
	v_and_b32_e32 v7, 0x80000000, v3
	v_and_b32_e32 v12, 15, v12
	v_bfe_u32 v13, v3, 27, 4
	v_lshlrev_b32_sdwa v3, v15, v3 dst_sel:DWORD dst_unused:UNUSED_PAD src0_sel:DWORD src1_sel:BYTE_3
	v_sub_u32_e32 v14, 29, v14
	v_and_b32_e32 v3, 7, v3
	v_cmp_eq_u16_e32 vcc, 0, v12
	v_cndmask_b32_e32 v3, v6, v3, vcc
	v_cndmask_b32_e32 v6, v13, v14, vcc
	v_mov_b32_e32 v12, 0x3b800000
	v_lshlrev_b32_e32 v3, 20, v3
	v_lshl_add_u32 v6, v6, 23, v12
	v_or3_b32 v6, v7, v6, v3
.LBB2_2368:
	s_or_b64 exec, exec, s[6:7]
	s_nop 0
	v_mfma_f32_16x16x4f32 a[0:3], v2, v6, a[0:3]
	s_movk_i32 s4, 0x7f
	v_cmp_gt_i16_sdwa s[6:7], v8, s4 src0_sel:BYTE_0 src1_sel:DWORD
	s_mov_b64 s[4:5], 0
                                        ; implicit-def: $sgpr10
	s_and_saveexec_b64 s[8:9], s[6:7]
	s_xor_b64 s[6:7], exec, s[8:9]
	s_cbranch_execz .LBB2_2369
; %bb.38209:
	s_getpc_b64 s[14:15]
.Lpost_getpc22688:
	s_add_u32 s14, s14, (.LBB2_16705-.Lpost_getpc22688)&4294967295
	s_addc_u32 s15, s15, (.LBB2_16705-.Lpost_getpc22688)>>32
	s_setpc_b64 s[14:15]
.LBB2_2369:
	s_or_saveexec_b64 s[6:7], s[6:7]
	v_mov_b32_e32 v2, s10
	s_xor_b64 exec, exec, s[6:7]
	s_cbranch_execz .LBB2_2370
; %bb.38211:
	s_getpc_b64 s[14:15]
.Lpost_getpc22689:
	s_add_u32 s14, s14, (.LBB2_16708-.Lpost_getpc22689)&4294967295
	s_addc_u32 s15, s15, (.LBB2_16708-.Lpost_getpc22689)>>32
	s_setpc_b64 s[14:15]
.LBB2_2370:
	s_or_b64 exec, exec, s[6:7]
	s_and_saveexec_b64 s[6:7], s[4:5]
	s_cbranch_execz .LBB2_2372
.LBB2_2371:
	v_and_b32_e32 v2, 7, v8
	v_ffbh_u32_e32 v6, v2
	v_min_u32_e32 v6, 32, v6
	v_lshrrev_b16_e32 v3, 3, v8
	v_subrev_u32_e32 v7, 28, v6
	v_and_b32_e32 v3, 15, v3
	v_lshlrev_b32_e32 v7, v7, v8
	v_sub_u32_e32 v6, 29, v6
	v_and_b32_e32 v7, 7, v7
	v_cmp_eq_u16_e32 vcc, 0, v3
	v_cndmask_b32_e32 v2, v2, v7, vcc
	v_cndmask_b32_e32 v3, v3, v6, vcc
	v_lshlrev_b32_e32 v6, 24, v8
	v_mov_b32_e32 v7, 0x3b800000
	v_lshlrev_b32_e32 v2, 20, v2
	v_and_b32_e32 v6, 0x80000000, v6
	v_lshl_add_u32 v3, v3, 23, v7
	v_or3_b32 v2, v6, v3, v2
.LBB2_2372:
	s_or_b64 exec, exec, s[6:7]
	s_movk_i32 s4, 0x7f
	v_cmp_gt_i16_sdwa s[6:7], v4, s4 src0_sel:BYTE_0 src1_sel:DWORD
	s_mov_b64 s[4:5], 0
                                        ; implicit-def: $sgpr10
	s_and_saveexec_b64 s[8:9], s[6:7]
	s_xor_b64 s[6:7], exec, s[8:9]
	s_cbranch_execz .LBB2_2373
; %bb.38213:
	s_getpc_b64 s[14:15]
.Lpost_getpc22690:
	s_add_u32 s14, s14, (.LBB2_16709-.Lpost_getpc22690)&4294967295
	s_addc_u32 s15, s15, (.LBB2_16709-.Lpost_getpc22690)>>32
	s_setpc_b64 s[14:15]
.LBB2_2373:
	s_or_saveexec_b64 s[6:7], s[6:7]
	v_mov_b32_e32 v3, s10
	s_xor_b64 exec, exec, s[6:7]
	s_cbranch_execz .LBB2_2374
; %bb.38215:
	s_getpc_b64 s[14:15]
.Lpost_getpc22691:
	s_add_u32 s14, s14, (.LBB2_16712-.Lpost_getpc22691)&4294967295
	s_addc_u32 s15, s15, (.LBB2_16712-.Lpost_getpc22691)>>32
	s_setpc_b64 s[14:15]
.LBB2_2374:
	s_or_b64 exec, exec, s[6:7]
	s_and_saveexec_b64 s[6:7], s[4:5]
	s_cbranch_execz .LBB2_2376
.LBB2_2375:
	v_and_b32_e32 v3, 7, v4
	v_ffbh_u32_e32 v7, v3
	v_min_u32_e32 v7, 32, v7
	v_lshrrev_b16_e32 v6, 3, v4
	v_subrev_u32_e32 v12, 28, v7
	v_and_b32_e32 v6, 15, v6
	v_lshlrev_b32_e32 v12, v12, v4
	v_sub_u32_e32 v7, 29, v7
	v_and_b32_e32 v12, 7, v12
	v_cmp_eq_u16_e32 vcc, 0, v6
	v_cndmask_b32_e32 v3, v3, v12, vcc
	v_cndmask_b32_e32 v6, v6, v7, vcc
	v_lshlrev_b32_e32 v7, 24, v4
	v_mov_b32_e32 v12, 0x3b800000
	v_lshlrev_b32_e32 v3, 20, v3
	v_and_b32_e32 v7, 0x80000000, v7
	v_lshl_add_u32 v6, v6, 23, v12
	v_or3_b32 v3, v7, v6, v3
.LBB2_2376:
	s_or_b64 exec, exec, s[6:7]
	s_nop 0
	v_mfma_f32_16x16x4f32 a[0:3], v2, v3, a[0:3]
	v_lshrrev_b32_e32 v3, 8, v8
	s_movk_i32 s4, 0x7f
	v_cmp_gt_i16_sdwa s[6:7], v3, s4 src0_sel:BYTE_0 src1_sel:DWORD
	s_mov_b64 s[4:5], 0
                                        ; implicit-def: $sgpr10
	s_and_saveexec_b64 s[8:9], s[6:7]
	s_xor_b64 s[6:7], exec, s[8:9]
	s_cbranch_execz .LBB2_2377
; %bb.38217:
	s_getpc_b64 s[14:15]
.Lpost_getpc22692:
	s_add_u32 s14, s14, (.LBB2_16713-.Lpost_getpc22692)&4294967295
	s_addc_u32 s15, s15, (.LBB2_16713-.Lpost_getpc22692)>>32
	s_setpc_b64 s[14:15]
.LBB2_2377:
	s_or_saveexec_b64 s[6:7], s[6:7]
	v_mov_b32_e32 v2, s10
	s_xor_b64 exec, exec, s[6:7]
	s_cbranch_execz .LBB2_2378
; %bb.38219:
	s_getpc_b64 s[14:15]
.Lpost_getpc22693:
	s_add_u32 s14, s14, (.LBB2_16716-.Lpost_getpc22693)&4294967295
	s_addc_u32 s15, s15, (.LBB2_16716-.Lpost_getpc22693)>>32
	s_setpc_b64 s[14:15]
.LBB2_2378:
	s_or_b64 exec, exec, s[6:7]
	s_and_saveexec_b64 s[6:7], s[4:5]
	s_cbranch_execz .LBB2_2380
.LBB2_2379:
	v_bfe_u32 v2, v8, 8, 3
	v_ffbh_u32_e32 v7, v2
	v_min_u32_e32 v7, 32, v7
	v_lshrrev_b16_e32 v6, 3, v3
	v_subrev_u32_e32 v12, 28, v7
	v_and_b32_e32 v6, 15, v6
	v_lshlrev_b32_e32 v3, v12, v3
	v_sub_u32_e32 v7, 29, v7
	v_and_b32_e32 v3, 7, v3
	v_cmp_eq_u16_e32 vcc, 0, v6
	v_cndmask_b32_e32 v2, v2, v3, vcc
	v_cndmask_b32_e32 v3, v6, v7, vcc
	v_lshlrev_b32_e32 v6, 16, v8
	v_mov_b32_e32 v7, 0x3b800000
	v_lshlrev_b32_e32 v2, 20, v2
	v_and_b32_e32 v6, 0x80000000, v6
	v_lshl_add_u32 v3, v3, 23, v7
	v_or3_b32 v2, v6, v3, v2
.LBB2_2380:
	s_or_b64 exec, exec, s[6:7]
	v_lshrrev_b32_e32 v3, 8, v4
	s_movk_i32 s4, 0x7f
	v_cmp_gt_i16_sdwa s[6:7], v3, s4 src0_sel:BYTE_0 src1_sel:DWORD
	s_mov_b64 s[4:5], 0
                                        ; implicit-def: $sgpr10
	s_and_saveexec_b64 s[8:9], s[6:7]
	s_xor_b64 s[6:7], exec, s[8:9]
	s_cbranch_execz .LBB2_2381
; %bb.38221:
	s_getpc_b64 s[14:15]
.Lpost_getpc22694:
	s_add_u32 s14, s14, (.LBB2_16717-.Lpost_getpc22694)&4294967295
	s_addc_u32 s15, s15, (.LBB2_16717-.Lpost_getpc22694)>>32
	s_setpc_b64 s[14:15]
.LBB2_2381:
	s_or_saveexec_b64 s[6:7], s[6:7]
	v_mov_b32_e32 v6, s10
	s_xor_b64 exec, exec, s[6:7]
	s_cbranch_execz .LBB2_2382
; %bb.38223:
	s_getpc_b64 s[14:15]
.Lpost_getpc22695:
	s_add_u32 s14, s14, (.LBB2_16720-.Lpost_getpc22695)&4294967295
	s_addc_u32 s15, s15, (.LBB2_16720-.Lpost_getpc22695)>>32
	s_setpc_b64 s[14:15]
.LBB2_2382:
	s_or_b64 exec, exec, s[6:7]
	s_and_saveexec_b64 s[6:7], s[4:5]
	s_cbranch_execz .LBB2_2384
.LBB2_2383:
	v_bfe_u32 v6, v4, 8, 3
	v_ffbh_u32_e32 v12, v6
	v_min_u32_e32 v12, 32, v12
	v_lshrrev_b16_e32 v7, 3, v3
	v_subrev_u32_e32 v13, 28, v12
	v_and_b32_e32 v7, 15, v7
	v_lshlrev_b32_e32 v3, v13, v3
	v_sub_u32_e32 v12, 29, v12
	v_and_b32_e32 v3, 7, v3
	v_cmp_eq_u16_e32 vcc, 0, v7
	v_cndmask_b32_e32 v3, v6, v3, vcc
	v_cndmask_b32_e32 v6, v7, v12, vcc
	v_lshlrev_b32_e32 v7, 16, v4
	v_mov_b32_e32 v12, 0x3b800000
	v_lshlrev_b32_e32 v3, 20, v3
	v_and_b32_e32 v7, 0x80000000, v7
	v_lshl_add_u32 v6, v6, 23, v12
	v_or3_b32 v6, v7, v6, v3
.LBB2_2384:
	s_or_b64 exec, exec, s[6:7]
	s_nop 0
	v_mfma_f32_16x16x4f32 a[0:3], v2, v6, a[0:3]
	s_movk_i32 s4, 0xff
	v_and_b32_sdwa v3, v8, s4 dst_sel:DWORD dst_unused:UNUSED_PAD src0_sel:WORD_1 src1_sel:DWORD
	s_movk_i32 s4, 0x7f
	v_cmp_lt_i16_e32 vcc, s4, v3
	s_mov_b64 s[4:5], 0
                                        ; implicit-def: $sgpr10
	s_and_saveexec_b64 s[6:7], vcc
	s_xor_b64 s[6:7], exec, s[6:7]
	s_cbranch_execz .LBB2_2385
; %bb.38225:
	s_getpc_b64 s[14:15]
.Lpost_getpc22696:
	s_add_u32 s14, s14, (.LBB2_16721-.Lpost_getpc22696)&4294967295
	s_addc_u32 s15, s15, (.LBB2_16721-.Lpost_getpc22696)>>32
	s_setpc_b64 s[14:15]
.LBB2_2385:
	s_or_saveexec_b64 s[6:7], s[6:7]
	v_mov_b32_e32 v2, s10
	s_xor_b64 exec, exec, s[6:7]
	s_cbranch_execz .LBB2_2386
; %bb.38227:
	s_getpc_b64 s[14:15]
.Lpost_getpc22697:
	s_add_u32 s14, s14, (.LBB2_16724-.Lpost_getpc22697)&4294967295
	s_addc_u32 s15, s15, (.LBB2_16724-.Lpost_getpc22697)>>32
	s_setpc_b64 s[14:15]
.LBB2_2386:
	s_or_b64 exec, exec, s[6:7]
	s_and_saveexec_b64 s[6:7], s[4:5]
	s_cbranch_execz .LBB2_2388
.LBB2_2387:
	v_bfe_u32 v2, v8, 16, 3
	v_ffbh_u32_e32 v7, v2
	v_min_u32_e32 v7, 32, v7
	v_lshrrev_b32_e32 v3, 19, v8
	v_subrev_u32_e32 v12, 28, v7
	v_and_b32_e32 v3, 15, v3
	v_lshlrev_b32_sdwa v12, v12, v8 dst_sel:DWORD dst_unused:UNUSED_PAD src0_sel:DWORD src1_sel:WORD_1
	v_bfe_u32 v6, v8, 19, 4
	v_sub_u32_e32 v7, 29, v7
	v_and_b32_e32 v12, 7, v12
	v_cmp_eq_u16_e32 vcc, 0, v3
	v_cndmask_b32_e32 v2, v2, v12, vcc
	v_cndmask_b32_e32 v3, v6, v7, vcc
	v_lshlrev_b32_e32 v6, 8, v8
	v_mov_b32_e32 v7, 0x3b800000
	v_lshlrev_b32_e32 v2, 20, v2
	v_and_b32_e32 v6, 0x80000000, v6
	v_lshl_add_u32 v3, v3, 23, v7
	v_or3_b32 v2, v6, v3, v2
.LBB2_2388:
	s_or_b64 exec, exec, s[6:7]
	s_movk_i32 s4, 0xff
	v_and_b32_sdwa v3, v4, s4 dst_sel:DWORD dst_unused:UNUSED_PAD src0_sel:WORD_1 src1_sel:DWORD
	s_movk_i32 s4, 0x7f
	v_cmp_lt_i16_e32 vcc, s4, v3
	s_mov_b64 s[4:5], 0
                                        ; implicit-def: $sgpr10
	s_and_saveexec_b64 s[6:7], vcc
	s_xor_b64 s[6:7], exec, s[6:7]
	s_cbranch_execz .LBB2_2389
; %bb.38229:
	s_getpc_b64 s[14:15]
.Lpost_getpc22698:
	s_add_u32 s14, s14, (.LBB2_16725-.Lpost_getpc22698)&4294967295
	s_addc_u32 s15, s15, (.LBB2_16725-.Lpost_getpc22698)>>32
	s_setpc_b64 s[14:15]
.LBB2_2389:
	s_or_saveexec_b64 s[6:7], s[6:7]
	v_mov_b32_e32 v6, s10
	s_xor_b64 exec, exec, s[6:7]
	s_cbranch_execz .LBB2_2390
; %bb.38231:
	s_getpc_b64 s[14:15]
.Lpost_getpc22699:
	s_add_u32 s14, s14, (.LBB2_16728-.Lpost_getpc22699)&4294967295
	s_addc_u32 s15, s15, (.LBB2_16728-.Lpost_getpc22699)>>32
	s_setpc_b64 s[14:15]
.LBB2_2390:
	s_or_b64 exec, exec, s[6:7]
	s_and_saveexec_b64 s[6:7], s[4:5]
	s_cbranch_execz .LBB2_2392
.LBB2_2391:
	v_bfe_u32 v3, v4, 16, 3
	v_ffbh_u32_e32 v12, v3
	v_min_u32_e32 v12, 32, v12
	v_lshrrev_b32_e32 v6, 19, v4
	v_subrev_u32_e32 v13, 28, v12
	v_and_b32_e32 v6, 15, v6
	v_lshlrev_b32_sdwa v13, v13, v4 dst_sel:DWORD dst_unused:UNUSED_PAD src0_sel:DWORD src1_sel:WORD_1
	v_bfe_u32 v7, v4, 19, 4
	v_sub_u32_e32 v12, 29, v12
	v_and_b32_e32 v13, 7, v13
	v_cmp_eq_u16_e32 vcc, 0, v6
	v_cndmask_b32_e32 v3, v3, v13, vcc
	v_cndmask_b32_e32 v6, v7, v12, vcc
	v_lshlrev_b32_e32 v7, 8, v4
	v_mov_b32_e32 v12, 0x3b800000
	v_lshlrev_b32_e32 v3, 20, v3
	v_and_b32_e32 v7, 0x80000000, v7
	v_lshl_add_u32 v6, v6, 23, v12
	v_or3_b32 v6, v7, v6, v3
.LBB2_2392:
	s_or_b64 exec, exec, s[6:7]
	s_nop 0
	v_mfma_f32_16x16x4f32 a[0:3], v2, v6, a[0:3]
	s_movk_i32 s4, 0x7f
	v_cmp_gt_i16_sdwa s[6:7], v8, s4 src0_sel:BYTE_3 src1_sel:DWORD
	s_mov_b64 s[4:5], 0
                                        ; implicit-def: $sgpr10
	s_and_saveexec_b64 s[8:9], s[6:7]
	s_xor_b64 s[6:7], exec, s[8:9]
	s_cbranch_execz .LBB2_2393
; %bb.38233:
	s_getpc_b64 s[14:15]
.Lpost_getpc22700:
	s_add_u32 s14, s14, (.LBB2_16729-.Lpost_getpc22700)&4294967295
	s_addc_u32 s15, s15, (.LBB2_16729-.Lpost_getpc22700)>>32
	s_setpc_b64 s[14:15]
.LBB2_2393:
	s_or_saveexec_b64 s[6:7], s[6:7]
	v_mov_b32_e32 v2, s10
	s_xor_b64 exec, exec, s[6:7]
	s_cbranch_execz .LBB2_2394
; %bb.38235:
	s_getpc_b64 s[14:15]
.Lpost_getpc22701:
	s_add_u32 s14, s14, (.LBB2_16732-.Lpost_getpc22701)&4294967295
	s_addc_u32 s15, s15, (.LBB2_16732-.Lpost_getpc22701)>>32
	s_setpc_b64 s[14:15]
.LBB2_2394:
	s_or_b64 exec, exec, s[6:7]
	s_and_saveexec_b64 s[6:7], s[4:5]
	s_cbranch_execz .LBB2_2396
.LBB2_2395:
	v_bfe_u32 v2, v8, 24, 3
	v_ffbh_u32_e32 v12, v2
	v_min_u32_e32 v12, 32, v12
	v_lshrrev_b32_e32 v6, 27, v8
	v_subrev_u32_e32 v13, 28, v12
	v_and_b32_e32 v3, 0x80000000, v8
	v_and_b32_e32 v6, 15, v6
	v_bfe_u32 v7, v8, 27, 4
	v_lshlrev_b32_sdwa v8, v13, v8 dst_sel:DWORD dst_unused:UNUSED_PAD src0_sel:DWORD src1_sel:BYTE_3
	v_sub_u32_e32 v12, 29, v12
	v_and_b32_e32 v8, 7, v8
	v_cmp_eq_u16_e32 vcc, 0, v6
	v_cndmask_b32_e32 v2, v2, v8, vcc
	v_cndmask_b32_e32 v6, v7, v12, vcc
	v_mov_b32_e32 v7, 0x3b800000
	v_lshlrev_b32_e32 v2, 20, v2
	v_lshl_add_u32 v6, v6, 23, v7
	v_or3_b32 v2, v3, v6, v2
.LBB2_2396:
	s_or_b64 exec, exec, s[6:7]
	s_movk_i32 s4, 0x7f
	v_cmp_gt_i16_sdwa s[6:7], v4, s4 src0_sel:BYTE_3 src1_sel:DWORD
	s_mov_b64 s[4:5], 0
                                        ; implicit-def: $sgpr10
	s_and_saveexec_b64 s[8:9], s[6:7]
	s_xor_b64 s[6:7], exec, s[8:9]
	s_cbranch_execz .LBB2_2397
; %bb.38237:
	s_getpc_b64 s[14:15]
.Lpost_getpc22702:
	s_add_u32 s14, s14, (.LBB2_16733-.Lpost_getpc22702)&4294967295
	s_addc_u32 s15, s15, (.LBB2_16733-.Lpost_getpc22702)>>32
	s_setpc_b64 s[14:15]
.LBB2_2397:
	s_or_saveexec_b64 s[6:7], s[6:7]
	v_mov_b32_e32 v3, s10
	s_xor_b64 exec, exec, s[6:7]
	s_cbranch_execz .LBB2_2398
; %bb.38239:
	s_getpc_b64 s[14:15]
.Lpost_getpc22703:
	s_add_u32 s14, s14, (.LBB2_16736-.Lpost_getpc22703)&4294967295
	s_addc_u32 s15, s15, (.LBB2_16736-.Lpost_getpc22703)>>32
	s_setpc_b64 s[14:15]
.LBB2_2398:
	s_or_b64 exec, exec, s[6:7]
	s_and_saveexec_b64 s[6:7], s[4:5]
	s_cbranch_execz .LBB2_2400
.LBB2_2399:
	v_bfe_u32 v3, v4, 24, 3
	v_ffbh_u32_e32 v12, v3
	v_min_u32_e32 v12, 32, v12
	v_lshrrev_b32_e32 v7, 27, v4
	v_subrev_u32_e32 v13, 28, v12
	v_and_b32_e32 v6, 0x80000000, v4
	v_and_b32_e32 v7, 15, v7
	v_bfe_u32 v8, v4, 27, 4
	v_lshlrev_b32_sdwa v4, v13, v4 dst_sel:DWORD dst_unused:UNUSED_PAD src0_sel:DWORD src1_sel:BYTE_3
	v_sub_u32_e32 v12, 29, v12
	v_and_b32_e32 v4, 7, v4
	v_cmp_eq_u16_e32 vcc, 0, v7
	v_cndmask_b32_e32 v3, v3, v4, vcc
	v_cndmask_b32_e32 v4, v8, v12, vcc
	v_mov_b32_e32 v7, 0x3b800000
	v_lshlrev_b32_e32 v3, 20, v3
	v_lshl_add_u32 v4, v4, 23, v7
	v_or3_b32 v3, v6, v4, v3
.LBB2_2400:
	s_or_b64 exec, exec, s[6:7]
	s_nop 0
	v_mfma_f32_16x16x4f32 a[0:3], v2, v3, a[0:3]
	s_movk_i32 s4, 0x7f
	v_cmp_gt_i16_sdwa s[6:7], v9, s4 src0_sel:BYTE_0 src1_sel:DWORD
	s_mov_b64 s[4:5], 0
                                        ; implicit-def: $sgpr10
	s_and_saveexec_b64 s[8:9], s[6:7]
	s_xor_b64 s[6:7], exec, s[8:9]
	s_cbranch_execz .LBB2_2401
; %bb.38241:
	s_getpc_b64 s[14:15]
.Lpost_getpc22704:
	s_add_u32 s14, s14, (.LBB2_16737-.Lpost_getpc22704)&4294967295
	s_addc_u32 s15, s15, (.LBB2_16737-.Lpost_getpc22704)>>32
	s_setpc_b64 s[14:15]
.LBB2_2401:
	s_or_saveexec_b64 s[6:7], s[6:7]
	v_mov_b32_e32 v2, s10
	s_xor_b64 exec, exec, s[6:7]
	s_cbranch_execz .LBB2_2402
; %bb.38243:
	s_getpc_b64 s[14:15]
.Lpost_getpc22705:
	s_add_u32 s14, s14, (.LBB2_16740-.Lpost_getpc22705)&4294967295
	s_addc_u32 s15, s15, (.LBB2_16740-.Lpost_getpc22705)>>32
	s_setpc_b64 s[14:15]
.LBB2_2402:
	s_or_b64 exec, exec, s[6:7]
	s_and_saveexec_b64 s[6:7], s[4:5]
	s_cbranch_execz .LBB2_2404
.LBB2_2403:
	v_mov_b32_e32 v2, 8
	v_and_b32_e32 v3, 7, v9
	v_lshrrev_b32_sdwa v2, v2, v9 dst_sel:BYTE_1 dst_unused:UNUSED_PAD src0_sel:DWORD src1_sel:DWORD
	v_ffbh_u32_e32 v4, v3
	v_or_b32_sdwa v2, v9, v2 dst_sel:DWORD dst_unused:UNUSED_PAD src0_sel:BYTE_0 src1_sel:DWORD
	v_min_u32_e32 v4, 32, v4
	v_lshrrev_b16_e32 v2, 3, v2
	v_subrev_u32_e32 v6, 28, v4
	v_and_b32_e32 v2, 15, v2
	v_lshlrev_b32_e32 v6, v6, v9
	v_sub_u32_e32 v4, 29, v4
	v_and_b32_e32 v6, 7, v6
	v_cmp_eq_u16_e32 vcc, 0, v2
	v_cndmask_b32_e32 v3, v3, v6, vcc
	v_cndmask_b32_e32 v2, v2, v4, vcc
	v_lshlrev_b32_e32 v4, 24, v9
	v_mov_b32_e32 v6, 0x3b800000
	v_lshlrev_b32_e32 v3, 20, v3
	v_and_b32_e32 v4, 0x80000000, v4
	v_lshl_add_u32 v2, v2, 23, v6
	v_or3_b32 v2, v4, v2, v3
.LBB2_2404:
	s_or_b64 exec, exec, s[6:7]
	s_movk_i32 s4, 0x7f
	v_cmp_gt_i16_sdwa s[6:7], v5, s4 src0_sel:BYTE_0 src1_sel:DWORD
	s_mov_b64 s[4:5], 0
                                        ; implicit-def: $sgpr10
	s_and_saveexec_b64 s[8:9], s[6:7]
	s_xor_b64 s[6:7], exec, s[8:9]
	s_cbranch_execz .LBB2_2405
; %bb.38245:
	s_getpc_b64 s[14:15]
.Lpost_getpc22706:
	s_add_u32 s14, s14, (.LBB2_16741-.Lpost_getpc22706)&4294967295
	s_addc_u32 s15, s15, (.LBB2_16741-.Lpost_getpc22706)>>32
	s_setpc_b64 s[14:15]
.LBB2_2405:
	s_or_saveexec_b64 s[6:7], s[6:7]
	v_mov_b32_e32 v3, s10
	s_xor_b64 exec, exec, s[6:7]
	s_cbranch_execz .LBB2_2406
; %bb.38247:
	s_getpc_b64 s[14:15]
.Lpost_getpc22707:
	s_add_u32 s14, s14, (.LBB2_16744-.Lpost_getpc22707)&4294967295
	s_addc_u32 s15, s15, (.LBB2_16744-.Lpost_getpc22707)>>32
	s_setpc_b64 s[14:15]
.LBB2_2406:
	s_or_b64 exec, exec, s[6:7]
	s_and_saveexec_b64 s[6:7], s[4:5]
	s_cbranch_execz .LBB2_2408
.LBB2_2407:
	v_mov_b32_e32 v3, 8
	v_and_b32_e32 v4, 7, v5
	v_lshrrev_b32_sdwa v3, v3, v5 dst_sel:BYTE_1 dst_unused:UNUSED_PAD src0_sel:DWORD src1_sel:DWORD
	v_ffbh_u32_e32 v6, v4
	v_or_b32_sdwa v3, v5, v3 dst_sel:DWORD dst_unused:UNUSED_PAD src0_sel:BYTE_0 src1_sel:DWORD
	v_min_u32_e32 v6, 32, v6
	v_lshrrev_b16_e32 v3, 3, v3
	v_subrev_u32_e32 v7, 28, v6
	v_and_b32_e32 v3, 15, v3
	v_lshlrev_b32_e32 v7, v7, v5
	v_sub_u32_e32 v6, 29, v6
	v_and_b32_e32 v7, 7, v7
	v_cmp_eq_u16_e32 vcc, 0, v3
	v_cndmask_b32_e32 v4, v4, v7, vcc
	v_cndmask_b32_e32 v3, v3, v6, vcc
	v_lshlrev_b32_e32 v6, 24, v5
	v_mov_b32_e32 v7, 0x3b800000
	v_lshlrev_b32_e32 v4, 20, v4
	v_and_b32_e32 v6, 0x80000000, v6
	v_lshl_add_u32 v3, v3, 23, v7
	v_or3_b32 v3, v6, v3, v4
.LBB2_2408:
	s_or_b64 exec, exec, s[6:7]
	s_nop 0
	v_mfma_f32_16x16x4f32 a[0:3], v2, v3, a[0:3]
	v_lshrrev_b32_e32 v3, 8, v9
	s_movk_i32 s4, 0x7f
	v_cmp_gt_i16_sdwa s[6:7], v3, s4 src0_sel:BYTE_0 src1_sel:DWORD
	s_mov_b64 s[4:5], 0
                                        ; implicit-def: $sgpr10
	s_and_saveexec_b64 s[8:9], s[6:7]
	s_xor_b64 s[6:7], exec, s[8:9]
	s_cbranch_execz .LBB2_2409
; %bb.38249:
	s_getpc_b64 s[14:15]
.Lpost_getpc22708:
	s_add_u32 s14, s14, (.LBB2_16745-.Lpost_getpc22708)&4294967295
	s_addc_u32 s15, s15, (.LBB2_16745-.Lpost_getpc22708)>>32
	s_setpc_b64 s[14:15]
.LBB2_2409:
	s_or_saveexec_b64 s[6:7], s[6:7]
	v_mov_b32_e32 v2, s10
	s_xor_b64 exec, exec, s[6:7]
	s_cbranch_execz .LBB2_2410
; %bb.38251:
	s_getpc_b64 s[14:15]
.Lpost_getpc22709:
	s_add_u32 s14, s14, (.LBB2_16748-.Lpost_getpc22709)&4294967295
	s_addc_u32 s15, s15, (.LBB2_16748-.Lpost_getpc22709)>>32
	s_setpc_b64 s[14:15]
.LBB2_2410:
	s_or_b64 exec, exec, s[6:7]
	s_and_saveexec_b64 s[6:7], s[4:5]
	s_cbranch_execz .LBB2_2412
.LBB2_2411:
	v_bfe_u32 v2, v9, 8, 3
	v_ffbh_u32_e32 v6, v2
	v_min_u32_e32 v6, 32, v6
	v_lshrrev_b16_e32 v4, 3, v3
	v_subrev_u32_e32 v7, 28, v6
	v_and_b32_e32 v4, 15, v4
	v_lshlrev_b32_e32 v3, v7, v3
	v_sub_u32_e32 v6, 29, v6
	v_and_b32_e32 v3, 7, v3
	v_cmp_eq_u16_e32 vcc, 0, v4
	v_cndmask_b32_e32 v2, v2, v3, vcc
	v_cndmask_b32_e32 v3, v4, v6, vcc
	v_lshlrev_b32_e32 v4, 16, v9
	v_mov_b32_e32 v6, 0x3b800000
	v_lshlrev_b32_e32 v2, 20, v2
	v_and_b32_e32 v4, 0x80000000, v4
	v_lshl_add_u32 v3, v3, 23, v6
	v_or3_b32 v2, v4, v3, v2
.LBB2_2412:
	s_or_b64 exec, exec, s[6:7]
	v_lshrrev_b32_e32 v3, 8, v5
	s_movk_i32 s4, 0x7f
	v_cmp_gt_i16_sdwa s[6:7], v3, s4 src0_sel:BYTE_0 src1_sel:DWORD
	s_mov_b64 s[4:5], 0
                                        ; implicit-def: $sgpr10
	s_and_saveexec_b64 s[8:9], s[6:7]
	s_xor_b64 s[6:7], exec, s[8:9]
	s_cbranch_execz .LBB2_2413
; %bb.38253:
	s_getpc_b64 s[14:15]
.Lpost_getpc22710:
	s_add_u32 s14, s14, (.LBB2_16749-.Lpost_getpc22710)&4294967295
	s_addc_u32 s15, s15, (.LBB2_16749-.Lpost_getpc22710)>>32
	s_setpc_b64 s[14:15]
.LBB2_2413:
	s_or_saveexec_b64 s[6:7], s[6:7]
	v_mov_b32_e32 v4, s10
	s_xor_b64 exec, exec, s[6:7]
	s_cbranch_execz .LBB2_2414
; %bb.38255:
	s_getpc_b64 s[14:15]
.Lpost_getpc22711:
	s_add_u32 s14, s14, (.LBB2_16752-.Lpost_getpc22711)&4294967295
	s_addc_u32 s15, s15, (.LBB2_16752-.Lpost_getpc22711)>>32
	s_setpc_b64 s[14:15]
.LBB2_2414:
	s_or_b64 exec, exec, s[6:7]
	s_and_saveexec_b64 s[6:7], s[4:5]
	s_cbranch_execz .LBB2_2416
.LBB2_2415:
	v_bfe_u32 v4, v5, 8, 3
	v_ffbh_u32_e32 v7, v4
	v_min_u32_e32 v7, 32, v7
	v_lshrrev_b16_e32 v6, 3, v3
	v_subrev_u32_e32 v8, 28, v7
	v_and_b32_e32 v6, 15, v6
	v_lshlrev_b32_e32 v3, v8, v3
	v_sub_u32_e32 v7, 29, v7
	v_and_b32_e32 v3, 7, v3
	v_cmp_eq_u16_e32 vcc, 0, v6
	v_cndmask_b32_e32 v3, v4, v3, vcc
	v_cndmask_b32_e32 v4, v6, v7, vcc
	v_lshlrev_b32_e32 v6, 16, v5
	v_mov_b32_e32 v7, 0x3b800000
	v_lshlrev_b32_e32 v3, 20, v3
	v_and_b32_e32 v6, 0x80000000, v6
	v_lshl_add_u32 v4, v4, 23, v7
	v_or3_b32 v4, v6, v4, v3
.LBB2_2416:
	s_or_b64 exec, exec, s[6:7]
	s_nop 0
	v_mfma_f32_16x16x4f32 a[0:3], v2, v4, a[0:3]
	s_movk_i32 s4, 0xff
	v_and_b32_sdwa v3, v9, s4 dst_sel:DWORD dst_unused:UNUSED_PAD src0_sel:WORD_1 src1_sel:DWORD
	s_movk_i32 s4, 0x7f
	v_cmp_lt_i16_e32 vcc, s4, v3
	s_mov_b64 s[4:5], 0
                                        ; implicit-def: $sgpr10
	s_and_saveexec_b64 s[6:7], vcc
	s_xor_b64 s[6:7], exec, s[6:7]
	s_cbranch_execz .LBB2_2417
; %bb.38257:
	s_getpc_b64 s[14:15]
.Lpost_getpc22712:
	s_add_u32 s14, s14, (.LBB2_16753-.Lpost_getpc22712)&4294967295
	s_addc_u32 s15, s15, (.LBB2_16753-.Lpost_getpc22712)>>32
	s_setpc_b64 s[14:15]
.LBB2_2417:
	s_or_saveexec_b64 s[6:7], s[6:7]
	v_mov_b32_e32 v2, s10
	s_xor_b64 exec, exec, s[6:7]
	s_cbranch_execz .LBB2_2418
; %bb.38259:
	s_getpc_b64 s[14:15]
.Lpost_getpc22713:
	s_add_u32 s14, s14, (.LBB2_16756-.Lpost_getpc22713)&4294967295
	s_addc_u32 s15, s15, (.LBB2_16756-.Lpost_getpc22713)>>32
	s_setpc_b64 s[14:15]
.LBB2_2418:
	s_or_b64 exec, exec, s[6:7]
	s_and_saveexec_b64 s[6:7], s[4:5]
	s_cbranch_execz .LBB2_2420
.LBB2_2419:
	v_bfe_u32 v2, v9, 16, 3
	v_ffbh_u32_e32 v6, v2
	v_min_u32_e32 v6, 32, v6
	v_lshrrev_b32_e32 v3, 19, v9
	v_subrev_u32_e32 v7, 28, v6
	v_and_b32_e32 v3, 15, v3
	v_lshlrev_b32_sdwa v7, v7, v9 dst_sel:DWORD dst_unused:UNUSED_PAD src0_sel:DWORD src1_sel:WORD_1
	v_bfe_u32 v4, v9, 19, 4
	v_sub_u32_e32 v6, 29, v6
	v_and_b32_e32 v7, 7, v7
	v_cmp_eq_u16_e32 vcc, 0, v3
	v_cndmask_b32_e32 v2, v2, v7, vcc
	v_cndmask_b32_e32 v3, v4, v6, vcc
	v_lshlrev_b32_e32 v4, 8, v9
	v_mov_b32_e32 v6, 0x3b800000
	v_lshlrev_b32_e32 v2, 20, v2
	v_and_b32_e32 v4, 0x80000000, v4
	v_lshl_add_u32 v3, v3, 23, v6
	v_or3_b32 v2, v4, v3, v2
.LBB2_2420:
	s_or_b64 exec, exec, s[6:7]
	s_movk_i32 s4, 0xff
	v_and_b32_sdwa v3, v5, s4 dst_sel:DWORD dst_unused:UNUSED_PAD src0_sel:WORD_1 src1_sel:DWORD
	s_movk_i32 s4, 0x7f
	v_cmp_lt_i16_e32 vcc, s4, v3
	s_mov_b64 s[4:5], 0
                                        ; implicit-def: $sgpr10
	s_and_saveexec_b64 s[6:7], vcc
	s_xor_b64 s[6:7], exec, s[6:7]
	s_cbranch_execz .LBB2_2421
; %bb.38261:
	s_getpc_b64 s[14:15]
.Lpost_getpc22714:
	s_add_u32 s14, s14, (.LBB2_16757-.Lpost_getpc22714)&4294967295
	s_addc_u32 s15, s15, (.LBB2_16757-.Lpost_getpc22714)>>32
	s_setpc_b64 s[14:15]
.LBB2_2421:
	s_or_saveexec_b64 s[6:7], s[6:7]
	v_mov_b32_e32 v4, s10
	s_xor_b64 exec, exec, s[6:7]
	s_cbranch_execz .LBB2_2422
; %bb.38263:
	s_getpc_b64 s[14:15]
.Lpost_getpc22715:
	s_add_u32 s14, s14, (.LBB2_16760-.Lpost_getpc22715)&4294967295
	s_addc_u32 s15, s15, (.LBB2_16760-.Lpost_getpc22715)>>32
	s_setpc_b64 s[14:15]
.LBB2_2422:
	s_or_b64 exec, exec, s[6:7]
	s_and_saveexec_b64 s[6:7], s[4:5]
	s_cbranch_execz .LBB2_2424
.LBB2_2423:
	v_bfe_u32 v3, v5, 16, 3
	v_ffbh_u32_e32 v7, v3
	v_min_u32_e32 v7, 32, v7
	v_lshrrev_b32_e32 v4, 19, v5
	v_subrev_u32_e32 v8, 28, v7
	v_and_b32_e32 v4, 15, v4
	v_lshlrev_b32_sdwa v8, v8, v5 dst_sel:DWORD dst_unused:UNUSED_PAD src0_sel:DWORD src1_sel:WORD_1
	v_bfe_u32 v6, v5, 19, 4
	v_sub_u32_e32 v7, 29, v7
	v_and_b32_e32 v8, 7, v8
	v_cmp_eq_u16_e32 vcc, 0, v4
	v_cndmask_b32_e32 v3, v3, v8, vcc
	v_cndmask_b32_e32 v4, v6, v7, vcc
	v_lshlrev_b32_e32 v6, 8, v5
	v_mov_b32_e32 v7, 0x3b800000
	v_lshlrev_b32_e32 v3, 20, v3
	v_and_b32_e32 v6, 0x80000000, v6
	v_lshl_add_u32 v4, v4, 23, v7
	v_or3_b32 v4, v6, v4, v3
.LBB2_2424:
	s_or_b64 exec, exec, s[6:7]
	s_nop 0
	v_mfma_f32_16x16x4f32 a[0:3], v2, v4, a[0:3]
	s_movk_i32 s4, 0x7f
	v_cmp_gt_i16_sdwa s[6:7], v9, s4 src0_sel:BYTE_3 src1_sel:DWORD
	s_mov_b64 s[4:5], 0
                                        ; implicit-def: $sgpr10
	s_and_saveexec_b64 s[8:9], s[6:7]
	s_xor_b64 s[6:7], exec, s[8:9]
	s_cbranch_execz .LBB2_2425
; %bb.38265:
	s_getpc_b64 s[14:15]
.Lpost_getpc22716:
	s_add_u32 s14, s14, (.LBB2_16761-.Lpost_getpc22716)&4294967295
	s_addc_u32 s15, s15, (.LBB2_16761-.Lpost_getpc22716)>>32
	s_setpc_b64 s[14:15]
.LBB2_2425:
	s_or_saveexec_b64 s[6:7], s[6:7]
	v_mov_b32_e32 v2, s10
	s_xor_b64 exec, exec, s[6:7]
	s_cbranch_execz .LBB2_2426
; %bb.38267:
	s_getpc_b64 s[14:15]
.Lpost_getpc22717:
	s_add_u32 s14, s14, (.LBB2_16764-.Lpost_getpc22717)&4294967295
	s_addc_u32 s15, s15, (.LBB2_16764-.Lpost_getpc22717)>>32
	s_setpc_b64 s[14:15]
.LBB2_2426:
	s_or_b64 exec, exec, s[6:7]
	s_and_saveexec_b64 s[6:7], s[4:5]
	s_cbranch_execz .LBB2_2428
.LBB2_2427:
	v_bfe_u32 v2, v9, 24, 3
	v_ffbh_u32_e32 v7, v2
	v_min_u32_e32 v7, 32, v7
	v_lshrrev_b32_e32 v4, 27, v9
	v_subrev_u32_e32 v8, 28, v7
	v_and_b32_e32 v4, 15, v4
	v_lshlrev_b32_sdwa v8, v8, v9 dst_sel:DWORD dst_unused:UNUSED_PAD src0_sel:DWORD src1_sel:BYTE_3
	v_bfe_u32 v6, v9, 27, 4
	v_sub_u32_e32 v7, 29, v7
	v_and_b32_e32 v8, 7, v8
	v_cmp_eq_u16_e32 vcc, 0, v4
	v_cndmask_b32_e32 v2, v2, v8, vcc
	v_cndmask_b32_e32 v4, v6, v7, vcc
	v_mov_b32_e32 v6, 0x3b800000
	v_and_b32_e32 v3, 0x80000000, v9
	v_lshlrev_b32_e32 v2, 20, v2
	v_lshl_add_u32 v4, v4, 23, v6
	v_or3_b32 v2, v3, v4, v2
.LBB2_2428:
	s_or_b64 exec, exec, s[6:7]
	s_movk_i32 s4, 0x7f
	v_cmp_gt_i16_sdwa s[6:7], v5, s4 src0_sel:BYTE_3 src1_sel:DWORD
	s_mov_b64 s[4:5], 0
                                        ; implicit-def: $sgpr10
	s_and_saveexec_b64 s[8:9], s[6:7]
	s_xor_b64 s[6:7], exec, s[8:9]
	s_cbranch_execz .LBB2_2429
; %bb.38269:
	s_getpc_b64 s[14:15]
.Lpost_getpc22718:
	s_add_u32 s14, s14, (.LBB2_16765-.Lpost_getpc22718)&4294967295
	s_addc_u32 s15, s15, (.LBB2_16765-.Lpost_getpc22718)>>32
	s_setpc_b64 s[14:15]
.LBB2_2429:
	s_or_saveexec_b64 s[6:7], s[6:7]
	v_mov_b32_e32 v3, s10
	s_xor_b64 exec, exec, s[6:7]
	s_cbranch_execz .LBB2_2430
; %bb.38271:
	s_getpc_b64 s[14:15]
.Lpost_getpc22719:
	s_add_u32 s14, s14, (.LBB2_16768-.Lpost_getpc22719)&4294967295
	s_addc_u32 s15, s15, (.LBB2_16768-.Lpost_getpc22719)>>32
	s_setpc_b64 s[14:15]
.LBB2_2430:
	s_or_b64 exec, exec, s[6:7]
	s_and_saveexec_b64 s[6:7], s[4:5]
	s_cbranch_execz .LBB2_2432
.LBB2_2431:
	v_bfe_u32 v3, v5, 24, 3
	v_ffbh_u32_e32 v8, v3
	v_min_u32_e32 v8, 32, v8
	v_lshrrev_b32_e32 v6, 27, v5
	v_subrev_u32_e32 v9, 28, v8
	v_and_b32_e32 v4, 0x80000000, v5
	v_and_b32_e32 v6, 15, v6
	v_bfe_u32 v7, v5, 27, 4
	v_lshlrev_b32_sdwa v5, v9, v5 dst_sel:DWORD dst_unused:UNUSED_PAD src0_sel:DWORD src1_sel:BYTE_3
	v_sub_u32_e32 v8, 29, v8
	v_and_b32_e32 v5, 7, v5
	v_cmp_eq_u16_e32 vcc, 0, v6
	v_cndmask_b32_e32 v3, v3, v5, vcc
	v_cndmask_b32_e32 v5, v7, v8, vcc
	v_mov_b32_e32 v6, 0x3b800000
	v_lshlrev_b32_e32 v3, 20, v3
	v_lshl_add_u32 v5, v5, 23, v6
	v_or3_b32 v3, v4, v5, v3
.LBB2_2432:
	s_or_b64 exec, exec, s[6:7]
	s_nop 0
	v_mfma_f32_16x16x4f32 a[0:3], v2, v3, a[0:3]
	s_movk_i32 s4, 0x7f
                                        ; implicit-def: $sgpr10
	s_nop 7
	s_nop 1
	flat_store_dwordx4 v[10:11], a[0:3] offset:288
	flat_load_dwordx4 v[12:15], v[0:1]
	s_nop 0
	flat_load_dwordx2 v[10:11], v[0:1] offset:16
	s_waitcnt vmcnt(0) lgkmcnt(0)
	flat_load_dwordx4 v[6:9], v[12:13] offset:32
	flat_load_dwordx4 v[2:5], v[14:15] offset:48
	s_waitcnt vmcnt(0) lgkmcnt(0)
	v_cmp_gt_i16_sdwa s[6:7], v6, s4 src0_sel:BYTE_0 src1_sel:DWORD
	s_mov_b64 s[4:5], 0
	s_and_saveexec_b64 s[8:9], s[6:7]
	s_xor_b64 s[6:7], exec, s[8:9]
	s_cbranch_execz .LBB2_2433
; %bb.38273:
	s_getpc_b64 s[14:15]
.Lpost_getpc22720:
	s_add_u32 s14, s14, (.LBB2_16769-.Lpost_getpc22720)&4294967295
	s_addc_u32 s15, s15, (.LBB2_16769-.Lpost_getpc22720)>>32
	s_setpc_b64 s[14:15]
.LBB2_2433:
	s_or_saveexec_b64 s[6:7], s[6:7]
	v_mov_b32_e32 v12, s10
	s_xor_b64 exec, exec, s[6:7]
	s_cbranch_execz .LBB2_2434
; %bb.38275:
	s_getpc_b64 s[14:15]
.Lpost_getpc22721:
	s_add_u32 s14, s14, (.LBB2_16772-.Lpost_getpc22721)&4294967295
	s_addc_u32 s15, s15, (.LBB2_16772-.Lpost_getpc22721)>>32
	s_setpc_b64 s[14:15]
.LBB2_2434:
	s_or_b64 exec, exec, s[6:7]
	s_and_saveexec_b64 s[6:7], s[4:5]
	s_cbranch_execz .LBB2_2436
.LBB2_2435:
	v_and_b32_e32 v12, 7, v6
	v_ffbh_u32_e32 v14, v12
	v_min_u32_e32 v14, 32, v14
	v_lshrrev_b16_e32 v13, 3, v6
	v_subrev_u32_e32 v15, 28, v14
	v_and_b32_e32 v13, 15, v13
	v_lshlrev_b32_e32 v15, v15, v6
	v_sub_u32_e32 v14, 29, v14
	v_and_b32_e32 v15, 7, v15
	v_cmp_eq_u16_e32 vcc, 0, v13
	v_cndmask_b32_e32 v12, v12, v15, vcc
	v_cndmask_b32_e32 v13, v13, v14, vcc
	v_lshlrev_b32_e32 v14, 24, v6
	v_mov_b32_e32 v15, 0x3b800000
	v_lshlrev_b32_e32 v12, 20, v12
	v_and_b32_e32 v14, 0x80000000, v14
	v_lshl_add_u32 v13, v13, 23, v15
	v_or3_b32 v12, v14, v13, v12
.LBB2_2436:
	s_or_b64 exec, exec, s[6:7]
	s_movk_i32 s4, 0x7f
	v_cmp_gt_i16_sdwa s[6:7], v2, s4 src0_sel:BYTE_0 src1_sel:DWORD
	s_mov_b64 s[4:5], 0
                                        ; implicit-def: $sgpr10
	s_and_saveexec_b64 s[8:9], s[6:7]
	s_xor_b64 s[6:7], exec, s[8:9]
	s_cbranch_execz .LBB2_2437
; %bb.38277:
	s_getpc_b64 s[14:15]
.Lpost_getpc22722:
	s_add_u32 s14, s14, (.LBB2_16773-.Lpost_getpc22722)&4294967295
	s_addc_u32 s15, s15, (.LBB2_16773-.Lpost_getpc22722)>>32
	s_setpc_b64 s[14:15]
.LBB2_2437:
	s_or_saveexec_b64 s[6:7], s[6:7]
	v_mov_b32_e32 v13, s10
	s_xor_b64 exec, exec, s[6:7]
	s_cbranch_execz .LBB2_2438
; %bb.38279:
	s_getpc_b64 s[14:15]
.Lpost_getpc22723:
	s_add_u32 s14, s14, (.LBB2_16776-.Lpost_getpc22723)&4294967295
	s_addc_u32 s15, s15, (.LBB2_16776-.Lpost_getpc22723)>>32
	s_setpc_b64 s[14:15]
.LBB2_2438:
	s_or_b64 exec, exec, s[6:7]
	s_and_saveexec_b64 s[6:7], s[4:5]
	s_cbranch_execz .LBB2_2440
.LBB2_2439:
	v_and_b32_e32 v13, 7, v2
	v_ffbh_u32_e32 v15, v13
	v_min_u32_e32 v15, 32, v15
	v_lshrrev_b16_e32 v14, 3, v2
	v_subrev_u32_e32 v16, 28, v15
	v_and_b32_e32 v14, 15, v14
	v_lshlrev_b32_e32 v16, v16, v2
	v_sub_u32_e32 v15, 29, v15
	v_and_b32_e32 v16, 7, v16
	v_cmp_eq_u16_e32 vcc, 0, v14
	v_cndmask_b32_e32 v13, v13, v16, vcc
	v_cndmask_b32_e32 v14, v14, v15, vcc
	v_lshlrev_b32_e32 v15, 24, v2
	v_mov_b32_e32 v16, 0x3b800000
	v_lshlrev_b32_e32 v13, 20, v13
	v_and_b32_e32 v15, 0x80000000, v15
	v_lshl_add_u32 v14, v14, 23, v16
	v_or3_b32 v13, v15, v14, v13
.LBB2_2440:
	s_or_b64 exec, exec, s[6:7]
	flat_load_dwordx4 a[0:3], v[10:11] offset:304
	s_movk_i32 s4, 0x7f
                                        ; implicit-def: $sgpr10
	s_waitcnt vmcnt(0) lgkmcnt(0)
	v_mfma_f32_16x16x4f32 a[0:3], v12, v13, a[0:3]
	v_lshrrev_b32_e32 v13, 8, v6
	v_cmp_gt_i16_sdwa s[6:7], v13, s4 src0_sel:BYTE_0 src1_sel:DWORD
	s_mov_b64 s[4:5], 0
	s_and_saveexec_b64 s[8:9], s[6:7]
	s_xor_b64 s[6:7], exec, s[8:9]
	s_cbranch_execz .LBB2_2441
; %bb.38281:
	s_getpc_b64 s[14:15]
.Lpost_getpc22724:
	s_add_u32 s14, s14, (.LBB2_16777-.Lpost_getpc22724)&4294967295
	s_addc_u32 s15, s15, (.LBB2_16777-.Lpost_getpc22724)>>32
	s_setpc_b64 s[14:15]
.LBB2_2441:
	s_or_saveexec_b64 s[6:7], s[6:7]
	v_mov_b32_e32 v12, s10
	s_xor_b64 exec, exec, s[6:7]
	s_cbranch_execz .LBB2_2442
; %bb.38283:
	s_getpc_b64 s[14:15]
.Lpost_getpc22725:
	s_add_u32 s14, s14, (.LBB2_16780-.Lpost_getpc22725)&4294967295
	s_addc_u32 s15, s15, (.LBB2_16780-.Lpost_getpc22725)>>32
	s_setpc_b64 s[14:15]
.LBB2_2442:
	s_or_b64 exec, exec, s[6:7]
	s_and_saveexec_b64 s[6:7], s[4:5]
	s_cbranch_execz .LBB2_2444
.LBB2_2443:
	v_bfe_u32 v12, v6, 8, 3
	v_ffbh_u32_e32 v15, v12
	v_min_u32_e32 v15, 32, v15
	v_lshrrev_b16_e32 v14, 3, v13
	v_subrev_u32_e32 v16, 28, v15
	v_and_b32_e32 v14, 15, v14
	v_lshlrev_b32_e32 v13, v16, v13
	v_sub_u32_e32 v15, 29, v15
	v_and_b32_e32 v13, 7, v13
	v_cmp_eq_u16_e32 vcc, 0, v14
	v_cndmask_b32_e32 v12, v12, v13, vcc
	v_cndmask_b32_e32 v13, v14, v15, vcc
	v_lshlrev_b32_e32 v14, 16, v6
	v_mov_b32_e32 v15, 0x3b800000
	v_lshlrev_b32_e32 v12, 20, v12
	v_and_b32_e32 v14, 0x80000000, v14
	v_lshl_add_u32 v13, v13, 23, v15
	v_or3_b32 v12, v14, v13, v12
.LBB2_2444:
	s_or_b64 exec, exec, s[6:7]
	v_lshrrev_b32_e32 v13, 8, v2
	s_movk_i32 s4, 0x7f
	v_cmp_gt_i16_sdwa s[6:7], v13, s4 src0_sel:BYTE_0 src1_sel:DWORD
	s_mov_b64 s[4:5], 0
                                        ; implicit-def: $sgpr10
	s_and_saveexec_b64 s[8:9], s[6:7]
	s_xor_b64 s[6:7], exec, s[8:9]
	s_cbranch_execz .LBB2_2445
; %bb.38285:
	s_getpc_b64 s[14:15]
.Lpost_getpc22726:
	s_add_u32 s14, s14, (.LBB2_16781-.Lpost_getpc22726)&4294967295
	s_addc_u32 s15, s15, (.LBB2_16781-.Lpost_getpc22726)>>32
	s_setpc_b64 s[14:15]
.LBB2_2445:
	s_or_saveexec_b64 s[6:7], s[6:7]
	v_mov_b32_e32 v14, s10
	s_xor_b64 exec, exec, s[6:7]
	s_cbranch_execz .LBB2_2446
; %bb.38287:
	s_getpc_b64 s[14:15]
.Lpost_getpc22727:
	s_add_u32 s14, s14, (.LBB2_16784-.Lpost_getpc22727)&4294967295
	s_addc_u32 s15, s15, (.LBB2_16784-.Lpost_getpc22727)>>32
	s_setpc_b64 s[14:15]
.LBB2_2446:
	s_or_b64 exec, exec, s[6:7]
	s_and_saveexec_b64 s[6:7], s[4:5]
	s_cbranch_execz .LBB2_2448
.LBB2_2447:
	v_bfe_u32 v14, v2, 8, 3
	v_ffbh_u32_e32 v16, v14
	v_min_u32_e32 v16, 32, v16
	v_lshrrev_b16_e32 v15, 3, v13
	v_subrev_u32_e32 v17, 28, v16
	v_and_b32_e32 v15, 15, v15
	v_lshlrev_b32_e32 v13, v17, v13
	v_sub_u32_e32 v16, 29, v16
	v_and_b32_e32 v13, 7, v13
	v_cmp_eq_u16_e32 vcc, 0, v15
	v_cndmask_b32_e32 v13, v14, v13, vcc
	v_cndmask_b32_e32 v14, v15, v16, vcc
	v_lshlrev_b32_e32 v15, 16, v2
	v_mov_b32_e32 v16, 0x3b800000
	v_lshlrev_b32_e32 v13, 20, v13
	v_and_b32_e32 v15, 0x80000000, v15
	v_lshl_add_u32 v14, v14, 23, v16
	v_or3_b32 v14, v15, v14, v13
.LBB2_2448:
	s_or_b64 exec, exec, s[6:7]
	s_nop 0
	v_mfma_f32_16x16x4f32 a[0:3], v12, v14, a[0:3]
	s_movk_i32 s4, 0xff
	v_and_b32_sdwa v13, v6, s4 dst_sel:DWORD dst_unused:UNUSED_PAD src0_sel:WORD_1 src1_sel:DWORD
	s_movk_i32 s4, 0x7f
	v_cmp_lt_i16_e32 vcc, s4, v13
	s_mov_b64 s[4:5], 0
                                        ; implicit-def: $sgpr10
	s_and_saveexec_b64 s[6:7], vcc
	s_xor_b64 s[6:7], exec, s[6:7]
	s_cbranch_execz .LBB2_2449
; %bb.38289:
	s_getpc_b64 s[14:15]
.Lpost_getpc22728:
	s_add_u32 s14, s14, (.LBB2_16785-.Lpost_getpc22728)&4294967295
	s_addc_u32 s15, s15, (.LBB2_16785-.Lpost_getpc22728)>>32
	s_setpc_b64 s[14:15]
.LBB2_2449:
	s_or_saveexec_b64 s[6:7], s[6:7]
	v_mov_b32_e32 v12, s10
	s_xor_b64 exec, exec, s[6:7]
	s_cbranch_execz .LBB2_2450
; %bb.38291:
	s_getpc_b64 s[14:15]
.Lpost_getpc22729:
	s_add_u32 s14, s14, (.LBB2_16788-.Lpost_getpc22729)&4294967295
	s_addc_u32 s15, s15, (.LBB2_16788-.Lpost_getpc22729)>>32
	s_setpc_b64 s[14:15]
.LBB2_2450:
	s_or_b64 exec, exec, s[6:7]
	s_and_saveexec_b64 s[6:7], s[4:5]
	s_cbranch_execz .LBB2_2452
.LBB2_2451:
	v_bfe_u32 v12, v6, 16, 3
	v_ffbh_u32_e32 v15, v12
	v_min_u32_e32 v15, 32, v15
	v_lshrrev_b32_e32 v13, 19, v6
	v_subrev_u32_e32 v16, 28, v15
	v_and_b32_e32 v13, 15, v13
	v_lshlrev_b32_sdwa v16, v16, v6 dst_sel:DWORD dst_unused:UNUSED_PAD src0_sel:DWORD src1_sel:WORD_1
	v_bfe_u32 v14, v6, 19, 4
	v_sub_u32_e32 v15, 29, v15
	v_and_b32_e32 v16, 7, v16
	v_cmp_eq_u16_e32 vcc, 0, v13
	v_cndmask_b32_e32 v12, v12, v16, vcc
	v_cndmask_b32_e32 v13, v14, v15, vcc
	v_lshlrev_b32_e32 v14, 8, v6
	v_mov_b32_e32 v15, 0x3b800000
	v_lshlrev_b32_e32 v12, 20, v12
	v_and_b32_e32 v14, 0x80000000, v14
	v_lshl_add_u32 v13, v13, 23, v15
	v_or3_b32 v12, v14, v13, v12
.LBB2_2452:
	s_or_b64 exec, exec, s[6:7]
	s_movk_i32 s4, 0xff
	v_and_b32_sdwa v13, v2, s4 dst_sel:DWORD dst_unused:UNUSED_PAD src0_sel:WORD_1 src1_sel:DWORD
	s_movk_i32 s4, 0x7f
	v_cmp_lt_i16_e32 vcc, s4, v13
	s_mov_b64 s[4:5], 0
                                        ; implicit-def: $sgpr10
	s_and_saveexec_b64 s[6:7], vcc
	s_xor_b64 s[6:7], exec, s[6:7]
	s_cbranch_execz .LBB2_2453
; %bb.38293:
	s_getpc_b64 s[14:15]
.Lpost_getpc22730:
	s_add_u32 s14, s14, (.LBB2_16789-.Lpost_getpc22730)&4294967295
	s_addc_u32 s15, s15, (.LBB2_16789-.Lpost_getpc22730)>>32
	s_setpc_b64 s[14:15]
.LBB2_2453:
	s_or_saveexec_b64 s[6:7], s[6:7]
	v_mov_b32_e32 v14, s10
	s_xor_b64 exec, exec, s[6:7]
	s_cbranch_execz .LBB2_2454
; %bb.38295:
	s_getpc_b64 s[14:15]
.Lpost_getpc22731:
	s_add_u32 s14, s14, (.LBB2_16792-.Lpost_getpc22731)&4294967295
	s_addc_u32 s15, s15, (.LBB2_16792-.Lpost_getpc22731)>>32
	s_setpc_b64 s[14:15]
.LBB2_2454:
	s_or_b64 exec, exec, s[6:7]
	s_and_saveexec_b64 s[6:7], s[4:5]
	s_cbranch_execz .LBB2_2456
.LBB2_2455:
	v_bfe_u32 v13, v2, 16, 3
	v_ffbh_u32_e32 v16, v13
	v_min_u32_e32 v16, 32, v16
	v_lshrrev_b32_e32 v14, 19, v2
	v_subrev_u32_e32 v17, 28, v16
	v_and_b32_e32 v14, 15, v14
	v_lshlrev_b32_sdwa v17, v17, v2 dst_sel:DWORD dst_unused:UNUSED_PAD src0_sel:DWORD src1_sel:WORD_1
	v_bfe_u32 v15, v2, 19, 4
	v_sub_u32_e32 v16, 29, v16
	v_and_b32_e32 v17, 7, v17
	v_cmp_eq_u16_e32 vcc, 0, v14
	v_cndmask_b32_e32 v13, v13, v17, vcc
	v_cndmask_b32_e32 v14, v15, v16, vcc
	v_lshlrev_b32_e32 v15, 8, v2
	v_mov_b32_e32 v16, 0x3b800000
	v_lshlrev_b32_e32 v13, 20, v13
	v_and_b32_e32 v15, 0x80000000, v15
	v_lshl_add_u32 v14, v14, 23, v16
	v_or3_b32 v14, v15, v14, v13
.LBB2_2456:
	s_or_b64 exec, exec, s[6:7]
	s_nop 0
	v_mfma_f32_16x16x4f32 a[0:3], v12, v14, a[0:3]
	s_movk_i32 s4, 0x7f
	v_cmp_gt_i16_sdwa s[6:7], v6, s4 src0_sel:BYTE_3 src1_sel:DWORD
	s_mov_b64 s[4:5], 0
                                        ; implicit-def: $sgpr10
	s_and_saveexec_b64 s[8:9], s[6:7]
	s_xor_b64 s[6:7], exec, s[8:9]
	s_cbranch_execz .LBB2_2457
; %bb.38297:
	s_getpc_b64 s[14:15]
.Lpost_getpc22732:
	s_add_u32 s14, s14, (.LBB2_16793-.Lpost_getpc22732)&4294967295
	s_addc_u32 s15, s15, (.LBB2_16793-.Lpost_getpc22732)>>32
	s_setpc_b64 s[14:15]
.LBB2_2457:
	s_or_saveexec_b64 s[6:7], s[6:7]
	v_mov_b32_e32 v12, s10
	s_xor_b64 exec, exec, s[6:7]
	s_cbranch_execz .LBB2_2458
; %bb.38299:
	s_getpc_b64 s[14:15]
.Lpost_getpc22733:
	s_add_u32 s14, s14, (.LBB2_16796-.Lpost_getpc22733)&4294967295
	s_addc_u32 s15, s15, (.LBB2_16796-.Lpost_getpc22733)>>32
	s_setpc_b64 s[14:15]
.LBB2_2458:
	s_or_b64 exec, exec, s[6:7]
	s_and_saveexec_b64 s[6:7], s[4:5]
	s_cbranch_execz .LBB2_2460
.LBB2_2459:
	v_bfe_u32 v12, v6, 24, 3
	v_ffbh_u32_e32 v16, v12
	v_min_u32_e32 v16, 32, v16
	v_lshrrev_b32_e32 v14, 27, v6
	v_subrev_u32_e32 v17, 28, v16
	v_and_b32_e32 v13, 0x80000000, v6
	v_and_b32_e32 v14, 15, v14
	v_bfe_u32 v15, v6, 27, 4
	v_lshlrev_b32_sdwa v6, v17, v6 dst_sel:DWORD dst_unused:UNUSED_PAD src0_sel:DWORD src1_sel:BYTE_3
	v_sub_u32_e32 v16, 29, v16
	v_and_b32_e32 v6, 7, v6
	v_cmp_eq_u16_e32 vcc, 0, v14
	v_cndmask_b32_e32 v6, v12, v6, vcc
	v_cndmask_b32_e32 v12, v15, v16, vcc
	v_mov_b32_e32 v14, 0x3b800000
	v_lshlrev_b32_e32 v6, 20, v6
	v_lshl_add_u32 v12, v12, 23, v14
	v_or3_b32 v12, v13, v12, v6
.LBB2_2460:
	s_or_b64 exec, exec, s[6:7]
	s_movk_i32 s4, 0x7f
	v_cmp_gt_i16_sdwa s[6:7], v2, s4 src0_sel:BYTE_3 src1_sel:DWORD
	s_mov_b64 s[4:5], 0
                                        ; implicit-def: $sgpr10
	s_and_saveexec_b64 s[8:9], s[6:7]
	s_xor_b64 s[6:7], exec, s[8:9]
	s_cbranch_execz .LBB2_2461
; %bb.38301:
	s_getpc_b64 s[14:15]
.Lpost_getpc22734:
	s_add_u32 s14, s14, (.LBB2_16797-.Lpost_getpc22734)&4294967295
	s_addc_u32 s15, s15, (.LBB2_16797-.Lpost_getpc22734)>>32
	s_setpc_b64 s[14:15]
.LBB2_2461:
	s_or_saveexec_b64 s[6:7], s[6:7]
	v_mov_b32_e32 v6, s10
	s_xor_b64 exec, exec, s[6:7]
	s_cbranch_execz .LBB2_2462
; %bb.38303:
	s_getpc_b64 s[14:15]
.Lpost_getpc22735:
	s_add_u32 s14, s14, (.LBB2_16800-.Lpost_getpc22735)&4294967295
	s_addc_u32 s15, s15, (.LBB2_16800-.Lpost_getpc22735)>>32
	s_setpc_b64 s[14:15]
.LBB2_2462:
	s_or_b64 exec, exec, s[6:7]
	s_and_saveexec_b64 s[6:7], s[4:5]
	s_cbranch_execz .LBB2_2464
.LBB2_2463:
	v_bfe_u32 v6, v2, 24, 3
	v_ffbh_u32_e32 v16, v6
	v_min_u32_e32 v16, 32, v16
	v_lshrrev_b32_e32 v14, 27, v2
	v_subrev_u32_e32 v17, 28, v16
	v_and_b32_e32 v13, 0x80000000, v2
	v_and_b32_e32 v14, 15, v14
	v_bfe_u32 v15, v2, 27, 4
	v_lshlrev_b32_sdwa v2, v17, v2 dst_sel:DWORD dst_unused:UNUSED_PAD src0_sel:DWORD src1_sel:BYTE_3
	v_sub_u32_e32 v16, 29, v16
	v_and_b32_e32 v2, 7, v2
	v_cmp_eq_u16_e32 vcc, 0, v14
	v_cndmask_b32_e32 v2, v6, v2, vcc
	v_cndmask_b32_e32 v6, v15, v16, vcc
	v_mov_b32_e32 v14, 0x3b800000
	v_lshlrev_b32_e32 v2, 20, v2
	v_lshl_add_u32 v6, v6, 23, v14
	v_or3_b32 v6, v13, v6, v2
.LBB2_2464:
	s_or_b64 exec, exec, s[6:7]
	s_nop 0
	v_mfma_f32_16x16x4f32 a[0:3], v12, v6, a[0:3]
	s_movk_i32 s4, 0x7f
	v_cmp_gt_i16_sdwa s[6:7], v7, s4 src0_sel:BYTE_0 src1_sel:DWORD
	s_mov_b64 s[4:5], 0
                                        ; implicit-def: $sgpr10
	s_and_saveexec_b64 s[8:9], s[6:7]
	s_xor_b64 s[6:7], exec, s[8:9]
	s_cbranch_execz .LBB2_2465
; %bb.38305:
	s_getpc_b64 s[14:15]
.Lpost_getpc22736:
	s_add_u32 s14, s14, (.LBB2_16801-.Lpost_getpc22736)&4294967295
	s_addc_u32 s15, s15, (.LBB2_16801-.Lpost_getpc22736)>>32
	s_setpc_b64 s[14:15]
.LBB2_2465:
	s_or_saveexec_b64 s[6:7], s[6:7]
	v_mov_b32_e32 v2, s10
	s_xor_b64 exec, exec, s[6:7]
	s_cbranch_execz .LBB2_2466
; %bb.38307:
	s_getpc_b64 s[14:15]
.Lpost_getpc22737:
	s_add_u32 s14, s14, (.LBB2_16804-.Lpost_getpc22737)&4294967295
	s_addc_u32 s15, s15, (.LBB2_16804-.Lpost_getpc22737)>>32
	s_setpc_b64 s[14:15]
.LBB2_2466:
	s_or_b64 exec, exec, s[6:7]
	s_and_saveexec_b64 s[6:7], s[4:5]
	s_cbranch_execz .LBB2_2468
.LBB2_2467:
	v_and_b32_e32 v2, 7, v7
	v_ffbh_u32_e32 v12, v2
	v_min_u32_e32 v12, 32, v12
	v_lshrrev_b16_e32 v6, 3, v7
	v_subrev_u32_e32 v13, 28, v12
	v_and_b32_e32 v6, 15, v6
	v_lshlrev_b32_e32 v13, v13, v7
	v_sub_u32_e32 v12, 29, v12
	v_and_b32_e32 v13, 7, v13
	v_cmp_eq_u16_e32 vcc, 0, v6
	v_cndmask_b32_e32 v2, v2, v13, vcc
	v_cndmask_b32_e32 v6, v6, v12, vcc
	v_lshlrev_b32_e32 v12, 24, v7
	v_mov_b32_e32 v13, 0x3b800000
	v_lshlrev_b32_e32 v2, 20, v2
	v_and_b32_e32 v12, 0x80000000, v12
	v_lshl_add_u32 v6, v6, 23, v13
	v_or3_b32 v2, v12, v6, v2
.LBB2_2468:
	s_or_b64 exec, exec, s[6:7]
	s_movk_i32 s4, 0x7f
	v_cmp_gt_i16_sdwa s[6:7], v3, s4 src0_sel:BYTE_0 src1_sel:DWORD
	s_mov_b64 s[4:5], 0
                                        ; implicit-def: $sgpr10
	s_and_saveexec_b64 s[8:9], s[6:7]
	s_xor_b64 s[6:7], exec, s[8:9]
	s_cbranch_execz .LBB2_2469
; %bb.38309:
	s_getpc_b64 s[14:15]
.Lpost_getpc22738:
	s_add_u32 s14, s14, (.LBB2_16805-.Lpost_getpc22738)&4294967295
	s_addc_u32 s15, s15, (.LBB2_16805-.Lpost_getpc22738)>>32
	s_setpc_b64 s[14:15]
.LBB2_2469:
	s_or_saveexec_b64 s[6:7], s[6:7]
	v_mov_b32_e32 v6, s10
	s_xor_b64 exec, exec, s[6:7]
	s_cbranch_execz .LBB2_2470
; %bb.38311:
	s_getpc_b64 s[14:15]
.Lpost_getpc22739:
	s_add_u32 s14, s14, (.LBB2_16808-.Lpost_getpc22739)&4294967295
	s_addc_u32 s15, s15, (.LBB2_16808-.Lpost_getpc22739)>>32
	s_setpc_b64 s[14:15]
.LBB2_2470:
	s_or_b64 exec, exec, s[6:7]
	s_and_saveexec_b64 s[6:7], s[4:5]
	s_cbranch_execz .LBB2_2472
.LBB2_2471:
	v_and_b32_e32 v6, 7, v3
	v_ffbh_u32_e32 v13, v6
	v_min_u32_e32 v13, 32, v13
	v_lshrrev_b16_e32 v12, 3, v3
	v_subrev_u32_e32 v14, 28, v13
	v_and_b32_e32 v12, 15, v12
	v_lshlrev_b32_e32 v14, v14, v3
	v_sub_u32_e32 v13, 29, v13
	v_and_b32_e32 v14, 7, v14
	v_cmp_eq_u16_e32 vcc, 0, v12
	v_cndmask_b32_e32 v6, v6, v14, vcc
	v_cndmask_b32_e32 v12, v12, v13, vcc
	v_lshlrev_b32_e32 v13, 24, v3
	v_mov_b32_e32 v14, 0x3b800000
	v_lshlrev_b32_e32 v6, 20, v6
	v_and_b32_e32 v13, 0x80000000, v13
	v_lshl_add_u32 v12, v12, 23, v14
	v_or3_b32 v6, v13, v12, v6
.LBB2_2472:
	s_or_b64 exec, exec, s[6:7]
	s_nop 0
	v_mfma_f32_16x16x4f32 a[0:3], v2, v6, a[0:3]
	v_lshrrev_b32_e32 v6, 8, v7
	s_movk_i32 s4, 0x7f
	v_cmp_gt_i16_sdwa s[6:7], v6, s4 src0_sel:BYTE_0 src1_sel:DWORD
	s_mov_b64 s[4:5], 0
                                        ; implicit-def: $sgpr10
	s_and_saveexec_b64 s[8:9], s[6:7]
	s_xor_b64 s[6:7], exec, s[8:9]
	s_cbranch_execz .LBB2_2473
; %bb.38313:
	s_getpc_b64 s[14:15]
.Lpost_getpc22740:
	s_add_u32 s14, s14, (.LBB2_16809-.Lpost_getpc22740)&4294967295
	s_addc_u32 s15, s15, (.LBB2_16809-.Lpost_getpc22740)>>32
	s_setpc_b64 s[14:15]
.LBB2_2473:
	s_or_saveexec_b64 s[6:7], s[6:7]
	v_mov_b32_e32 v2, s10
	s_xor_b64 exec, exec, s[6:7]
	s_cbranch_execz .LBB2_2474
; %bb.38315:
	s_getpc_b64 s[14:15]
.Lpost_getpc22741:
	s_add_u32 s14, s14, (.LBB2_16812-.Lpost_getpc22741)&4294967295
	s_addc_u32 s15, s15, (.LBB2_16812-.Lpost_getpc22741)>>32
	s_setpc_b64 s[14:15]
.LBB2_2474:
	s_or_b64 exec, exec, s[6:7]
	s_and_saveexec_b64 s[6:7], s[4:5]
	s_cbranch_execz .LBB2_2476
.LBB2_2475:
	v_bfe_u32 v2, v7, 8, 3
	v_ffbh_u32_e32 v13, v2
	v_min_u32_e32 v13, 32, v13
	v_lshrrev_b16_e32 v12, 3, v6
	v_subrev_u32_e32 v14, 28, v13
	v_and_b32_e32 v12, 15, v12
	v_lshlrev_b32_e32 v6, v14, v6
	v_sub_u32_e32 v13, 29, v13
	v_and_b32_e32 v6, 7, v6
	v_cmp_eq_u16_e32 vcc, 0, v12
	v_cndmask_b32_e32 v2, v2, v6, vcc
	v_cndmask_b32_e32 v6, v12, v13, vcc
	v_lshlrev_b32_e32 v12, 16, v7
	v_mov_b32_e32 v13, 0x3b800000
	v_lshlrev_b32_e32 v2, 20, v2
	v_and_b32_e32 v12, 0x80000000, v12
	v_lshl_add_u32 v6, v6, 23, v13
	v_or3_b32 v2, v12, v6, v2
.LBB2_2476:
	s_or_b64 exec, exec, s[6:7]
	v_lshrrev_b32_e32 v6, 8, v3
	s_movk_i32 s4, 0x7f
	v_cmp_gt_i16_sdwa s[6:7], v6, s4 src0_sel:BYTE_0 src1_sel:DWORD
	s_mov_b64 s[4:5], 0
                                        ; implicit-def: $sgpr10
	s_and_saveexec_b64 s[8:9], s[6:7]
	s_xor_b64 s[6:7], exec, s[8:9]
	s_cbranch_execz .LBB2_2477
; %bb.38317:
	s_getpc_b64 s[14:15]
.Lpost_getpc22742:
	s_add_u32 s14, s14, (.LBB2_16813-.Lpost_getpc22742)&4294967295
	s_addc_u32 s15, s15, (.LBB2_16813-.Lpost_getpc22742)>>32
	s_setpc_b64 s[14:15]
.LBB2_2477:
	s_or_saveexec_b64 s[6:7], s[6:7]
	v_mov_b32_e32 v12, s10
	s_xor_b64 exec, exec, s[6:7]
	s_cbranch_execz .LBB2_2478
; %bb.38319:
	s_getpc_b64 s[14:15]
.Lpost_getpc22743:
	s_add_u32 s14, s14, (.LBB2_16816-.Lpost_getpc22743)&4294967295
	s_addc_u32 s15, s15, (.LBB2_16816-.Lpost_getpc22743)>>32
	s_setpc_b64 s[14:15]
.LBB2_2478:
	s_or_b64 exec, exec, s[6:7]
	s_and_saveexec_b64 s[6:7], s[4:5]
	s_cbranch_execz .LBB2_2480
.LBB2_2479:
	v_bfe_u32 v12, v3, 8, 3
	v_ffbh_u32_e32 v14, v12
	v_min_u32_e32 v14, 32, v14
	v_lshrrev_b16_e32 v13, 3, v6
	v_subrev_u32_e32 v15, 28, v14
	v_and_b32_e32 v13, 15, v13
	v_lshlrev_b32_e32 v6, v15, v6
	v_sub_u32_e32 v14, 29, v14
	v_and_b32_e32 v6, 7, v6
	v_cmp_eq_u16_e32 vcc, 0, v13
	v_cndmask_b32_e32 v6, v12, v6, vcc
	v_cndmask_b32_e32 v12, v13, v14, vcc
	v_lshlrev_b32_e32 v13, 16, v3
	v_mov_b32_e32 v14, 0x3b800000
	v_lshlrev_b32_e32 v6, 20, v6
	v_and_b32_e32 v13, 0x80000000, v13
	v_lshl_add_u32 v12, v12, 23, v14
	v_or3_b32 v12, v13, v12, v6
.LBB2_2480:
	s_or_b64 exec, exec, s[6:7]
	s_nop 0
	v_mfma_f32_16x16x4f32 a[0:3], v2, v12, a[0:3]
	s_movk_i32 s4, 0xff
	v_and_b32_sdwa v6, v7, s4 dst_sel:DWORD dst_unused:UNUSED_PAD src0_sel:WORD_1 src1_sel:DWORD
	s_movk_i32 s4, 0x7f
	v_cmp_lt_i16_e32 vcc, s4, v6
	s_mov_b64 s[4:5], 0
                                        ; implicit-def: $sgpr10
	s_and_saveexec_b64 s[6:7], vcc
	s_xor_b64 s[6:7], exec, s[6:7]
	s_cbranch_execz .LBB2_2481
; %bb.38321:
	s_getpc_b64 s[14:15]
.Lpost_getpc22744:
	s_add_u32 s14, s14, (.LBB2_16817-.Lpost_getpc22744)&4294967295
	s_addc_u32 s15, s15, (.LBB2_16817-.Lpost_getpc22744)>>32
	s_setpc_b64 s[14:15]
.LBB2_2481:
	s_or_saveexec_b64 s[6:7], s[6:7]
	v_mov_b32_e32 v2, s10
	s_xor_b64 exec, exec, s[6:7]
	s_cbranch_execz .LBB2_2482
; %bb.38323:
	s_getpc_b64 s[14:15]
.Lpost_getpc22745:
	s_add_u32 s14, s14, (.LBB2_16820-.Lpost_getpc22745)&4294967295
	s_addc_u32 s15, s15, (.LBB2_16820-.Lpost_getpc22745)>>32
	s_setpc_b64 s[14:15]
.LBB2_2482:
	s_or_b64 exec, exec, s[6:7]
	s_and_saveexec_b64 s[6:7], s[4:5]
	s_cbranch_execz .LBB2_2484
.LBB2_2483:
	v_bfe_u32 v2, v7, 16, 3
	v_ffbh_u32_e32 v13, v2
	v_min_u32_e32 v13, 32, v13
	v_lshrrev_b32_e32 v6, 19, v7
	v_subrev_u32_e32 v14, 28, v13
	v_and_b32_e32 v6, 15, v6
	v_lshlrev_b32_sdwa v14, v14, v7 dst_sel:DWORD dst_unused:UNUSED_PAD src0_sel:DWORD src1_sel:WORD_1
	v_bfe_u32 v12, v7, 19, 4
	v_sub_u32_e32 v13, 29, v13
	v_and_b32_e32 v14, 7, v14
	v_cmp_eq_u16_e32 vcc, 0, v6
	v_cndmask_b32_e32 v2, v2, v14, vcc
	v_cndmask_b32_e32 v6, v12, v13, vcc
	v_lshlrev_b32_e32 v12, 8, v7
	v_mov_b32_e32 v13, 0x3b800000
	v_lshlrev_b32_e32 v2, 20, v2
	v_and_b32_e32 v12, 0x80000000, v12
	v_lshl_add_u32 v6, v6, 23, v13
	v_or3_b32 v2, v12, v6, v2
.LBB2_2484:
	s_or_b64 exec, exec, s[6:7]
	s_movk_i32 s4, 0xff
	v_and_b32_sdwa v6, v3, s4 dst_sel:DWORD dst_unused:UNUSED_PAD src0_sel:WORD_1 src1_sel:DWORD
	s_movk_i32 s4, 0x7f
	v_cmp_lt_i16_e32 vcc, s4, v6
	s_mov_b64 s[4:5], 0
                                        ; implicit-def: $sgpr10
	s_and_saveexec_b64 s[6:7], vcc
	s_xor_b64 s[6:7], exec, s[6:7]
	s_cbranch_execz .LBB2_2485
; %bb.38325:
	s_getpc_b64 s[14:15]
.Lpost_getpc22746:
	s_add_u32 s14, s14, (.LBB2_16821-.Lpost_getpc22746)&4294967295
	s_addc_u32 s15, s15, (.LBB2_16821-.Lpost_getpc22746)>>32
	s_setpc_b64 s[14:15]
.LBB2_2485:
	s_or_saveexec_b64 s[6:7], s[6:7]
	v_mov_b32_e32 v12, s10
	s_xor_b64 exec, exec, s[6:7]
	s_cbranch_execz .LBB2_2486
; %bb.38327:
	s_getpc_b64 s[14:15]
.Lpost_getpc22747:
	s_add_u32 s14, s14, (.LBB2_16824-.Lpost_getpc22747)&4294967295
	s_addc_u32 s15, s15, (.LBB2_16824-.Lpost_getpc22747)>>32
	s_setpc_b64 s[14:15]
.LBB2_2486:
	s_or_b64 exec, exec, s[6:7]
	s_and_saveexec_b64 s[6:7], s[4:5]
	s_cbranch_execz .LBB2_2488
.LBB2_2487:
	v_bfe_u32 v6, v3, 16, 3
	v_ffbh_u32_e32 v14, v6
	v_min_u32_e32 v14, 32, v14
	v_lshrrev_b32_e32 v12, 19, v3
	v_subrev_u32_e32 v15, 28, v14
	v_and_b32_e32 v12, 15, v12
	v_lshlrev_b32_sdwa v15, v15, v3 dst_sel:DWORD dst_unused:UNUSED_PAD src0_sel:DWORD src1_sel:WORD_1
	v_bfe_u32 v13, v3, 19, 4
	v_sub_u32_e32 v14, 29, v14
	v_and_b32_e32 v15, 7, v15
	v_cmp_eq_u16_e32 vcc, 0, v12
	v_cndmask_b32_e32 v6, v6, v15, vcc
	v_cndmask_b32_e32 v12, v13, v14, vcc
	v_lshlrev_b32_e32 v13, 8, v3
	v_mov_b32_e32 v14, 0x3b800000
	v_lshlrev_b32_e32 v6, 20, v6
	v_and_b32_e32 v13, 0x80000000, v13
	v_lshl_add_u32 v12, v12, 23, v14
	v_or3_b32 v12, v13, v12, v6
.LBB2_2488:
	s_or_b64 exec, exec, s[6:7]
	s_nop 0
	v_mfma_f32_16x16x4f32 a[0:3], v2, v12, a[0:3]
	s_movk_i32 s4, 0x7f
	v_cmp_gt_i16_sdwa s[6:7], v7, s4 src0_sel:BYTE_3 src1_sel:DWORD
	s_mov_b64 s[4:5], 0
                                        ; implicit-def: $sgpr10
	s_and_saveexec_b64 s[8:9], s[6:7]
	s_xor_b64 s[6:7], exec, s[8:9]
	s_cbranch_execz .LBB2_2489
; %bb.38329:
	s_getpc_b64 s[14:15]
.Lpost_getpc22748:
	s_add_u32 s14, s14, (.LBB2_16825-.Lpost_getpc22748)&4294967295
	s_addc_u32 s15, s15, (.LBB2_16825-.Lpost_getpc22748)>>32
	s_setpc_b64 s[14:15]
.LBB2_2489:
	s_or_saveexec_b64 s[6:7], s[6:7]
	v_mov_b32_e32 v2, s10
	s_xor_b64 exec, exec, s[6:7]
	s_cbranch_execz .LBB2_2490
; %bb.38331:
	s_getpc_b64 s[14:15]
.Lpost_getpc22749:
	s_add_u32 s14, s14, (.LBB2_16828-.Lpost_getpc22749)&4294967295
	s_addc_u32 s15, s15, (.LBB2_16828-.Lpost_getpc22749)>>32
	s_setpc_b64 s[14:15]
.LBB2_2490:
	s_or_b64 exec, exec, s[6:7]
	s_and_saveexec_b64 s[6:7], s[4:5]
	s_cbranch_execz .LBB2_2492
.LBB2_2491:
	v_bfe_u32 v2, v7, 24, 3
	v_ffbh_u32_e32 v14, v2
	v_min_u32_e32 v14, 32, v14
	v_lshrrev_b32_e32 v12, 27, v7
	v_subrev_u32_e32 v15, 28, v14
	v_and_b32_e32 v6, 0x80000000, v7
	v_and_b32_e32 v12, 15, v12
	v_bfe_u32 v13, v7, 27, 4
	v_lshlrev_b32_sdwa v7, v15, v7 dst_sel:DWORD dst_unused:UNUSED_PAD src0_sel:DWORD src1_sel:BYTE_3
	v_sub_u32_e32 v14, 29, v14
	v_and_b32_e32 v7, 7, v7
	v_cmp_eq_u16_e32 vcc, 0, v12
	v_cndmask_b32_e32 v2, v2, v7, vcc
	v_cndmask_b32_e32 v7, v13, v14, vcc
	v_mov_b32_e32 v12, 0x3b800000
	v_lshlrev_b32_e32 v2, 20, v2
	v_lshl_add_u32 v7, v7, 23, v12
	v_or3_b32 v2, v6, v7, v2
.LBB2_2492:
	s_or_b64 exec, exec, s[6:7]
	s_movk_i32 s4, 0x7f
	v_cmp_gt_i16_sdwa s[6:7], v3, s4 src0_sel:BYTE_3 src1_sel:DWORD
	s_mov_b64 s[4:5], 0
                                        ; implicit-def: $sgpr10
	s_and_saveexec_b64 s[8:9], s[6:7]
	s_xor_b64 s[6:7], exec, s[8:9]
	s_cbranch_execz .LBB2_2493
; %bb.38333:
	s_getpc_b64 s[14:15]
.Lpost_getpc22750:
	s_add_u32 s14, s14, (.LBB2_16829-.Lpost_getpc22750)&4294967295
	s_addc_u32 s15, s15, (.LBB2_16829-.Lpost_getpc22750)>>32
	s_setpc_b64 s[14:15]
.LBB2_2493:
	s_or_saveexec_b64 s[6:7], s[6:7]
	v_mov_b32_e32 v6, s10
	s_xor_b64 exec, exec, s[6:7]
	s_cbranch_execz .LBB2_2494
; %bb.38335:
	s_getpc_b64 s[14:15]
.Lpost_getpc22751:
	s_add_u32 s14, s14, (.LBB2_16832-.Lpost_getpc22751)&4294967295
	s_addc_u32 s15, s15, (.LBB2_16832-.Lpost_getpc22751)>>32
	s_setpc_b64 s[14:15]
.LBB2_2494:
	s_or_b64 exec, exec, s[6:7]
	s_and_saveexec_b64 s[6:7], s[4:5]
	s_cbranch_execz .LBB2_2496
.LBB2_2495:
	v_bfe_u32 v6, v3, 24, 3
	v_ffbh_u32_e32 v14, v6
	v_min_u32_e32 v14, 32, v14
	v_lshrrev_b32_e32 v12, 27, v3
	v_subrev_u32_e32 v15, 28, v14
	v_and_b32_e32 v7, 0x80000000, v3
	v_and_b32_e32 v12, 15, v12
	v_bfe_u32 v13, v3, 27, 4
	v_lshlrev_b32_sdwa v3, v15, v3 dst_sel:DWORD dst_unused:UNUSED_PAD src0_sel:DWORD src1_sel:BYTE_3
	v_sub_u32_e32 v14, 29, v14
	v_and_b32_e32 v3, 7, v3
	v_cmp_eq_u16_e32 vcc, 0, v12
	v_cndmask_b32_e32 v3, v6, v3, vcc
	v_cndmask_b32_e32 v6, v13, v14, vcc
	v_mov_b32_e32 v12, 0x3b800000
	v_lshlrev_b32_e32 v3, 20, v3
	v_lshl_add_u32 v6, v6, 23, v12
	v_or3_b32 v6, v7, v6, v3
.LBB2_2496:
	s_or_b64 exec, exec, s[6:7]
	s_nop 0
	v_mfma_f32_16x16x4f32 a[0:3], v2, v6, a[0:3]
	s_movk_i32 s4, 0x7f
	v_cmp_gt_i16_sdwa s[6:7], v8, s4 src0_sel:BYTE_0 src1_sel:DWORD
	s_mov_b64 s[4:5], 0
                                        ; implicit-def: $sgpr10
	s_and_saveexec_b64 s[8:9], s[6:7]
	s_xor_b64 s[6:7], exec, s[8:9]
	s_cbranch_execz .LBB2_2497
; %bb.38337:
	s_getpc_b64 s[14:15]
.Lpost_getpc22752:
	s_add_u32 s14, s14, (.LBB2_16833-.Lpost_getpc22752)&4294967295
	s_addc_u32 s15, s15, (.LBB2_16833-.Lpost_getpc22752)>>32
	s_setpc_b64 s[14:15]
.LBB2_2497:
	s_or_saveexec_b64 s[6:7], s[6:7]
	v_mov_b32_e32 v2, s10
	s_xor_b64 exec, exec, s[6:7]
	s_cbranch_execz .LBB2_2498
; %bb.38339:
	s_getpc_b64 s[14:15]
.Lpost_getpc22753:
	s_add_u32 s14, s14, (.LBB2_16836-.Lpost_getpc22753)&4294967295
	s_addc_u32 s15, s15, (.LBB2_16836-.Lpost_getpc22753)>>32
	s_setpc_b64 s[14:15]
.LBB2_2498:
	s_or_b64 exec, exec, s[6:7]
	s_and_saveexec_b64 s[6:7], s[4:5]
	s_cbranch_execz .LBB2_2500
.LBB2_2499:
	v_and_b32_e32 v2, 7, v8
	v_ffbh_u32_e32 v6, v2
	v_min_u32_e32 v6, 32, v6
	v_lshrrev_b16_e32 v3, 3, v8
	v_subrev_u32_e32 v7, 28, v6
	v_and_b32_e32 v3, 15, v3
	v_lshlrev_b32_e32 v7, v7, v8
	v_sub_u32_e32 v6, 29, v6
	v_and_b32_e32 v7, 7, v7
	v_cmp_eq_u16_e32 vcc, 0, v3
	v_cndmask_b32_e32 v2, v2, v7, vcc
	v_cndmask_b32_e32 v3, v3, v6, vcc
	v_lshlrev_b32_e32 v6, 24, v8
	v_mov_b32_e32 v7, 0x3b800000
	v_lshlrev_b32_e32 v2, 20, v2
	v_and_b32_e32 v6, 0x80000000, v6
	v_lshl_add_u32 v3, v3, 23, v7
	v_or3_b32 v2, v6, v3, v2
.LBB2_2500:
	s_or_b64 exec, exec, s[6:7]
	s_movk_i32 s4, 0x7f
	v_cmp_gt_i16_sdwa s[6:7], v4, s4 src0_sel:BYTE_0 src1_sel:DWORD
	s_mov_b64 s[4:5], 0
                                        ; implicit-def: $sgpr10
	s_and_saveexec_b64 s[8:9], s[6:7]
	s_xor_b64 s[6:7], exec, s[8:9]
	s_cbranch_execz .LBB2_2501
; %bb.38341:
	s_getpc_b64 s[14:15]
.Lpost_getpc22754:
	s_add_u32 s14, s14, (.LBB2_16837-.Lpost_getpc22754)&4294967295
	s_addc_u32 s15, s15, (.LBB2_16837-.Lpost_getpc22754)>>32
	s_setpc_b64 s[14:15]
.LBB2_2501:
	s_or_saveexec_b64 s[6:7], s[6:7]
	v_mov_b32_e32 v3, s10
	s_xor_b64 exec, exec, s[6:7]
	s_cbranch_execz .LBB2_2502
; %bb.38343:
	s_getpc_b64 s[14:15]
.Lpost_getpc22755:
	s_add_u32 s14, s14, (.LBB2_16840-.Lpost_getpc22755)&4294967295
	s_addc_u32 s15, s15, (.LBB2_16840-.Lpost_getpc22755)>>32
	s_setpc_b64 s[14:15]
.LBB2_2502:
	s_or_b64 exec, exec, s[6:7]
	s_and_saveexec_b64 s[6:7], s[4:5]
	s_cbranch_execz .LBB2_2504
.LBB2_2503:
	v_and_b32_e32 v3, 7, v4
	v_ffbh_u32_e32 v7, v3
	v_min_u32_e32 v7, 32, v7
	v_lshrrev_b16_e32 v6, 3, v4
	v_subrev_u32_e32 v12, 28, v7
	v_and_b32_e32 v6, 15, v6
	v_lshlrev_b32_e32 v12, v12, v4
	v_sub_u32_e32 v7, 29, v7
	v_and_b32_e32 v12, 7, v12
	v_cmp_eq_u16_e32 vcc, 0, v6
	v_cndmask_b32_e32 v3, v3, v12, vcc
	v_cndmask_b32_e32 v6, v6, v7, vcc
	v_lshlrev_b32_e32 v7, 24, v4
	v_mov_b32_e32 v12, 0x3b800000
	v_lshlrev_b32_e32 v3, 20, v3
	v_and_b32_e32 v7, 0x80000000, v7
	v_lshl_add_u32 v6, v6, 23, v12
	v_or3_b32 v3, v7, v6, v3
.LBB2_2504:
	s_or_b64 exec, exec, s[6:7]
	s_nop 0
	v_mfma_f32_16x16x4f32 a[0:3], v2, v3, a[0:3]
	v_lshrrev_b32_e32 v3, 8, v8
	s_movk_i32 s4, 0x7f
	v_cmp_gt_i16_sdwa s[6:7], v3, s4 src0_sel:BYTE_0 src1_sel:DWORD
	s_mov_b64 s[4:5], 0
                                        ; implicit-def: $sgpr10
	s_and_saveexec_b64 s[8:9], s[6:7]
	s_xor_b64 s[6:7], exec, s[8:9]
	s_cbranch_execz .LBB2_2505
; %bb.38345:
	s_getpc_b64 s[14:15]
.Lpost_getpc22756:
	s_add_u32 s14, s14, (.LBB2_16841-.Lpost_getpc22756)&4294967295
	s_addc_u32 s15, s15, (.LBB2_16841-.Lpost_getpc22756)>>32
	s_setpc_b64 s[14:15]
.LBB2_2505:
	s_or_saveexec_b64 s[6:7], s[6:7]
	v_mov_b32_e32 v2, s10
	s_xor_b64 exec, exec, s[6:7]
	s_cbranch_execz .LBB2_2506
; %bb.38347:
	s_getpc_b64 s[14:15]
.Lpost_getpc22757:
	s_add_u32 s14, s14, (.LBB2_16844-.Lpost_getpc22757)&4294967295
	s_addc_u32 s15, s15, (.LBB2_16844-.Lpost_getpc22757)>>32
	s_setpc_b64 s[14:15]
.LBB2_2506:
	s_or_b64 exec, exec, s[6:7]
	s_and_saveexec_b64 s[6:7], s[4:5]
	s_cbranch_execz .LBB2_2508
.LBB2_2507:
	v_bfe_u32 v2, v8, 8, 3
	v_ffbh_u32_e32 v7, v2
	v_min_u32_e32 v7, 32, v7
	v_lshrrev_b16_e32 v6, 3, v3
	v_subrev_u32_e32 v12, 28, v7
	v_and_b32_e32 v6, 15, v6
	v_lshlrev_b32_e32 v3, v12, v3
	v_sub_u32_e32 v7, 29, v7
	v_and_b32_e32 v3, 7, v3
	v_cmp_eq_u16_e32 vcc, 0, v6
	v_cndmask_b32_e32 v2, v2, v3, vcc
	v_cndmask_b32_e32 v3, v6, v7, vcc
	v_lshlrev_b32_e32 v6, 16, v8
	v_mov_b32_e32 v7, 0x3b800000
	v_lshlrev_b32_e32 v2, 20, v2
	v_and_b32_e32 v6, 0x80000000, v6
	v_lshl_add_u32 v3, v3, 23, v7
	v_or3_b32 v2, v6, v3, v2
.LBB2_2508:
	s_or_b64 exec, exec, s[6:7]
	v_lshrrev_b32_e32 v3, 8, v4
	s_movk_i32 s4, 0x7f
	v_cmp_gt_i16_sdwa s[6:7], v3, s4 src0_sel:BYTE_0 src1_sel:DWORD
	s_mov_b64 s[4:5], 0
                                        ; implicit-def: $sgpr10
	s_and_saveexec_b64 s[8:9], s[6:7]
	s_xor_b64 s[6:7], exec, s[8:9]
	s_cbranch_execz .LBB2_2509
; %bb.38349:
	s_getpc_b64 s[14:15]
.Lpost_getpc22758:
	s_add_u32 s14, s14, (.LBB2_16845-.Lpost_getpc22758)&4294967295
	s_addc_u32 s15, s15, (.LBB2_16845-.Lpost_getpc22758)>>32
	s_setpc_b64 s[14:15]
.LBB2_2509:
	s_or_saveexec_b64 s[6:7], s[6:7]
	v_mov_b32_e32 v6, s10
	s_xor_b64 exec, exec, s[6:7]
	s_cbranch_execz .LBB2_2510
; %bb.38351:
	s_getpc_b64 s[14:15]
.Lpost_getpc22759:
	s_add_u32 s14, s14, (.LBB2_16848-.Lpost_getpc22759)&4294967295
	s_addc_u32 s15, s15, (.LBB2_16848-.Lpost_getpc22759)>>32
	s_setpc_b64 s[14:15]
.LBB2_2510:
	s_or_b64 exec, exec, s[6:7]
	s_and_saveexec_b64 s[6:7], s[4:5]
	s_cbranch_execz .LBB2_2512
.LBB2_2511:
	v_bfe_u32 v6, v4, 8, 3
	v_ffbh_u32_e32 v12, v6
	v_min_u32_e32 v12, 32, v12
	v_lshrrev_b16_e32 v7, 3, v3
	v_subrev_u32_e32 v13, 28, v12
	v_and_b32_e32 v7, 15, v7
	v_lshlrev_b32_e32 v3, v13, v3
	v_sub_u32_e32 v12, 29, v12
	v_and_b32_e32 v3, 7, v3
	v_cmp_eq_u16_e32 vcc, 0, v7
	v_cndmask_b32_e32 v3, v6, v3, vcc
	v_cndmask_b32_e32 v6, v7, v12, vcc
	v_lshlrev_b32_e32 v7, 16, v4
	v_mov_b32_e32 v12, 0x3b800000
	v_lshlrev_b32_e32 v3, 20, v3
	v_and_b32_e32 v7, 0x80000000, v7
	v_lshl_add_u32 v6, v6, 23, v12
	v_or3_b32 v6, v7, v6, v3
.LBB2_2512:
	s_or_b64 exec, exec, s[6:7]
	s_nop 0
	v_mfma_f32_16x16x4f32 a[0:3], v2, v6, a[0:3]
	s_movk_i32 s4, 0xff
	v_and_b32_sdwa v3, v8, s4 dst_sel:DWORD dst_unused:UNUSED_PAD src0_sel:WORD_1 src1_sel:DWORD
	s_movk_i32 s4, 0x7f
	v_cmp_lt_i16_e32 vcc, s4, v3
	s_mov_b64 s[4:5], 0
                                        ; implicit-def: $sgpr10
	s_and_saveexec_b64 s[6:7], vcc
	s_xor_b64 s[6:7], exec, s[6:7]
	s_cbranch_execz .LBB2_2513
; %bb.38353:
	s_getpc_b64 s[14:15]
.Lpost_getpc22760:
	s_add_u32 s14, s14, (.LBB2_16849-.Lpost_getpc22760)&4294967295
	s_addc_u32 s15, s15, (.LBB2_16849-.Lpost_getpc22760)>>32
	s_setpc_b64 s[14:15]
.LBB2_2513:
	s_or_saveexec_b64 s[6:7], s[6:7]
	v_mov_b32_e32 v2, s10
	s_xor_b64 exec, exec, s[6:7]
	s_cbranch_execz .LBB2_2514
; %bb.38355:
	s_getpc_b64 s[14:15]
.Lpost_getpc22761:
	s_add_u32 s14, s14, (.LBB2_16852-.Lpost_getpc22761)&4294967295
	s_addc_u32 s15, s15, (.LBB2_16852-.Lpost_getpc22761)>>32
	s_setpc_b64 s[14:15]
.LBB2_2514:
	s_or_b64 exec, exec, s[6:7]
	s_and_saveexec_b64 s[6:7], s[4:5]
	s_cbranch_execz .LBB2_2516
.LBB2_2515:
	v_bfe_u32 v2, v8, 16, 3
	v_ffbh_u32_e32 v7, v2
	v_min_u32_e32 v7, 32, v7
	v_lshrrev_b32_e32 v3, 19, v8
	v_subrev_u32_e32 v12, 28, v7
	v_and_b32_e32 v3, 15, v3
	v_lshlrev_b32_sdwa v12, v12, v8 dst_sel:DWORD dst_unused:UNUSED_PAD src0_sel:DWORD src1_sel:WORD_1
	v_bfe_u32 v6, v8, 19, 4
	v_sub_u32_e32 v7, 29, v7
	v_and_b32_e32 v12, 7, v12
	v_cmp_eq_u16_e32 vcc, 0, v3
	v_cndmask_b32_e32 v2, v2, v12, vcc
	v_cndmask_b32_e32 v3, v6, v7, vcc
	v_lshlrev_b32_e32 v6, 8, v8
	v_mov_b32_e32 v7, 0x3b800000
	v_lshlrev_b32_e32 v2, 20, v2
	v_and_b32_e32 v6, 0x80000000, v6
	v_lshl_add_u32 v3, v3, 23, v7
	v_or3_b32 v2, v6, v3, v2
.LBB2_2516:
	s_or_b64 exec, exec, s[6:7]
	s_movk_i32 s4, 0xff
	v_and_b32_sdwa v3, v4, s4 dst_sel:DWORD dst_unused:UNUSED_PAD src0_sel:WORD_1 src1_sel:DWORD
	s_movk_i32 s4, 0x7f
	v_cmp_lt_i16_e32 vcc, s4, v3
	s_mov_b64 s[4:5], 0
                                        ; implicit-def: $sgpr10
	s_and_saveexec_b64 s[6:7], vcc
	s_xor_b64 s[6:7], exec, s[6:7]
	s_cbranch_execz .LBB2_2517
; %bb.38357:
	s_getpc_b64 s[14:15]
.Lpost_getpc22762:
	s_add_u32 s14, s14, (.LBB2_16853-.Lpost_getpc22762)&4294967295
	s_addc_u32 s15, s15, (.LBB2_16853-.Lpost_getpc22762)>>32
	s_setpc_b64 s[14:15]
.LBB2_2517:
	s_or_saveexec_b64 s[6:7], s[6:7]
	v_mov_b32_e32 v6, s10
	s_xor_b64 exec, exec, s[6:7]
	s_cbranch_execz .LBB2_2518
; %bb.38359:
	s_getpc_b64 s[14:15]
.Lpost_getpc22763:
	s_add_u32 s14, s14, (.LBB2_16856-.Lpost_getpc22763)&4294967295
	s_addc_u32 s15, s15, (.LBB2_16856-.Lpost_getpc22763)>>32
	s_setpc_b64 s[14:15]
.LBB2_2518:
	s_or_b64 exec, exec, s[6:7]
	s_and_saveexec_b64 s[6:7], s[4:5]
	s_cbranch_execz .LBB2_2520
.LBB2_2519:
	v_bfe_u32 v3, v4, 16, 3
	v_ffbh_u32_e32 v12, v3
	v_min_u32_e32 v12, 32, v12
	v_lshrrev_b32_e32 v6, 19, v4
	v_subrev_u32_e32 v13, 28, v12
	v_and_b32_e32 v6, 15, v6
	v_lshlrev_b32_sdwa v13, v13, v4 dst_sel:DWORD dst_unused:UNUSED_PAD src0_sel:DWORD src1_sel:WORD_1
	v_bfe_u32 v7, v4, 19, 4
	v_sub_u32_e32 v12, 29, v12
	v_and_b32_e32 v13, 7, v13
	v_cmp_eq_u16_e32 vcc, 0, v6
	v_cndmask_b32_e32 v3, v3, v13, vcc
	v_cndmask_b32_e32 v6, v7, v12, vcc
	v_lshlrev_b32_e32 v7, 8, v4
	v_mov_b32_e32 v12, 0x3b800000
	v_lshlrev_b32_e32 v3, 20, v3
	v_and_b32_e32 v7, 0x80000000, v7
	v_lshl_add_u32 v6, v6, 23, v12
	v_or3_b32 v6, v7, v6, v3
.LBB2_2520:
	s_or_b64 exec, exec, s[6:7]
	s_nop 0
	v_mfma_f32_16x16x4f32 a[0:3], v2, v6, a[0:3]
	s_movk_i32 s4, 0x7f
	v_cmp_gt_i16_sdwa s[6:7], v8, s4 src0_sel:BYTE_3 src1_sel:DWORD
	s_mov_b64 s[4:5], 0
                                        ; implicit-def: $sgpr10
	s_and_saveexec_b64 s[8:9], s[6:7]
	s_xor_b64 s[6:7], exec, s[8:9]
	s_cbranch_execz .LBB2_2521
; %bb.38361:
	s_getpc_b64 s[14:15]
.Lpost_getpc22764:
	s_add_u32 s14, s14, (.LBB2_16857-.Lpost_getpc22764)&4294967295
	s_addc_u32 s15, s15, (.LBB2_16857-.Lpost_getpc22764)>>32
	s_setpc_b64 s[14:15]
.LBB2_2521:
	s_or_saveexec_b64 s[6:7], s[6:7]
	v_mov_b32_e32 v2, s10
	s_xor_b64 exec, exec, s[6:7]
	s_cbranch_execz .LBB2_2522
; %bb.38363:
	s_getpc_b64 s[14:15]
.Lpost_getpc22765:
	s_add_u32 s14, s14, (.LBB2_16860-.Lpost_getpc22765)&4294967295
	s_addc_u32 s15, s15, (.LBB2_16860-.Lpost_getpc22765)>>32
	s_setpc_b64 s[14:15]
.LBB2_2522:
	s_or_b64 exec, exec, s[6:7]
	s_and_saveexec_b64 s[6:7], s[4:5]
	s_cbranch_execz .LBB2_2524
.LBB2_2523:
	v_bfe_u32 v2, v8, 24, 3
	v_ffbh_u32_e32 v12, v2
	v_min_u32_e32 v12, 32, v12
	v_lshrrev_b32_e32 v6, 27, v8
	v_subrev_u32_e32 v13, 28, v12
	v_and_b32_e32 v3, 0x80000000, v8
	v_and_b32_e32 v6, 15, v6
	v_bfe_u32 v7, v8, 27, 4
	v_lshlrev_b32_sdwa v8, v13, v8 dst_sel:DWORD dst_unused:UNUSED_PAD src0_sel:DWORD src1_sel:BYTE_3
	v_sub_u32_e32 v12, 29, v12
	v_and_b32_e32 v8, 7, v8
	v_cmp_eq_u16_e32 vcc, 0, v6
	v_cndmask_b32_e32 v2, v2, v8, vcc
	v_cndmask_b32_e32 v6, v7, v12, vcc
	v_mov_b32_e32 v7, 0x3b800000
	v_lshlrev_b32_e32 v2, 20, v2
	v_lshl_add_u32 v6, v6, 23, v7
	v_or3_b32 v2, v3, v6, v2
.LBB2_2524:
	s_or_b64 exec, exec, s[6:7]
	s_movk_i32 s4, 0x7f
	v_cmp_gt_i16_sdwa s[6:7], v4, s4 src0_sel:BYTE_3 src1_sel:DWORD
	s_mov_b64 s[4:5], 0
                                        ; implicit-def: $sgpr10
	s_and_saveexec_b64 s[8:9], s[6:7]
	s_xor_b64 s[6:7], exec, s[8:9]
	s_cbranch_execz .LBB2_2525
; %bb.38365:
	s_getpc_b64 s[14:15]
.Lpost_getpc22766:
	s_add_u32 s14, s14, (.LBB2_16861-.Lpost_getpc22766)&4294967295
	s_addc_u32 s15, s15, (.LBB2_16861-.Lpost_getpc22766)>>32
	s_setpc_b64 s[14:15]
.LBB2_2525:
	s_or_saveexec_b64 s[6:7], s[6:7]
	v_mov_b32_e32 v3, s10
	s_xor_b64 exec, exec, s[6:7]
	s_cbranch_execz .LBB2_2526
; %bb.38367:
	s_getpc_b64 s[14:15]
.Lpost_getpc22767:
	s_add_u32 s14, s14, (.LBB2_16864-.Lpost_getpc22767)&4294967295
	s_addc_u32 s15, s15, (.LBB2_16864-.Lpost_getpc22767)>>32
	s_setpc_b64 s[14:15]
.LBB2_2526:
	s_or_b64 exec, exec, s[6:7]
	s_and_saveexec_b64 s[6:7], s[4:5]
	s_cbranch_execz .LBB2_2528
.LBB2_2527:
	v_bfe_u32 v3, v4, 24, 3
	v_ffbh_u32_e32 v12, v3
	v_min_u32_e32 v12, 32, v12
	v_lshrrev_b32_e32 v7, 27, v4
	v_subrev_u32_e32 v13, 28, v12
	v_and_b32_e32 v6, 0x80000000, v4
	v_and_b32_e32 v7, 15, v7
	v_bfe_u32 v8, v4, 27, 4
	v_lshlrev_b32_sdwa v4, v13, v4 dst_sel:DWORD dst_unused:UNUSED_PAD src0_sel:DWORD src1_sel:BYTE_3
	v_sub_u32_e32 v12, 29, v12
	v_and_b32_e32 v4, 7, v4
	v_cmp_eq_u16_e32 vcc, 0, v7
	v_cndmask_b32_e32 v3, v3, v4, vcc
	v_cndmask_b32_e32 v4, v8, v12, vcc
	v_mov_b32_e32 v7, 0x3b800000
	v_lshlrev_b32_e32 v3, 20, v3
	v_lshl_add_u32 v4, v4, 23, v7
	v_or3_b32 v3, v6, v4, v3
.LBB2_2528:
	s_or_b64 exec, exec, s[6:7]
	s_nop 0
	v_mfma_f32_16x16x4f32 a[0:3], v2, v3, a[0:3]
	s_movk_i32 s4, 0x7f
	v_cmp_gt_i16_sdwa s[6:7], v9, s4 src0_sel:BYTE_0 src1_sel:DWORD
	s_mov_b64 s[4:5], 0
                                        ; implicit-def: $sgpr10
	s_and_saveexec_b64 s[8:9], s[6:7]
	s_xor_b64 s[6:7], exec, s[8:9]
	s_cbranch_execz .LBB2_2529
; %bb.38369:
	s_getpc_b64 s[14:15]
.Lpost_getpc22768:
	s_add_u32 s14, s14, (.LBB2_16865-.Lpost_getpc22768)&4294967295
	s_addc_u32 s15, s15, (.LBB2_16865-.Lpost_getpc22768)>>32
	s_setpc_b64 s[14:15]
.LBB2_2529:
	s_or_saveexec_b64 s[6:7], s[6:7]
	v_mov_b32_e32 v2, s10
	s_xor_b64 exec, exec, s[6:7]
	s_cbranch_execz .LBB2_2530
; %bb.38371:
	s_getpc_b64 s[14:15]
.Lpost_getpc22769:
	s_add_u32 s14, s14, (.LBB2_16868-.Lpost_getpc22769)&4294967295
	s_addc_u32 s15, s15, (.LBB2_16868-.Lpost_getpc22769)>>32
	s_setpc_b64 s[14:15]
.LBB2_2530:
	s_or_b64 exec, exec, s[6:7]
	s_and_saveexec_b64 s[6:7], s[4:5]
	s_cbranch_execz .LBB2_2532
.LBB2_2531:
	v_mov_b32_e32 v2, 8
	v_and_b32_e32 v3, 7, v9
	v_lshrrev_b32_sdwa v2, v2, v9 dst_sel:BYTE_1 dst_unused:UNUSED_PAD src0_sel:DWORD src1_sel:DWORD
	v_ffbh_u32_e32 v4, v3
	v_or_b32_sdwa v2, v9, v2 dst_sel:DWORD dst_unused:UNUSED_PAD src0_sel:BYTE_0 src1_sel:DWORD
	v_min_u32_e32 v4, 32, v4
	v_lshrrev_b16_e32 v2, 3, v2
	v_subrev_u32_e32 v6, 28, v4
	v_and_b32_e32 v2, 15, v2
	v_lshlrev_b32_e32 v6, v6, v9
	v_sub_u32_e32 v4, 29, v4
	v_and_b32_e32 v6, 7, v6
	v_cmp_eq_u16_e32 vcc, 0, v2
	v_cndmask_b32_e32 v3, v3, v6, vcc
	v_cndmask_b32_e32 v2, v2, v4, vcc
	v_lshlrev_b32_e32 v4, 24, v9
	v_mov_b32_e32 v6, 0x3b800000
	v_lshlrev_b32_e32 v3, 20, v3
	v_and_b32_e32 v4, 0x80000000, v4
	v_lshl_add_u32 v2, v2, 23, v6
	v_or3_b32 v2, v4, v2, v3
.LBB2_2532:
	s_or_b64 exec, exec, s[6:7]
	s_movk_i32 s4, 0x7f
	v_cmp_gt_i16_sdwa s[6:7], v5, s4 src0_sel:BYTE_0 src1_sel:DWORD
	s_mov_b64 s[4:5], 0
                                        ; implicit-def: $sgpr10
	s_and_saveexec_b64 s[8:9], s[6:7]
	s_xor_b64 s[6:7], exec, s[8:9]
	s_cbranch_execz .LBB2_2533
; %bb.38373:
	s_getpc_b64 s[14:15]
.Lpost_getpc22770:
	s_add_u32 s14, s14, (.LBB2_16869-.Lpost_getpc22770)&4294967295
	s_addc_u32 s15, s15, (.LBB2_16869-.Lpost_getpc22770)>>32
	s_setpc_b64 s[14:15]
.LBB2_2533:
	s_or_saveexec_b64 s[6:7], s[6:7]
	v_mov_b32_e32 v3, s10
	s_xor_b64 exec, exec, s[6:7]
	s_cbranch_execz .LBB2_2534
; %bb.38375:
	s_getpc_b64 s[14:15]
.Lpost_getpc22771:
	s_add_u32 s14, s14, (.LBB2_16872-.Lpost_getpc22771)&4294967295
	s_addc_u32 s15, s15, (.LBB2_16872-.Lpost_getpc22771)>>32
	s_setpc_b64 s[14:15]
.LBB2_2534:
	s_or_b64 exec, exec, s[6:7]
	s_and_saveexec_b64 s[6:7], s[4:5]
	s_cbranch_execz .LBB2_2536
.LBB2_2535:
	v_mov_b32_e32 v3, 8
	v_and_b32_e32 v4, 7, v5
	v_lshrrev_b32_sdwa v3, v3, v5 dst_sel:BYTE_1 dst_unused:UNUSED_PAD src0_sel:DWORD src1_sel:DWORD
	v_ffbh_u32_e32 v6, v4
	v_or_b32_sdwa v3, v5, v3 dst_sel:DWORD dst_unused:UNUSED_PAD src0_sel:BYTE_0 src1_sel:DWORD
	v_min_u32_e32 v6, 32, v6
	v_lshrrev_b16_e32 v3, 3, v3
	v_subrev_u32_e32 v7, 28, v6
	v_and_b32_e32 v3, 15, v3
	v_lshlrev_b32_e32 v7, v7, v5
	v_sub_u32_e32 v6, 29, v6
	v_and_b32_e32 v7, 7, v7
	v_cmp_eq_u16_e32 vcc, 0, v3
	v_cndmask_b32_e32 v4, v4, v7, vcc
	v_cndmask_b32_e32 v3, v3, v6, vcc
	v_lshlrev_b32_e32 v6, 24, v5
	v_mov_b32_e32 v7, 0x3b800000
	v_lshlrev_b32_e32 v4, 20, v4
	v_and_b32_e32 v6, 0x80000000, v6
	v_lshl_add_u32 v3, v3, 23, v7
	v_or3_b32 v3, v6, v3, v4
.LBB2_2536:
	s_or_b64 exec, exec, s[6:7]
	s_nop 0
	v_mfma_f32_16x16x4f32 a[0:3], v2, v3, a[0:3]
	v_lshrrev_b32_e32 v3, 8, v9
	s_movk_i32 s4, 0x7f
	v_cmp_gt_i16_sdwa s[6:7], v3, s4 src0_sel:BYTE_0 src1_sel:DWORD
	s_mov_b64 s[4:5], 0
                                        ; implicit-def: $sgpr10
	s_and_saveexec_b64 s[8:9], s[6:7]
	s_xor_b64 s[6:7], exec, s[8:9]
	s_cbranch_execz .LBB2_2537
; %bb.38377:
	s_getpc_b64 s[14:15]
.Lpost_getpc22772:
	s_add_u32 s14, s14, (.LBB2_16873-.Lpost_getpc22772)&4294967295
	s_addc_u32 s15, s15, (.LBB2_16873-.Lpost_getpc22772)>>32
	s_setpc_b64 s[14:15]
.LBB2_2537:
	s_or_saveexec_b64 s[6:7], s[6:7]
	v_mov_b32_e32 v2, s10
	s_xor_b64 exec, exec, s[6:7]
	s_cbranch_execz .LBB2_2538
; %bb.38379:
	s_getpc_b64 s[14:15]
.Lpost_getpc22773:
	s_add_u32 s14, s14, (.LBB2_16876-.Lpost_getpc22773)&4294967295
	s_addc_u32 s15, s15, (.LBB2_16876-.Lpost_getpc22773)>>32
	s_setpc_b64 s[14:15]
.LBB2_2538:
	s_or_b64 exec, exec, s[6:7]
	s_and_saveexec_b64 s[6:7], s[4:5]
	s_cbranch_execz .LBB2_2540
.LBB2_2539:
	v_bfe_u32 v2, v9, 8, 3
	v_ffbh_u32_e32 v6, v2
	v_min_u32_e32 v6, 32, v6
	v_lshrrev_b16_e32 v4, 3, v3
	v_subrev_u32_e32 v7, 28, v6
	v_and_b32_e32 v4, 15, v4
	v_lshlrev_b32_e32 v3, v7, v3
	v_sub_u32_e32 v6, 29, v6
	v_and_b32_e32 v3, 7, v3
	v_cmp_eq_u16_e32 vcc, 0, v4
	v_cndmask_b32_e32 v2, v2, v3, vcc
	v_cndmask_b32_e32 v3, v4, v6, vcc
	v_lshlrev_b32_e32 v4, 16, v9
	v_mov_b32_e32 v6, 0x3b800000
	v_lshlrev_b32_e32 v2, 20, v2
	v_and_b32_e32 v4, 0x80000000, v4
	v_lshl_add_u32 v3, v3, 23, v6
	v_or3_b32 v2, v4, v3, v2
.LBB2_2540:
	s_or_b64 exec, exec, s[6:7]
	v_lshrrev_b32_e32 v3, 8, v5
	s_movk_i32 s4, 0x7f
	v_cmp_gt_i16_sdwa s[6:7], v3, s4 src0_sel:BYTE_0 src1_sel:DWORD
	s_mov_b64 s[4:5], 0
                                        ; implicit-def: $sgpr10
	s_and_saveexec_b64 s[8:9], s[6:7]
	s_xor_b64 s[6:7], exec, s[8:9]
	s_cbranch_execz .LBB2_2541
; %bb.38381:
	s_getpc_b64 s[14:15]
.Lpost_getpc22774:
	s_add_u32 s14, s14, (.LBB2_16877-.Lpost_getpc22774)&4294967295
	s_addc_u32 s15, s15, (.LBB2_16877-.Lpost_getpc22774)>>32
	s_setpc_b64 s[14:15]
.LBB2_2541:
	s_or_saveexec_b64 s[6:7], s[6:7]
	v_mov_b32_e32 v4, s10
	s_xor_b64 exec, exec, s[6:7]
	s_cbranch_execz .LBB2_2542
; %bb.38383:
	s_getpc_b64 s[14:15]
.Lpost_getpc22775:
	s_add_u32 s14, s14, (.LBB2_16880-.Lpost_getpc22775)&4294967295
	s_addc_u32 s15, s15, (.LBB2_16880-.Lpost_getpc22775)>>32
	s_setpc_b64 s[14:15]
.LBB2_2542:
	s_or_b64 exec, exec, s[6:7]
	s_and_saveexec_b64 s[6:7], s[4:5]
	s_cbranch_execz .LBB2_2544
.LBB2_2543:
	v_bfe_u32 v4, v5, 8, 3
	v_ffbh_u32_e32 v7, v4
	v_min_u32_e32 v7, 32, v7
	v_lshrrev_b16_e32 v6, 3, v3
	v_subrev_u32_e32 v8, 28, v7
	v_and_b32_e32 v6, 15, v6
	v_lshlrev_b32_e32 v3, v8, v3
	v_sub_u32_e32 v7, 29, v7
	v_and_b32_e32 v3, 7, v3
	v_cmp_eq_u16_e32 vcc, 0, v6
	v_cndmask_b32_e32 v3, v4, v3, vcc
	v_cndmask_b32_e32 v4, v6, v7, vcc
	v_lshlrev_b32_e32 v6, 16, v5
	v_mov_b32_e32 v7, 0x3b800000
	v_lshlrev_b32_e32 v3, 20, v3
	v_and_b32_e32 v6, 0x80000000, v6
	v_lshl_add_u32 v4, v4, 23, v7
	v_or3_b32 v4, v6, v4, v3
.LBB2_2544:
	s_or_b64 exec, exec, s[6:7]
	s_nop 0
	v_mfma_f32_16x16x4f32 a[0:3], v2, v4, a[0:3]
	s_movk_i32 s4, 0xff
	v_and_b32_sdwa v3, v9, s4 dst_sel:DWORD dst_unused:UNUSED_PAD src0_sel:WORD_1 src1_sel:DWORD
	s_movk_i32 s4, 0x7f
	v_cmp_lt_i16_e32 vcc, s4, v3
	s_mov_b64 s[4:5], 0
                                        ; implicit-def: $sgpr10
	s_and_saveexec_b64 s[6:7], vcc
	s_xor_b64 s[6:7], exec, s[6:7]
	s_cbranch_execz .LBB2_2545
; %bb.38385:
	s_getpc_b64 s[14:15]
.Lpost_getpc22776:
	s_add_u32 s14, s14, (.LBB2_16881-.Lpost_getpc22776)&4294967295
	s_addc_u32 s15, s15, (.LBB2_16881-.Lpost_getpc22776)>>32
	s_setpc_b64 s[14:15]
.LBB2_2545:
	s_or_saveexec_b64 s[6:7], s[6:7]
	v_mov_b32_e32 v2, s10
	s_xor_b64 exec, exec, s[6:7]
	s_cbranch_execz .LBB2_2546
; %bb.38387:
	s_getpc_b64 s[14:15]
.Lpost_getpc22777:
	s_add_u32 s14, s14, (.LBB2_16884-.Lpost_getpc22777)&4294967295
	s_addc_u32 s15, s15, (.LBB2_16884-.Lpost_getpc22777)>>32
	s_setpc_b64 s[14:15]
.LBB2_2546:
	s_or_b64 exec, exec, s[6:7]
	s_and_saveexec_b64 s[6:7], s[4:5]
	s_cbranch_execz .LBB2_2548
.LBB2_2547:
	v_bfe_u32 v2, v9, 16, 3
	v_ffbh_u32_e32 v6, v2
	v_min_u32_e32 v6, 32, v6
	v_lshrrev_b32_e32 v3, 19, v9
	v_subrev_u32_e32 v7, 28, v6
	v_and_b32_e32 v3, 15, v3
	v_lshlrev_b32_sdwa v7, v7, v9 dst_sel:DWORD dst_unused:UNUSED_PAD src0_sel:DWORD src1_sel:WORD_1
	v_bfe_u32 v4, v9, 19, 4
	v_sub_u32_e32 v6, 29, v6
	v_and_b32_e32 v7, 7, v7
	v_cmp_eq_u16_e32 vcc, 0, v3
	v_cndmask_b32_e32 v2, v2, v7, vcc
	v_cndmask_b32_e32 v3, v4, v6, vcc
	v_lshlrev_b32_e32 v4, 8, v9
	v_mov_b32_e32 v6, 0x3b800000
	v_lshlrev_b32_e32 v2, 20, v2
	v_and_b32_e32 v4, 0x80000000, v4
	v_lshl_add_u32 v3, v3, 23, v6
	v_or3_b32 v2, v4, v3, v2
.LBB2_2548:
	s_or_b64 exec, exec, s[6:7]
	s_movk_i32 s4, 0xff
	v_and_b32_sdwa v3, v5, s4 dst_sel:DWORD dst_unused:UNUSED_PAD src0_sel:WORD_1 src1_sel:DWORD
	s_movk_i32 s4, 0x7f
	v_cmp_lt_i16_e32 vcc, s4, v3
	s_mov_b64 s[4:5], 0
                                        ; implicit-def: $sgpr10
	s_and_saveexec_b64 s[6:7], vcc
	s_xor_b64 s[6:7], exec, s[6:7]
	s_cbranch_execz .LBB2_2549
; %bb.38389:
	s_getpc_b64 s[14:15]
.Lpost_getpc22778:
	s_add_u32 s14, s14, (.LBB2_16885-.Lpost_getpc22778)&4294967295
	s_addc_u32 s15, s15, (.LBB2_16885-.Lpost_getpc22778)>>32
	s_setpc_b64 s[14:15]
.LBB2_2549:
	s_or_saveexec_b64 s[6:7], s[6:7]
	v_mov_b32_e32 v4, s10
	s_xor_b64 exec, exec, s[6:7]
	s_cbranch_execz .LBB2_2550
; %bb.38391:
	s_getpc_b64 s[14:15]
.Lpost_getpc22779:
	s_add_u32 s14, s14, (.LBB2_16888-.Lpost_getpc22779)&4294967295
	s_addc_u32 s15, s15, (.LBB2_16888-.Lpost_getpc22779)>>32
	s_setpc_b64 s[14:15]
.LBB2_2550:
	s_or_b64 exec, exec, s[6:7]
	s_and_saveexec_b64 s[6:7], s[4:5]
	s_cbranch_execz .LBB2_2552
.LBB2_2551:
	v_bfe_u32 v3, v5, 16, 3
	v_ffbh_u32_e32 v7, v3
	v_min_u32_e32 v7, 32, v7
	v_lshrrev_b32_e32 v4, 19, v5
	v_subrev_u32_e32 v8, 28, v7
	v_and_b32_e32 v4, 15, v4
	v_lshlrev_b32_sdwa v8, v8, v5 dst_sel:DWORD dst_unused:UNUSED_PAD src0_sel:DWORD src1_sel:WORD_1
	v_bfe_u32 v6, v5, 19, 4
	v_sub_u32_e32 v7, 29, v7
	v_and_b32_e32 v8, 7, v8
	v_cmp_eq_u16_e32 vcc, 0, v4
	v_cndmask_b32_e32 v3, v3, v8, vcc
	v_cndmask_b32_e32 v4, v6, v7, vcc
	v_lshlrev_b32_e32 v6, 8, v5
	v_mov_b32_e32 v7, 0x3b800000
	v_lshlrev_b32_e32 v3, 20, v3
	v_and_b32_e32 v6, 0x80000000, v6
	v_lshl_add_u32 v4, v4, 23, v7
	v_or3_b32 v4, v6, v4, v3
.LBB2_2552:
	s_or_b64 exec, exec, s[6:7]
	s_nop 0
	v_mfma_f32_16x16x4f32 a[0:3], v2, v4, a[0:3]
	s_movk_i32 s4, 0x7f
	v_cmp_gt_i16_sdwa s[6:7], v9, s4 src0_sel:BYTE_3 src1_sel:DWORD
	s_mov_b64 s[4:5], 0
                                        ; implicit-def: $sgpr10
	s_and_saveexec_b64 s[8:9], s[6:7]
	s_xor_b64 s[6:7], exec, s[8:9]
	s_cbranch_execz .LBB2_2553
; %bb.38393:
	s_getpc_b64 s[14:15]
.Lpost_getpc22780:
	s_add_u32 s14, s14, (.LBB2_16889-.Lpost_getpc22780)&4294967295
	s_addc_u32 s15, s15, (.LBB2_16889-.Lpost_getpc22780)>>32
	s_setpc_b64 s[14:15]
.LBB2_2553:
	s_or_saveexec_b64 s[6:7], s[6:7]
	v_mov_b32_e32 v2, s10
	s_xor_b64 exec, exec, s[6:7]
	s_cbranch_execz .LBB2_2554
; %bb.38395:
	s_getpc_b64 s[14:15]
.Lpost_getpc22781:
	s_add_u32 s14, s14, (.LBB2_16892-.Lpost_getpc22781)&4294967295
	s_addc_u32 s15, s15, (.LBB2_16892-.Lpost_getpc22781)>>32
	s_setpc_b64 s[14:15]
.LBB2_2554:
	s_or_b64 exec, exec, s[6:7]
	s_and_saveexec_b64 s[6:7], s[4:5]
	s_cbranch_execz .LBB2_2556
.LBB2_2555:
	v_bfe_u32 v2, v9, 24, 3
	v_ffbh_u32_e32 v7, v2
	v_min_u32_e32 v7, 32, v7
	v_lshrrev_b32_e32 v4, 27, v9
	v_subrev_u32_e32 v8, 28, v7
	v_and_b32_e32 v4, 15, v4
	v_lshlrev_b32_sdwa v8, v8, v9 dst_sel:DWORD dst_unused:UNUSED_PAD src0_sel:DWORD src1_sel:BYTE_3
	v_bfe_u32 v6, v9, 27, 4
	v_sub_u32_e32 v7, 29, v7
	v_and_b32_e32 v8, 7, v8
	v_cmp_eq_u16_e32 vcc, 0, v4
	v_cndmask_b32_e32 v2, v2, v8, vcc
	v_cndmask_b32_e32 v4, v6, v7, vcc
	v_mov_b32_e32 v6, 0x3b800000
	v_and_b32_e32 v3, 0x80000000, v9
	v_lshlrev_b32_e32 v2, 20, v2
	v_lshl_add_u32 v4, v4, 23, v6
	v_or3_b32 v2, v3, v4, v2
.LBB2_2556:
	s_or_b64 exec, exec, s[6:7]
	s_movk_i32 s4, 0x7f
	v_cmp_gt_i16_sdwa s[6:7], v5, s4 src0_sel:BYTE_3 src1_sel:DWORD
	s_mov_b64 s[4:5], 0
                                        ; implicit-def: $sgpr10
	s_and_saveexec_b64 s[8:9], s[6:7]
	s_xor_b64 s[6:7], exec, s[8:9]
	s_cbranch_execz .LBB2_2557
; %bb.38397:
	s_getpc_b64 s[14:15]
.Lpost_getpc22782:
	s_add_u32 s14, s14, (.LBB2_16893-.Lpost_getpc22782)&4294967295
	s_addc_u32 s15, s15, (.LBB2_16893-.Lpost_getpc22782)>>32
	s_setpc_b64 s[14:15]
.LBB2_2557:
	s_or_saveexec_b64 s[6:7], s[6:7]
	v_mov_b32_e32 v3, s10
	s_xor_b64 exec, exec, s[6:7]
	s_cbranch_execz .LBB2_2558
; %bb.38399:
	s_getpc_b64 s[14:15]
.Lpost_getpc22783:
	s_add_u32 s14, s14, (.LBB2_16896-.Lpost_getpc22783)&4294967295
	s_addc_u32 s15, s15, (.LBB2_16896-.Lpost_getpc22783)>>32
	s_setpc_b64 s[14:15]
.LBB2_2558:
	s_or_b64 exec, exec, s[6:7]
	s_and_saveexec_b64 s[6:7], s[4:5]
	s_cbranch_execz .LBB2_2560
.LBB2_2559:
	v_bfe_u32 v3, v5, 24, 3
	v_ffbh_u32_e32 v8, v3
	v_min_u32_e32 v8, 32, v8
	v_lshrrev_b32_e32 v6, 27, v5
	v_subrev_u32_e32 v9, 28, v8
	v_and_b32_e32 v4, 0x80000000, v5
	v_and_b32_e32 v6, 15, v6
	v_bfe_u32 v7, v5, 27, 4
	v_lshlrev_b32_sdwa v5, v9, v5 dst_sel:DWORD dst_unused:UNUSED_PAD src0_sel:DWORD src1_sel:BYTE_3
	v_sub_u32_e32 v8, 29, v8
	v_and_b32_e32 v5, 7, v5
	v_cmp_eq_u16_e32 vcc, 0, v6
	v_cndmask_b32_e32 v3, v3, v5, vcc
	v_cndmask_b32_e32 v5, v7, v8, vcc
	v_mov_b32_e32 v6, 0x3b800000
	v_lshlrev_b32_e32 v3, 20, v3
	v_lshl_add_u32 v5, v5, 23, v6
	v_or3_b32 v3, v4, v5, v3
.LBB2_2560:
	s_or_b64 exec, exec, s[6:7]
	s_nop 0
	v_mfma_f32_16x16x4f32 a[0:3], v2, v3, a[0:3]
	s_movk_i32 s4, 0x7f
                                        ; implicit-def: $sgpr10
	s_nop 7
	s_nop 1
	flat_store_dwordx4 v[10:11], a[0:3] offset:304
	flat_load_dwordx4 v[12:15], v[0:1]
	s_nop 0
	flat_load_dwordx2 v[10:11], v[0:1] offset:16
	s_waitcnt vmcnt(0) lgkmcnt(0)
	flat_load_dwordx4 v[6:9], v[12:13] offset:32
	flat_load_dwordx4 v[2:5], v[14:15] offset:64
	s_waitcnt vmcnt(0) lgkmcnt(0)
	v_cmp_gt_i16_sdwa s[6:7], v6, s4 src0_sel:BYTE_0 src1_sel:DWORD
	s_mov_b64 s[4:5], 0
	s_and_saveexec_b64 s[8:9], s[6:7]
	s_xor_b64 s[6:7], exec, s[8:9]
	s_cbranch_execz .LBB2_2561
; %bb.38401:
	s_getpc_b64 s[14:15]
.Lpost_getpc22784:
	s_add_u32 s14, s14, (.LBB2_16897-.Lpost_getpc22784)&4294967295
	s_addc_u32 s15, s15, (.LBB2_16897-.Lpost_getpc22784)>>32
	s_setpc_b64 s[14:15]
.LBB2_2561:
	s_or_saveexec_b64 s[6:7], s[6:7]
	v_mov_b32_e32 v12, s10
	s_xor_b64 exec, exec, s[6:7]
	s_cbranch_execz .LBB2_2562
; %bb.38403:
	s_getpc_b64 s[14:15]
.Lpost_getpc22785:
	s_add_u32 s14, s14, (.LBB2_16900-.Lpost_getpc22785)&4294967295
	s_addc_u32 s15, s15, (.LBB2_16900-.Lpost_getpc22785)>>32
	s_setpc_b64 s[14:15]
.LBB2_2562:
	s_or_b64 exec, exec, s[6:7]
	s_and_saveexec_b64 s[6:7], s[4:5]
	s_cbranch_execz .LBB2_2564
.LBB2_2563:
	v_and_b32_e32 v12, 7, v6
	v_ffbh_u32_e32 v14, v12
	v_min_u32_e32 v14, 32, v14
	v_lshrrev_b16_e32 v13, 3, v6
	v_subrev_u32_e32 v15, 28, v14
	v_and_b32_e32 v13, 15, v13
	v_lshlrev_b32_e32 v15, v15, v6
	v_sub_u32_e32 v14, 29, v14
	v_and_b32_e32 v15, 7, v15
	v_cmp_eq_u16_e32 vcc, 0, v13
	v_cndmask_b32_e32 v12, v12, v15, vcc
	v_cndmask_b32_e32 v13, v13, v14, vcc
	v_lshlrev_b32_e32 v14, 24, v6
	v_mov_b32_e32 v15, 0x3b800000
	v_lshlrev_b32_e32 v12, 20, v12
	v_and_b32_e32 v14, 0x80000000, v14
	v_lshl_add_u32 v13, v13, 23, v15
	v_or3_b32 v12, v14, v13, v12
.LBB2_2564:
	s_or_b64 exec, exec, s[6:7]
	s_movk_i32 s4, 0x7f
	v_cmp_gt_i16_sdwa s[6:7], v2, s4 src0_sel:BYTE_0 src1_sel:DWORD
	s_mov_b64 s[4:5], 0
                                        ; implicit-def: $sgpr10
	s_and_saveexec_b64 s[8:9], s[6:7]
	s_xor_b64 s[6:7], exec, s[8:9]
	s_cbranch_execz .LBB2_2565
; %bb.38405:
	s_getpc_b64 s[14:15]
.Lpost_getpc22786:
	s_add_u32 s14, s14, (.LBB2_16901-.Lpost_getpc22786)&4294967295
	s_addc_u32 s15, s15, (.LBB2_16901-.Lpost_getpc22786)>>32
	s_setpc_b64 s[14:15]
.LBB2_2565:
	s_or_saveexec_b64 s[6:7], s[6:7]
	v_mov_b32_e32 v13, s10
	s_xor_b64 exec, exec, s[6:7]
	s_cbranch_execz .LBB2_2566
; %bb.38407:
	s_getpc_b64 s[14:15]
.Lpost_getpc22787:
	s_add_u32 s14, s14, (.LBB2_16904-.Lpost_getpc22787)&4294967295
	s_addc_u32 s15, s15, (.LBB2_16904-.Lpost_getpc22787)>>32
	s_setpc_b64 s[14:15]
.LBB2_2566:
	s_or_b64 exec, exec, s[6:7]
	s_and_saveexec_b64 s[6:7], s[4:5]
	s_cbranch_execz .LBB2_2568
.LBB2_2567:
	v_and_b32_e32 v13, 7, v2
	v_ffbh_u32_e32 v15, v13
	v_min_u32_e32 v15, 32, v15
	v_lshrrev_b16_e32 v14, 3, v2
	v_subrev_u32_e32 v16, 28, v15
	v_and_b32_e32 v14, 15, v14
	v_lshlrev_b32_e32 v16, v16, v2
	v_sub_u32_e32 v15, 29, v15
	v_and_b32_e32 v16, 7, v16
	v_cmp_eq_u16_e32 vcc, 0, v14
	v_cndmask_b32_e32 v13, v13, v16, vcc
	v_cndmask_b32_e32 v14, v14, v15, vcc
	v_lshlrev_b32_e32 v15, 24, v2
	v_mov_b32_e32 v16, 0x3b800000
	v_lshlrev_b32_e32 v13, 20, v13
	v_and_b32_e32 v15, 0x80000000, v15
	v_lshl_add_u32 v14, v14, 23, v16
	v_or3_b32 v13, v15, v14, v13
.LBB2_2568:
	s_or_b64 exec, exec, s[6:7]
	flat_load_dwordx4 a[0:3], v[10:11] offset:320
	s_movk_i32 s4, 0x7f
                                        ; implicit-def: $sgpr10
	s_waitcnt vmcnt(0) lgkmcnt(0)
	v_mfma_f32_16x16x4f32 a[0:3], v12, v13, a[0:3]
	v_lshrrev_b32_e32 v13, 8, v6
	v_cmp_gt_i16_sdwa s[6:7], v13, s4 src0_sel:BYTE_0 src1_sel:DWORD
	s_mov_b64 s[4:5], 0
	s_and_saveexec_b64 s[8:9], s[6:7]
	s_xor_b64 s[6:7], exec, s[8:9]
	s_cbranch_execz .LBB2_2569
; %bb.38409:
	s_getpc_b64 s[14:15]
.Lpost_getpc22788:
	s_add_u32 s14, s14, (.LBB2_16905-.Lpost_getpc22788)&4294967295
	s_addc_u32 s15, s15, (.LBB2_16905-.Lpost_getpc22788)>>32
	s_setpc_b64 s[14:15]
.LBB2_2569:
	s_or_saveexec_b64 s[6:7], s[6:7]
	v_mov_b32_e32 v12, s10
	s_xor_b64 exec, exec, s[6:7]
	s_cbranch_execz .LBB2_2570
; %bb.38411:
	s_getpc_b64 s[14:15]
.Lpost_getpc22789:
	s_add_u32 s14, s14, (.LBB2_16908-.Lpost_getpc22789)&4294967295
	s_addc_u32 s15, s15, (.LBB2_16908-.Lpost_getpc22789)>>32
	s_setpc_b64 s[14:15]
.LBB2_2570:
	s_or_b64 exec, exec, s[6:7]
	s_and_saveexec_b64 s[6:7], s[4:5]
	s_cbranch_execz .LBB2_2572
.LBB2_2571:
	v_bfe_u32 v12, v6, 8, 3
	v_ffbh_u32_e32 v15, v12
	v_min_u32_e32 v15, 32, v15
	v_lshrrev_b16_e32 v14, 3, v13
	v_subrev_u32_e32 v16, 28, v15
	v_and_b32_e32 v14, 15, v14
	v_lshlrev_b32_e32 v13, v16, v13
	v_sub_u32_e32 v15, 29, v15
	v_and_b32_e32 v13, 7, v13
	v_cmp_eq_u16_e32 vcc, 0, v14
	v_cndmask_b32_e32 v12, v12, v13, vcc
	v_cndmask_b32_e32 v13, v14, v15, vcc
	v_lshlrev_b32_e32 v14, 16, v6
	v_mov_b32_e32 v15, 0x3b800000
	v_lshlrev_b32_e32 v12, 20, v12
	v_and_b32_e32 v14, 0x80000000, v14
	v_lshl_add_u32 v13, v13, 23, v15
	v_or3_b32 v12, v14, v13, v12
.LBB2_2572:
	s_or_b64 exec, exec, s[6:7]
	v_lshrrev_b32_e32 v13, 8, v2
	s_movk_i32 s4, 0x7f
	v_cmp_gt_i16_sdwa s[6:7], v13, s4 src0_sel:BYTE_0 src1_sel:DWORD
	s_mov_b64 s[4:5], 0
                                        ; implicit-def: $sgpr10
	s_and_saveexec_b64 s[8:9], s[6:7]
	s_xor_b64 s[6:7], exec, s[8:9]
	s_cbranch_execz .LBB2_2573
; %bb.38413:
	s_getpc_b64 s[14:15]
.Lpost_getpc22790:
	s_add_u32 s14, s14, (.LBB2_16909-.Lpost_getpc22790)&4294967295
	s_addc_u32 s15, s15, (.LBB2_16909-.Lpost_getpc22790)>>32
	s_setpc_b64 s[14:15]
.LBB2_2573:
	s_or_saveexec_b64 s[6:7], s[6:7]
	v_mov_b32_e32 v14, s10
	s_xor_b64 exec, exec, s[6:7]
	s_cbranch_execz .LBB2_2574
; %bb.38415:
	s_getpc_b64 s[14:15]
.Lpost_getpc22791:
	s_add_u32 s14, s14, (.LBB2_16912-.Lpost_getpc22791)&4294967295
	s_addc_u32 s15, s15, (.LBB2_16912-.Lpost_getpc22791)>>32
	s_setpc_b64 s[14:15]
.LBB2_2574:
	s_or_b64 exec, exec, s[6:7]
	s_and_saveexec_b64 s[6:7], s[4:5]
	s_cbranch_execz .LBB2_2576
.LBB2_2575:
	v_bfe_u32 v14, v2, 8, 3
	v_ffbh_u32_e32 v16, v14
	v_min_u32_e32 v16, 32, v16
	v_lshrrev_b16_e32 v15, 3, v13
	v_subrev_u32_e32 v17, 28, v16
	v_and_b32_e32 v15, 15, v15
	v_lshlrev_b32_e32 v13, v17, v13
	v_sub_u32_e32 v16, 29, v16
	v_and_b32_e32 v13, 7, v13
	v_cmp_eq_u16_e32 vcc, 0, v15
	v_cndmask_b32_e32 v13, v14, v13, vcc
	v_cndmask_b32_e32 v14, v15, v16, vcc
	v_lshlrev_b32_e32 v15, 16, v2
	v_mov_b32_e32 v16, 0x3b800000
	v_lshlrev_b32_e32 v13, 20, v13
	v_and_b32_e32 v15, 0x80000000, v15
	v_lshl_add_u32 v14, v14, 23, v16
	v_or3_b32 v14, v15, v14, v13
.LBB2_2576:
	s_or_b64 exec, exec, s[6:7]
	s_nop 0
	v_mfma_f32_16x16x4f32 a[0:3], v12, v14, a[0:3]
	s_movk_i32 s4, 0xff
	v_and_b32_sdwa v13, v6, s4 dst_sel:DWORD dst_unused:UNUSED_PAD src0_sel:WORD_1 src1_sel:DWORD
	s_movk_i32 s4, 0x7f
	v_cmp_lt_i16_e32 vcc, s4, v13
	s_mov_b64 s[4:5], 0
                                        ; implicit-def: $sgpr10
	s_and_saveexec_b64 s[6:7], vcc
	s_xor_b64 s[6:7], exec, s[6:7]
	s_cbranch_execz .LBB2_2577
; %bb.38417:
	s_getpc_b64 s[14:15]
.Lpost_getpc22792:
	s_add_u32 s14, s14, (.LBB2_16913-.Lpost_getpc22792)&4294967295
	s_addc_u32 s15, s15, (.LBB2_16913-.Lpost_getpc22792)>>32
	s_setpc_b64 s[14:15]
.LBB2_2577:
	s_or_saveexec_b64 s[6:7], s[6:7]
	v_mov_b32_e32 v12, s10
	s_xor_b64 exec, exec, s[6:7]
	s_cbranch_execz .LBB2_2578
; %bb.38419:
	s_getpc_b64 s[14:15]
.Lpost_getpc22793:
	s_add_u32 s14, s14, (.LBB2_16916-.Lpost_getpc22793)&4294967295
	s_addc_u32 s15, s15, (.LBB2_16916-.Lpost_getpc22793)>>32
	s_setpc_b64 s[14:15]
.LBB2_2578:
	s_or_b64 exec, exec, s[6:7]
	s_and_saveexec_b64 s[6:7], s[4:5]
	s_cbranch_execz .LBB2_2580
.LBB2_2579:
	v_bfe_u32 v12, v6, 16, 3
	v_ffbh_u32_e32 v15, v12
	v_min_u32_e32 v15, 32, v15
	v_lshrrev_b32_e32 v13, 19, v6
	v_subrev_u32_e32 v16, 28, v15
	v_and_b32_e32 v13, 15, v13
	v_lshlrev_b32_sdwa v16, v16, v6 dst_sel:DWORD dst_unused:UNUSED_PAD src0_sel:DWORD src1_sel:WORD_1
	v_bfe_u32 v14, v6, 19, 4
	v_sub_u32_e32 v15, 29, v15
	v_and_b32_e32 v16, 7, v16
	v_cmp_eq_u16_e32 vcc, 0, v13
	v_cndmask_b32_e32 v12, v12, v16, vcc
	v_cndmask_b32_e32 v13, v14, v15, vcc
	v_lshlrev_b32_e32 v14, 8, v6
	v_mov_b32_e32 v15, 0x3b800000
	v_lshlrev_b32_e32 v12, 20, v12
	v_and_b32_e32 v14, 0x80000000, v14
	v_lshl_add_u32 v13, v13, 23, v15
	v_or3_b32 v12, v14, v13, v12
.LBB2_2580:
	s_or_b64 exec, exec, s[6:7]
	s_movk_i32 s4, 0xff
	v_and_b32_sdwa v13, v2, s4 dst_sel:DWORD dst_unused:UNUSED_PAD src0_sel:WORD_1 src1_sel:DWORD
	s_movk_i32 s4, 0x7f
	v_cmp_lt_i16_e32 vcc, s4, v13
	s_mov_b64 s[4:5], 0
                                        ; implicit-def: $sgpr10
	s_and_saveexec_b64 s[6:7], vcc
	s_xor_b64 s[6:7], exec, s[6:7]
	s_cbranch_execz .LBB2_2581
; %bb.38421:
	s_getpc_b64 s[14:15]
.Lpost_getpc22794:
	s_add_u32 s14, s14, (.LBB2_16917-.Lpost_getpc22794)&4294967295
	s_addc_u32 s15, s15, (.LBB2_16917-.Lpost_getpc22794)>>32
	s_setpc_b64 s[14:15]
.LBB2_2581:
	s_or_saveexec_b64 s[6:7], s[6:7]
	v_mov_b32_e32 v14, s10
	s_xor_b64 exec, exec, s[6:7]
	s_cbranch_execz .LBB2_2582
; %bb.38423:
	s_getpc_b64 s[14:15]
.Lpost_getpc22795:
	s_add_u32 s14, s14, (.LBB2_16920-.Lpost_getpc22795)&4294967295
	s_addc_u32 s15, s15, (.LBB2_16920-.Lpost_getpc22795)>>32
	s_setpc_b64 s[14:15]
.LBB2_2582:
	s_or_b64 exec, exec, s[6:7]
	s_and_saveexec_b64 s[6:7], s[4:5]
	s_cbranch_execz .LBB2_2584
.LBB2_2583:
	v_bfe_u32 v13, v2, 16, 3
	v_ffbh_u32_e32 v16, v13
	v_min_u32_e32 v16, 32, v16
	v_lshrrev_b32_e32 v14, 19, v2
	v_subrev_u32_e32 v17, 28, v16
	v_and_b32_e32 v14, 15, v14
	v_lshlrev_b32_sdwa v17, v17, v2 dst_sel:DWORD dst_unused:UNUSED_PAD src0_sel:DWORD src1_sel:WORD_1
	v_bfe_u32 v15, v2, 19, 4
	v_sub_u32_e32 v16, 29, v16
	v_and_b32_e32 v17, 7, v17
	v_cmp_eq_u16_e32 vcc, 0, v14
	v_cndmask_b32_e32 v13, v13, v17, vcc
	v_cndmask_b32_e32 v14, v15, v16, vcc
	v_lshlrev_b32_e32 v15, 8, v2
	v_mov_b32_e32 v16, 0x3b800000
	v_lshlrev_b32_e32 v13, 20, v13
	v_and_b32_e32 v15, 0x80000000, v15
	v_lshl_add_u32 v14, v14, 23, v16
	v_or3_b32 v14, v15, v14, v13
.LBB2_2584:
	s_or_b64 exec, exec, s[6:7]
	s_nop 0
	v_mfma_f32_16x16x4f32 a[0:3], v12, v14, a[0:3]
	s_movk_i32 s4, 0x7f
	v_cmp_gt_i16_sdwa s[6:7], v6, s4 src0_sel:BYTE_3 src1_sel:DWORD
	s_mov_b64 s[4:5], 0
                                        ; implicit-def: $sgpr10
	s_and_saveexec_b64 s[8:9], s[6:7]
	s_xor_b64 s[6:7], exec, s[8:9]
	s_cbranch_execz .LBB2_2585
; %bb.38425:
	s_getpc_b64 s[14:15]
.Lpost_getpc22796:
	s_add_u32 s14, s14, (.LBB2_16921-.Lpost_getpc22796)&4294967295
	s_addc_u32 s15, s15, (.LBB2_16921-.Lpost_getpc22796)>>32
	s_setpc_b64 s[14:15]
.LBB2_2585:
	s_or_saveexec_b64 s[6:7], s[6:7]
	v_mov_b32_e32 v12, s10
	s_xor_b64 exec, exec, s[6:7]
	s_cbranch_execz .LBB2_2586
; %bb.38427:
	s_getpc_b64 s[14:15]
.Lpost_getpc22797:
	s_add_u32 s14, s14, (.LBB2_16924-.Lpost_getpc22797)&4294967295
	s_addc_u32 s15, s15, (.LBB2_16924-.Lpost_getpc22797)>>32
	s_setpc_b64 s[14:15]
.LBB2_2586:
	s_or_b64 exec, exec, s[6:7]
	s_and_saveexec_b64 s[6:7], s[4:5]
	s_cbranch_execz .LBB2_2588
.LBB2_2587:
	v_bfe_u32 v12, v6, 24, 3
	v_ffbh_u32_e32 v16, v12
	v_min_u32_e32 v16, 32, v16
	v_lshrrev_b32_e32 v14, 27, v6
	v_subrev_u32_e32 v17, 28, v16
	v_and_b32_e32 v13, 0x80000000, v6
	v_and_b32_e32 v14, 15, v14
	v_bfe_u32 v15, v6, 27, 4
	v_lshlrev_b32_sdwa v6, v17, v6 dst_sel:DWORD dst_unused:UNUSED_PAD src0_sel:DWORD src1_sel:BYTE_3
	v_sub_u32_e32 v16, 29, v16
	v_and_b32_e32 v6, 7, v6
	v_cmp_eq_u16_e32 vcc, 0, v14
	v_cndmask_b32_e32 v6, v12, v6, vcc
	v_cndmask_b32_e32 v12, v15, v16, vcc
	v_mov_b32_e32 v14, 0x3b800000
	v_lshlrev_b32_e32 v6, 20, v6
	v_lshl_add_u32 v12, v12, 23, v14
	v_or3_b32 v12, v13, v12, v6
.LBB2_2588:
	s_or_b64 exec, exec, s[6:7]
	s_movk_i32 s4, 0x7f
	v_cmp_gt_i16_sdwa s[6:7], v2, s4 src0_sel:BYTE_3 src1_sel:DWORD
	s_mov_b64 s[4:5], 0
                                        ; implicit-def: $sgpr10
	s_and_saveexec_b64 s[8:9], s[6:7]
	s_xor_b64 s[6:7], exec, s[8:9]
	s_cbranch_execz .LBB2_2589
; %bb.38429:
	s_getpc_b64 s[14:15]
.Lpost_getpc22798:
	s_add_u32 s14, s14, (.LBB2_16925-.Lpost_getpc22798)&4294967295
	s_addc_u32 s15, s15, (.LBB2_16925-.Lpost_getpc22798)>>32
	s_setpc_b64 s[14:15]
.LBB2_2589:
	s_or_saveexec_b64 s[6:7], s[6:7]
	v_mov_b32_e32 v6, s10
	s_xor_b64 exec, exec, s[6:7]
	s_cbranch_execz .LBB2_2590
; %bb.38431:
	s_getpc_b64 s[14:15]
.Lpost_getpc22799:
	s_add_u32 s14, s14, (.LBB2_16928-.Lpost_getpc22799)&4294967295
	s_addc_u32 s15, s15, (.LBB2_16928-.Lpost_getpc22799)>>32
	s_setpc_b64 s[14:15]
.LBB2_2590:
	s_or_b64 exec, exec, s[6:7]
	s_and_saveexec_b64 s[6:7], s[4:5]
	s_cbranch_execz .LBB2_2592
.LBB2_2591:
	v_bfe_u32 v6, v2, 24, 3
	v_ffbh_u32_e32 v16, v6
	v_min_u32_e32 v16, 32, v16
	v_lshrrev_b32_e32 v14, 27, v2
	v_subrev_u32_e32 v17, 28, v16
	v_and_b32_e32 v13, 0x80000000, v2
	v_and_b32_e32 v14, 15, v14
	v_bfe_u32 v15, v2, 27, 4
	v_lshlrev_b32_sdwa v2, v17, v2 dst_sel:DWORD dst_unused:UNUSED_PAD src0_sel:DWORD src1_sel:BYTE_3
	v_sub_u32_e32 v16, 29, v16
	v_and_b32_e32 v2, 7, v2
	v_cmp_eq_u16_e32 vcc, 0, v14
	v_cndmask_b32_e32 v2, v6, v2, vcc
	v_cndmask_b32_e32 v6, v15, v16, vcc
	v_mov_b32_e32 v14, 0x3b800000
	v_lshlrev_b32_e32 v2, 20, v2
	v_lshl_add_u32 v6, v6, 23, v14
	v_or3_b32 v6, v13, v6, v2
.LBB2_2592:
	s_or_b64 exec, exec, s[6:7]
	s_nop 0
	v_mfma_f32_16x16x4f32 a[0:3], v12, v6, a[0:3]
	s_movk_i32 s4, 0x7f
	v_cmp_gt_i16_sdwa s[6:7], v7, s4 src0_sel:BYTE_0 src1_sel:DWORD
	s_mov_b64 s[4:5], 0
                                        ; implicit-def: $sgpr10
	s_and_saveexec_b64 s[8:9], s[6:7]
	s_xor_b64 s[6:7], exec, s[8:9]
	s_cbranch_execz .LBB2_2593
; %bb.38433:
	s_getpc_b64 s[14:15]
.Lpost_getpc22800:
	s_add_u32 s14, s14, (.LBB2_16929-.Lpost_getpc22800)&4294967295
	s_addc_u32 s15, s15, (.LBB2_16929-.Lpost_getpc22800)>>32
	s_setpc_b64 s[14:15]
.LBB2_2593:
	s_or_saveexec_b64 s[6:7], s[6:7]
	v_mov_b32_e32 v2, s10
	s_xor_b64 exec, exec, s[6:7]
	s_cbranch_execz .LBB2_2594
; %bb.38435:
	s_getpc_b64 s[14:15]
.Lpost_getpc22801:
	s_add_u32 s14, s14, (.LBB2_16932-.Lpost_getpc22801)&4294967295
	s_addc_u32 s15, s15, (.LBB2_16932-.Lpost_getpc22801)>>32
	s_setpc_b64 s[14:15]
.LBB2_2594:
	s_or_b64 exec, exec, s[6:7]
	s_and_saveexec_b64 s[6:7], s[4:5]
	s_cbranch_execz .LBB2_2596
.LBB2_2595:
	v_and_b32_e32 v2, 7, v7
	v_ffbh_u32_e32 v12, v2
	v_min_u32_e32 v12, 32, v12
	v_lshrrev_b16_e32 v6, 3, v7
	v_subrev_u32_e32 v13, 28, v12
	v_and_b32_e32 v6, 15, v6
	v_lshlrev_b32_e32 v13, v13, v7
	v_sub_u32_e32 v12, 29, v12
	v_and_b32_e32 v13, 7, v13
	v_cmp_eq_u16_e32 vcc, 0, v6
	v_cndmask_b32_e32 v2, v2, v13, vcc
	v_cndmask_b32_e32 v6, v6, v12, vcc
	v_lshlrev_b32_e32 v12, 24, v7
	v_mov_b32_e32 v13, 0x3b800000
	v_lshlrev_b32_e32 v2, 20, v2
	v_and_b32_e32 v12, 0x80000000, v12
	v_lshl_add_u32 v6, v6, 23, v13
	v_or3_b32 v2, v12, v6, v2
.LBB2_2596:
	s_or_b64 exec, exec, s[6:7]
	s_movk_i32 s4, 0x7f
	v_cmp_gt_i16_sdwa s[6:7], v3, s4 src0_sel:BYTE_0 src1_sel:DWORD
	s_mov_b64 s[4:5], 0
                                        ; implicit-def: $sgpr10
	s_and_saveexec_b64 s[8:9], s[6:7]
	s_xor_b64 s[6:7], exec, s[8:9]
	s_cbranch_execz .LBB2_2597
; %bb.38437:
	s_getpc_b64 s[14:15]
.Lpost_getpc22802:
	s_add_u32 s14, s14, (.LBB2_16933-.Lpost_getpc22802)&4294967295
	s_addc_u32 s15, s15, (.LBB2_16933-.Lpost_getpc22802)>>32
	s_setpc_b64 s[14:15]
.LBB2_2597:
	s_or_saveexec_b64 s[6:7], s[6:7]
	v_mov_b32_e32 v6, s10
	s_xor_b64 exec, exec, s[6:7]
	s_cbranch_execz .LBB2_2598
; %bb.38439:
	s_getpc_b64 s[14:15]
.Lpost_getpc22803:
	s_add_u32 s14, s14, (.LBB2_16936-.Lpost_getpc22803)&4294967295
	s_addc_u32 s15, s15, (.LBB2_16936-.Lpost_getpc22803)>>32
	s_setpc_b64 s[14:15]
.LBB2_2598:
	s_or_b64 exec, exec, s[6:7]
	s_and_saveexec_b64 s[6:7], s[4:5]
	s_cbranch_execz .LBB2_2600
.LBB2_2599:
	v_and_b32_e32 v6, 7, v3
	v_ffbh_u32_e32 v13, v6
	v_min_u32_e32 v13, 32, v13
	v_lshrrev_b16_e32 v12, 3, v3
	v_subrev_u32_e32 v14, 28, v13
	v_and_b32_e32 v12, 15, v12
	v_lshlrev_b32_e32 v14, v14, v3
	v_sub_u32_e32 v13, 29, v13
	v_and_b32_e32 v14, 7, v14
	v_cmp_eq_u16_e32 vcc, 0, v12
	v_cndmask_b32_e32 v6, v6, v14, vcc
	v_cndmask_b32_e32 v12, v12, v13, vcc
	v_lshlrev_b32_e32 v13, 24, v3
	v_mov_b32_e32 v14, 0x3b800000
	v_lshlrev_b32_e32 v6, 20, v6
	v_and_b32_e32 v13, 0x80000000, v13
	v_lshl_add_u32 v12, v12, 23, v14
	v_or3_b32 v6, v13, v12, v6
.LBB2_2600:
	s_or_b64 exec, exec, s[6:7]
	s_nop 0
	v_mfma_f32_16x16x4f32 a[0:3], v2, v6, a[0:3]
	v_lshrrev_b32_e32 v6, 8, v7
	s_movk_i32 s4, 0x7f
	v_cmp_gt_i16_sdwa s[6:7], v6, s4 src0_sel:BYTE_0 src1_sel:DWORD
	s_mov_b64 s[4:5], 0
                                        ; implicit-def: $sgpr10
	s_and_saveexec_b64 s[8:9], s[6:7]
	s_xor_b64 s[6:7], exec, s[8:9]
	s_cbranch_execz .LBB2_2601
; %bb.38441:
	s_getpc_b64 s[14:15]
.Lpost_getpc22804:
	s_add_u32 s14, s14, (.LBB2_16937-.Lpost_getpc22804)&4294967295
	s_addc_u32 s15, s15, (.LBB2_16937-.Lpost_getpc22804)>>32
	s_setpc_b64 s[14:15]
.LBB2_2601:
	s_or_saveexec_b64 s[6:7], s[6:7]
	v_mov_b32_e32 v2, s10
	s_xor_b64 exec, exec, s[6:7]
	s_cbranch_execz .LBB2_2602
; %bb.38443:
	s_getpc_b64 s[14:15]
.Lpost_getpc22805:
	s_add_u32 s14, s14, (.LBB2_16940-.Lpost_getpc22805)&4294967295
	s_addc_u32 s15, s15, (.LBB2_16940-.Lpost_getpc22805)>>32
	s_setpc_b64 s[14:15]
.LBB2_2602:
	s_or_b64 exec, exec, s[6:7]
	s_and_saveexec_b64 s[6:7], s[4:5]
	s_cbranch_execz .LBB2_2604
.LBB2_2603:
	v_bfe_u32 v2, v7, 8, 3
	v_ffbh_u32_e32 v13, v2
	v_min_u32_e32 v13, 32, v13
	v_lshrrev_b16_e32 v12, 3, v6
	v_subrev_u32_e32 v14, 28, v13
	v_and_b32_e32 v12, 15, v12
	v_lshlrev_b32_e32 v6, v14, v6
	v_sub_u32_e32 v13, 29, v13
	v_and_b32_e32 v6, 7, v6
	v_cmp_eq_u16_e32 vcc, 0, v12
	v_cndmask_b32_e32 v2, v2, v6, vcc
	v_cndmask_b32_e32 v6, v12, v13, vcc
	v_lshlrev_b32_e32 v12, 16, v7
	v_mov_b32_e32 v13, 0x3b800000
	v_lshlrev_b32_e32 v2, 20, v2
	v_and_b32_e32 v12, 0x80000000, v12
	v_lshl_add_u32 v6, v6, 23, v13
	v_or3_b32 v2, v12, v6, v2
.LBB2_2604:
	s_or_b64 exec, exec, s[6:7]
	v_lshrrev_b32_e32 v6, 8, v3
	s_movk_i32 s4, 0x7f
	v_cmp_gt_i16_sdwa s[6:7], v6, s4 src0_sel:BYTE_0 src1_sel:DWORD
	s_mov_b64 s[4:5], 0
                                        ; implicit-def: $sgpr10
	s_and_saveexec_b64 s[8:9], s[6:7]
	s_xor_b64 s[6:7], exec, s[8:9]
	s_cbranch_execz .LBB2_2605
; %bb.38445:
	s_getpc_b64 s[14:15]
.Lpost_getpc22806:
	s_add_u32 s14, s14, (.LBB2_16941-.Lpost_getpc22806)&4294967295
	s_addc_u32 s15, s15, (.LBB2_16941-.Lpost_getpc22806)>>32
	s_setpc_b64 s[14:15]
.LBB2_2605:
	s_or_saveexec_b64 s[6:7], s[6:7]
	v_mov_b32_e32 v12, s10
	s_xor_b64 exec, exec, s[6:7]
	s_cbranch_execz .LBB2_2606
; %bb.38447:
	s_getpc_b64 s[14:15]
.Lpost_getpc22807:
	s_add_u32 s14, s14, (.LBB2_16944-.Lpost_getpc22807)&4294967295
	s_addc_u32 s15, s15, (.LBB2_16944-.Lpost_getpc22807)>>32
	s_setpc_b64 s[14:15]
.LBB2_2606:
	s_or_b64 exec, exec, s[6:7]
	s_and_saveexec_b64 s[6:7], s[4:5]
	s_cbranch_execz .LBB2_2608
.LBB2_2607:
	v_bfe_u32 v12, v3, 8, 3
	v_ffbh_u32_e32 v14, v12
	v_min_u32_e32 v14, 32, v14
	v_lshrrev_b16_e32 v13, 3, v6
	v_subrev_u32_e32 v15, 28, v14
	v_and_b32_e32 v13, 15, v13
	v_lshlrev_b32_e32 v6, v15, v6
	v_sub_u32_e32 v14, 29, v14
	v_and_b32_e32 v6, 7, v6
	v_cmp_eq_u16_e32 vcc, 0, v13
	v_cndmask_b32_e32 v6, v12, v6, vcc
	v_cndmask_b32_e32 v12, v13, v14, vcc
	v_lshlrev_b32_e32 v13, 16, v3
	v_mov_b32_e32 v14, 0x3b800000
	v_lshlrev_b32_e32 v6, 20, v6
	v_and_b32_e32 v13, 0x80000000, v13
	v_lshl_add_u32 v12, v12, 23, v14
	v_or3_b32 v12, v13, v12, v6
.LBB2_2608:
	s_or_b64 exec, exec, s[6:7]
	s_nop 0
	v_mfma_f32_16x16x4f32 a[0:3], v2, v12, a[0:3]
	s_movk_i32 s4, 0xff
	v_and_b32_sdwa v6, v7, s4 dst_sel:DWORD dst_unused:UNUSED_PAD src0_sel:WORD_1 src1_sel:DWORD
	s_movk_i32 s4, 0x7f
	v_cmp_lt_i16_e32 vcc, s4, v6
	s_mov_b64 s[4:5], 0
                                        ; implicit-def: $sgpr10
	s_and_saveexec_b64 s[6:7], vcc
	s_xor_b64 s[6:7], exec, s[6:7]
	s_cbranch_execz .LBB2_2609
; %bb.38449:
	s_getpc_b64 s[14:15]
.Lpost_getpc22808:
	s_add_u32 s14, s14, (.LBB2_16945-.Lpost_getpc22808)&4294967295
	s_addc_u32 s15, s15, (.LBB2_16945-.Lpost_getpc22808)>>32
	s_setpc_b64 s[14:15]
.LBB2_2609:
	s_or_saveexec_b64 s[6:7], s[6:7]
	v_mov_b32_e32 v2, s10
	s_xor_b64 exec, exec, s[6:7]
	s_cbranch_execz .LBB2_2610
; %bb.38451:
	s_getpc_b64 s[14:15]
.Lpost_getpc22809:
	s_add_u32 s14, s14, (.LBB2_16948-.Lpost_getpc22809)&4294967295
	s_addc_u32 s15, s15, (.LBB2_16948-.Lpost_getpc22809)>>32
	s_setpc_b64 s[14:15]
.LBB2_2610:
	s_or_b64 exec, exec, s[6:7]
	s_and_saveexec_b64 s[6:7], s[4:5]
	s_cbranch_execz .LBB2_2612
.LBB2_2611:
	v_bfe_u32 v2, v7, 16, 3
	v_ffbh_u32_e32 v13, v2
	v_min_u32_e32 v13, 32, v13
	v_lshrrev_b32_e32 v6, 19, v7
	v_subrev_u32_e32 v14, 28, v13
	v_and_b32_e32 v6, 15, v6
	v_lshlrev_b32_sdwa v14, v14, v7 dst_sel:DWORD dst_unused:UNUSED_PAD src0_sel:DWORD src1_sel:WORD_1
	v_bfe_u32 v12, v7, 19, 4
	v_sub_u32_e32 v13, 29, v13
	v_and_b32_e32 v14, 7, v14
	v_cmp_eq_u16_e32 vcc, 0, v6
	v_cndmask_b32_e32 v2, v2, v14, vcc
	v_cndmask_b32_e32 v6, v12, v13, vcc
	v_lshlrev_b32_e32 v12, 8, v7
	v_mov_b32_e32 v13, 0x3b800000
	v_lshlrev_b32_e32 v2, 20, v2
	v_and_b32_e32 v12, 0x80000000, v12
	v_lshl_add_u32 v6, v6, 23, v13
	v_or3_b32 v2, v12, v6, v2
.LBB2_2612:
	s_or_b64 exec, exec, s[6:7]
	s_movk_i32 s4, 0xff
	v_and_b32_sdwa v6, v3, s4 dst_sel:DWORD dst_unused:UNUSED_PAD src0_sel:WORD_1 src1_sel:DWORD
	s_movk_i32 s4, 0x7f
	v_cmp_lt_i16_e32 vcc, s4, v6
	s_mov_b64 s[4:5], 0
                                        ; implicit-def: $sgpr10
	s_and_saveexec_b64 s[6:7], vcc
	s_xor_b64 s[6:7], exec, s[6:7]
	s_cbranch_execz .LBB2_2613
; %bb.38453:
	s_getpc_b64 s[14:15]
.Lpost_getpc22810:
	s_add_u32 s14, s14, (.LBB2_16949-.Lpost_getpc22810)&4294967295
	s_addc_u32 s15, s15, (.LBB2_16949-.Lpost_getpc22810)>>32
	s_setpc_b64 s[14:15]
.LBB2_2613:
	s_or_saveexec_b64 s[6:7], s[6:7]
	v_mov_b32_e32 v12, s10
	s_xor_b64 exec, exec, s[6:7]
	s_cbranch_execz .LBB2_2614
; %bb.38455:
	s_getpc_b64 s[14:15]
.Lpost_getpc22811:
	s_add_u32 s14, s14, (.LBB2_16952-.Lpost_getpc22811)&4294967295
	s_addc_u32 s15, s15, (.LBB2_16952-.Lpost_getpc22811)>>32
	s_setpc_b64 s[14:15]
.LBB2_2614:
	s_or_b64 exec, exec, s[6:7]
	s_and_saveexec_b64 s[6:7], s[4:5]
	s_cbranch_execz .LBB2_2616
.LBB2_2615:
	v_bfe_u32 v6, v3, 16, 3
	v_ffbh_u32_e32 v14, v6
	v_min_u32_e32 v14, 32, v14
	v_lshrrev_b32_e32 v12, 19, v3
	v_subrev_u32_e32 v15, 28, v14
	v_and_b32_e32 v12, 15, v12
	v_lshlrev_b32_sdwa v15, v15, v3 dst_sel:DWORD dst_unused:UNUSED_PAD src0_sel:DWORD src1_sel:WORD_1
	v_bfe_u32 v13, v3, 19, 4
	v_sub_u32_e32 v14, 29, v14
	v_and_b32_e32 v15, 7, v15
	v_cmp_eq_u16_e32 vcc, 0, v12
	v_cndmask_b32_e32 v6, v6, v15, vcc
	v_cndmask_b32_e32 v12, v13, v14, vcc
	v_lshlrev_b32_e32 v13, 8, v3
	v_mov_b32_e32 v14, 0x3b800000
	v_lshlrev_b32_e32 v6, 20, v6
	v_and_b32_e32 v13, 0x80000000, v13
	v_lshl_add_u32 v12, v12, 23, v14
	v_or3_b32 v12, v13, v12, v6
.LBB2_2616:
	s_or_b64 exec, exec, s[6:7]
	s_nop 0
	v_mfma_f32_16x16x4f32 a[0:3], v2, v12, a[0:3]
	s_movk_i32 s4, 0x7f
	v_cmp_gt_i16_sdwa s[6:7], v7, s4 src0_sel:BYTE_3 src1_sel:DWORD
	s_mov_b64 s[4:5], 0
                                        ; implicit-def: $sgpr10
	s_and_saveexec_b64 s[8:9], s[6:7]
	s_xor_b64 s[6:7], exec, s[8:9]
	s_cbranch_execz .LBB2_2617
; %bb.38457:
	s_getpc_b64 s[14:15]
.Lpost_getpc22812:
	s_add_u32 s14, s14, (.LBB2_16953-.Lpost_getpc22812)&4294967295
	s_addc_u32 s15, s15, (.LBB2_16953-.Lpost_getpc22812)>>32
	s_setpc_b64 s[14:15]
.LBB2_2617:
	s_or_saveexec_b64 s[6:7], s[6:7]
	v_mov_b32_e32 v2, s10
	s_xor_b64 exec, exec, s[6:7]
	s_cbranch_execz .LBB2_2618
; %bb.38459:
	s_getpc_b64 s[14:15]
.Lpost_getpc22813:
	s_add_u32 s14, s14, (.LBB2_16956-.Lpost_getpc22813)&4294967295
	s_addc_u32 s15, s15, (.LBB2_16956-.Lpost_getpc22813)>>32
	s_setpc_b64 s[14:15]
.LBB2_2618:
	s_or_b64 exec, exec, s[6:7]
	s_and_saveexec_b64 s[6:7], s[4:5]
	s_cbranch_execz .LBB2_2620
.LBB2_2619:
	v_bfe_u32 v2, v7, 24, 3
	v_ffbh_u32_e32 v14, v2
	v_min_u32_e32 v14, 32, v14
	v_lshrrev_b32_e32 v12, 27, v7
	v_subrev_u32_e32 v15, 28, v14
	v_and_b32_e32 v6, 0x80000000, v7
	v_and_b32_e32 v12, 15, v12
	v_bfe_u32 v13, v7, 27, 4
	v_lshlrev_b32_sdwa v7, v15, v7 dst_sel:DWORD dst_unused:UNUSED_PAD src0_sel:DWORD src1_sel:BYTE_3
	v_sub_u32_e32 v14, 29, v14
	v_and_b32_e32 v7, 7, v7
	v_cmp_eq_u16_e32 vcc, 0, v12
	v_cndmask_b32_e32 v2, v2, v7, vcc
	v_cndmask_b32_e32 v7, v13, v14, vcc
	v_mov_b32_e32 v12, 0x3b800000
	v_lshlrev_b32_e32 v2, 20, v2
	v_lshl_add_u32 v7, v7, 23, v12
	v_or3_b32 v2, v6, v7, v2
.LBB2_2620:
	s_or_b64 exec, exec, s[6:7]
	s_movk_i32 s4, 0x7f
	v_cmp_gt_i16_sdwa s[6:7], v3, s4 src0_sel:BYTE_3 src1_sel:DWORD
	s_mov_b64 s[4:5], 0
                                        ; implicit-def: $sgpr10
	s_and_saveexec_b64 s[8:9], s[6:7]
	s_xor_b64 s[6:7], exec, s[8:9]
	s_cbranch_execz .LBB2_2621
; %bb.38461:
	s_getpc_b64 s[14:15]
.Lpost_getpc22814:
	s_add_u32 s14, s14, (.LBB2_16957-.Lpost_getpc22814)&4294967295
	s_addc_u32 s15, s15, (.LBB2_16957-.Lpost_getpc22814)>>32
	s_setpc_b64 s[14:15]
.LBB2_2621:
	s_or_saveexec_b64 s[6:7], s[6:7]
	v_mov_b32_e32 v6, s10
	s_xor_b64 exec, exec, s[6:7]
	s_cbranch_execz .LBB2_2622
; %bb.38463:
	s_getpc_b64 s[14:15]
.Lpost_getpc22815:
	s_add_u32 s14, s14, (.LBB2_16960-.Lpost_getpc22815)&4294967295
	s_addc_u32 s15, s15, (.LBB2_16960-.Lpost_getpc22815)>>32
	s_setpc_b64 s[14:15]
.LBB2_2622:
	s_or_b64 exec, exec, s[6:7]
	s_and_saveexec_b64 s[6:7], s[4:5]
	s_cbranch_execz .LBB2_2624
.LBB2_2623:
	v_bfe_u32 v6, v3, 24, 3
	v_ffbh_u32_e32 v14, v6
	v_min_u32_e32 v14, 32, v14
	v_lshrrev_b32_e32 v12, 27, v3
	v_subrev_u32_e32 v15, 28, v14
	v_and_b32_e32 v7, 0x80000000, v3
	v_and_b32_e32 v12, 15, v12
	v_bfe_u32 v13, v3, 27, 4
	v_lshlrev_b32_sdwa v3, v15, v3 dst_sel:DWORD dst_unused:UNUSED_PAD src0_sel:DWORD src1_sel:BYTE_3
	v_sub_u32_e32 v14, 29, v14
	v_and_b32_e32 v3, 7, v3
	v_cmp_eq_u16_e32 vcc, 0, v12
	v_cndmask_b32_e32 v3, v6, v3, vcc
	v_cndmask_b32_e32 v6, v13, v14, vcc
	v_mov_b32_e32 v12, 0x3b800000
	v_lshlrev_b32_e32 v3, 20, v3
	v_lshl_add_u32 v6, v6, 23, v12
	v_or3_b32 v6, v7, v6, v3
.LBB2_2624:
	s_or_b64 exec, exec, s[6:7]
	s_nop 0
	v_mfma_f32_16x16x4f32 a[0:3], v2, v6, a[0:3]
	s_movk_i32 s4, 0x7f
	v_cmp_gt_i16_sdwa s[6:7], v8, s4 src0_sel:BYTE_0 src1_sel:DWORD
	s_mov_b64 s[4:5], 0
                                        ; implicit-def: $sgpr10
	s_and_saveexec_b64 s[8:9], s[6:7]
	s_xor_b64 s[6:7], exec, s[8:9]
	s_cbranch_execz .LBB2_2625
; %bb.38465:
	s_getpc_b64 s[14:15]
.Lpost_getpc22816:
	s_add_u32 s14, s14, (.LBB2_16961-.Lpost_getpc22816)&4294967295
	s_addc_u32 s15, s15, (.LBB2_16961-.Lpost_getpc22816)>>32
	s_setpc_b64 s[14:15]
.LBB2_2625:
	s_or_saveexec_b64 s[6:7], s[6:7]
	v_mov_b32_e32 v2, s10
	s_xor_b64 exec, exec, s[6:7]
	s_cbranch_execz .LBB2_2626
; %bb.38467:
	s_getpc_b64 s[14:15]
.Lpost_getpc22817:
	s_add_u32 s14, s14, (.LBB2_16964-.Lpost_getpc22817)&4294967295
	s_addc_u32 s15, s15, (.LBB2_16964-.Lpost_getpc22817)>>32
	s_setpc_b64 s[14:15]
.LBB2_2626:
	s_or_b64 exec, exec, s[6:7]
	s_and_saveexec_b64 s[6:7], s[4:5]
	s_cbranch_execz .LBB2_2628
.LBB2_2627:
	v_and_b32_e32 v2, 7, v8
	v_ffbh_u32_e32 v6, v2
	v_min_u32_e32 v6, 32, v6
	v_lshrrev_b16_e32 v3, 3, v8
	v_subrev_u32_e32 v7, 28, v6
	v_and_b32_e32 v3, 15, v3
	v_lshlrev_b32_e32 v7, v7, v8
	v_sub_u32_e32 v6, 29, v6
	v_and_b32_e32 v7, 7, v7
	v_cmp_eq_u16_e32 vcc, 0, v3
	v_cndmask_b32_e32 v2, v2, v7, vcc
	v_cndmask_b32_e32 v3, v3, v6, vcc
	v_lshlrev_b32_e32 v6, 24, v8
	v_mov_b32_e32 v7, 0x3b800000
	v_lshlrev_b32_e32 v2, 20, v2
	v_and_b32_e32 v6, 0x80000000, v6
	v_lshl_add_u32 v3, v3, 23, v7
	v_or3_b32 v2, v6, v3, v2
.LBB2_2628:
	s_or_b64 exec, exec, s[6:7]
	s_movk_i32 s4, 0x7f
	v_cmp_gt_i16_sdwa s[6:7], v4, s4 src0_sel:BYTE_0 src1_sel:DWORD
	s_mov_b64 s[4:5], 0
                                        ; implicit-def: $sgpr10
	s_and_saveexec_b64 s[8:9], s[6:7]
	s_xor_b64 s[6:7], exec, s[8:9]
	s_cbranch_execz .LBB2_2629
; %bb.38469:
	s_getpc_b64 s[14:15]
.Lpost_getpc22818:
	s_add_u32 s14, s14, (.LBB2_16965-.Lpost_getpc22818)&4294967295
	s_addc_u32 s15, s15, (.LBB2_16965-.Lpost_getpc22818)>>32
	s_setpc_b64 s[14:15]
.LBB2_2629:
	s_or_saveexec_b64 s[6:7], s[6:7]
	v_mov_b32_e32 v3, s10
	s_xor_b64 exec, exec, s[6:7]
	s_cbranch_execz .LBB2_2630
; %bb.38471:
	s_getpc_b64 s[14:15]
.Lpost_getpc22819:
	s_add_u32 s14, s14, (.LBB2_16968-.Lpost_getpc22819)&4294967295
	s_addc_u32 s15, s15, (.LBB2_16968-.Lpost_getpc22819)>>32
	s_setpc_b64 s[14:15]
.LBB2_2630:
	s_or_b64 exec, exec, s[6:7]
	s_and_saveexec_b64 s[6:7], s[4:5]
	s_cbranch_execz .LBB2_2632
.LBB2_2631:
	v_and_b32_e32 v3, 7, v4
	v_ffbh_u32_e32 v7, v3
	v_min_u32_e32 v7, 32, v7
	v_lshrrev_b16_e32 v6, 3, v4
	v_subrev_u32_e32 v12, 28, v7
	v_and_b32_e32 v6, 15, v6
	v_lshlrev_b32_e32 v12, v12, v4
	v_sub_u32_e32 v7, 29, v7
	v_and_b32_e32 v12, 7, v12
	v_cmp_eq_u16_e32 vcc, 0, v6
	v_cndmask_b32_e32 v3, v3, v12, vcc
	v_cndmask_b32_e32 v6, v6, v7, vcc
	v_lshlrev_b32_e32 v7, 24, v4
	v_mov_b32_e32 v12, 0x3b800000
	v_lshlrev_b32_e32 v3, 20, v3
	v_and_b32_e32 v7, 0x80000000, v7
	v_lshl_add_u32 v6, v6, 23, v12
	v_or3_b32 v3, v7, v6, v3
.LBB2_2632:
	s_or_b64 exec, exec, s[6:7]
	s_nop 0
	v_mfma_f32_16x16x4f32 a[0:3], v2, v3, a[0:3]
	v_lshrrev_b32_e32 v3, 8, v8
	s_movk_i32 s4, 0x7f
	v_cmp_gt_i16_sdwa s[6:7], v3, s4 src0_sel:BYTE_0 src1_sel:DWORD
	s_mov_b64 s[4:5], 0
                                        ; implicit-def: $sgpr10
	s_and_saveexec_b64 s[8:9], s[6:7]
	s_xor_b64 s[6:7], exec, s[8:9]
	s_cbranch_execz .LBB2_2633
; %bb.38473:
	s_getpc_b64 s[14:15]
.Lpost_getpc22820:
	s_add_u32 s14, s14, (.LBB2_16969-.Lpost_getpc22820)&4294967295
	s_addc_u32 s15, s15, (.LBB2_16969-.Lpost_getpc22820)>>32
	s_setpc_b64 s[14:15]
.LBB2_2633:
	s_or_saveexec_b64 s[6:7], s[6:7]
	v_mov_b32_e32 v2, s10
	s_xor_b64 exec, exec, s[6:7]
	s_cbranch_execz .LBB2_2634
; %bb.38475:
	s_getpc_b64 s[14:15]
.Lpost_getpc22821:
	s_add_u32 s14, s14, (.LBB2_16972-.Lpost_getpc22821)&4294967295
	s_addc_u32 s15, s15, (.LBB2_16972-.Lpost_getpc22821)>>32
	s_setpc_b64 s[14:15]
.LBB2_2634:
	s_or_b64 exec, exec, s[6:7]
	s_and_saveexec_b64 s[6:7], s[4:5]
	s_cbranch_execz .LBB2_2636
.LBB2_2635:
	v_bfe_u32 v2, v8, 8, 3
	v_ffbh_u32_e32 v7, v2
	v_min_u32_e32 v7, 32, v7
	v_lshrrev_b16_e32 v6, 3, v3
	v_subrev_u32_e32 v12, 28, v7
	v_and_b32_e32 v6, 15, v6
	v_lshlrev_b32_e32 v3, v12, v3
	v_sub_u32_e32 v7, 29, v7
	v_and_b32_e32 v3, 7, v3
	v_cmp_eq_u16_e32 vcc, 0, v6
	v_cndmask_b32_e32 v2, v2, v3, vcc
	v_cndmask_b32_e32 v3, v6, v7, vcc
	v_lshlrev_b32_e32 v6, 16, v8
	v_mov_b32_e32 v7, 0x3b800000
	v_lshlrev_b32_e32 v2, 20, v2
	v_and_b32_e32 v6, 0x80000000, v6
	v_lshl_add_u32 v3, v3, 23, v7
	v_or3_b32 v2, v6, v3, v2
.LBB2_2636:
	s_or_b64 exec, exec, s[6:7]
	v_lshrrev_b32_e32 v3, 8, v4
	s_movk_i32 s4, 0x7f
	v_cmp_gt_i16_sdwa s[6:7], v3, s4 src0_sel:BYTE_0 src1_sel:DWORD
	s_mov_b64 s[4:5], 0
                                        ; implicit-def: $sgpr10
	s_and_saveexec_b64 s[8:9], s[6:7]
	s_xor_b64 s[6:7], exec, s[8:9]
	s_cbranch_execz .LBB2_2637
; %bb.38477:
	s_getpc_b64 s[14:15]
.Lpost_getpc22822:
	s_add_u32 s14, s14, (.LBB2_16973-.Lpost_getpc22822)&4294967295
	s_addc_u32 s15, s15, (.LBB2_16973-.Lpost_getpc22822)>>32
	s_setpc_b64 s[14:15]
.LBB2_2637:
	s_or_saveexec_b64 s[6:7], s[6:7]
	v_mov_b32_e32 v6, s10
	s_xor_b64 exec, exec, s[6:7]
	s_cbranch_execz .LBB2_2638
; %bb.38479:
	s_getpc_b64 s[14:15]
.Lpost_getpc22823:
	s_add_u32 s14, s14, (.LBB2_16976-.Lpost_getpc22823)&4294967295
	s_addc_u32 s15, s15, (.LBB2_16976-.Lpost_getpc22823)>>32
	s_setpc_b64 s[14:15]
.LBB2_2638:
	s_or_b64 exec, exec, s[6:7]
	s_and_saveexec_b64 s[6:7], s[4:5]
	s_cbranch_execz .LBB2_2640
.LBB2_2639:
	v_bfe_u32 v6, v4, 8, 3
	v_ffbh_u32_e32 v12, v6
	v_min_u32_e32 v12, 32, v12
	v_lshrrev_b16_e32 v7, 3, v3
	v_subrev_u32_e32 v13, 28, v12
	v_and_b32_e32 v7, 15, v7
	v_lshlrev_b32_e32 v3, v13, v3
	v_sub_u32_e32 v12, 29, v12
	v_and_b32_e32 v3, 7, v3
	v_cmp_eq_u16_e32 vcc, 0, v7
	v_cndmask_b32_e32 v3, v6, v3, vcc
	v_cndmask_b32_e32 v6, v7, v12, vcc
	v_lshlrev_b32_e32 v7, 16, v4
	v_mov_b32_e32 v12, 0x3b800000
	v_lshlrev_b32_e32 v3, 20, v3
	v_and_b32_e32 v7, 0x80000000, v7
	v_lshl_add_u32 v6, v6, 23, v12
	v_or3_b32 v6, v7, v6, v3
.LBB2_2640:
	s_or_b64 exec, exec, s[6:7]
	s_nop 0
	v_mfma_f32_16x16x4f32 a[0:3], v2, v6, a[0:3]
	s_movk_i32 s4, 0xff
	v_and_b32_sdwa v3, v8, s4 dst_sel:DWORD dst_unused:UNUSED_PAD src0_sel:WORD_1 src1_sel:DWORD
	s_movk_i32 s4, 0x7f
	v_cmp_lt_i16_e32 vcc, s4, v3
	s_mov_b64 s[4:5], 0
                                        ; implicit-def: $sgpr10
	s_and_saveexec_b64 s[6:7], vcc
	s_xor_b64 s[6:7], exec, s[6:7]
	s_cbranch_execz .LBB2_2641
; %bb.38481:
	s_getpc_b64 s[14:15]
.Lpost_getpc22824:
	s_add_u32 s14, s14, (.LBB2_16977-.Lpost_getpc22824)&4294967295
	s_addc_u32 s15, s15, (.LBB2_16977-.Lpost_getpc22824)>>32
	s_setpc_b64 s[14:15]
.LBB2_2641:
	s_or_saveexec_b64 s[6:7], s[6:7]
	v_mov_b32_e32 v2, s10
	s_xor_b64 exec, exec, s[6:7]
	s_cbranch_execz .LBB2_2642
; %bb.38483:
	s_getpc_b64 s[14:15]
.Lpost_getpc22825:
	s_add_u32 s14, s14, (.LBB2_16980-.Lpost_getpc22825)&4294967295
	s_addc_u32 s15, s15, (.LBB2_16980-.Lpost_getpc22825)>>32
	s_setpc_b64 s[14:15]
.LBB2_2642:
	s_or_b64 exec, exec, s[6:7]
	s_and_saveexec_b64 s[6:7], s[4:5]
	s_cbranch_execz .LBB2_2644
.LBB2_2643:
	v_bfe_u32 v2, v8, 16, 3
	v_ffbh_u32_e32 v7, v2
	v_min_u32_e32 v7, 32, v7
	v_lshrrev_b32_e32 v3, 19, v8
	v_subrev_u32_e32 v12, 28, v7
	v_and_b32_e32 v3, 15, v3
	v_lshlrev_b32_sdwa v12, v12, v8 dst_sel:DWORD dst_unused:UNUSED_PAD src0_sel:DWORD src1_sel:WORD_1
	v_bfe_u32 v6, v8, 19, 4
	v_sub_u32_e32 v7, 29, v7
	v_and_b32_e32 v12, 7, v12
	v_cmp_eq_u16_e32 vcc, 0, v3
	v_cndmask_b32_e32 v2, v2, v12, vcc
	v_cndmask_b32_e32 v3, v6, v7, vcc
	v_lshlrev_b32_e32 v6, 8, v8
	v_mov_b32_e32 v7, 0x3b800000
	v_lshlrev_b32_e32 v2, 20, v2
	v_and_b32_e32 v6, 0x80000000, v6
	v_lshl_add_u32 v3, v3, 23, v7
	v_or3_b32 v2, v6, v3, v2
.LBB2_2644:
	s_or_b64 exec, exec, s[6:7]
	s_movk_i32 s4, 0xff
	v_and_b32_sdwa v3, v4, s4 dst_sel:DWORD dst_unused:UNUSED_PAD src0_sel:WORD_1 src1_sel:DWORD
	s_movk_i32 s4, 0x7f
	v_cmp_lt_i16_e32 vcc, s4, v3
	s_mov_b64 s[4:5], 0
                                        ; implicit-def: $sgpr10
	s_and_saveexec_b64 s[6:7], vcc
	s_xor_b64 s[6:7], exec, s[6:7]
	s_cbranch_execz .LBB2_2645
; %bb.38485:
	s_getpc_b64 s[14:15]
.Lpost_getpc22826:
	s_add_u32 s14, s14, (.LBB2_16981-.Lpost_getpc22826)&4294967295
	s_addc_u32 s15, s15, (.LBB2_16981-.Lpost_getpc22826)>>32
	s_setpc_b64 s[14:15]
.LBB2_2645:
	s_or_saveexec_b64 s[6:7], s[6:7]
	v_mov_b32_e32 v6, s10
	s_xor_b64 exec, exec, s[6:7]
	s_cbranch_execz .LBB2_2646
; %bb.38487:
	s_getpc_b64 s[14:15]
.Lpost_getpc22827:
	s_add_u32 s14, s14, (.LBB2_16984-.Lpost_getpc22827)&4294967295
	s_addc_u32 s15, s15, (.LBB2_16984-.Lpost_getpc22827)>>32
	s_setpc_b64 s[14:15]
.LBB2_2646:
	s_or_b64 exec, exec, s[6:7]
	s_and_saveexec_b64 s[6:7], s[4:5]
	s_cbranch_execz .LBB2_2648
.LBB2_2647:
	v_bfe_u32 v3, v4, 16, 3
	v_ffbh_u32_e32 v12, v3
	v_min_u32_e32 v12, 32, v12
	v_lshrrev_b32_e32 v6, 19, v4
	v_subrev_u32_e32 v13, 28, v12
	v_and_b32_e32 v6, 15, v6
	v_lshlrev_b32_sdwa v13, v13, v4 dst_sel:DWORD dst_unused:UNUSED_PAD src0_sel:DWORD src1_sel:WORD_1
	v_bfe_u32 v7, v4, 19, 4
	v_sub_u32_e32 v12, 29, v12
	v_and_b32_e32 v13, 7, v13
	v_cmp_eq_u16_e32 vcc, 0, v6
	v_cndmask_b32_e32 v3, v3, v13, vcc
	v_cndmask_b32_e32 v6, v7, v12, vcc
	v_lshlrev_b32_e32 v7, 8, v4
	v_mov_b32_e32 v12, 0x3b800000
	v_lshlrev_b32_e32 v3, 20, v3
	v_and_b32_e32 v7, 0x80000000, v7
	v_lshl_add_u32 v6, v6, 23, v12
	v_or3_b32 v6, v7, v6, v3
.LBB2_2648:
	s_or_b64 exec, exec, s[6:7]
	s_nop 0
	v_mfma_f32_16x16x4f32 a[0:3], v2, v6, a[0:3]
	s_movk_i32 s4, 0x7f
	v_cmp_gt_i16_sdwa s[6:7], v8, s4 src0_sel:BYTE_3 src1_sel:DWORD
	s_mov_b64 s[4:5], 0
                                        ; implicit-def: $sgpr10
	s_and_saveexec_b64 s[8:9], s[6:7]
	s_xor_b64 s[6:7], exec, s[8:9]
	s_cbranch_execz .LBB2_2649
; %bb.38489:
	s_getpc_b64 s[14:15]
.Lpost_getpc22828:
	s_add_u32 s14, s14, (.LBB2_16985-.Lpost_getpc22828)&4294967295
	s_addc_u32 s15, s15, (.LBB2_16985-.Lpost_getpc22828)>>32
	s_setpc_b64 s[14:15]
.LBB2_2649:
	s_or_saveexec_b64 s[6:7], s[6:7]
	v_mov_b32_e32 v2, s10
	s_xor_b64 exec, exec, s[6:7]
	s_cbranch_execz .LBB2_2650
; %bb.38491:
	s_getpc_b64 s[14:15]
.Lpost_getpc22829:
	s_add_u32 s14, s14, (.LBB2_16988-.Lpost_getpc22829)&4294967295
	s_addc_u32 s15, s15, (.LBB2_16988-.Lpost_getpc22829)>>32
	s_setpc_b64 s[14:15]
.LBB2_2650:
	s_or_b64 exec, exec, s[6:7]
	s_and_saveexec_b64 s[6:7], s[4:5]
	s_cbranch_execz .LBB2_2652
.LBB2_2651:
	v_bfe_u32 v2, v8, 24, 3
	v_ffbh_u32_e32 v12, v2
	v_min_u32_e32 v12, 32, v12
	v_lshrrev_b32_e32 v6, 27, v8
	v_subrev_u32_e32 v13, 28, v12
	v_and_b32_e32 v3, 0x80000000, v8
	v_and_b32_e32 v6, 15, v6
	v_bfe_u32 v7, v8, 27, 4
	v_lshlrev_b32_sdwa v8, v13, v8 dst_sel:DWORD dst_unused:UNUSED_PAD src0_sel:DWORD src1_sel:BYTE_3
	v_sub_u32_e32 v12, 29, v12
	v_and_b32_e32 v8, 7, v8
	v_cmp_eq_u16_e32 vcc, 0, v6
	v_cndmask_b32_e32 v2, v2, v8, vcc
	v_cndmask_b32_e32 v6, v7, v12, vcc
	v_mov_b32_e32 v7, 0x3b800000
	v_lshlrev_b32_e32 v2, 20, v2
	v_lshl_add_u32 v6, v6, 23, v7
	v_or3_b32 v2, v3, v6, v2
.LBB2_2652:
	s_or_b64 exec, exec, s[6:7]
	s_movk_i32 s4, 0x7f
	v_cmp_gt_i16_sdwa s[6:7], v4, s4 src0_sel:BYTE_3 src1_sel:DWORD
	s_mov_b64 s[4:5], 0
                                        ; implicit-def: $sgpr10
	s_and_saveexec_b64 s[8:9], s[6:7]
	s_xor_b64 s[6:7], exec, s[8:9]
	s_cbranch_execz .LBB2_2653
; %bb.38493:
	s_getpc_b64 s[14:15]
.Lpost_getpc22830:
	s_add_u32 s14, s14, (.LBB2_16989-.Lpost_getpc22830)&4294967295
	s_addc_u32 s15, s15, (.LBB2_16989-.Lpost_getpc22830)>>32
	s_setpc_b64 s[14:15]
.LBB2_2653:
	s_or_saveexec_b64 s[6:7], s[6:7]
	v_mov_b32_e32 v3, s10
	s_xor_b64 exec, exec, s[6:7]
	s_cbranch_execz .LBB2_2654
; %bb.38495:
	s_getpc_b64 s[14:15]
.Lpost_getpc22831:
	s_add_u32 s14, s14, (.LBB2_16992-.Lpost_getpc22831)&4294967295
	s_addc_u32 s15, s15, (.LBB2_16992-.Lpost_getpc22831)>>32
	s_setpc_b64 s[14:15]
.LBB2_2654:
	s_or_b64 exec, exec, s[6:7]
	s_and_saveexec_b64 s[6:7], s[4:5]
	s_cbranch_execz .LBB2_2656
.LBB2_2655:
	v_bfe_u32 v3, v4, 24, 3
	v_ffbh_u32_e32 v12, v3
	v_min_u32_e32 v12, 32, v12
	v_lshrrev_b32_e32 v7, 27, v4
	v_subrev_u32_e32 v13, 28, v12
	v_and_b32_e32 v6, 0x80000000, v4
	v_and_b32_e32 v7, 15, v7
	v_bfe_u32 v8, v4, 27, 4
	v_lshlrev_b32_sdwa v4, v13, v4 dst_sel:DWORD dst_unused:UNUSED_PAD src0_sel:DWORD src1_sel:BYTE_3
	v_sub_u32_e32 v12, 29, v12
	v_and_b32_e32 v4, 7, v4
	v_cmp_eq_u16_e32 vcc, 0, v7
	v_cndmask_b32_e32 v3, v3, v4, vcc
	v_cndmask_b32_e32 v4, v8, v12, vcc
	v_mov_b32_e32 v7, 0x3b800000
	v_lshlrev_b32_e32 v3, 20, v3
	v_lshl_add_u32 v4, v4, 23, v7
	v_or3_b32 v3, v6, v4, v3
.LBB2_2656:
	s_or_b64 exec, exec, s[6:7]
	s_nop 0
	v_mfma_f32_16x16x4f32 a[0:3], v2, v3, a[0:3]
	s_movk_i32 s4, 0x7f
	v_cmp_gt_i16_sdwa s[6:7], v9, s4 src0_sel:BYTE_0 src1_sel:DWORD
	s_mov_b64 s[4:5], 0
                                        ; implicit-def: $sgpr10
	s_and_saveexec_b64 s[8:9], s[6:7]
	s_xor_b64 s[6:7], exec, s[8:9]
	s_cbranch_execz .LBB2_2657
; %bb.38497:
	s_getpc_b64 s[14:15]
.Lpost_getpc22832:
	s_add_u32 s14, s14, (.LBB2_16993-.Lpost_getpc22832)&4294967295
	s_addc_u32 s15, s15, (.LBB2_16993-.Lpost_getpc22832)>>32
	s_setpc_b64 s[14:15]
.LBB2_2657:
	s_or_saveexec_b64 s[6:7], s[6:7]
	v_mov_b32_e32 v2, s10
	s_xor_b64 exec, exec, s[6:7]
	s_cbranch_execz .LBB2_2658
; %bb.38499:
	s_getpc_b64 s[14:15]
.Lpost_getpc22833:
	s_add_u32 s14, s14, (.LBB2_16996-.Lpost_getpc22833)&4294967295
	s_addc_u32 s15, s15, (.LBB2_16996-.Lpost_getpc22833)>>32
	s_setpc_b64 s[14:15]
.LBB2_2658:
	s_or_b64 exec, exec, s[6:7]
	s_and_saveexec_b64 s[6:7], s[4:5]
	s_cbranch_execz .LBB2_2660
.LBB2_2659:
	v_mov_b32_e32 v2, 8
	v_and_b32_e32 v3, 7, v9
	v_lshrrev_b32_sdwa v2, v2, v9 dst_sel:BYTE_1 dst_unused:UNUSED_PAD src0_sel:DWORD src1_sel:DWORD
	v_ffbh_u32_e32 v4, v3
	v_or_b32_sdwa v2, v9, v2 dst_sel:DWORD dst_unused:UNUSED_PAD src0_sel:BYTE_0 src1_sel:DWORD
	v_min_u32_e32 v4, 32, v4
	v_lshrrev_b16_e32 v2, 3, v2
	v_subrev_u32_e32 v6, 28, v4
	v_and_b32_e32 v2, 15, v2
	v_lshlrev_b32_e32 v6, v6, v9
	v_sub_u32_e32 v4, 29, v4
	v_and_b32_e32 v6, 7, v6
	v_cmp_eq_u16_e32 vcc, 0, v2
	v_cndmask_b32_e32 v3, v3, v6, vcc
	v_cndmask_b32_e32 v2, v2, v4, vcc
	v_lshlrev_b32_e32 v4, 24, v9
	v_mov_b32_e32 v6, 0x3b800000
	v_lshlrev_b32_e32 v3, 20, v3
	v_and_b32_e32 v4, 0x80000000, v4
	v_lshl_add_u32 v2, v2, 23, v6
	v_or3_b32 v2, v4, v2, v3
.LBB2_2660:
	s_or_b64 exec, exec, s[6:7]
	s_movk_i32 s4, 0x7f
	v_cmp_gt_i16_sdwa s[6:7], v5, s4 src0_sel:BYTE_0 src1_sel:DWORD
	s_mov_b64 s[4:5], 0
                                        ; implicit-def: $sgpr10
	s_and_saveexec_b64 s[8:9], s[6:7]
	s_xor_b64 s[6:7], exec, s[8:9]
	s_cbranch_execz .LBB2_2661
; %bb.38501:
	s_getpc_b64 s[14:15]
.Lpost_getpc22834:
	s_add_u32 s14, s14, (.LBB2_16997-.Lpost_getpc22834)&4294967295
	s_addc_u32 s15, s15, (.LBB2_16997-.Lpost_getpc22834)>>32
	s_setpc_b64 s[14:15]
.LBB2_2661:
	s_or_saveexec_b64 s[6:7], s[6:7]
	v_mov_b32_e32 v3, s10
	s_xor_b64 exec, exec, s[6:7]
	s_cbranch_execz .LBB2_2662
; %bb.38503:
	s_getpc_b64 s[14:15]
.Lpost_getpc22835:
	s_add_u32 s14, s14, (.LBB2_17000-.Lpost_getpc22835)&4294967295
	s_addc_u32 s15, s15, (.LBB2_17000-.Lpost_getpc22835)>>32
	s_setpc_b64 s[14:15]
.LBB2_2662:
	s_or_b64 exec, exec, s[6:7]
	s_and_saveexec_b64 s[6:7], s[4:5]
	s_cbranch_execz .LBB2_2664
.LBB2_2663:
	v_mov_b32_e32 v3, 8
	v_and_b32_e32 v4, 7, v5
	v_lshrrev_b32_sdwa v3, v3, v5 dst_sel:BYTE_1 dst_unused:UNUSED_PAD src0_sel:DWORD src1_sel:DWORD
	v_ffbh_u32_e32 v6, v4
	v_or_b32_sdwa v3, v5, v3 dst_sel:DWORD dst_unused:UNUSED_PAD src0_sel:BYTE_0 src1_sel:DWORD
	v_min_u32_e32 v6, 32, v6
	v_lshrrev_b16_e32 v3, 3, v3
	v_subrev_u32_e32 v7, 28, v6
	v_and_b32_e32 v3, 15, v3
	v_lshlrev_b32_e32 v7, v7, v5
	v_sub_u32_e32 v6, 29, v6
	v_and_b32_e32 v7, 7, v7
	v_cmp_eq_u16_e32 vcc, 0, v3
	v_cndmask_b32_e32 v4, v4, v7, vcc
	v_cndmask_b32_e32 v3, v3, v6, vcc
	v_lshlrev_b32_e32 v6, 24, v5
	v_mov_b32_e32 v7, 0x3b800000
	v_lshlrev_b32_e32 v4, 20, v4
	v_and_b32_e32 v6, 0x80000000, v6
	v_lshl_add_u32 v3, v3, 23, v7
	v_or3_b32 v3, v6, v3, v4
.LBB2_2664:
	s_or_b64 exec, exec, s[6:7]
	s_nop 0
	v_mfma_f32_16x16x4f32 a[0:3], v2, v3, a[0:3]
	v_lshrrev_b32_e32 v3, 8, v9
	s_movk_i32 s4, 0x7f
	v_cmp_gt_i16_sdwa s[6:7], v3, s4 src0_sel:BYTE_0 src1_sel:DWORD
	s_mov_b64 s[4:5], 0
                                        ; implicit-def: $sgpr10
	s_and_saveexec_b64 s[8:9], s[6:7]
	s_xor_b64 s[6:7], exec, s[8:9]
	s_cbranch_execz .LBB2_2665
; %bb.38505:
	s_getpc_b64 s[14:15]
.Lpost_getpc22836:
	s_add_u32 s14, s14, (.LBB2_17001-.Lpost_getpc22836)&4294967295
	s_addc_u32 s15, s15, (.LBB2_17001-.Lpost_getpc22836)>>32
	s_setpc_b64 s[14:15]
.LBB2_2665:
	s_or_saveexec_b64 s[6:7], s[6:7]
	v_mov_b32_e32 v2, s10
	s_xor_b64 exec, exec, s[6:7]
	s_cbranch_execz .LBB2_2666
; %bb.38507:
	s_getpc_b64 s[14:15]
.Lpost_getpc22837:
	s_add_u32 s14, s14, (.LBB2_17004-.Lpost_getpc22837)&4294967295
	s_addc_u32 s15, s15, (.LBB2_17004-.Lpost_getpc22837)>>32
	s_setpc_b64 s[14:15]
.LBB2_2666:
	s_or_b64 exec, exec, s[6:7]
	s_and_saveexec_b64 s[6:7], s[4:5]
	s_cbranch_execz .LBB2_2668
.LBB2_2667:
	v_bfe_u32 v2, v9, 8, 3
	v_ffbh_u32_e32 v6, v2
	v_min_u32_e32 v6, 32, v6
	v_lshrrev_b16_e32 v4, 3, v3
	v_subrev_u32_e32 v7, 28, v6
	v_and_b32_e32 v4, 15, v4
	v_lshlrev_b32_e32 v3, v7, v3
	v_sub_u32_e32 v6, 29, v6
	v_and_b32_e32 v3, 7, v3
	v_cmp_eq_u16_e32 vcc, 0, v4
	v_cndmask_b32_e32 v2, v2, v3, vcc
	v_cndmask_b32_e32 v3, v4, v6, vcc
	v_lshlrev_b32_e32 v4, 16, v9
	v_mov_b32_e32 v6, 0x3b800000
	v_lshlrev_b32_e32 v2, 20, v2
	v_and_b32_e32 v4, 0x80000000, v4
	v_lshl_add_u32 v3, v3, 23, v6
	v_or3_b32 v2, v4, v3, v2
.LBB2_2668:
	s_or_b64 exec, exec, s[6:7]
	v_lshrrev_b32_e32 v3, 8, v5
	s_movk_i32 s4, 0x7f
	v_cmp_gt_i16_sdwa s[6:7], v3, s4 src0_sel:BYTE_0 src1_sel:DWORD
	s_mov_b64 s[4:5], 0
                                        ; implicit-def: $sgpr10
	s_and_saveexec_b64 s[8:9], s[6:7]
	s_xor_b64 s[6:7], exec, s[8:9]
	s_cbranch_execz .LBB2_2669
; %bb.38509:
	s_getpc_b64 s[14:15]
.Lpost_getpc22838:
	s_add_u32 s14, s14, (.LBB2_17005-.Lpost_getpc22838)&4294967295
	s_addc_u32 s15, s15, (.LBB2_17005-.Lpost_getpc22838)>>32
	s_setpc_b64 s[14:15]
.LBB2_2669:
	s_or_saveexec_b64 s[6:7], s[6:7]
	v_mov_b32_e32 v4, s10
	s_xor_b64 exec, exec, s[6:7]
	s_cbranch_execz .LBB2_2670
; %bb.38511:
	s_getpc_b64 s[14:15]
.Lpost_getpc22839:
	s_add_u32 s14, s14, (.LBB2_17008-.Lpost_getpc22839)&4294967295
	s_addc_u32 s15, s15, (.LBB2_17008-.Lpost_getpc22839)>>32
	s_setpc_b64 s[14:15]
.LBB2_2670:
	s_or_b64 exec, exec, s[6:7]
	s_and_saveexec_b64 s[6:7], s[4:5]
	s_cbranch_execz .LBB2_2672
.LBB2_2671:
	v_bfe_u32 v4, v5, 8, 3
	v_ffbh_u32_e32 v7, v4
	v_min_u32_e32 v7, 32, v7
	v_lshrrev_b16_e32 v6, 3, v3
	v_subrev_u32_e32 v8, 28, v7
	v_and_b32_e32 v6, 15, v6
	v_lshlrev_b32_e32 v3, v8, v3
	v_sub_u32_e32 v7, 29, v7
	v_and_b32_e32 v3, 7, v3
	v_cmp_eq_u16_e32 vcc, 0, v6
	v_cndmask_b32_e32 v3, v4, v3, vcc
	v_cndmask_b32_e32 v4, v6, v7, vcc
	v_lshlrev_b32_e32 v6, 16, v5
	v_mov_b32_e32 v7, 0x3b800000
	v_lshlrev_b32_e32 v3, 20, v3
	v_and_b32_e32 v6, 0x80000000, v6
	v_lshl_add_u32 v4, v4, 23, v7
	v_or3_b32 v4, v6, v4, v3
.LBB2_2672:
	s_or_b64 exec, exec, s[6:7]
	s_nop 0
	v_mfma_f32_16x16x4f32 a[0:3], v2, v4, a[0:3]
	s_movk_i32 s4, 0xff
	v_and_b32_sdwa v3, v9, s4 dst_sel:DWORD dst_unused:UNUSED_PAD src0_sel:WORD_1 src1_sel:DWORD
	s_movk_i32 s4, 0x7f
	v_cmp_lt_i16_e32 vcc, s4, v3
	s_mov_b64 s[4:5], 0
                                        ; implicit-def: $sgpr10
	s_and_saveexec_b64 s[6:7], vcc
	s_xor_b64 s[6:7], exec, s[6:7]
	s_cbranch_execz .LBB2_2673
; %bb.38513:
	s_getpc_b64 s[14:15]
.Lpost_getpc22840:
	s_add_u32 s14, s14, (.LBB2_17009-.Lpost_getpc22840)&4294967295
	s_addc_u32 s15, s15, (.LBB2_17009-.Lpost_getpc22840)>>32
	s_setpc_b64 s[14:15]
.LBB2_2673:
	s_or_saveexec_b64 s[6:7], s[6:7]
	v_mov_b32_e32 v2, s10
	s_xor_b64 exec, exec, s[6:7]
	s_cbranch_execz .LBB2_2674
; %bb.38515:
	s_getpc_b64 s[14:15]
.Lpost_getpc22841:
	s_add_u32 s14, s14, (.LBB2_17012-.Lpost_getpc22841)&4294967295
	s_addc_u32 s15, s15, (.LBB2_17012-.Lpost_getpc22841)>>32
	s_setpc_b64 s[14:15]
.LBB2_2674:
	s_or_b64 exec, exec, s[6:7]
	s_and_saveexec_b64 s[6:7], s[4:5]
	s_cbranch_execz .LBB2_2676
.LBB2_2675:
	v_bfe_u32 v2, v9, 16, 3
	v_ffbh_u32_e32 v6, v2
	v_min_u32_e32 v6, 32, v6
	v_lshrrev_b32_e32 v3, 19, v9
	v_subrev_u32_e32 v7, 28, v6
	v_and_b32_e32 v3, 15, v3
	v_lshlrev_b32_sdwa v7, v7, v9 dst_sel:DWORD dst_unused:UNUSED_PAD src0_sel:DWORD src1_sel:WORD_1
	v_bfe_u32 v4, v9, 19, 4
	v_sub_u32_e32 v6, 29, v6
	v_and_b32_e32 v7, 7, v7
	v_cmp_eq_u16_e32 vcc, 0, v3
	v_cndmask_b32_e32 v2, v2, v7, vcc
	v_cndmask_b32_e32 v3, v4, v6, vcc
	v_lshlrev_b32_e32 v4, 8, v9
	v_mov_b32_e32 v6, 0x3b800000
	v_lshlrev_b32_e32 v2, 20, v2
	v_and_b32_e32 v4, 0x80000000, v4
	v_lshl_add_u32 v3, v3, 23, v6
	v_or3_b32 v2, v4, v3, v2
.LBB2_2676:
	s_or_b64 exec, exec, s[6:7]
	s_movk_i32 s4, 0xff
	v_and_b32_sdwa v3, v5, s4 dst_sel:DWORD dst_unused:UNUSED_PAD src0_sel:WORD_1 src1_sel:DWORD
	s_movk_i32 s4, 0x7f
	v_cmp_lt_i16_e32 vcc, s4, v3
	s_mov_b64 s[4:5], 0
                                        ; implicit-def: $sgpr10
	s_and_saveexec_b64 s[6:7], vcc
	s_xor_b64 s[6:7], exec, s[6:7]
	s_cbranch_execz .LBB2_2677
; %bb.38517:
	s_getpc_b64 s[14:15]
.Lpost_getpc22842:
	s_add_u32 s14, s14, (.LBB2_17013-.Lpost_getpc22842)&4294967295
	s_addc_u32 s15, s15, (.LBB2_17013-.Lpost_getpc22842)>>32
	s_setpc_b64 s[14:15]
.LBB2_2677:
	s_or_saveexec_b64 s[6:7], s[6:7]
	v_mov_b32_e32 v4, s10
	s_xor_b64 exec, exec, s[6:7]
	s_cbranch_execz .LBB2_2678
; %bb.38519:
	s_getpc_b64 s[14:15]
.Lpost_getpc22843:
	s_add_u32 s14, s14, (.LBB2_17016-.Lpost_getpc22843)&4294967295
	s_addc_u32 s15, s15, (.LBB2_17016-.Lpost_getpc22843)>>32
	s_setpc_b64 s[14:15]
.LBB2_2678:
	s_or_b64 exec, exec, s[6:7]
	s_and_saveexec_b64 s[6:7], s[4:5]
	s_cbranch_execz .LBB2_2680
.LBB2_2679:
	v_bfe_u32 v3, v5, 16, 3
	v_ffbh_u32_e32 v7, v3
	v_min_u32_e32 v7, 32, v7
	v_lshrrev_b32_e32 v4, 19, v5
	v_subrev_u32_e32 v8, 28, v7
	v_and_b32_e32 v4, 15, v4
	v_lshlrev_b32_sdwa v8, v8, v5 dst_sel:DWORD dst_unused:UNUSED_PAD src0_sel:DWORD src1_sel:WORD_1
	v_bfe_u32 v6, v5, 19, 4
	v_sub_u32_e32 v7, 29, v7
	v_and_b32_e32 v8, 7, v8
	v_cmp_eq_u16_e32 vcc, 0, v4
	v_cndmask_b32_e32 v3, v3, v8, vcc
	v_cndmask_b32_e32 v4, v6, v7, vcc
	v_lshlrev_b32_e32 v6, 8, v5
	v_mov_b32_e32 v7, 0x3b800000
	v_lshlrev_b32_e32 v3, 20, v3
	v_and_b32_e32 v6, 0x80000000, v6
	v_lshl_add_u32 v4, v4, 23, v7
	v_or3_b32 v4, v6, v4, v3
.LBB2_2680:
	s_or_b64 exec, exec, s[6:7]
	s_nop 0
	v_mfma_f32_16x16x4f32 a[0:3], v2, v4, a[0:3]
	s_movk_i32 s4, 0x7f
	v_cmp_gt_i16_sdwa s[6:7], v9, s4 src0_sel:BYTE_3 src1_sel:DWORD
	s_mov_b64 s[4:5], 0
                                        ; implicit-def: $sgpr10
	s_and_saveexec_b64 s[8:9], s[6:7]
	s_xor_b64 s[6:7], exec, s[8:9]
	s_cbranch_execz .LBB2_2681
; %bb.38521:
	s_getpc_b64 s[14:15]
.Lpost_getpc22844:
	s_add_u32 s14, s14, (.LBB2_17017-.Lpost_getpc22844)&4294967295
	s_addc_u32 s15, s15, (.LBB2_17017-.Lpost_getpc22844)>>32
	s_setpc_b64 s[14:15]
.LBB2_2681:
	s_or_saveexec_b64 s[6:7], s[6:7]
	v_mov_b32_e32 v2, s10
	s_xor_b64 exec, exec, s[6:7]
	s_cbranch_execz .LBB2_2682
; %bb.38523:
	s_getpc_b64 s[14:15]
.Lpost_getpc22845:
	s_add_u32 s14, s14, (.LBB2_17020-.Lpost_getpc22845)&4294967295
	s_addc_u32 s15, s15, (.LBB2_17020-.Lpost_getpc22845)>>32
	s_setpc_b64 s[14:15]
.LBB2_2682:
	s_or_b64 exec, exec, s[6:7]
	s_and_saveexec_b64 s[6:7], s[4:5]
	s_cbranch_execz .LBB2_2684
.LBB2_2683:
	v_bfe_u32 v2, v9, 24, 3
	v_ffbh_u32_e32 v7, v2
	v_min_u32_e32 v7, 32, v7
	v_lshrrev_b32_e32 v4, 27, v9
	v_subrev_u32_e32 v8, 28, v7
	v_and_b32_e32 v4, 15, v4
	v_lshlrev_b32_sdwa v8, v8, v9 dst_sel:DWORD dst_unused:UNUSED_PAD src0_sel:DWORD src1_sel:BYTE_3
	v_bfe_u32 v6, v9, 27, 4
	v_sub_u32_e32 v7, 29, v7
	v_and_b32_e32 v8, 7, v8
	v_cmp_eq_u16_e32 vcc, 0, v4
	v_cndmask_b32_e32 v2, v2, v8, vcc
	v_cndmask_b32_e32 v4, v6, v7, vcc
	v_mov_b32_e32 v6, 0x3b800000
	v_and_b32_e32 v3, 0x80000000, v9
	v_lshlrev_b32_e32 v2, 20, v2
	v_lshl_add_u32 v4, v4, 23, v6
	v_or3_b32 v2, v3, v4, v2
.LBB2_2684:
	s_or_b64 exec, exec, s[6:7]
	s_movk_i32 s4, 0x7f
	v_cmp_gt_i16_sdwa s[6:7], v5, s4 src0_sel:BYTE_3 src1_sel:DWORD
	s_mov_b64 s[4:5], 0
                                        ; implicit-def: $sgpr10
	s_and_saveexec_b64 s[8:9], s[6:7]
	s_xor_b64 s[6:7], exec, s[8:9]
	s_cbranch_execz .LBB2_2685
; %bb.38525:
	s_getpc_b64 s[14:15]
.Lpost_getpc22846:
	s_add_u32 s14, s14, (.LBB2_17021-.Lpost_getpc22846)&4294967295
	s_addc_u32 s15, s15, (.LBB2_17021-.Lpost_getpc22846)>>32
	s_setpc_b64 s[14:15]
.LBB2_2685:
	s_or_saveexec_b64 s[6:7], s[6:7]
	v_mov_b32_e32 v3, s10
	s_xor_b64 exec, exec, s[6:7]
	s_cbranch_execz .LBB2_2686
; %bb.38527:
	s_getpc_b64 s[14:15]
.Lpost_getpc22847:
	s_add_u32 s14, s14, (.LBB2_17024-.Lpost_getpc22847)&4294967295
	s_addc_u32 s15, s15, (.LBB2_17024-.Lpost_getpc22847)>>32
	s_setpc_b64 s[14:15]
.LBB2_2686:
	s_or_b64 exec, exec, s[6:7]
	s_and_saveexec_b64 s[6:7], s[4:5]
	s_cbranch_execz .LBB2_2688
.LBB2_2687:
	v_bfe_u32 v3, v5, 24, 3
	v_ffbh_u32_e32 v8, v3
	v_min_u32_e32 v8, 32, v8
	v_lshrrev_b32_e32 v6, 27, v5
	v_subrev_u32_e32 v9, 28, v8
	v_and_b32_e32 v4, 0x80000000, v5
	v_and_b32_e32 v6, 15, v6
	v_bfe_u32 v7, v5, 27, 4
	v_lshlrev_b32_sdwa v5, v9, v5 dst_sel:DWORD dst_unused:UNUSED_PAD src0_sel:DWORD src1_sel:BYTE_3
	v_sub_u32_e32 v8, 29, v8
	v_and_b32_e32 v5, 7, v5
	v_cmp_eq_u16_e32 vcc, 0, v6
	v_cndmask_b32_e32 v3, v3, v5, vcc
	v_cndmask_b32_e32 v5, v7, v8, vcc
	v_mov_b32_e32 v6, 0x3b800000
	v_lshlrev_b32_e32 v3, 20, v3
	v_lshl_add_u32 v5, v5, 23, v6
	v_or3_b32 v3, v4, v5, v3
.LBB2_2688:
	s_or_b64 exec, exec, s[6:7]
	s_nop 0
	v_mfma_f32_16x16x4f32 a[0:3], v2, v3, a[0:3]
	s_movk_i32 s4, 0x7f
                                        ; implicit-def: $sgpr10
	s_nop 7
	s_nop 1
	flat_store_dwordx4 v[10:11], a[0:3] offset:320
	flat_load_dwordx4 v[12:15], v[0:1]
	s_nop 0
	flat_load_dwordx2 v[10:11], v[0:1] offset:16
	s_waitcnt vmcnt(0) lgkmcnt(0)
	flat_load_dwordx4 v[6:9], v[12:13] offset:32
	flat_load_dwordx4 v[2:5], v[14:15] offset:80
	s_waitcnt vmcnt(0) lgkmcnt(0)
	v_cmp_gt_i16_sdwa s[6:7], v6, s4 src0_sel:BYTE_0 src1_sel:DWORD
	s_mov_b64 s[4:5], 0
	s_and_saveexec_b64 s[8:9], s[6:7]
	s_xor_b64 s[6:7], exec, s[8:9]
	s_cbranch_execz .LBB2_2689
; %bb.38529:
	s_getpc_b64 s[14:15]
.Lpost_getpc22848:
	s_add_u32 s14, s14, (.LBB2_17025-.Lpost_getpc22848)&4294967295
	s_addc_u32 s15, s15, (.LBB2_17025-.Lpost_getpc22848)>>32
	s_setpc_b64 s[14:15]
.LBB2_2689:
	s_or_saveexec_b64 s[6:7], s[6:7]
	v_mov_b32_e32 v12, s10
	s_xor_b64 exec, exec, s[6:7]
	s_cbranch_execz .LBB2_2690
; %bb.38531:
	s_getpc_b64 s[14:15]
.Lpost_getpc22849:
	s_add_u32 s14, s14, (.LBB2_17028-.Lpost_getpc22849)&4294967295
	s_addc_u32 s15, s15, (.LBB2_17028-.Lpost_getpc22849)>>32
	s_setpc_b64 s[14:15]
.LBB2_2690:
	s_or_b64 exec, exec, s[6:7]
	s_and_saveexec_b64 s[6:7], s[4:5]
	s_cbranch_execz .LBB2_2692
.LBB2_2691:
	v_and_b32_e32 v12, 7, v6
	v_ffbh_u32_e32 v14, v12
	v_min_u32_e32 v14, 32, v14
	v_lshrrev_b16_e32 v13, 3, v6
	v_subrev_u32_e32 v15, 28, v14
	v_and_b32_e32 v13, 15, v13
	v_lshlrev_b32_e32 v15, v15, v6
	v_sub_u32_e32 v14, 29, v14
	v_and_b32_e32 v15, 7, v15
	v_cmp_eq_u16_e32 vcc, 0, v13
	v_cndmask_b32_e32 v12, v12, v15, vcc
	v_cndmask_b32_e32 v13, v13, v14, vcc
	v_lshlrev_b32_e32 v14, 24, v6
	v_mov_b32_e32 v15, 0x3b800000
	v_lshlrev_b32_e32 v12, 20, v12
	v_and_b32_e32 v14, 0x80000000, v14
	v_lshl_add_u32 v13, v13, 23, v15
	v_or3_b32 v12, v14, v13, v12
.LBB2_2692:
	s_or_b64 exec, exec, s[6:7]
	s_movk_i32 s4, 0x7f
	v_cmp_gt_i16_sdwa s[6:7], v2, s4 src0_sel:BYTE_0 src1_sel:DWORD
	s_mov_b64 s[4:5], 0
                                        ; implicit-def: $sgpr10
	s_and_saveexec_b64 s[8:9], s[6:7]
	s_xor_b64 s[6:7], exec, s[8:9]
	s_cbranch_execz .LBB2_2693
; %bb.38533:
	s_getpc_b64 s[14:15]
.Lpost_getpc22850:
	s_add_u32 s14, s14, (.LBB2_17029-.Lpost_getpc22850)&4294967295
	s_addc_u32 s15, s15, (.LBB2_17029-.Lpost_getpc22850)>>32
	s_setpc_b64 s[14:15]
.LBB2_2693:
	s_or_saveexec_b64 s[6:7], s[6:7]
	v_mov_b32_e32 v13, s10
	s_xor_b64 exec, exec, s[6:7]
	s_cbranch_execz .LBB2_2694
; %bb.38535:
	s_getpc_b64 s[14:15]
.Lpost_getpc22851:
	s_add_u32 s14, s14, (.LBB2_17032-.Lpost_getpc22851)&4294967295
	s_addc_u32 s15, s15, (.LBB2_17032-.Lpost_getpc22851)>>32
	s_setpc_b64 s[14:15]
.LBB2_2694:
	s_or_b64 exec, exec, s[6:7]
	s_and_saveexec_b64 s[6:7], s[4:5]
	s_cbranch_execz .LBB2_2696
.LBB2_2695:
	v_and_b32_e32 v13, 7, v2
	v_ffbh_u32_e32 v15, v13
	v_min_u32_e32 v15, 32, v15
	v_lshrrev_b16_e32 v14, 3, v2
	v_subrev_u32_e32 v16, 28, v15
	v_and_b32_e32 v14, 15, v14
	v_lshlrev_b32_e32 v16, v16, v2
	v_sub_u32_e32 v15, 29, v15
	v_and_b32_e32 v16, 7, v16
	v_cmp_eq_u16_e32 vcc, 0, v14
	v_cndmask_b32_e32 v13, v13, v16, vcc
	v_cndmask_b32_e32 v14, v14, v15, vcc
	v_lshlrev_b32_e32 v15, 24, v2
	v_mov_b32_e32 v16, 0x3b800000
	v_lshlrev_b32_e32 v13, 20, v13
	v_and_b32_e32 v15, 0x80000000, v15
	v_lshl_add_u32 v14, v14, 23, v16
	v_or3_b32 v13, v15, v14, v13
.LBB2_2696:
	s_or_b64 exec, exec, s[6:7]
	flat_load_dwordx4 a[0:3], v[10:11] offset:336
	s_movk_i32 s4, 0x7f
                                        ; implicit-def: $sgpr10
	s_waitcnt vmcnt(0) lgkmcnt(0)
	v_mfma_f32_16x16x4f32 a[0:3], v12, v13, a[0:3]
	v_lshrrev_b32_e32 v13, 8, v6
	v_cmp_gt_i16_sdwa s[6:7], v13, s4 src0_sel:BYTE_0 src1_sel:DWORD
	s_mov_b64 s[4:5], 0
	s_and_saveexec_b64 s[8:9], s[6:7]
	s_xor_b64 s[6:7], exec, s[8:9]
	s_cbranch_execz .LBB2_2697
; %bb.38537:
	s_getpc_b64 s[14:15]
.Lpost_getpc22852:
	s_add_u32 s14, s14, (.LBB2_17033-.Lpost_getpc22852)&4294967295
	s_addc_u32 s15, s15, (.LBB2_17033-.Lpost_getpc22852)>>32
	s_setpc_b64 s[14:15]
.LBB2_2697:
	s_or_saveexec_b64 s[6:7], s[6:7]
	v_mov_b32_e32 v12, s10
	s_xor_b64 exec, exec, s[6:7]
	s_cbranch_execz .LBB2_2698
; %bb.38539:
	s_getpc_b64 s[14:15]
.Lpost_getpc22853:
	s_add_u32 s14, s14, (.LBB2_17036-.Lpost_getpc22853)&4294967295
	s_addc_u32 s15, s15, (.LBB2_17036-.Lpost_getpc22853)>>32
	s_setpc_b64 s[14:15]
.LBB2_2698:
	s_or_b64 exec, exec, s[6:7]
	s_and_saveexec_b64 s[6:7], s[4:5]
	s_cbranch_execz .LBB2_2700
.LBB2_2699:
	v_bfe_u32 v12, v6, 8, 3
	v_ffbh_u32_e32 v15, v12
	v_min_u32_e32 v15, 32, v15
	v_lshrrev_b16_e32 v14, 3, v13
	v_subrev_u32_e32 v16, 28, v15
	v_and_b32_e32 v14, 15, v14
	v_lshlrev_b32_e32 v13, v16, v13
	v_sub_u32_e32 v15, 29, v15
	v_and_b32_e32 v13, 7, v13
	v_cmp_eq_u16_e32 vcc, 0, v14
	v_cndmask_b32_e32 v12, v12, v13, vcc
	v_cndmask_b32_e32 v13, v14, v15, vcc
	v_lshlrev_b32_e32 v14, 16, v6
	v_mov_b32_e32 v15, 0x3b800000
	v_lshlrev_b32_e32 v12, 20, v12
	v_and_b32_e32 v14, 0x80000000, v14
	v_lshl_add_u32 v13, v13, 23, v15
	v_or3_b32 v12, v14, v13, v12
.LBB2_2700:
	s_or_b64 exec, exec, s[6:7]
	v_lshrrev_b32_e32 v13, 8, v2
	s_movk_i32 s4, 0x7f
	v_cmp_gt_i16_sdwa s[6:7], v13, s4 src0_sel:BYTE_0 src1_sel:DWORD
	s_mov_b64 s[4:5], 0
                                        ; implicit-def: $sgpr10
	s_and_saveexec_b64 s[8:9], s[6:7]
	s_xor_b64 s[6:7], exec, s[8:9]
	s_cbranch_execz .LBB2_2701
; %bb.38541:
	s_getpc_b64 s[14:15]
.Lpost_getpc22854:
	s_add_u32 s14, s14, (.LBB2_17037-.Lpost_getpc22854)&4294967295
	s_addc_u32 s15, s15, (.LBB2_17037-.Lpost_getpc22854)>>32
	s_setpc_b64 s[14:15]
.LBB2_2701:
	s_or_saveexec_b64 s[6:7], s[6:7]
	v_mov_b32_e32 v14, s10
	s_xor_b64 exec, exec, s[6:7]
	s_cbranch_execz .LBB2_2702
; %bb.38543:
	s_getpc_b64 s[14:15]
.Lpost_getpc22855:
	s_add_u32 s14, s14, (.LBB2_17040-.Lpost_getpc22855)&4294967295
	s_addc_u32 s15, s15, (.LBB2_17040-.Lpost_getpc22855)>>32
	s_setpc_b64 s[14:15]
.LBB2_2702:
	s_or_b64 exec, exec, s[6:7]
	s_and_saveexec_b64 s[6:7], s[4:5]
	s_cbranch_execz .LBB2_2704
.LBB2_2703:
	v_bfe_u32 v14, v2, 8, 3
	v_ffbh_u32_e32 v16, v14
	v_min_u32_e32 v16, 32, v16
	v_lshrrev_b16_e32 v15, 3, v13
	v_subrev_u32_e32 v17, 28, v16
	v_and_b32_e32 v15, 15, v15
	v_lshlrev_b32_e32 v13, v17, v13
	v_sub_u32_e32 v16, 29, v16
	v_and_b32_e32 v13, 7, v13
	v_cmp_eq_u16_e32 vcc, 0, v15
	v_cndmask_b32_e32 v13, v14, v13, vcc
	v_cndmask_b32_e32 v14, v15, v16, vcc
	v_lshlrev_b32_e32 v15, 16, v2
	v_mov_b32_e32 v16, 0x3b800000
	v_lshlrev_b32_e32 v13, 20, v13
	v_and_b32_e32 v15, 0x80000000, v15
	v_lshl_add_u32 v14, v14, 23, v16
	v_or3_b32 v14, v15, v14, v13
.LBB2_2704:
	s_or_b64 exec, exec, s[6:7]
	s_nop 0
	v_mfma_f32_16x16x4f32 a[0:3], v12, v14, a[0:3]
	s_movk_i32 s4, 0xff
	v_and_b32_sdwa v13, v6, s4 dst_sel:DWORD dst_unused:UNUSED_PAD src0_sel:WORD_1 src1_sel:DWORD
	s_movk_i32 s4, 0x7f
	v_cmp_lt_i16_e32 vcc, s4, v13
	s_mov_b64 s[4:5], 0
                                        ; implicit-def: $sgpr10
	s_and_saveexec_b64 s[6:7], vcc
	s_xor_b64 s[6:7], exec, s[6:7]
	s_cbranch_execz .LBB2_2705
; %bb.38545:
	s_getpc_b64 s[14:15]
.Lpost_getpc22856:
	s_add_u32 s14, s14, (.LBB2_17041-.Lpost_getpc22856)&4294967295
	s_addc_u32 s15, s15, (.LBB2_17041-.Lpost_getpc22856)>>32
	s_setpc_b64 s[14:15]
.LBB2_2705:
	s_or_saveexec_b64 s[6:7], s[6:7]
	v_mov_b32_e32 v12, s10
	s_xor_b64 exec, exec, s[6:7]
	s_cbranch_execz .LBB2_2706
; %bb.38547:
	s_getpc_b64 s[14:15]
.Lpost_getpc22857:
	s_add_u32 s14, s14, (.LBB2_17044-.Lpost_getpc22857)&4294967295
	s_addc_u32 s15, s15, (.LBB2_17044-.Lpost_getpc22857)>>32
	s_setpc_b64 s[14:15]
.LBB2_2706:
	s_or_b64 exec, exec, s[6:7]
	s_and_saveexec_b64 s[6:7], s[4:5]
	s_cbranch_execz .LBB2_2708
.LBB2_2707:
	v_bfe_u32 v12, v6, 16, 3
	v_ffbh_u32_e32 v15, v12
	v_min_u32_e32 v15, 32, v15
	v_lshrrev_b32_e32 v13, 19, v6
	v_subrev_u32_e32 v16, 28, v15
	v_and_b32_e32 v13, 15, v13
	v_lshlrev_b32_sdwa v16, v16, v6 dst_sel:DWORD dst_unused:UNUSED_PAD src0_sel:DWORD src1_sel:WORD_1
	v_bfe_u32 v14, v6, 19, 4
	v_sub_u32_e32 v15, 29, v15
	v_and_b32_e32 v16, 7, v16
	v_cmp_eq_u16_e32 vcc, 0, v13
	v_cndmask_b32_e32 v12, v12, v16, vcc
	v_cndmask_b32_e32 v13, v14, v15, vcc
	v_lshlrev_b32_e32 v14, 8, v6
	v_mov_b32_e32 v15, 0x3b800000
	v_lshlrev_b32_e32 v12, 20, v12
	v_and_b32_e32 v14, 0x80000000, v14
	v_lshl_add_u32 v13, v13, 23, v15
	v_or3_b32 v12, v14, v13, v12
.LBB2_2708:
	s_or_b64 exec, exec, s[6:7]
	s_movk_i32 s4, 0xff
	v_and_b32_sdwa v13, v2, s4 dst_sel:DWORD dst_unused:UNUSED_PAD src0_sel:WORD_1 src1_sel:DWORD
	s_movk_i32 s4, 0x7f
	v_cmp_lt_i16_e32 vcc, s4, v13
	s_mov_b64 s[4:5], 0
                                        ; implicit-def: $sgpr10
	s_and_saveexec_b64 s[6:7], vcc
	s_xor_b64 s[6:7], exec, s[6:7]
	s_cbranch_execz .LBB2_2709
; %bb.38549:
	s_getpc_b64 s[14:15]
.Lpost_getpc22858:
	s_add_u32 s14, s14, (.LBB2_17045-.Lpost_getpc22858)&4294967295
	s_addc_u32 s15, s15, (.LBB2_17045-.Lpost_getpc22858)>>32
	s_setpc_b64 s[14:15]
.LBB2_2709:
	s_or_saveexec_b64 s[6:7], s[6:7]
	v_mov_b32_e32 v14, s10
	s_xor_b64 exec, exec, s[6:7]
	s_cbranch_execz .LBB2_2710
; %bb.38551:
	s_getpc_b64 s[14:15]
.Lpost_getpc22859:
	s_add_u32 s14, s14, (.LBB2_17048-.Lpost_getpc22859)&4294967295
	s_addc_u32 s15, s15, (.LBB2_17048-.Lpost_getpc22859)>>32
	s_setpc_b64 s[14:15]
.LBB2_2710:
	s_or_b64 exec, exec, s[6:7]
	s_and_saveexec_b64 s[6:7], s[4:5]
	s_cbranch_execz .LBB2_2712
.LBB2_2711:
	v_bfe_u32 v13, v2, 16, 3
	v_ffbh_u32_e32 v16, v13
	v_min_u32_e32 v16, 32, v16
	v_lshrrev_b32_e32 v14, 19, v2
	v_subrev_u32_e32 v17, 28, v16
	v_and_b32_e32 v14, 15, v14
	v_lshlrev_b32_sdwa v17, v17, v2 dst_sel:DWORD dst_unused:UNUSED_PAD src0_sel:DWORD src1_sel:WORD_1
	v_bfe_u32 v15, v2, 19, 4
	v_sub_u32_e32 v16, 29, v16
	v_and_b32_e32 v17, 7, v17
	v_cmp_eq_u16_e32 vcc, 0, v14
	v_cndmask_b32_e32 v13, v13, v17, vcc
	v_cndmask_b32_e32 v14, v15, v16, vcc
	v_lshlrev_b32_e32 v15, 8, v2
	v_mov_b32_e32 v16, 0x3b800000
	v_lshlrev_b32_e32 v13, 20, v13
	v_and_b32_e32 v15, 0x80000000, v15
	v_lshl_add_u32 v14, v14, 23, v16
	v_or3_b32 v14, v15, v14, v13
.LBB2_2712:
	s_or_b64 exec, exec, s[6:7]
	s_nop 0
	v_mfma_f32_16x16x4f32 a[0:3], v12, v14, a[0:3]
	s_movk_i32 s4, 0x7f
	v_cmp_gt_i16_sdwa s[6:7], v6, s4 src0_sel:BYTE_3 src1_sel:DWORD
	s_mov_b64 s[4:5], 0
                                        ; implicit-def: $sgpr10
	s_and_saveexec_b64 s[8:9], s[6:7]
	s_xor_b64 s[6:7], exec, s[8:9]
	s_cbranch_execz .LBB2_2713
; %bb.38553:
	s_getpc_b64 s[14:15]
.Lpost_getpc22860:
	s_add_u32 s14, s14, (.LBB2_17049-.Lpost_getpc22860)&4294967295
	s_addc_u32 s15, s15, (.LBB2_17049-.Lpost_getpc22860)>>32
	s_setpc_b64 s[14:15]
.LBB2_2713:
	s_or_saveexec_b64 s[6:7], s[6:7]
	v_mov_b32_e32 v12, s10
	s_xor_b64 exec, exec, s[6:7]
	s_cbranch_execz .LBB2_2714
; %bb.38555:
	s_getpc_b64 s[14:15]
.Lpost_getpc22861:
	s_add_u32 s14, s14, (.LBB2_17052-.Lpost_getpc22861)&4294967295
	s_addc_u32 s15, s15, (.LBB2_17052-.Lpost_getpc22861)>>32
	s_setpc_b64 s[14:15]
.LBB2_2714:
	s_or_b64 exec, exec, s[6:7]
	s_and_saveexec_b64 s[6:7], s[4:5]
	s_cbranch_execz .LBB2_2716
.LBB2_2715:
	v_bfe_u32 v12, v6, 24, 3
	v_ffbh_u32_e32 v16, v12
	v_min_u32_e32 v16, 32, v16
	v_lshrrev_b32_e32 v14, 27, v6
	v_subrev_u32_e32 v17, 28, v16
	v_and_b32_e32 v13, 0x80000000, v6
	v_and_b32_e32 v14, 15, v14
	v_bfe_u32 v15, v6, 27, 4
	v_lshlrev_b32_sdwa v6, v17, v6 dst_sel:DWORD dst_unused:UNUSED_PAD src0_sel:DWORD src1_sel:BYTE_3
	v_sub_u32_e32 v16, 29, v16
	v_and_b32_e32 v6, 7, v6
	v_cmp_eq_u16_e32 vcc, 0, v14
	v_cndmask_b32_e32 v6, v12, v6, vcc
	v_cndmask_b32_e32 v12, v15, v16, vcc
	v_mov_b32_e32 v14, 0x3b800000
	v_lshlrev_b32_e32 v6, 20, v6
	v_lshl_add_u32 v12, v12, 23, v14
	v_or3_b32 v12, v13, v12, v6
.LBB2_2716:
	s_or_b64 exec, exec, s[6:7]
	s_movk_i32 s4, 0x7f
	v_cmp_gt_i16_sdwa s[6:7], v2, s4 src0_sel:BYTE_3 src1_sel:DWORD
	s_mov_b64 s[4:5], 0
                                        ; implicit-def: $sgpr10
	s_and_saveexec_b64 s[8:9], s[6:7]
	s_xor_b64 s[6:7], exec, s[8:9]
	s_cbranch_execz .LBB2_2717
; %bb.38557:
	s_getpc_b64 s[14:15]
.Lpost_getpc22862:
	s_add_u32 s14, s14, (.LBB2_17053-.Lpost_getpc22862)&4294967295
	s_addc_u32 s15, s15, (.LBB2_17053-.Lpost_getpc22862)>>32
	s_setpc_b64 s[14:15]
.LBB2_2717:
	s_or_saveexec_b64 s[6:7], s[6:7]
	v_mov_b32_e32 v6, s10
	s_xor_b64 exec, exec, s[6:7]
	s_cbranch_execz .LBB2_2718
; %bb.38559:
	s_getpc_b64 s[14:15]
.Lpost_getpc22863:
	s_add_u32 s14, s14, (.LBB2_17056-.Lpost_getpc22863)&4294967295
	s_addc_u32 s15, s15, (.LBB2_17056-.Lpost_getpc22863)>>32
	s_setpc_b64 s[14:15]
.LBB2_2718:
	s_or_b64 exec, exec, s[6:7]
	s_and_saveexec_b64 s[6:7], s[4:5]
	s_cbranch_execz .LBB2_2720
.LBB2_2719:
	v_bfe_u32 v6, v2, 24, 3
	v_ffbh_u32_e32 v16, v6
	v_min_u32_e32 v16, 32, v16
	v_lshrrev_b32_e32 v14, 27, v2
	v_subrev_u32_e32 v17, 28, v16
	v_and_b32_e32 v13, 0x80000000, v2
	v_and_b32_e32 v14, 15, v14
	v_bfe_u32 v15, v2, 27, 4
	v_lshlrev_b32_sdwa v2, v17, v2 dst_sel:DWORD dst_unused:UNUSED_PAD src0_sel:DWORD src1_sel:BYTE_3
	v_sub_u32_e32 v16, 29, v16
	v_and_b32_e32 v2, 7, v2
	v_cmp_eq_u16_e32 vcc, 0, v14
	v_cndmask_b32_e32 v2, v6, v2, vcc
	v_cndmask_b32_e32 v6, v15, v16, vcc
	v_mov_b32_e32 v14, 0x3b800000
	v_lshlrev_b32_e32 v2, 20, v2
	v_lshl_add_u32 v6, v6, 23, v14
	v_or3_b32 v6, v13, v6, v2
.LBB2_2720:
	s_or_b64 exec, exec, s[6:7]
	s_nop 0
	v_mfma_f32_16x16x4f32 a[0:3], v12, v6, a[0:3]
	s_movk_i32 s4, 0x7f
	v_cmp_gt_i16_sdwa s[6:7], v7, s4 src0_sel:BYTE_0 src1_sel:DWORD
	s_mov_b64 s[4:5], 0
                                        ; implicit-def: $sgpr10
	s_and_saveexec_b64 s[8:9], s[6:7]
	s_xor_b64 s[6:7], exec, s[8:9]
	s_cbranch_execz .LBB2_2721
; %bb.38561:
	s_getpc_b64 s[14:15]
.Lpost_getpc22864:
	s_add_u32 s14, s14, (.LBB2_17057-.Lpost_getpc22864)&4294967295
	s_addc_u32 s15, s15, (.LBB2_17057-.Lpost_getpc22864)>>32
	s_setpc_b64 s[14:15]
.LBB2_2721:
	s_or_saveexec_b64 s[6:7], s[6:7]
	v_mov_b32_e32 v2, s10
	s_xor_b64 exec, exec, s[6:7]
	s_cbranch_execz .LBB2_2722
; %bb.38563:
	s_getpc_b64 s[14:15]
.Lpost_getpc22865:
	s_add_u32 s14, s14, (.LBB2_17060-.Lpost_getpc22865)&4294967295
	s_addc_u32 s15, s15, (.LBB2_17060-.Lpost_getpc22865)>>32
	s_setpc_b64 s[14:15]
.LBB2_2722:
	s_or_b64 exec, exec, s[6:7]
	s_and_saveexec_b64 s[6:7], s[4:5]
	s_cbranch_execz .LBB2_2724
.LBB2_2723:
	v_and_b32_e32 v2, 7, v7
	v_ffbh_u32_e32 v12, v2
	v_min_u32_e32 v12, 32, v12
	v_lshrrev_b16_e32 v6, 3, v7
	v_subrev_u32_e32 v13, 28, v12
	v_and_b32_e32 v6, 15, v6
	v_lshlrev_b32_e32 v13, v13, v7
	v_sub_u32_e32 v12, 29, v12
	v_and_b32_e32 v13, 7, v13
	v_cmp_eq_u16_e32 vcc, 0, v6
	v_cndmask_b32_e32 v2, v2, v13, vcc
	v_cndmask_b32_e32 v6, v6, v12, vcc
	v_lshlrev_b32_e32 v12, 24, v7
	v_mov_b32_e32 v13, 0x3b800000
	v_lshlrev_b32_e32 v2, 20, v2
	v_and_b32_e32 v12, 0x80000000, v12
	v_lshl_add_u32 v6, v6, 23, v13
	v_or3_b32 v2, v12, v6, v2
.LBB2_2724:
	s_or_b64 exec, exec, s[6:7]
	s_movk_i32 s4, 0x7f
	v_cmp_gt_i16_sdwa s[6:7], v3, s4 src0_sel:BYTE_0 src1_sel:DWORD
	s_mov_b64 s[4:5], 0
                                        ; implicit-def: $sgpr10
	s_and_saveexec_b64 s[8:9], s[6:7]
	s_xor_b64 s[6:7], exec, s[8:9]
	s_cbranch_execz .LBB2_2725
; %bb.38565:
	s_getpc_b64 s[14:15]
.Lpost_getpc22866:
	s_add_u32 s14, s14, (.LBB2_17061-.Lpost_getpc22866)&4294967295
	s_addc_u32 s15, s15, (.LBB2_17061-.Lpost_getpc22866)>>32
	s_setpc_b64 s[14:15]
.LBB2_2725:
	s_or_saveexec_b64 s[6:7], s[6:7]
	v_mov_b32_e32 v6, s10
	s_xor_b64 exec, exec, s[6:7]
	s_cbranch_execz .LBB2_2726
; %bb.38567:
	s_getpc_b64 s[14:15]
.Lpost_getpc22867:
	s_add_u32 s14, s14, (.LBB2_17064-.Lpost_getpc22867)&4294967295
	s_addc_u32 s15, s15, (.LBB2_17064-.Lpost_getpc22867)>>32
	s_setpc_b64 s[14:15]
.LBB2_2726:
	s_or_b64 exec, exec, s[6:7]
	s_and_saveexec_b64 s[6:7], s[4:5]
	s_cbranch_execz .LBB2_2728
.LBB2_2727:
	v_and_b32_e32 v6, 7, v3
	v_ffbh_u32_e32 v13, v6
	v_min_u32_e32 v13, 32, v13
	v_lshrrev_b16_e32 v12, 3, v3
	v_subrev_u32_e32 v14, 28, v13
	v_and_b32_e32 v12, 15, v12
	v_lshlrev_b32_e32 v14, v14, v3
	v_sub_u32_e32 v13, 29, v13
	v_and_b32_e32 v14, 7, v14
	v_cmp_eq_u16_e32 vcc, 0, v12
	v_cndmask_b32_e32 v6, v6, v14, vcc
	v_cndmask_b32_e32 v12, v12, v13, vcc
	v_lshlrev_b32_e32 v13, 24, v3
	v_mov_b32_e32 v14, 0x3b800000
	v_lshlrev_b32_e32 v6, 20, v6
	v_and_b32_e32 v13, 0x80000000, v13
	v_lshl_add_u32 v12, v12, 23, v14
	v_or3_b32 v6, v13, v12, v6
.LBB2_2728:
	s_or_b64 exec, exec, s[6:7]
	s_nop 0
	v_mfma_f32_16x16x4f32 a[0:3], v2, v6, a[0:3]
	v_lshrrev_b32_e32 v6, 8, v7
	s_movk_i32 s4, 0x7f
	v_cmp_gt_i16_sdwa s[6:7], v6, s4 src0_sel:BYTE_0 src1_sel:DWORD
	s_mov_b64 s[4:5], 0
                                        ; implicit-def: $sgpr10
	s_and_saveexec_b64 s[8:9], s[6:7]
	s_xor_b64 s[6:7], exec, s[8:9]
	s_cbranch_execz .LBB2_2729
; %bb.38569:
	s_getpc_b64 s[14:15]
.Lpost_getpc22868:
	s_add_u32 s14, s14, (.LBB2_17065-.Lpost_getpc22868)&4294967295
	s_addc_u32 s15, s15, (.LBB2_17065-.Lpost_getpc22868)>>32
	s_setpc_b64 s[14:15]
.LBB2_2729:
	s_or_saveexec_b64 s[6:7], s[6:7]
	v_mov_b32_e32 v2, s10
	s_xor_b64 exec, exec, s[6:7]
	s_cbranch_execz .LBB2_2730
; %bb.38571:
	s_getpc_b64 s[14:15]
.Lpost_getpc22869:
	s_add_u32 s14, s14, (.LBB2_17068-.Lpost_getpc22869)&4294967295
	s_addc_u32 s15, s15, (.LBB2_17068-.Lpost_getpc22869)>>32
	s_setpc_b64 s[14:15]
.LBB2_2730:
	s_or_b64 exec, exec, s[6:7]
	s_and_saveexec_b64 s[6:7], s[4:5]
	s_cbranch_execz .LBB2_2732
.LBB2_2731:
	v_bfe_u32 v2, v7, 8, 3
	v_ffbh_u32_e32 v13, v2
	v_min_u32_e32 v13, 32, v13
	v_lshrrev_b16_e32 v12, 3, v6
	v_subrev_u32_e32 v14, 28, v13
	v_and_b32_e32 v12, 15, v12
	v_lshlrev_b32_e32 v6, v14, v6
	v_sub_u32_e32 v13, 29, v13
	v_and_b32_e32 v6, 7, v6
	v_cmp_eq_u16_e32 vcc, 0, v12
	v_cndmask_b32_e32 v2, v2, v6, vcc
	v_cndmask_b32_e32 v6, v12, v13, vcc
	v_lshlrev_b32_e32 v12, 16, v7
	v_mov_b32_e32 v13, 0x3b800000
	v_lshlrev_b32_e32 v2, 20, v2
	v_and_b32_e32 v12, 0x80000000, v12
	v_lshl_add_u32 v6, v6, 23, v13
	v_or3_b32 v2, v12, v6, v2
.LBB2_2732:
	s_or_b64 exec, exec, s[6:7]
	v_lshrrev_b32_e32 v6, 8, v3
	s_movk_i32 s4, 0x7f
	v_cmp_gt_i16_sdwa s[6:7], v6, s4 src0_sel:BYTE_0 src1_sel:DWORD
	s_mov_b64 s[4:5], 0
                                        ; implicit-def: $sgpr10
	s_and_saveexec_b64 s[8:9], s[6:7]
	s_xor_b64 s[6:7], exec, s[8:9]
	s_cbranch_execz .LBB2_2733
; %bb.38573:
	s_getpc_b64 s[14:15]
.Lpost_getpc22870:
	s_add_u32 s14, s14, (.LBB2_17069-.Lpost_getpc22870)&4294967295
	s_addc_u32 s15, s15, (.LBB2_17069-.Lpost_getpc22870)>>32
	s_setpc_b64 s[14:15]
.LBB2_2733:
	s_or_saveexec_b64 s[6:7], s[6:7]
	v_mov_b32_e32 v12, s10
	s_xor_b64 exec, exec, s[6:7]
	s_cbranch_execz .LBB2_2734
; %bb.38575:
	s_getpc_b64 s[14:15]
.Lpost_getpc22871:
	s_add_u32 s14, s14, (.LBB2_17072-.Lpost_getpc22871)&4294967295
	s_addc_u32 s15, s15, (.LBB2_17072-.Lpost_getpc22871)>>32
	s_setpc_b64 s[14:15]
.LBB2_2734:
	s_or_b64 exec, exec, s[6:7]
	s_and_saveexec_b64 s[6:7], s[4:5]
	s_cbranch_execz .LBB2_2736
.LBB2_2735:
	v_bfe_u32 v12, v3, 8, 3
	v_ffbh_u32_e32 v14, v12
	v_min_u32_e32 v14, 32, v14
	v_lshrrev_b16_e32 v13, 3, v6
	v_subrev_u32_e32 v15, 28, v14
	v_and_b32_e32 v13, 15, v13
	v_lshlrev_b32_e32 v6, v15, v6
	v_sub_u32_e32 v14, 29, v14
	v_and_b32_e32 v6, 7, v6
	v_cmp_eq_u16_e32 vcc, 0, v13
	v_cndmask_b32_e32 v6, v12, v6, vcc
	v_cndmask_b32_e32 v12, v13, v14, vcc
	v_lshlrev_b32_e32 v13, 16, v3
	v_mov_b32_e32 v14, 0x3b800000
	v_lshlrev_b32_e32 v6, 20, v6
	v_and_b32_e32 v13, 0x80000000, v13
	v_lshl_add_u32 v12, v12, 23, v14
	v_or3_b32 v12, v13, v12, v6
.LBB2_2736:
	s_or_b64 exec, exec, s[6:7]
	s_nop 0
	v_mfma_f32_16x16x4f32 a[0:3], v2, v12, a[0:3]
	s_movk_i32 s4, 0xff
	v_and_b32_sdwa v6, v7, s4 dst_sel:DWORD dst_unused:UNUSED_PAD src0_sel:WORD_1 src1_sel:DWORD
	s_movk_i32 s4, 0x7f
	v_cmp_lt_i16_e32 vcc, s4, v6
	s_mov_b64 s[4:5], 0
                                        ; implicit-def: $sgpr10
	s_and_saveexec_b64 s[6:7], vcc
	s_xor_b64 s[6:7], exec, s[6:7]
	s_cbranch_execz .LBB2_2737
; %bb.38577:
	s_getpc_b64 s[14:15]
.Lpost_getpc22872:
	s_add_u32 s14, s14, (.LBB2_17073-.Lpost_getpc22872)&4294967295
	s_addc_u32 s15, s15, (.LBB2_17073-.Lpost_getpc22872)>>32
	s_setpc_b64 s[14:15]
.LBB2_2737:
	s_or_saveexec_b64 s[6:7], s[6:7]
	v_mov_b32_e32 v2, s10
	s_xor_b64 exec, exec, s[6:7]
	s_cbranch_execz .LBB2_2738
; %bb.38579:
	s_getpc_b64 s[14:15]
.Lpost_getpc22873:
	s_add_u32 s14, s14, (.LBB2_17076-.Lpost_getpc22873)&4294967295
	s_addc_u32 s15, s15, (.LBB2_17076-.Lpost_getpc22873)>>32
	s_setpc_b64 s[14:15]
.LBB2_2738:
	s_or_b64 exec, exec, s[6:7]
	s_and_saveexec_b64 s[6:7], s[4:5]
	s_cbranch_execz .LBB2_2740
.LBB2_2739:
	v_bfe_u32 v2, v7, 16, 3
	v_ffbh_u32_e32 v13, v2
	v_min_u32_e32 v13, 32, v13
	v_lshrrev_b32_e32 v6, 19, v7
	v_subrev_u32_e32 v14, 28, v13
	v_and_b32_e32 v6, 15, v6
	v_lshlrev_b32_sdwa v14, v14, v7 dst_sel:DWORD dst_unused:UNUSED_PAD src0_sel:DWORD src1_sel:WORD_1
	v_bfe_u32 v12, v7, 19, 4
	v_sub_u32_e32 v13, 29, v13
	v_and_b32_e32 v14, 7, v14
	v_cmp_eq_u16_e32 vcc, 0, v6
	v_cndmask_b32_e32 v2, v2, v14, vcc
	v_cndmask_b32_e32 v6, v12, v13, vcc
	v_lshlrev_b32_e32 v12, 8, v7
	v_mov_b32_e32 v13, 0x3b800000
	v_lshlrev_b32_e32 v2, 20, v2
	v_and_b32_e32 v12, 0x80000000, v12
	v_lshl_add_u32 v6, v6, 23, v13
	v_or3_b32 v2, v12, v6, v2
.LBB2_2740:
	s_or_b64 exec, exec, s[6:7]
	s_movk_i32 s4, 0xff
	v_and_b32_sdwa v6, v3, s4 dst_sel:DWORD dst_unused:UNUSED_PAD src0_sel:WORD_1 src1_sel:DWORD
	s_movk_i32 s4, 0x7f
	v_cmp_lt_i16_e32 vcc, s4, v6
	s_mov_b64 s[4:5], 0
                                        ; implicit-def: $sgpr10
	s_and_saveexec_b64 s[6:7], vcc
	s_xor_b64 s[6:7], exec, s[6:7]
	s_cbranch_execz .LBB2_2741
; %bb.38581:
	s_getpc_b64 s[14:15]
.Lpost_getpc22874:
	s_add_u32 s14, s14, (.LBB2_17077-.Lpost_getpc22874)&4294967295
	s_addc_u32 s15, s15, (.LBB2_17077-.Lpost_getpc22874)>>32
	s_setpc_b64 s[14:15]
.LBB2_2741:
	s_or_saveexec_b64 s[6:7], s[6:7]
	v_mov_b32_e32 v12, s10
	s_xor_b64 exec, exec, s[6:7]
	s_cbranch_execz .LBB2_2742
; %bb.38583:
	s_getpc_b64 s[14:15]
.Lpost_getpc22875:
	s_add_u32 s14, s14, (.LBB2_17080-.Lpost_getpc22875)&4294967295
	s_addc_u32 s15, s15, (.LBB2_17080-.Lpost_getpc22875)>>32
	s_setpc_b64 s[14:15]
.LBB2_2742:
	s_or_b64 exec, exec, s[6:7]
	s_and_saveexec_b64 s[6:7], s[4:5]
	s_cbranch_execz .LBB2_2744
.LBB2_2743:
	v_bfe_u32 v6, v3, 16, 3
	v_ffbh_u32_e32 v14, v6
	v_min_u32_e32 v14, 32, v14
	v_lshrrev_b32_e32 v12, 19, v3
	v_subrev_u32_e32 v15, 28, v14
	v_and_b32_e32 v12, 15, v12
	v_lshlrev_b32_sdwa v15, v15, v3 dst_sel:DWORD dst_unused:UNUSED_PAD src0_sel:DWORD src1_sel:WORD_1
	v_bfe_u32 v13, v3, 19, 4
	v_sub_u32_e32 v14, 29, v14
	v_and_b32_e32 v15, 7, v15
	v_cmp_eq_u16_e32 vcc, 0, v12
	v_cndmask_b32_e32 v6, v6, v15, vcc
	v_cndmask_b32_e32 v12, v13, v14, vcc
	v_lshlrev_b32_e32 v13, 8, v3
	v_mov_b32_e32 v14, 0x3b800000
	v_lshlrev_b32_e32 v6, 20, v6
	v_and_b32_e32 v13, 0x80000000, v13
	v_lshl_add_u32 v12, v12, 23, v14
	v_or3_b32 v12, v13, v12, v6
.LBB2_2744:
	s_or_b64 exec, exec, s[6:7]
	s_nop 0
	v_mfma_f32_16x16x4f32 a[0:3], v2, v12, a[0:3]
	s_movk_i32 s4, 0x7f
	v_cmp_gt_i16_sdwa s[6:7], v7, s4 src0_sel:BYTE_3 src1_sel:DWORD
	s_mov_b64 s[4:5], 0
                                        ; implicit-def: $sgpr10
	s_and_saveexec_b64 s[8:9], s[6:7]
	s_xor_b64 s[6:7], exec, s[8:9]
	s_cbranch_execz .LBB2_2745
; %bb.38585:
	s_getpc_b64 s[14:15]
.Lpost_getpc22876:
	s_add_u32 s14, s14, (.LBB2_17081-.Lpost_getpc22876)&4294967295
	s_addc_u32 s15, s15, (.LBB2_17081-.Lpost_getpc22876)>>32
	s_setpc_b64 s[14:15]
.LBB2_2745:
	s_or_saveexec_b64 s[6:7], s[6:7]
	v_mov_b32_e32 v2, s10
	s_xor_b64 exec, exec, s[6:7]
	s_cbranch_execz .LBB2_2746
; %bb.38587:
	s_getpc_b64 s[14:15]
.Lpost_getpc22877:
	s_add_u32 s14, s14, (.LBB2_17084-.Lpost_getpc22877)&4294967295
	s_addc_u32 s15, s15, (.LBB2_17084-.Lpost_getpc22877)>>32
	s_setpc_b64 s[14:15]
.LBB2_2746:
	s_or_b64 exec, exec, s[6:7]
	s_and_saveexec_b64 s[6:7], s[4:5]
	s_cbranch_execz .LBB2_2748
.LBB2_2747:
	v_bfe_u32 v2, v7, 24, 3
	v_ffbh_u32_e32 v14, v2
	v_min_u32_e32 v14, 32, v14
	v_lshrrev_b32_e32 v12, 27, v7
	v_subrev_u32_e32 v15, 28, v14
	v_and_b32_e32 v6, 0x80000000, v7
	v_and_b32_e32 v12, 15, v12
	v_bfe_u32 v13, v7, 27, 4
	v_lshlrev_b32_sdwa v7, v15, v7 dst_sel:DWORD dst_unused:UNUSED_PAD src0_sel:DWORD src1_sel:BYTE_3
	v_sub_u32_e32 v14, 29, v14
	v_and_b32_e32 v7, 7, v7
	v_cmp_eq_u16_e32 vcc, 0, v12
	v_cndmask_b32_e32 v2, v2, v7, vcc
	v_cndmask_b32_e32 v7, v13, v14, vcc
	v_mov_b32_e32 v12, 0x3b800000
	v_lshlrev_b32_e32 v2, 20, v2
	v_lshl_add_u32 v7, v7, 23, v12
	v_or3_b32 v2, v6, v7, v2
.LBB2_2748:
	s_or_b64 exec, exec, s[6:7]
	s_movk_i32 s4, 0x7f
	v_cmp_gt_i16_sdwa s[6:7], v3, s4 src0_sel:BYTE_3 src1_sel:DWORD
	s_mov_b64 s[4:5], 0
                                        ; implicit-def: $sgpr10
	s_and_saveexec_b64 s[8:9], s[6:7]
	s_xor_b64 s[6:7], exec, s[8:9]
	s_cbranch_execz .LBB2_2749
; %bb.38589:
	s_getpc_b64 s[14:15]
.Lpost_getpc22878:
	s_add_u32 s14, s14, (.LBB2_17085-.Lpost_getpc22878)&4294967295
	s_addc_u32 s15, s15, (.LBB2_17085-.Lpost_getpc22878)>>32
	s_setpc_b64 s[14:15]
.LBB2_2749:
	s_or_saveexec_b64 s[6:7], s[6:7]
	v_mov_b32_e32 v6, s10
	s_xor_b64 exec, exec, s[6:7]
	s_cbranch_execz .LBB2_2750
; %bb.38591:
	s_getpc_b64 s[14:15]
.Lpost_getpc22879:
	s_add_u32 s14, s14, (.LBB2_17088-.Lpost_getpc22879)&4294967295
	s_addc_u32 s15, s15, (.LBB2_17088-.Lpost_getpc22879)>>32
	s_setpc_b64 s[14:15]
.LBB2_2750:
	s_or_b64 exec, exec, s[6:7]
	s_and_saveexec_b64 s[6:7], s[4:5]
	s_cbranch_execz .LBB2_2752
.LBB2_2751:
	v_bfe_u32 v6, v3, 24, 3
	v_ffbh_u32_e32 v14, v6
	v_min_u32_e32 v14, 32, v14
	v_lshrrev_b32_e32 v12, 27, v3
	v_subrev_u32_e32 v15, 28, v14
	v_and_b32_e32 v7, 0x80000000, v3
	v_and_b32_e32 v12, 15, v12
	v_bfe_u32 v13, v3, 27, 4
	v_lshlrev_b32_sdwa v3, v15, v3 dst_sel:DWORD dst_unused:UNUSED_PAD src0_sel:DWORD src1_sel:BYTE_3
	v_sub_u32_e32 v14, 29, v14
	v_and_b32_e32 v3, 7, v3
	v_cmp_eq_u16_e32 vcc, 0, v12
	v_cndmask_b32_e32 v3, v6, v3, vcc
	v_cndmask_b32_e32 v6, v13, v14, vcc
	v_mov_b32_e32 v12, 0x3b800000
	v_lshlrev_b32_e32 v3, 20, v3
	v_lshl_add_u32 v6, v6, 23, v12
	v_or3_b32 v6, v7, v6, v3
.LBB2_2752:
	s_or_b64 exec, exec, s[6:7]
	s_nop 0
	v_mfma_f32_16x16x4f32 a[0:3], v2, v6, a[0:3]
	s_movk_i32 s4, 0x7f
	v_cmp_gt_i16_sdwa s[6:7], v8, s4 src0_sel:BYTE_0 src1_sel:DWORD
	s_mov_b64 s[4:5], 0
                                        ; implicit-def: $sgpr10
	s_and_saveexec_b64 s[8:9], s[6:7]
	s_xor_b64 s[6:7], exec, s[8:9]
	s_cbranch_execz .LBB2_2753
; %bb.38593:
	s_getpc_b64 s[14:15]
.Lpost_getpc22880:
	s_add_u32 s14, s14, (.LBB2_17089-.Lpost_getpc22880)&4294967295
	s_addc_u32 s15, s15, (.LBB2_17089-.Lpost_getpc22880)>>32
	s_setpc_b64 s[14:15]
.LBB2_2753:
	s_or_saveexec_b64 s[6:7], s[6:7]
	v_mov_b32_e32 v2, s10
	s_xor_b64 exec, exec, s[6:7]
	s_cbranch_execz .LBB2_2754
; %bb.38595:
	s_getpc_b64 s[14:15]
.Lpost_getpc22881:
	s_add_u32 s14, s14, (.LBB2_17092-.Lpost_getpc22881)&4294967295
	s_addc_u32 s15, s15, (.LBB2_17092-.Lpost_getpc22881)>>32
	s_setpc_b64 s[14:15]
.LBB2_2754:
	s_or_b64 exec, exec, s[6:7]
	s_and_saveexec_b64 s[6:7], s[4:5]
	s_cbranch_execz .LBB2_2756
.LBB2_2755:
	v_and_b32_e32 v2, 7, v8
	v_ffbh_u32_e32 v6, v2
	v_min_u32_e32 v6, 32, v6
	v_lshrrev_b16_e32 v3, 3, v8
	v_subrev_u32_e32 v7, 28, v6
	v_and_b32_e32 v3, 15, v3
	v_lshlrev_b32_e32 v7, v7, v8
	v_sub_u32_e32 v6, 29, v6
	v_and_b32_e32 v7, 7, v7
	v_cmp_eq_u16_e32 vcc, 0, v3
	v_cndmask_b32_e32 v2, v2, v7, vcc
	v_cndmask_b32_e32 v3, v3, v6, vcc
	v_lshlrev_b32_e32 v6, 24, v8
	v_mov_b32_e32 v7, 0x3b800000
	v_lshlrev_b32_e32 v2, 20, v2
	v_and_b32_e32 v6, 0x80000000, v6
	v_lshl_add_u32 v3, v3, 23, v7
	v_or3_b32 v2, v6, v3, v2
.LBB2_2756:
	s_or_b64 exec, exec, s[6:7]
	s_movk_i32 s4, 0x7f
	v_cmp_gt_i16_sdwa s[6:7], v4, s4 src0_sel:BYTE_0 src1_sel:DWORD
	s_mov_b64 s[4:5], 0
                                        ; implicit-def: $sgpr10
	s_and_saveexec_b64 s[8:9], s[6:7]
	s_xor_b64 s[6:7], exec, s[8:9]
	s_cbranch_execz .LBB2_2757
; %bb.38597:
	s_getpc_b64 s[14:15]
.Lpost_getpc22882:
	s_add_u32 s14, s14, (.LBB2_17093-.Lpost_getpc22882)&4294967295
	s_addc_u32 s15, s15, (.LBB2_17093-.Lpost_getpc22882)>>32
	s_setpc_b64 s[14:15]
.LBB2_2757:
	s_or_saveexec_b64 s[6:7], s[6:7]
	v_mov_b32_e32 v3, s10
	s_xor_b64 exec, exec, s[6:7]
	s_cbranch_execz .LBB2_2758
; %bb.38599:
	s_getpc_b64 s[14:15]
.Lpost_getpc22883:
	s_add_u32 s14, s14, (.LBB2_17096-.Lpost_getpc22883)&4294967295
	s_addc_u32 s15, s15, (.LBB2_17096-.Lpost_getpc22883)>>32
	s_setpc_b64 s[14:15]
.LBB2_2758:
	s_or_b64 exec, exec, s[6:7]
	s_and_saveexec_b64 s[6:7], s[4:5]
	s_cbranch_execz .LBB2_2760
.LBB2_2759:
	v_and_b32_e32 v3, 7, v4
	v_ffbh_u32_e32 v7, v3
	v_min_u32_e32 v7, 32, v7
	v_lshrrev_b16_e32 v6, 3, v4
	v_subrev_u32_e32 v12, 28, v7
	v_and_b32_e32 v6, 15, v6
	v_lshlrev_b32_e32 v12, v12, v4
	v_sub_u32_e32 v7, 29, v7
	v_and_b32_e32 v12, 7, v12
	v_cmp_eq_u16_e32 vcc, 0, v6
	v_cndmask_b32_e32 v3, v3, v12, vcc
	v_cndmask_b32_e32 v6, v6, v7, vcc
	v_lshlrev_b32_e32 v7, 24, v4
	v_mov_b32_e32 v12, 0x3b800000
	v_lshlrev_b32_e32 v3, 20, v3
	v_and_b32_e32 v7, 0x80000000, v7
	v_lshl_add_u32 v6, v6, 23, v12
	v_or3_b32 v3, v7, v6, v3
.LBB2_2760:
	s_or_b64 exec, exec, s[6:7]
	s_nop 0
	v_mfma_f32_16x16x4f32 a[0:3], v2, v3, a[0:3]
	v_lshrrev_b32_e32 v3, 8, v8
	s_movk_i32 s4, 0x7f
	v_cmp_gt_i16_sdwa s[6:7], v3, s4 src0_sel:BYTE_0 src1_sel:DWORD
	s_mov_b64 s[4:5], 0
                                        ; implicit-def: $sgpr10
	s_and_saveexec_b64 s[8:9], s[6:7]
	s_xor_b64 s[6:7], exec, s[8:9]
	s_cbranch_execz .LBB2_2761
; %bb.38601:
	s_getpc_b64 s[14:15]
.Lpost_getpc22884:
	s_add_u32 s14, s14, (.LBB2_17097-.Lpost_getpc22884)&4294967295
	s_addc_u32 s15, s15, (.LBB2_17097-.Lpost_getpc22884)>>32
	s_setpc_b64 s[14:15]
.LBB2_2761:
	s_or_saveexec_b64 s[6:7], s[6:7]
	v_mov_b32_e32 v2, s10
	s_xor_b64 exec, exec, s[6:7]
	s_cbranch_execz .LBB2_2762
; %bb.38603:
	s_getpc_b64 s[14:15]
.Lpost_getpc22885:
	s_add_u32 s14, s14, (.LBB2_17100-.Lpost_getpc22885)&4294967295
	s_addc_u32 s15, s15, (.LBB2_17100-.Lpost_getpc22885)>>32
	s_setpc_b64 s[14:15]
.LBB2_2762:
	s_or_b64 exec, exec, s[6:7]
	s_and_saveexec_b64 s[6:7], s[4:5]
	s_cbranch_execz .LBB2_2764
.LBB2_2763:
	v_bfe_u32 v2, v8, 8, 3
	v_ffbh_u32_e32 v7, v2
	v_min_u32_e32 v7, 32, v7
	v_lshrrev_b16_e32 v6, 3, v3
	v_subrev_u32_e32 v12, 28, v7
	v_and_b32_e32 v6, 15, v6
	v_lshlrev_b32_e32 v3, v12, v3
	v_sub_u32_e32 v7, 29, v7
	v_and_b32_e32 v3, 7, v3
	v_cmp_eq_u16_e32 vcc, 0, v6
	v_cndmask_b32_e32 v2, v2, v3, vcc
	v_cndmask_b32_e32 v3, v6, v7, vcc
	v_lshlrev_b32_e32 v6, 16, v8
	v_mov_b32_e32 v7, 0x3b800000
	v_lshlrev_b32_e32 v2, 20, v2
	v_and_b32_e32 v6, 0x80000000, v6
	v_lshl_add_u32 v3, v3, 23, v7
	v_or3_b32 v2, v6, v3, v2
.LBB2_2764:
	s_or_b64 exec, exec, s[6:7]
	v_lshrrev_b32_e32 v3, 8, v4
	s_movk_i32 s4, 0x7f
	v_cmp_gt_i16_sdwa s[6:7], v3, s4 src0_sel:BYTE_0 src1_sel:DWORD
	s_mov_b64 s[4:5], 0
                                        ; implicit-def: $sgpr10
	s_and_saveexec_b64 s[8:9], s[6:7]
	s_xor_b64 s[6:7], exec, s[8:9]
	s_cbranch_execz .LBB2_2765
; %bb.38605:
	s_getpc_b64 s[14:15]
.Lpost_getpc22886:
	s_add_u32 s14, s14, (.LBB2_17101-.Lpost_getpc22886)&4294967295
	s_addc_u32 s15, s15, (.LBB2_17101-.Lpost_getpc22886)>>32
	s_setpc_b64 s[14:15]
.LBB2_2765:
	s_or_saveexec_b64 s[6:7], s[6:7]
	v_mov_b32_e32 v6, s10
	s_xor_b64 exec, exec, s[6:7]
	s_cbranch_execz .LBB2_2766
; %bb.38607:
	s_getpc_b64 s[14:15]
.Lpost_getpc22887:
	s_add_u32 s14, s14, (.LBB2_17104-.Lpost_getpc22887)&4294967295
	s_addc_u32 s15, s15, (.LBB2_17104-.Lpost_getpc22887)>>32
	s_setpc_b64 s[14:15]
.LBB2_2766:
	s_or_b64 exec, exec, s[6:7]
	s_and_saveexec_b64 s[6:7], s[4:5]
	s_cbranch_execz .LBB2_2768
.LBB2_2767:
	v_bfe_u32 v6, v4, 8, 3
	v_ffbh_u32_e32 v12, v6
	v_min_u32_e32 v12, 32, v12
	v_lshrrev_b16_e32 v7, 3, v3
	v_subrev_u32_e32 v13, 28, v12
	v_and_b32_e32 v7, 15, v7
	v_lshlrev_b32_e32 v3, v13, v3
	v_sub_u32_e32 v12, 29, v12
	v_and_b32_e32 v3, 7, v3
	v_cmp_eq_u16_e32 vcc, 0, v7
	v_cndmask_b32_e32 v3, v6, v3, vcc
	v_cndmask_b32_e32 v6, v7, v12, vcc
	v_lshlrev_b32_e32 v7, 16, v4
	v_mov_b32_e32 v12, 0x3b800000
	v_lshlrev_b32_e32 v3, 20, v3
	v_and_b32_e32 v7, 0x80000000, v7
	v_lshl_add_u32 v6, v6, 23, v12
	v_or3_b32 v6, v7, v6, v3
.LBB2_2768:
	s_or_b64 exec, exec, s[6:7]
	s_nop 0
	v_mfma_f32_16x16x4f32 a[0:3], v2, v6, a[0:3]
	s_movk_i32 s4, 0xff
	v_and_b32_sdwa v3, v8, s4 dst_sel:DWORD dst_unused:UNUSED_PAD src0_sel:WORD_1 src1_sel:DWORD
	s_movk_i32 s4, 0x7f
	v_cmp_lt_i16_e32 vcc, s4, v3
	s_mov_b64 s[4:5], 0
                                        ; implicit-def: $sgpr10
	s_and_saveexec_b64 s[6:7], vcc
	s_xor_b64 s[6:7], exec, s[6:7]
	s_cbranch_execz .LBB2_2769
; %bb.38609:
	s_getpc_b64 s[14:15]
.Lpost_getpc22888:
	s_add_u32 s14, s14, (.LBB2_17105-.Lpost_getpc22888)&4294967295
	s_addc_u32 s15, s15, (.LBB2_17105-.Lpost_getpc22888)>>32
	s_setpc_b64 s[14:15]
.LBB2_2769:
	s_or_saveexec_b64 s[6:7], s[6:7]
	v_mov_b32_e32 v2, s10
	s_xor_b64 exec, exec, s[6:7]
	s_cbranch_execz .LBB2_2770
; %bb.38611:
	s_getpc_b64 s[14:15]
.Lpost_getpc22889:
	s_add_u32 s14, s14, (.LBB2_17108-.Lpost_getpc22889)&4294967295
	s_addc_u32 s15, s15, (.LBB2_17108-.Lpost_getpc22889)>>32
	s_setpc_b64 s[14:15]
.LBB2_2770:
	s_or_b64 exec, exec, s[6:7]
	s_and_saveexec_b64 s[6:7], s[4:5]
	s_cbranch_execz .LBB2_2772
.LBB2_2771:
	v_bfe_u32 v2, v8, 16, 3
	v_ffbh_u32_e32 v7, v2
	v_min_u32_e32 v7, 32, v7
	v_lshrrev_b32_e32 v3, 19, v8
	v_subrev_u32_e32 v12, 28, v7
	v_and_b32_e32 v3, 15, v3
	v_lshlrev_b32_sdwa v12, v12, v8 dst_sel:DWORD dst_unused:UNUSED_PAD src0_sel:DWORD src1_sel:WORD_1
	v_bfe_u32 v6, v8, 19, 4
	v_sub_u32_e32 v7, 29, v7
	v_and_b32_e32 v12, 7, v12
	v_cmp_eq_u16_e32 vcc, 0, v3
	v_cndmask_b32_e32 v2, v2, v12, vcc
	v_cndmask_b32_e32 v3, v6, v7, vcc
	v_lshlrev_b32_e32 v6, 8, v8
	v_mov_b32_e32 v7, 0x3b800000
	v_lshlrev_b32_e32 v2, 20, v2
	v_and_b32_e32 v6, 0x80000000, v6
	v_lshl_add_u32 v3, v3, 23, v7
	v_or3_b32 v2, v6, v3, v2
.LBB2_2772:
	s_or_b64 exec, exec, s[6:7]
	s_movk_i32 s4, 0xff
	v_and_b32_sdwa v3, v4, s4 dst_sel:DWORD dst_unused:UNUSED_PAD src0_sel:WORD_1 src1_sel:DWORD
	s_movk_i32 s4, 0x7f
	v_cmp_lt_i16_e32 vcc, s4, v3
	s_mov_b64 s[4:5], 0
                                        ; implicit-def: $sgpr10
	s_and_saveexec_b64 s[6:7], vcc
	s_xor_b64 s[6:7], exec, s[6:7]
	s_cbranch_execz .LBB2_2773
; %bb.38613:
	s_getpc_b64 s[14:15]
.Lpost_getpc22890:
	s_add_u32 s14, s14, (.LBB2_17109-.Lpost_getpc22890)&4294967295
	s_addc_u32 s15, s15, (.LBB2_17109-.Lpost_getpc22890)>>32
	s_setpc_b64 s[14:15]
.LBB2_2773:
	s_or_saveexec_b64 s[6:7], s[6:7]
	v_mov_b32_e32 v6, s10
	s_xor_b64 exec, exec, s[6:7]
	s_cbranch_execz .LBB2_2774
; %bb.38615:
	s_getpc_b64 s[14:15]
.Lpost_getpc22891:
	s_add_u32 s14, s14, (.LBB2_17112-.Lpost_getpc22891)&4294967295
	s_addc_u32 s15, s15, (.LBB2_17112-.Lpost_getpc22891)>>32
	s_setpc_b64 s[14:15]
.LBB2_2774:
	s_or_b64 exec, exec, s[6:7]
	s_and_saveexec_b64 s[6:7], s[4:5]
	s_cbranch_execz .LBB2_2776
.LBB2_2775:
	v_bfe_u32 v3, v4, 16, 3
	v_ffbh_u32_e32 v12, v3
	v_min_u32_e32 v12, 32, v12
	v_lshrrev_b32_e32 v6, 19, v4
	v_subrev_u32_e32 v13, 28, v12
	v_and_b32_e32 v6, 15, v6
	v_lshlrev_b32_sdwa v13, v13, v4 dst_sel:DWORD dst_unused:UNUSED_PAD src0_sel:DWORD src1_sel:WORD_1
	v_bfe_u32 v7, v4, 19, 4
	v_sub_u32_e32 v12, 29, v12
	v_and_b32_e32 v13, 7, v13
	v_cmp_eq_u16_e32 vcc, 0, v6
	v_cndmask_b32_e32 v3, v3, v13, vcc
	v_cndmask_b32_e32 v6, v7, v12, vcc
	v_lshlrev_b32_e32 v7, 8, v4
	v_mov_b32_e32 v12, 0x3b800000
	v_lshlrev_b32_e32 v3, 20, v3
	v_and_b32_e32 v7, 0x80000000, v7
	v_lshl_add_u32 v6, v6, 23, v12
	v_or3_b32 v6, v7, v6, v3
.LBB2_2776:
	s_or_b64 exec, exec, s[6:7]
	s_nop 0
	v_mfma_f32_16x16x4f32 a[0:3], v2, v6, a[0:3]
	s_movk_i32 s4, 0x7f
	v_cmp_gt_i16_sdwa s[6:7], v8, s4 src0_sel:BYTE_3 src1_sel:DWORD
	s_mov_b64 s[4:5], 0
                                        ; implicit-def: $sgpr10
	s_and_saveexec_b64 s[8:9], s[6:7]
	s_xor_b64 s[6:7], exec, s[8:9]
	s_cbranch_execz .LBB2_2777
; %bb.38617:
	s_getpc_b64 s[14:15]
.Lpost_getpc22892:
	s_add_u32 s14, s14, (.LBB2_17113-.Lpost_getpc22892)&4294967295
	s_addc_u32 s15, s15, (.LBB2_17113-.Lpost_getpc22892)>>32
	s_setpc_b64 s[14:15]
.LBB2_2777:
	s_or_saveexec_b64 s[6:7], s[6:7]
	v_mov_b32_e32 v2, s10
	s_xor_b64 exec, exec, s[6:7]
	s_cbranch_execz .LBB2_2778
; %bb.38619:
	s_getpc_b64 s[14:15]
.Lpost_getpc22893:
	s_add_u32 s14, s14, (.LBB2_17116-.Lpost_getpc22893)&4294967295
	s_addc_u32 s15, s15, (.LBB2_17116-.Lpost_getpc22893)>>32
	s_setpc_b64 s[14:15]
.LBB2_2778:
	s_or_b64 exec, exec, s[6:7]
	s_and_saveexec_b64 s[6:7], s[4:5]
	s_cbranch_execz .LBB2_2780
.LBB2_2779:
	v_bfe_u32 v2, v8, 24, 3
	v_ffbh_u32_e32 v12, v2
	v_min_u32_e32 v12, 32, v12
	v_lshrrev_b32_e32 v6, 27, v8
	v_subrev_u32_e32 v13, 28, v12
	v_and_b32_e32 v3, 0x80000000, v8
	v_and_b32_e32 v6, 15, v6
	v_bfe_u32 v7, v8, 27, 4
	v_lshlrev_b32_sdwa v8, v13, v8 dst_sel:DWORD dst_unused:UNUSED_PAD src0_sel:DWORD src1_sel:BYTE_3
	v_sub_u32_e32 v12, 29, v12
	v_and_b32_e32 v8, 7, v8
	v_cmp_eq_u16_e32 vcc, 0, v6
	v_cndmask_b32_e32 v2, v2, v8, vcc
	v_cndmask_b32_e32 v6, v7, v12, vcc
	v_mov_b32_e32 v7, 0x3b800000
	v_lshlrev_b32_e32 v2, 20, v2
	v_lshl_add_u32 v6, v6, 23, v7
	v_or3_b32 v2, v3, v6, v2
.LBB2_2780:
	s_or_b64 exec, exec, s[6:7]
	s_movk_i32 s4, 0x7f
	v_cmp_gt_i16_sdwa s[6:7], v4, s4 src0_sel:BYTE_3 src1_sel:DWORD
	s_mov_b64 s[4:5], 0
                                        ; implicit-def: $sgpr10
	s_and_saveexec_b64 s[8:9], s[6:7]
	s_xor_b64 s[6:7], exec, s[8:9]
	s_cbranch_execz .LBB2_2781
; %bb.38621:
	s_getpc_b64 s[14:15]
.Lpost_getpc22894:
	s_add_u32 s14, s14, (.LBB2_17117-.Lpost_getpc22894)&4294967295
	s_addc_u32 s15, s15, (.LBB2_17117-.Lpost_getpc22894)>>32
	s_setpc_b64 s[14:15]
.LBB2_2781:
	s_or_saveexec_b64 s[6:7], s[6:7]
	v_mov_b32_e32 v3, s10
	s_xor_b64 exec, exec, s[6:7]
	s_cbranch_execz .LBB2_2782
; %bb.38623:
	s_getpc_b64 s[14:15]
.Lpost_getpc22895:
	s_add_u32 s14, s14, (.LBB2_17120-.Lpost_getpc22895)&4294967295
	s_addc_u32 s15, s15, (.LBB2_17120-.Lpost_getpc22895)>>32
	s_setpc_b64 s[14:15]
.LBB2_2782:
	s_or_b64 exec, exec, s[6:7]
	s_and_saveexec_b64 s[6:7], s[4:5]
	s_cbranch_execz .LBB2_2784
.LBB2_2783:
	v_bfe_u32 v3, v4, 24, 3
	v_ffbh_u32_e32 v12, v3
	v_min_u32_e32 v12, 32, v12
	v_lshrrev_b32_e32 v7, 27, v4
	v_subrev_u32_e32 v13, 28, v12
	v_and_b32_e32 v6, 0x80000000, v4
	v_and_b32_e32 v7, 15, v7
	v_bfe_u32 v8, v4, 27, 4
	v_lshlrev_b32_sdwa v4, v13, v4 dst_sel:DWORD dst_unused:UNUSED_PAD src0_sel:DWORD src1_sel:BYTE_3
	v_sub_u32_e32 v12, 29, v12
	v_and_b32_e32 v4, 7, v4
	v_cmp_eq_u16_e32 vcc, 0, v7
	v_cndmask_b32_e32 v3, v3, v4, vcc
	v_cndmask_b32_e32 v4, v8, v12, vcc
	v_mov_b32_e32 v7, 0x3b800000
	v_lshlrev_b32_e32 v3, 20, v3
	v_lshl_add_u32 v4, v4, 23, v7
	v_or3_b32 v3, v6, v4, v3
.LBB2_2784:
	s_or_b64 exec, exec, s[6:7]
	s_nop 0
	v_mfma_f32_16x16x4f32 a[0:3], v2, v3, a[0:3]
	s_movk_i32 s4, 0x7f
	v_cmp_gt_i16_sdwa s[6:7], v9, s4 src0_sel:BYTE_0 src1_sel:DWORD
	s_mov_b64 s[4:5], 0
                                        ; implicit-def: $sgpr10
	s_and_saveexec_b64 s[8:9], s[6:7]
	s_xor_b64 s[6:7], exec, s[8:9]
	s_cbranch_execz .LBB2_2785
; %bb.38625:
	s_getpc_b64 s[14:15]
.Lpost_getpc22896:
	s_add_u32 s14, s14, (.LBB2_17121-.Lpost_getpc22896)&4294967295
	s_addc_u32 s15, s15, (.LBB2_17121-.Lpost_getpc22896)>>32
	s_setpc_b64 s[14:15]
.LBB2_2785:
	s_or_saveexec_b64 s[6:7], s[6:7]
	v_mov_b32_e32 v2, s10
	s_xor_b64 exec, exec, s[6:7]
	s_cbranch_execz .LBB2_2786
; %bb.38627:
	s_getpc_b64 s[14:15]
.Lpost_getpc22897:
	s_add_u32 s14, s14, (.LBB2_17124-.Lpost_getpc22897)&4294967295
	s_addc_u32 s15, s15, (.LBB2_17124-.Lpost_getpc22897)>>32
	s_setpc_b64 s[14:15]
.LBB2_2786:
	s_or_b64 exec, exec, s[6:7]
	s_and_saveexec_b64 s[6:7], s[4:5]
	s_cbranch_execz .LBB2_2788
.LBB2_2787:
	v_mov_b32_e32 v2, 8
	v_and_b32_e32 v3, 7, v9
	v_lshrrev_b32_sdwa v2, v2, v9 dst_sel:BYTE_1 dst_unused:UNUSED_PAD src0_sel:DWORD src1_sel:DWORD
	v_ffbh_u32_e32 v4, v3
	v_or_b32_sdwa v2, v9, v2 dst_sel:DWORD dst_unused:UNUSED_PAD src0_sel:BYTE_0 src1_sel:DWORD
	v_min_u32_e32 v4, 32, v4
	v_lshrrev_b16_e32 v2, 3, v2
	v_subrev_u32_e32 v6, 28, v4
	v_and_b32_e32 v2, 15, v2
	v_lshlrev_b32_e32 v6, v6, v9
	v_sub_u32_e32 v4, 29, v4
	v_and_b32_e32 v6, 7, v6
	v_cmp_eq_u16_e32 vcc, 0, v2
	v_cndmask_b32_e32 v3, v3, v6, vcc
	v_cndmask_b32_e32 v2, v2, v4, vcc
	v_lshlrev_b32_e32 v4, 24, v9
	v_mov_b32_e32 v6, 0x3b800000
	v_lshlrev_b32_e32 v3, 20, v3
	v_and_b32_e32 v4, 0x80000000, v4
	v_lshl_add_u32 v2, v2, 23, v6
	v_or3_b32 v2, v4, v2, v3
.LBB2_2788:
	s_or_b64 exec, exec, s[6:7]
	s_movk_i32 s4, 0x7f
	v_cmp_gt_i16_sdwa s[6:7], v5, s4 src0_sel:BYTE_0 src1_sel:DWORD
	s_mov_b64 s[4:5], 0
                                        ; implicit-def: $sgpr10
	s_and_saveexec_b64 s[8:9], s[6:7]
	s_xor_b64 s[6:7], exec, s[8:9]
	s_cbranch_execz .LBB2_2789
; %bb.38629:
	s_getpc_b64 s[14:15]
.Lpost_getpc22898:
	s_add_u32 s14, s14, (.LBB2_17125-.Lpost_getpc22898)&4294967295
	s_addc_u32 s15, s15, (.LBB2_17125-.Lpost_getpc22898)>>32
	s_setpc_b64 s[14:15]
.LBB2_2789:
	s_or_saveexec_b64 s[6:7], s[6:7]
	v_mov_b32_e32 v3, s10
	s_xor_b64 exec, exec, s[6:7]
	s_cbranch_execz .LBB2_2790
; %bb.38631:
	s_getpc_b64 s[14:15]
.Lpost_getpc22899:
	s_add_u32 s14, s14, (.LBB2_17128-.Lpost_getpc22899)&4294967295
	s_addc_u32 s15, s15, (.LBB2_17128-.Lpost_getpc22899)>>32
	s_setpc_b64 s[14:15]
.LBB2_2790:
	s_or_b64 exec, exec, s[6:7]
	s_and_saveexec_b64 s[6:7], s[4:5]
	s_cbranch_execz .LBB2_2792
.LBB2_2791:
	v_mov_b32_e32 v3, 8
	v_and_b32_e32 v4, 7, v5
	v_lshrrev_b32_sdwa v3, v3, v5 dst_sel:BYTE_1 dst_unused:UNUSED_PAD src0_sel:DWORD src1_sel:DWORD
	v_ffbh_u32_e32 v6, v4
	v_or_b32_sdwa v3, v5, v3 dst_sel:DWORD dst_unused:UNUSED_PAD src0_sel:BYTE_0 src1_sel:DWORD
	v_min_u32_e32 v6, 32, v6
	v_lshrrev_b16_e32 v3, 3, v3
	v_subrev_u32_e32 v7, 28, v6
	v_and_b32_e32 v3, 15, v3
	v_lshlrev_b32_e32 v7, v7, v5
	v_sub_u32_e32 v6, 29, v6
	v_and_b32_e32 v7, 7, v7
	v_cmp_eq_u16_e32 vcc, 0, v3
	v_cndmask_b32_e32 v4, v4, v7, vcc
	v_cndmask_b32_e32 v3, v3, v6, vcc
	v_lshlrev_b32_e32 v6, 24, v5
	v_mov_b32_e32 v7, 0x3b800000
	v_lshlrev_b32_e32 v4, 20, v4
	v_and_b32_e32 v6, 0x80000000, v6
	v_lshl_add_u32 v3, v3, 23, v7
	v_or3_b32 v3, v6, v3, v4
.LBB2_2792:
	s_or_b64 exec, exec, s[6:7]
	s_nop 0
	v_mfma_f32_16x16x4f32 a[0:3], v2, v3, a[0:3]
	v_lshrrev_b32_e32 v3, 8, v9
	s_movk_i32 s4, 0x7f
	v_cmp_gt_i16_sdwa s[6:7], v3, s4 src0_sel:BYTE_0 src1_sel:DWORD
	s_mov_b64 s[4:5], 0
                                        ; implicit-def: $sgpr10
	s_and_saveexec_b64 s[8:9], s[6:7]
	s_xor_b64 s[6:7], exec, s[8:9]
	s_cbranch_execz .LBB2_2793
; %bb.38633:
	s_getpc_b64 s[14:15]
.Lpost_getpc22900:
	s_add_u32 s14, s14, (.LBB2_17129-.Lpost_getpc22900)&4294967295
	s_addc_u32 s15, s15, (.LBB2_17129-.Lpost_getpc22900)>>32
	s_setpc_b64 s[14:15]
.LBB2_2793:
	s_or_saveexec_b64 s[6:7], s[6:7]
	v_mov_b32_e32 v2, s10
	s_xor_b64 exec, exec, s[6:7]
	s_cbranch_execz .LBB2_2794
; %bb.38635:
	s_getpc_b64 s[14:15]
.Lpost_getpc22901:
	s_add_u32 s14, s14, (.LBB2_17132-.Lpost_getpc22901)&4294967295
	s_addc_u32 s15, s15, (.LBB2_17132-.Lpost_getpc22901)>>32
	s_setpc_b64 s[14:15]
.LBB2_2794:
	s_or_b64 exec, exec, s[6:7]
	s_and_saveexec_b64 s[6:7], s[4:5]
	s_cbranch_execz .LBB2_2796
.LBB2_2795:
	v_bfe_u32 v2, v9, 8, 3
	v_ffbh_u32_e32 v6, v2
	v_min_u32_e32 v6, 32, v6
	v_lshrrev_b16_e32 v4, 3, v3
	v_subrev_u32_e32 v7, 28, v6
	v_and_b32_e32 v4, 15, v4
	v_lshlrev_b32_e32 v3, v7, v3
	v_sub_u32_e32 v6, 29, v6
	v_and_b32_e32 v3, 7, v3
	v_cmp_eq_u16_e32 vcc, 0, v4
	v_cndmask_b32_e32 v2, v2, v3, vcc
	v_cndmask_b32_e32 v3, v4, v6, vcc
	v_lshlrev_b32_e32 v4, 16, v9
	v_mov_b32_e32 v6, 0x3b800000
	v_lshlrev_b32_e32 v2, 20, v2
	v_and_b32_e32 v4, 0x80000000, v4
	v_lshl_add_u32 v3, v3, 23, v6
	v_or3_b32 v2, v4, v3, v2
.LBB2_2796:
	s_or_b64 exec, exec, s[6:7]
	v_lshrrev_b32_e32 v3, 8, v5
	s_movk_i32 s4, 0x7f
	v_cmp_gt_i16_sdwa s[6:7], v3, s4 src0_sel:BYTE_0 src1_sel:DWORD
	s_mov_b64 s[4:5], 0
                                        ; implicit-def: $sgpr10
	s_and_saveexec_b64 s[8:9], s[6:7]
	s_xor_b64 s[6:7], exec, s[8:9]
	s_cbranch_execz .LBB2_2797
; %bb.38637:
	s_getpc_b64 s[14:15]
.Lpost_getpc22902:
	s_add_u32 s14, s14, (.LBB2_17133-.Lpost_getpc22902)&4294967295
	s_addc_u32 s15, s15, (.LBB2_17133-.Lpost_getpc22902)>>32
	s_setpc_b64 s[14:15]
.LBB2_2797:
	s_or_saveexec_b64 s[6:7], s[6:7]
	v_mov_b32_e32 v4, s10
	s_xor_b64 exec, exec, s[6:7]
	s_cbranch_execz .LBB2_2798
; %bb.38639:
	s_getpc_b64 s[14:15]
.Lpost_getpc22903:
	s_add_u32 s14, s14, (.LBB2_17136-.Lpost_getpc22903)&4294967295
	s_addc_u32 s15, s15, (.LBB2_17136-.Lpost_getpc22903)>>32
	s_setpc_b64 s[14:15]
.LBB2_2798:
	s_or_b64 exec, exec, s[6:7]
	s_and_saveexec_b64 s[6:7], s[4:5]
	s_cbranch_execz .LBB2_2800
.LBB2_2799:
	v_bfe_u32 v4, v5, 8, 3
	v_ffbh_u32_e32 v7, v4
	v_min_u32_e32 v7, 32, v7
	v_lshrrev_b16_e32 v6, 3, v3
	v_subrev_u32_e32 v8, 28, v7
	v_and_b32_e32 v6, 15, v6
	v_lshlrev_b32_e32 v3, v8, v3
	v_sub_u32_e32 v7, 29, v7
	v_and_b32_e32 v3, 7, v3
	v_cmp_eq_u16_e32 vcc, 0, v6
	v_cndmask_b32_e32 v3, v4, v3, vcc
	v_cndmask_b32_e32 v4, v6, v7, vcc
	v_lshlrev_b32_e32 v6, 16, v5
	v_mov_b32_e32 v7, 0x3b800000
	v_lshlrev_b32_e32 v3, 20, v3
	v_and_b32_e32 v6, 0x80000000, v6
	v_lshl_add_u32 v4, v4, 23, v7
	v_or3_b32 v4, v6, v4, v3
.LBB2_2800:
	s_or_b64 exec, exec, s[6:7]
	s_nop 0
	v_mfma_f32_16x16x4f32 a[0:3], v2, v4, a[0:3]
	s_movk_i32 s4, 0xff
	v_and_b32_sdwa v3, v9, s4 dst_sel:DWORD dst_unused:UNUSED_PAD src0_sel:WORD_1 src1_sel:DWORD
	s_movk_i32 s4, 0x7f
	v_cmp_lt_i16_e32 vcc, s4, v3
	s_mov_b64 s[4:5], 0
                                        ; implicit-def: $sgpr10
	s_and_saveexec_b64 s[6:7], vcc
	s_xor_b64 s[6:7], exec, s[6:7]
	s_cbranch_execz .LBB2_2801
; %bb.38641:
	s_getpc_b64 s[14:15]
.Lpost_getpc22904:
	s_add_u32 s14, s14, (.LBB2_17137-.Lpost_getpc22904)&4294967295
	s_addc_u32 s15, s15, (.LBB2_17137-.Lpost_getpc22904)>>32
	s_setpc_b64 s[14:15]
.LBB2_2801:
	s_or_saveexec_b64 s[6:7], s[6:7]
	v_mov_b32_e32 v2, s10
	s_xor_b64 exec, exec, s[6:7]
	s_cbranch_execz .LBB2_2802
; %bb.38643:
	s_getpc_b64 s[14:15]
.Lpost_getpc22905:
	s_add_u32 s14, s14, (.LBB2_17140-.Lpost_getpc22905)&4294967295
	s_addc_u32 s15, s15, (.LBB2_17140-.Lpost_getpc22905)>>32
	s_setpc_b64 s[14:15]
.LBB2_2802:
	s_or_b64 exec, exec, s[6:7]
	s_and_saveexec_b64 s[6:7], s[4:5]
	s_cbranch_execz .LBB2_2804
.LBB2_2803:
	v_bfe_u32 v2, v9, 16, 3
	v_ffbh_u32_e32 v6, v2
	v_min_u32_e32 v6, 32, v6
	v_lshrrev_b32_e32 v3, 19, v9
	v_subrev_u32_e32 v7, 28, v6
	v_and_b32_e32 v3, 15, v3
	v_lshlrev_b32_sdwa v7, v7, v9 dst_sel:DWORD dst_unused:UNUSED_PAD src0_sel:DWORD src1_sel:WORD_1
	v_bfe_u32 v4, v9, 19, 4
	v_sub_u32_e32 v6, 29, v6
	v_and_b32_e32 v7, 7, v7
	v_cmp_eq_u16_e32 vcc, 0, v3
	v_cndmask_b32_e32 v2, v2, v7, vcc
	v_cndmask_b32_e32 v3, v4, v6, vcc
	v_lshlrev_b32_e32 v4, 8, v9
	v_mov_b32_e32 v6, 0x3b800000
	v_lshlrev_b32_e32 v2, 20, v2
	v_and_b32_e32 v4, 0x80000000, v4
	v_lshl_add_u32 v3, v3, 23, v6
	v_or3_b32 v2, v4, v3, v2
.LBB2_2804:
	s_or_b64 exec, exec, s[6:7]
	s_movk_i32 s4, 0xff
	v_and_b32_sdwa v3, v5, s4 dst_sel:DWORD dst_unused:UNUSED_PAD src0_sel:WORD_1 src1_sel:DWORD
	s_movk_i32 s4, 0x7f
	v_cmp_lt_i16_e32 vcc, s4, v3
	s_mov_b64 s[4:5], 0
                                        ; implicit-def: $sgpr10
	s_and_saveexec_b64 s[6:7], vcc
	s_xor_b64 s[6:7], exec, s[6:7]
	s_cbranch_execz .LBB2_2805
; %bb.38645:
	s_getpc_b64 s[14:15]
.Lpost_getpc22906:
	s_add_u32 s14, s14, (.LBB2_17141-.Lpost_getpc22906)&4294967295
	s_addc_u32 s15, s15, (.LBB2_17141-.Lpost_getpc22906)>>32
	s_setpc_b64 s[14:15]
.LBB2_2805:
	s_or_saveexec_b64 s[6:7], s[6:7]
	v_mov_b32_e32 v4, s10
	s_xor_b64 exec, exec, s[6:7]
	s_cbranch_execz .LBB2_2806
; %bb.38647:
	s_getpc_b64 s[14:15]
.Lpost_getpc22907:
	s_add_u32 s14, s14, (.LBB2_17144-.Lpost_getpc22907)&4294967295
	s_addc_u32 s15, s15, (.LBB2_17144-.Lpost_getpc22907)>>32
	s_setpc_b64 s[14:15]
.LBB2_2806:
	s_or_b64 exec, exec, s[6:7]
	s_and_saveexec_b64 s[6:7], s[4:5]
	s_cbranch_execz .LBB2_2808
.LBB2_2807:
	v_bfe_u32 v3, v5, 16, 3
	v_ffbh_u32_e32 v7, v3
	v_min_u32_e32 v7, 32, v7
	v_lshrrev_b32_e32 v4, 19, v5
	v_subrev_u32_e32 v8, 28, v7
	v_and_b32_e32 v4, 15, v4
	v_lshlrev_b32_sdwa v8, v8, v5 dst_sel:DWORD dst_unused:UNUSED_PAD src0_sel:DWORD src1_sel:WORD_1
	v_bfe_u32 v6, v5, 19, 4
	v_sub_u32_e32 v7, 29, v7
	v_and_b32_e32 v8, 7, v8
	v_cmp_eq_u16_e32 vcc, 0, v4
	v_cndmask_b32_e32 v3, v3, v8, vcc
	v_cndmask_b32_e32 v4, v6, v7, vcc
	v_lshlrev_b32_e32 v6, 8, v5
	v_mov_b32_e32 v7, 0x3b800000
	v_lshlrev_b32_e32 v3, 20, v3
	v_and_b32_e32 v6, 0x80000000, v6
	v_lshl_add_u32 v4, v4, 23, v7
	v_or3_b32 v4, v6, v4, v3
.LBB2_2808:
	s_or_b64 exec, exec, s[6:7]
	s_nop 0
	v_mfma_f32_16x16x4f32 a[0:3], v2, v4, a[0:3]
	s_movk_i32 s4, 0x7f
	v_cmp_gt_i16_sdwa s[6:7], v9, s4 src0_sel:BYTE_3 src1_sel:DWORD
	s_mov_b64 s[4:5], 0
                                        ; implicit-def: $sgpr10
	s_and_saveexec_b64 s[8:9], s[6:7]
	s_xor_b64 s[6:7], exec, s[8:9]
	s_cbranch_execz .LBB2_2809
; %bb.38649:
	s_getpc_b64 s[14:15]
.Lpost_getpc22908:
	s_add_u32 s14, s14, (.LBB2_17145-.Lpost_getpc22908)&4294967295
	s_addc_u32 s15, s15, (.LBB2_17145-.Lpost_getpc22908)>>32
	s_setpc_b64 s[14:15]
.LBB2_2809:
	s_or_saveexec_b64 s[6:7], s[6:7]
	v_mov_b32_e32 v2, s10
	s_xor_b64 exec, exec, s[6:7]
	s_cbranch_execz .LBB2_2810
; %bb.38651:
	s_getpc_b64 s[14:15]
.Lpost_getpc22909:
	s_add_u32 s14, s14, (.LBB2_17148-.Lpost_getpc22909)&4294967295
	s_addc_u32 s15, s15, (.LBB2_17148-.Lpost_getpc22909)>>32
	s_setpc_b64 s[14:15]
.LBB2_2810:
	s_or_b64 exec, exec, s[6:7]
	s_and_saveexec_b64 s[6:7], s[4:5]
	s_cbranch_execz .LBB2_2812
.LBB2_2811:
	v_bfe_u32 v2, v9, 24, 3
	v_ffbh_u32_e32 v7, v2
	v_min_u32_e32 v7, 32, v7
	v_lshrrev_b32_e32 v4, 27, v9
	v_subrev_u32_e32 v8, 28, v7
	v_and_b32_e32 v4, 15, v4
	v_lshlrev_b32_sdwa v8, v8, v9 dst_sel:DWORD dst_unused:UNUSED_PAD src0_sel:DWORD src1_sel:BYTE_3
	v_bfe_u32 v6, v9, 27, 4
	v_sub_u32_e32 v7, 29, v7
	v_and_b32_e32 v8, 7, v8
	v_cmp_eq_u16_e32 vcc, 0, v4
	v_cndmask_b32_e32 v2, v2, v8, vcc
	v_cndmask_b32_e32 v4, v6, v7, vcc
	v_mov_b32_e32 v6, 0x3b800000
	v_and_b32_e32 v3, 0x80000000, v9
	v_lshlrev_b32_e32 v2, 20, v2
	v_lshl_add_u32 v4, v4, 23, v6
	v_or3_b32 v2, v3, v4, v2
.LBB2_2812:
	s_or_b64 exec, exec, s[6:7]
	s_movk_i32 s4, 0x7f
	v_cmp_gt_i16_sdwa s[6:7], v5, s4 src0_sel:BYTE_3 src1_sel:DWORD
	s_mov_b64 s[4:5], 0
                                        ; implicit-def: $sgpr10
	s_and_saveexec_b64 s[8:9], s[6:7]
	s_xor_b64 s[6:7], exec, s[8:9]
	s_cbranch_execz .LBB2_2813
; %bb.38653:
	s_getpc_b64 s[14:15]
.Lpost_getpc22910:
	s_add_u32 s14, s14, (.LBB2_17149-.Lpost_getpc22910)&4294967295
	s_addc_u32 s15, s15, (.LBB2_17149-.Lpost_getpc22910)>>32
	s_setpc_b64 s[14:15]
.LBB2_2813:
	s_or_saveexec_b64 s[6:7], s[6:7]
	v_mov_b32_e32 v3, s10
	s_xor_b64 exec, exec, s[6:7]
	s_cbranch_execz .LBB2_2814
; %bb.38655:
	s_getpc_b64 s[14:15]
.Lpost_getpc22911:
	s_add_u32 s14, s14, (.LBB2_17152-.Lpost_getpc22911)&4294967295
	s_addc_u32 s15, s15, (.LBB2_17152-.Lpost_getpc22911)>>32
	s_setpc_b64 s[14:15]
.LBB2_2814:
	s_or_b64 exec, exec, s[6:7]
	s_and_saveexec_b64 s[6:7], s[4:5]
	s_cbranch_execz .LBB2_2816
.LBB2_2815:
	v_bfe_u32 v3, v5, 24, 3
	v_ffbh_u32_e32 v8, v3
	v_min_u32_e32 v8, 32, v8
	v_lshrrev_b32_e32 v6, 27, v5
	v_subrev_u32_e32 v9, 28, v8
	v_and_b32_e32 v4, 0x80000000, v5
	v_and_b32_e32 v6, 15, v6
	v_bfe_u32 v7, v5, 27, 4
	v_lshlrev_b32_sdwa v5, v9, v5 dst_sel:DWORD dst_unused:UNUSED_PAD src0_sel:DWORD src1_sel:BYTE_3
	v_sub_u32_e32 v8, 29, v8
	v_and_b32_e32 v5, 7, v5
	v_cmp_eq_u16_e32 vcc, 0, v6
	v_cndmask_b32_e32 v3, v3, v5, vcc
	v_cndmask_b32_e32 v5, v7, v8, vcc
	v_mov_b32_e32 v6, 0x3b800000
	v_lshlrev_b32_e32 v3, 20, v3
	v_lshl_add_u32 v5, v5, 23, v6
	v_or3_b32 v3, v4, v5, v3
.LBB2_2816:
	s_or_b64 exec, exec, s[6:7]
	s_nop 0
	v_mfma_f32_16x16x4f32 a[0:3], v2, v3, a[0:3]
	s_movk_i32 s4, 0x7f
                                        ; implicit-def: $sgpr10
	s_nop 7
	s_nop 1
	flat_store_dwordx4 v[10:11], a[0:3] offset:336
	flat_load_dwordx4 v[12:15], v[0:1]
	s_nop 0
	flat_load_dwordx2 v[10:11], v[0:1] offset:16
	s_waitcnt vmcnt(0) lgkmcnt(0)
	flat_load_dwordx4 v[6:9], v[12:13] offset:32
	flat_load_dwordx4 v[2:5], v[14:15] offset:96
	s_waitcnt vmcnt(0) lgkmcnt(0)
	v_cmp_gt_i16_sdwa s[6:7], v6, s4 src0_sel:BYTE_0 src1_sel:DWORD
	s_mov_b64 s[4:5], 0
	s_and_saveexec_b64 s[8:9], s[6:7]
	s_xor_b64 s[6:7], exec, s[8:9]
	s_cbranch_execz .LBB2_2817
; %bb.38657:
	s_getpc_b64 s[14:15]
.Lpost_getpc22912:
	s_add_u32 s14, s14, (.LBB2_17153-.Lpost_getpc22912)&4294967295
	s_addc_u32 s15, s15, (.LBB2_17153-.Lpost_getpc22912)>>32
	s_setpc_b64 s[14:15]
.LBB2_2817:
	s_or_saveexec_b64 s[6:7], s[6:7]
	v_mov_b32_e32 v12, s10
	s_xor_b64 exec, exec, s[6:7]
	s_cbranch_execz .LBB2_2818
; %bb.38659:
	s_getpc_b64 s[14:15]
.Lpost_getpc22913:
	s_add_u32 s14, s14, (.LBB2_17156-.Lpost_getpc22913)&4294967295
	s_addc_u32 s15, s15, (.LBB2_17156-.Lpost_getpc22913)>>32
	s_setpc_b64 s[14:15]
.LBB2_2818:
	s_or_b64 exec, exec, s[6:7]
	s_and_saveexec_b64 s[6:7], s[4:5]
	s_cbranch_execz .LBB2_2820
.LBB2_2819:
	v_and_b32_e32 v12, 7, v6
	v_ffbh_u32_e32 v14, v12
	v_min_u32_e32 v14, 32, v14
	v_lshrrev_b16_e32 v13, 3, v6
	v_subrev_u32_e32 v15, 28, v14
	v_and_b32_e32 v13, 15, v13
	v_lshlrev_b32_e32 v15, v15, v6
	v_sub_u32_e32 v14, 29, v14
	v_and_b32_e32 v15, 7, v15
	v_cmp_eq_u16_e32 vcc, 0, v13
	v_cndmask_b32_e32 v12, v12, v15, vcc
	v_cndmask_b32_e32 v13, v13, v14, vcc
	v_lshlrev_b32_e32 v14, 24, v6
	v_mov_b32_e32 v15, 0x3b800000
	v_lshlrev_b32_e32 v12, 20, v12
	v_and_b32_e32 v14, 0x80000000, v14
	v_lshl_add_u32 v13, v13, 23, v15
	v_or3_b32 v12, v14, v13, v12
.LBB2_2820:
	s_or_b64 exec, exec, s[6:7]
	s_movk_i32 s4, 0x7f
	v_cmp_gt_i16_sdwa s[6:7], v2, s4 src0_sel:BYTE_0 src1_sel:DWORD
	s_mov_b64 s[4:5], 0
                                        ; implicit-def: $sgpr10
	s_and_saveexec_b64 s[8:9], s[6:7]
	s_xor_b64 s[6:7], exec, s[8:9]
	s_cbranch_execz .LBB2_2821
; %bb.38661:
	s_getpc_b64 s[14:15]
.Lpost_getpc22914:
	s_add_u32 s14, s14, (.LBB2_17157-.Lpost_getpc22914)&4294967295
	s_addc_u32 s15, s15, (.LBB2_17157-.Lpost_getpc22914)>>32
	s_setpc_b64 s[14:15]
.LBB2_2821:
	s_or_saveexec_b64 s[6:7], s[6:7]
	v_mov_b32_e32 v13, s10
	s_xor_b64 exec, exec, s[6:7]
	s_cbranch_execz .LBB2_2822
; %bb.38663:
	s_getpc_b64 s[14:15]
.Lpost_getpc22915:
	s_add_u32 s14, s14, (.LBB2_17160-.Lpost_getpc22915)&4294967295
	s_addc_u32 s15, s15, (.LBB2_17160-.Lpost_getpc22915)>>32
	s_setpc_b64 s[14:15]
.LBB2_2822:
	s_or_b64 exec, exec, s[6:7]
	s_and_saveexec_b64 s[6:7], s[4:5]
	s_cbranch_execz .LBB2_2824
.LBB2_2823:
	v_and_b32_e32 v13, 7, v2
	v_ffbh_u32_e32 v15, v13
	v_min_u32_e32 v15, 32, v15
	v_lshrrev_b16_e32 v14, 3, v2
	v_subrev_u32_e32 v16, 28, v15
	v_and_b32_e32 v14, 15, v14
	v_lshlrev_b32_e32 v16, v16, v2
	v_sub_u32_e32 v15, 29, v15
	v_and_b32_e32 v16, 7, v16
	v_cmp_eq_u16_e32 vcc, 0, v14
	v_cndmask_b32_e32 v13, v13, v16, vcc
	v_cndmask_b32_e32 v14, v14, v15, vcc
	v_lshlrev_b32_e32 v15, 24, v2
	v_mov_b32_e32 v16, 0x3b800000
	v_lshlrev_b32_e32 v13, 20, v13
	v_and_b32_e32 v15, 0x80000000, v15
	v_lshl_add_u32 v14, v14, 23, v16
	v_or3_b32 v13, v15, v14, v13
.LBB2_2824:
	s_or_b64 exec, exec, s[6:7]
	flat_load_dwordx4 a[0:3], v[10:11] offset:352
	s_movk_i32 s4, 0x7f
                                        ; implicit-def: $sgpr10
	s_waitcnt vmcnt(0) lgkmcnt(0)
	v_mfma_f32_16x16x4f32 a[0:3], v12, v13, a[0:3]
	v_lshrrev_b32_e32 v13, 8, v6
	v_cmp_gt_i16_sdwa s[6:7], v13, s4 src0_sel:BYTE_0 src1_sel:DWORD
	s_mov_b64 s[4:5], 0
	s_and_saveexec_b64 s[8:9], s[6:7]
	s_xor_b64 s[6:7], exec, s[8:9]
	s_cbranch_execz .LBB2_2825
; %bb.38665:
	s_getpc_b64 s[14:15]
.Lpost_getpc22916:
	s_add_u32 s14, s14, (.LBB2_17161-.Lpost_getpc22916)&4294967295
	s_addc_u32 s15, s15, (.LBB2_17161-.Lpost_getpc22916)>>32
	s_setpc_b64 s[14:15]
.LBB2_2825:
	s_or_saveexec_b64 s[6:7], s[6:7]
	v_mov_b32_e32 v12, s10
	s_xor_b64 exec, exec, s[6:7]
	s_cbranch_execz .LBB2_2826
; %bb.38667:
	s_getpc_b64 s[14:15]
.Lpost_getpc22917:
	s_add_u32 s14, s14, (.LBB2_17164-.Lpost_getpc22917)&4294967295
	s_addc_u32 s15, s15, (.LBB2_17164-.Lpost_getpc22917)>>32
	s_setpc_b64 s[14:15]
.LBB2_2826:
	s_or_b64 exec, exec, s[6:7]
	s_and_saveexec_b64 s[6:7], s[4:5]
	s_cbranch_execz .LBB2_2828
.LBB2_2827:
	v_bfe_u32 v12, v6, 8, 3
	v_ffbh_u32_e32 v15, v12
	v_min_u32_e32 v15, 32, v15
	v_lshrrev_b16_e32 v14, 3, v13
	v_subrev_u32_e32 v16, 28, v15
	v_and_b32_e32 v14, 15, v14
	v_lshlrev_b32_e32 v13, v16, v13
	v_sub_u32_e32 v15, 29, v15
	v_and_b32_e32 v13, 7, v13
	v_cmp_eq_u16_e32 vcc, 0, v14
	v_cndmask_b32_e32 v12, v12, v13, vcc
	v_cndmask_b32_e32 v13, v14, v15, vcc
	v_lshlrev_b32_e32 v14, 16, v6
	v_mov_b32_e32 v15, 0x3b800000
	v_lshlrev_b32_e32 v12, 20, v12
	v_and_b32_e32 v14, 0x80000000, v14
	v_lshl_add_u32 v13, v13, 23, v15
	v_or3_b32 v12, v14, v13, v12
.LBB2_2828:
	s_or_b64 exec, exec, s[6:7]
	v_lshrrev_b32_e32 v13, 8, v2
	s_movk_i32 s4, 0x7f
	v_cmp_gt_i16_sdwa s[6:7], v13, s4 src0_sel:BYTE_0 src1_sel:DWORD
	s_mov_b64 s[4:5], 0
                                        ; implicit-def: $sgpr10
	s_and_saveexec_b64 s[8:9], s[6:7]
	s_xor_b64 s[6:7], exec, s[8:9]
	s_cbranch_execz .LBB2_2829
; %bb.38669:
	s_getpc_b64 s[14:15]
.Lpost_getpc22918:
	s_add_u32 s14, s14, (.LBB2_17165-.Lpost_getpc22918)&4294967295
	s_addc_u32 s15, s15, (.LBB2_17165-.Lpost_getpc22918)>>32
	s_setpc_b64 s[14:15]
.LBB2_2829:
	s_or_saveexec_b64 s[6:7], s[6:7]
	v_mov_b32_e32 v14, s10
	s_xor_b64 exec, exec, s[6:7]
	s_cbranch_execz .LBB2_2830
; %bb.38671:
	s_getpc_b64 s[14:15]
.Lpost_getpc22919:
	s_add_u32 s14, s14, (.LBB2_17168-.Lpost_getpc22919)&4294967295
	s_addc_u32 s15, s15, (.LBB2_17168-.Lpost_getpc22919)>>32
	s_setpc_b64 s[14:15]
.LBB2_2830:
	s_or_b64 exec, exec, s[6:7]
	s_and_saveexec_b64 s[6:7], s[4:5]
	s_cbranch_execz .LBB2_2832
.LBB2_2831:
	v_bfe_u32 v14, v2, 8, 3
	v_ffbh_u32_e32 v16, v14
	v_min_u32_e32 v16, 32, v16
	v_lshrrev_b16_e32 v15, 3, v13
	v_subrev_u32_e32 v17, 28, v16
	v_and_b32_e32 v15, 15, v15
	v_lshlrev_b32_e32 v13, v17, v13
	v_sub_u32_e32 v16, 29, v16
	v_and_b32_e32 v13, 7, v13
	v_cmp_eq_u16_e32 vcc, 0, v15
	v_cndmask_b32_e32 v13, v14, v13, vcc
	v_cndmask_b32_e32 v14, v15, v16, vcc
	v_lshlrev_b32_e32 v15, 16, v2
	v_mov_b32_e32 v16, 0x3b800000
	v_lshlrev_b32_e32 v13, 20, v13
	v_and_b32_e32 v15, 0x80000000, v15
	v_lshl_add_u32 v14, v14, 23, v16
	v_or3_b32 v14, v15, v14, v13
.LBB2_2832:
	s_or_b64 exec, exec, s[6:7]
	s_nop 0
	v_mfma_f32_16x16x4f32 a[0:3], v12, v14, a[0:3]
	s_movk_i32 s4, 0xff
	v_and_b32_sdwa v13, v6, s4 dst_sel:DWORD dst_unused:UNUSED_PAD src0_sel:WORD_1 src1_sel:DWORD
	s_movk_i32 s4, 0x7f
	v_cmp_lt_i16_e32 vcc, s4, v13
	s_mov_b64 s[4:5], 0
                                        ; implicit-def: $sgpr10
	s_and_saveexec_b64 s[6:7], vcc
	s_xor_b64 s[6:7], exec, s[6:7]
	s_cbranch_execz .LBB2_2833
; %bb.38673:
	s_getpc_b64 s[14:15]
.Lpost_getpc22920:
	s_add_u32 s14, s14, (.LBB2_17169-.Lpost_getpc22920)&4294967295
	s_addc_u32 s15, s15, (.LBB2_17169-.Lpost_getpc22920)>>32
	s_setpc_b64 s[14:15]
.LBB2_2833:
	s_or_saveexec_b64 s[6:7], s[6:7]
	v_mov_b32_e32 v12, s10
	s_xor_b64 exec, exec, s[6:7]
	s_cbranch_execz .LBB2_2834
; %bb.38675:
	s_getpc_b64 s[14:15]
.Lpost_getpc22921:
	s_add_u32 s14, s14, (.LBB2_17172-.Lpost_getpc22921)&4294967295
	s_addc_u32 s15, s15, (.LBB2_17172-.Lpost_getpc22921)>>32
	s_setpc_b64 s[14:15]
.LBB2_2834:
	s_or_b64 exec, exec, s[6:7]
	s_and_saveexec_b64 s[6:7], s[4:5]
	s_cbranch_execz .LBB2_2836
.LBB2_2835:
	v_bfe_u32 v12, v6, 16, 3
	v_ffbh_u32_e32 v15, v12
	v_min_u32_e32 v15, 32, v15
	v_lshrrev_b32_e32 v13, 19, v6
	v_subrev_u32_e32 v16, 28, v15
	v_and_b32_e32 v13, 15, v13
	v_lshlrev_b32_sdwa v16, v16, v6 dst_sel:DWORD dst_unused:UNUSED_PAD src0_sel:DWORD src1_sel:WORD_1
	v_bfe_u32 v14, v6, 19, 4
	v_sub_u32_e32 v15, 29, v15
	v_and_b32_e32 v16, 7, v16
	v_cmp_eq_u16_e32 vcc, 0, v13
	v_cndmask_b32_e32 v12, v12, v16, vcc
	v_cndmask_b32_e32 v13, v14, v15, vcc
	v_lshlrev_b32_e32 v14, 8, v6
	v_mov_b32_e32 v15, 0x3b800000
	v_lshlrev_b32_e32 v12, 20, v12
	v_and_b32_e32 v14, 0x80000000, v14
	v_lshl_add_u32 v13, v13, 23, v15
	v_or3_b32 v12, v14, v13, v12
.LBB2_2836:
	s_or_b64 exec, exec, s[6:7]
	s_movk_i32 s4, 0xff
	v_and_b32_sdwa v13, v2, s4 dst_sel:DWORD dst_unused:UNUSED_PAD src0_sel:WORD_1 src1_sel:DWORD
	s_movk_i32 s4, 0x7f
	v_cmp_lt_i16_e32 vcc, s4, v13
	s_mov_b64 s[4:5], 0
                                        ; implicit-def: $sgpr10
	s_and_saveexec_b64 s[6:7], vcc
	s_xor_b64 s[6:7], exec, s[6:7]
	s_cbranch_execz .LBB2_2837
; %bb.38677:
	s_getpc_b64 s[14:15]
.Lpost_getpc22922:
	s_add_u32 s14, s14, (.LBB2_17173-.Lpost_getpc22922)&4294967295
	s_addc_u32 s15, s15, (.LBB2_17173-.Lpost_getpc22922)>>32
	s_setpc_b64 s[14:15]
.LBB2_2837:
	s_or_saveexec_b64 s[6:7], s[6:7]
	v_mov_b32_e32 v14, s10
	s_xor_b64 exec, exec, s[6:7]
	s_cbranch_execz .LBB2_2838
; %bb.38679:
	s_getpc_b64 s[14:15]
.Lpost_getpc22923:
	s_add_u32 s14, s14, (.LBB2_17176-.Lpost_getpc22923)&4294967295
	s_addc_u32 s15, s15, (.LBB2_17176-.Lpost_getpc22923)>>32
	s_setpc_b64 s[14:15]
.LBB2_2838:
	s_or_b64 exec, exec, s[6:7]
	s_and_saveexec_b64 s[6:7], s[4:5]
	s_cbranch_execz .LBB2_2840
.LBB2_2839:
	v_bfe_u32 v13, v2, 16, 3
	v_ffbh_u32_e32 v16, v13
	v_min_u32_e32 v16, 32, v16
	v_lshrrev_b32_e32 v14, 19, v2
	v_subrev_u32_e32 v17, 28, v16
	v_and_b32_e32 v14, 15, v14
	v_lshlrev_b32_sdwa v17, v17, v2 dst_sel:DWORD dst_unused:UNUSED_PAD src0_sel:DWORD src1_sel:WORD_1
	v_bfe_u32 v15, v2, 19, 4
	v_sub_u32_e32 v16, 29, v16
	v_and_b32_e32 v17, 7, v17
	v_cmp_eq_u16_e32 vcc, 0, v14
	v_cndmask_b32_e32 v13, v13, v17, vcc
	v_cndmask_b32_e32 v14, v15, v16, vcc
	v_lshlrev_b32_e32 v15, 8, v2
	v_mov_b32_e32 v16, 0x3b800000
	v_lshlrev_b32_e32 v13, 20, v13
	v_and_b32_e32 v15, 0x80000000, v15
	v_lshl_add_u32 v14, v14, 23, v16
	v_or3_b32 v14, v15, v14, v13
.LBB2_2840:
	s_or_b64 exec, exec, s[6:7]
	s_nop 0
	v_mfma_f32_16x16x4f32 a[0:3], v12, v14, a[0:3]
	s_movk_i32 s4, 0x7f
	v_cmp_gt_i16_sdwa s[6:7], v6, s4 src0_sel:BYTE_3 src1_sel:DWORD
	s_mov_b64 s[4:5], 0
                                        ; implicit-def: $sgpr10
	s_and_saveexec_b64 s[8:9], s[6:7]
	s_xor_b64 s[6:7], exec, s[8:9]
	s_cbranch_execz .LBB2_2841
; %bb.38681:
	s_getpc_b64 s[14:15]
.Lpost_getpc22924:
	s_add_u32 s14, s14, (.LBB2_17177-.Lpost_getpc22924)&4294967295
	s_addc_u32 s15, s15, (.LBB2_17177-.Lpost_getpc22924)>>32
	s_setpc_b64 s[14:15]
.LBB2_2841:
	s_or_saveexec_b64 s[6:7], s[6:7]
	v_mov_b32_e32 v12, s10
	s_xor_b64 exec, exec, s[6:7]
	s_cbranch_execz .LBB2_2842
; %bb.38683:
	s_getpc_b64 s[14:15]
.Lpost_getpc22925:
	s_add_u32 s14, s14, (.LBB2_17180-.Lpost_getpc22925)&4294967295
	s_addc_u32 s15, s15, (.LBB2_17180-.Lpost_getpc22925)>>32
	s_setpc_b64 s[14:15]
.LBB2_2842:
	s_or_b64 exec, exec, s[6:7]
	s_and_saveexec_b64 s[6:7], s[4:5]
	s_cbranch_execz .LBB2_2844
.LBB2_2843:
	v_bfe_u32 v12, v6, 24, 3
	v_ffbh_u32_e32 v16, v12
	v_min_u32_e32 v16, 32, v16
	v_lshrrev_b32_e32 v14, 27, v6
	v_subrev_u32_e32 v17, 28, v16
	v_and_b32_e32 v13, 0x80000000, v6
	v_and_b32_e32 v14, 15, v14
	v_bfe_u32 v15, v6, 27, 4
	v_lshlrev_b32_sdwa v6, v17, v6 dst_sel:DWORD dst_unused:UNUSED_PAD src0_sel:DWORD src1_sel:BYTE_3
	v_sub_u32_e32 v16, 29, v16
	v_and_b32_e32 v6, 7, v6
	v_cmp_eq_u16_e32 vcc, 0, v14
	v_cndmask_b32_e32 v6, v12, v6, vcc
	v_cndmask_b32_e32 v12, v15, v16, vcc
	v_mov_b32_e32 v14, 0x3b800000
	v_lshlrev_b32_e32 v6, 20, v6
	v_lshl_add_u32 v12, v12, 23, v14
	v_or3_b32 v12, v13, v12, v6
.LBB2_2844:
	s_or_b64 exec, exec, s[6:7]
	s_movk_i32 s4, 0x7f
	v_cmp_gt_i16_sdwa s[6:7], v2, s4 src0_sel:BYTE_3 src1_sel:DWORD
	s_mov_b64 s[4:5], 0
                                        ; implicit-def: $sgpr10
	s_and_saveexec_b64 s[8:9], s[6:7]
	s_xor_b64 s[6:7], exec, s[8:9]
	s_cbranch_execz .LBB2_2845
; %bb.38685:
	s_getpc_b64 s[14:15]
.Lpost_getpc22926:
	s_add_u32 s14, s14, (.LBB2_17181-.Lpost_getpc22926)&4294967295
	s_addc_u32 s15, s15, (.LBB2_17181-.Lpost_getpc22926)>>32
	s_setpc_b64 s[14:15]
.LBB2_2845:
	s_or_saveexec_b64 s[6:7], s[6:7]
	v_mov_b32_e32 v6, s10
	s_xor_b64 exec, exec, s[6:7]
	s_cbranch_execz .LBB2_2846
; %bb.38687:
	s_getpc_b64 s[14:15]
.Lpost_getpc22927:
	s_add_u32 s14, s14, (.LBB2_17184-.Lpost_getpc22927)&4294967295
	s_addc_u32 s15, s15, (.LBB2_17184-.Lpost_getpc22927)>>32
	s_setpc_b64 s[14:15]
.LBB2_2846:
	s_or_b64 exec, exec, s[6:7]
	s_and_saveexec_b64 s[6:7], s[4:5]
	s_cbranch_execz .LBB2_2848
.LBB2_2847:
	v_bfe_u32 v6, v2, 24, 3
	v_ffbh_u32_e32 v16, v6
	v_min_u32_e32 v16, 32, v16
	v_lshrrev_b32_e32 v14, 27, v2
	v_subrev_u32_e32 v17, 28, v16
	v_and_b32_e32 v13, 0x80000000, v2
	v_and_b32_e32 v14, 15, v14
	v_bfe_u32 v15, v2, 27, 4
	v_lshlrev_b32_sdwa v2, v17, v2 dst_sel:DWORD dst_unused:UNUSED_PAD src0_sel:DWORD src1_sel:BYTE_3
	v_sub_u32_e32 v16, 29, v16
	v_and_b32_e32 v2, 7, v2
	v_cmp_eq_u16_e32 vcc, 0, v14
	v_cndmask_b32_e32 v2, v6, v2, vcc
	v_cndmask_b32_e32 v6, v15, v16, vcc
	v_mov_b32_e32 v14, 0x3b800000
	v_lshlrev_b32_e32 v2, 20, v2
	v_lshl_add_u32 v6, v6, 23, v14
	v_or3_b32 v6, v13, v6, v2
.LBB2_2848:
	s_or_b64 exec, exec, s[6:7]
	s_nop 0
	v_mfma_f32_16x16x4f32 a[0:3], v12, v6, a[0:3]
	s_movk_i32 s4, 0x7f
	v_cmp_gt_i16_sdwa s[6:7], v7, s4 src0_sel:BYTE_0 src1_sel:DWORD
	s_mov_b64 s[4:5], 0
                                        ; implicit-def: $sgpr10
	s_and_saveexec_b64 s[8:9], s[6:7]
	s_xor_b64 s[6:7], exec, s[8:9]
	s_cbranch_execz .LBB2_2849
; %bb.38689:
	s_getpc_b64 s[14:15]
.Lpost_getpc22928:
	s_add_u32 s14, s14, (.LBB2_17185-.Lpost_getpc22928)&4294967295
	s_addc_u32 s15, s15, (.LBB2_17185-.Lpost_getpc22928)>>32
	s_setpc_b64 s[14:15]
.LBB2_2849:
	s_or_saveexec_b64 s[6:7], s[6:7]
	v_mov_b32_e32 v2, s10
	s_xor_b64 exec, exec, s[6:7]
	s_cbranch_execz .LBB2_2850
; %bb.38691:
	s_getpc_b64 s[14:15]
.Lpost_getpc22929:
	s_add_u32 s14, s14, (.LBB2_17188-.Lpost_getpc22929)&4294967295
	s_addc_u32 s15, s15, (.LBB2_17188-.Lpost_getpc22929)>>32
	s_setpc_b64 s[14:15]
.LBB2_2850:
	s_or_b64 exec, exec, s[6:7]
	s_and_saveexec_b64 s[6:7], s[4:5]
	s_cbranch_execz .LBB2_2852
.LBB2_2851:
	v_and_b32_e32 v2, 7, v7
	v_ffbh_u32_e32 v12, v2
	v_min_u32_e32 v12, 32, v12
	v_lshrrev_b16_e32 v6, 3, v7
	v_subrev_u32_e32 v13, 28, v12
	v_and_b32_e32 v6, 15, v6
	v_lshlrev_b32_e32 v13, v13, v7
	v_sub_u32_e32 v12, 29, v12
	v_and_b32_e32 v13, 7, v13
	v_cmp_eq_u16_e32 vcc, 0, v6
	v_cndmask_b32_e32 v2, v2, v13, vcc
	v_cndmask_b32_e32 v6, v6, v12, vcc
	v_lshlrev_b32_e32 v12, 24, v7
	v_mov_b32_e32 v13, 0x3b800000
	v_lshlrev_b32_e32 v2, 20, v2
	v_and_b32_e32 v12, 0x80000000, v12
	v_lshl_add_u32 v6, v6, 23, v13
	v_or3_b32 v2, v12, v6, v2
.LBB2_2852:
	s_or_b64 exec, exec, s[6:7]
	s_movk_i32 s4, 0x7f
	v_cmp_gt_i16_sdwa s[6:7], v3, s4 src0_sel:BYTE_0 src1_sel:DWORD
	s_mov_b64 s[4:5], 0
                                        ; implicit-def: $sgpr10
	s_and_saveexec_b64 s[8:9], s[6:7]
	s_xor_b64 s[6:7], exec, s[8:9]
	s_cbranch_execz .LBB2_2853
; %bb.38693:
	s_getpc_b64 s[14:15]
.Lpost_getpc22930:
	s_add_u32 s14, s14, (.LBB2_17189-.Lpost_getpc22930)&4294967295
	s_addc_u32 s15, s15, (.LBB2_17189-.Lpost_getpc22930)>>32
	s_setpc_b64 s[14:15]
.LBB2_2853:
	s_or_saveexec_b64 s[6:7], s[6:7]
	v_mov_b32_e32 v6, s10
	s_xor_b64 exec, exec, s[6:7]
	s_cbranch_execz .LBB2_2854
; %bb.38695:
	s_getpc_b64 s[14:15]
.Lpost_getpc22931:
	s_add_u32 s14, s14, (.LBB2_17192-.Lpost_getpc22931)&4294967295
	s_addc_u32 s15, s15, (.LBB2_17192-.Lpost_getpc22931)>>32
	s_setpc_b64 s[14:15]
.LBB2_2854:
	s_or_b64 exec, exec, s[6:7]
	s_and_saveexec_b64 s[6:7], s[4:5]
	s_cbranch_execz .LBB2_2856
.LBB2_2855:
	v_and_b32_e32 v6, 7, v3
	v_ffbh_u32_e32 v13, v6
	v_min_u32_e32 v13, 32, v13
	v_lshrrev_b16_e32 v12, 3, v3
	v_subrev_u32_e32 v14, 28, v13
	v_and_b32_e32 v12, 15, v12
	v_lshlrev_b32_e32 v14, v14, v3
	v_sub_u32_e32 v13, 29, v13
	v_and_b32_e32 v14, 7, v14
	v_cmp_eq_u16_e32 vcc, 0, v12
	v_cndmask_b32_e32 v6, v6, v14, vcc
	v_cndmask_b32_e32 v12, v12, v13, vcc
	v_lshlrev_b32_e32 v13, 24, v3
	v_mov_b32_e32 v14, 0x3b800000
	v_lshlrev_b32_e32 v6, 20, v6
	v_and_b32_e32 v13, 0x80000000, v13
	v_lshl_add_u32 v12, v12, 23, v14
	v_or3_b32 v6, v13, v12, v6
.LBB2_2856:
	s_or_b64 exec, exec, s[6:7]
	s_nop 0
	v_mfma_f32_16x16x4f32 a[0:3], v2, v6, a[0:3]
	v_lshrrev_b32_e32 v6, 8, v7
	s_movk_i32 s4, 0x7f
	v_cmp_gt_i16_sdwa s[6:7], v6, s4 src0_sel:BYTE_0 src1_sel:DWORD
	s_mov_b64 s[4:5], 0
                                        ; implicit-def: $sgpr10
	s_and_saveexec_b64 s[8:9], s[6:7]
	s_xor_b64 s[6:7], exec, s[8:9]
	s_cbranch_execz .LBB2_2857
; %bb.38697:
	s_getpc_b64 s[14:15]
.Lpost_getpc22932:
	s_add_u32 s14, s14, (.LBB2_17193-.Lpost_getpc22932)&4294967295
	s_addc_u32 s15, s15, (.LBB2_17193-.Lpost_getpc22932)>>32
	s_setpc_b64 s[14:15]
.LBB2_2857:
	s_or_saveexec_b64 s[6:7], s[6:7]
	v_mov_b32_e32 v2, s10
	s_xor_b64 exec, exec, s[6:7]
	s_cbranch_execz .LBB2_2858
; %bb.38699:
	s_getpc_b64 s[14:15]
.Lpost_getpc22933:
	s_add_u32 s14, s14, (.LBB2_17196-.Lpost_getpc22933)&4294967295
	s_addc_u32 s15, s15, (.LBB2_17196-.Lpost_getpc22933)>>32
	s_setpc_b64 s[14:15]
.LBB2_2858:
	s_or_b64 exec, exec, s[6:7]
	s_and_saveexec_b64 s[6:7], s[4:5]
	s_cbranch_execz .LBB2_2860
.LBB2_2859:
	v_bfe_u32 v2, v7, 8, 3
	v_ffbh_u32_e32 v13, v2
	v_min_u32_e32 v13, 32, v13
	v_lshrrev_b16_e32 v12, 3, v6
	v_subrev_u32_e32 v14, 28, v13
	v_and_b32_e32 v12, 15, v12
	v_lshlrev_b32_e32 v6, v14, v6
	v_sub_u32_e32 v13, 29, v13
	v_and_b32_e32 v6, 7, v6
	v_cmp_eq_u16_e32 vcc, 0, v12
	v_cndmask_b32_e32 v2, v2, v6, vcc
	v_cndmask_b32_e32 v6, v12, v13, vcc
	v_lshlrev_b32_e32 v12, 16, v7
	v_mov_b32_e32 v13, 0x3b800000
	v_lshlrev_b32_e32 v2, 20, v2
	v_and_b32_e32 v12, 0x80000000, v12
	v_lshl_add_u32 v6, v6, 23, v13
	v_or3_b32 v2, v12, v6, v2
.LBB2_2860:
	s_or_b64 exec, exec, s[6:7]
	v_lshrrev_b32_e32 v6, 8, v3
	s_movk_i32 s4, 0x7f
	v_cmp_gt_i16_sdwa s[6:7], v6, s4 src0_sel:BYTE_0 src1_sel:DWORD
	s_mov_b64 s[4:5], 0
                                        ; implicit-def: $sgpr10
	s_and_saveexec_b64 s[8:9], s[6:7]
	s_xor_b64 s[6:7], exec, s[8:9]
	s_cbranch_execz .LBB2_2861
; %bb.38701:
	s_getpc_b64 s[14:15]
.Lpost_getpc22934:
	s_add_u32 s14, s14, (.LBB2_17197-.Lpost_getpc22934)&4294967295
	s_addc_u32 s15, s15, (.LBB2_17197-.Lpost_getpc22934)>>32
	s_setpc_b64 s[14:15]
.LBB2_2861:
	s_or_saveexec_b64 s[6:7], s[6:7]
	v_mov_b32_e32 v12, s10
	s_xor_b64 exec, exec, s[6:7]
	s_cbranch_execz .LBB2_2862
; %bb.38703:
	s_getpc_b64 s[14:15]
.Lpost_getpc22935:
	s_add_u32 s14, s14, (.LBB2_17200-.Lpost_getpc22935)&4294967295
	s_addc_u32 s15, s15, (.LBB2_17200-.Lpost_getpc22935)>>32
	s_setpc_b64 s[14:15]
.LBB2_2862:
	s_or_b64 exec, exec, s[6:7]
	s_and_saveexec_b64 s[6:7], s[4:5]
	s_cbranch_execz .LBB2_2864
.LBB2_2863:
	v_bfe_u32 v12, v3, 8, 3
	v_ffbh_u32_e32 v14, v12
	v_min_u32_e32 v14, 32, v14
	v_lshrrev_b16_e32 v13, 3, v6
	v_subrev_u32_e32 v15, 28, v14
	v_and_b32_e32 v13, 15, v13
	v_lshlrev_b32_e32 v6, v15, v6
	v_sub_u32_e32 v14, 29, v14
	v_and_b32_e32 v6, 7, v6
	v_cmp_eq_u16_e32 vcc, 0, v13
	v_cndmask_b32_e32 v6, v12, v6, vcc
	v_cndmask_b32_e32 v12, v13, v14, vcc
	v_lshlrev_b32_e32 v13, 16, v3
	v_mov_b32_e32 v14, 0x3b800000
	v_lshlrev_b32_e32 v6, 20, v6
	v_and_b32_e32 v13, 0x80000000, v13
	v_lshl_add_u32 v12, v12, 23, v14
	v_or3_b32 v12, v13, v12, v6
.LBB2_2864:
	s_or_b64 exec, exec, s[6:7]
	s_nop 0
	v_mfma_f32_16x16x4f32 a[0:3], v2, v12, a[0:3]
	s_movk_i32 s4, 0xff
	v_and_b32_sdwa v6, v7, s4 dst_sel:DWORD dst_unused:UNUSED_PAD src0_sel:WORD_1 src1_sel:DWORD
	s_movk_i32 s4, 0x7f
	v_cmp_lt_i16_e32 vcc, s4, v6
	s_mov_b64 s[4:5], 0
                                        ; implicit-def: $sgpr10
	s_and_saveexec_b64 s[6:7], vcc
	s_xor_b64 s[6:7], exec, s[6:7]
	s_cbranch_execz .LBB2_2865
; %bb.38705:
	s_getpc_b64 s[14:15]
.Lpost_getpc22936:
	s_add_u32 s14, s14, (.LBB2_17201-.Lpost_getpc22936)&4294967295
	s_addc_u32 s15, s15, (.LBB2_17201-.Lpost_getpc22936)>>32
	s_setpc_b64 s[14:15]
.LBB2_2865:
	s_or_saveexec_b64 s[6:7], s[6:7]
	v_mov_b32_e32 v2, s10
	s_xor_b64 exec, exec, s[6:7]
	s_cbranch_execz .LBB2_2866
; %bb.38707:
	s_getpc_b64 s[14:15]
.Lpost_getpc22937:
	s_add_u32 s14, s14, (.LBB2_17204-.Lpost_getpc22937)&4294967295
	s_addc_u32 s15, s15, (.LBB2_17204-.Lpost_getpc22937)>>32
	s_setpc_b64 s[14:15]
.LBB2_2866:
	s_or_b64 exec, exec, s[6:7]
	s_and_saveexec_b64 s[6:7], s[4:5]
	s_cbranch_execz .LBB2_2868
.LBB2_2867:
	v_bfe_u32 v2, v7, 16, 3
	v_ffbh_u32_e32 v13, v2
	v_min_u32_e32 v13, 32, v13
	v_lshrrev_b32_e32 v6, 19, v7
	v_subrev_u32_e32 v14, 28, v13
	v_and_b32_e32 v6, 15, v6
	v_lshlrev_b32_sdwa v14, v14, v7 dst_sel:DWORD dst_unused:UNUSED_PAD src0_sel:DWORD src1_sel:WORD_1
	v_bfe_u32 v12, v7, 19, 4
	v_sub_u32_e32 v13, 29, v13
	v_and_b32_e32 v14, 7, v14
	v_cmp_eq_u16_e32 vcc, 0, v6
	v_cndmask_b32_e32 v2, v2, v14, vcc
	v_cndmask_b32_e32 v6, v12, v13, vcc
	v_lshlrev_b32_e32 v12, 8, v7
	v_mov_b32_e32 v13, 0x3b800000
	v_lshlrev_b32_e32 v2, 20, v2
	v_and_b32_e32 v12, 0x80000000, v12
	v_lshl_add_u32 v6, v6, 23, v13
	v_or3_b32 v2, v12, v6, v2
.LBB2_2868:
	s_or_b64 exec, exec, s[6:7]
	s_movk_i32 s4, 0xff
	v_and_b32_sdwa v6, v3, s4 dst_sel:DWORD dst_unused:UNUSED_PAD src0_sel:WORD_1 src1_sel:DWORD
	s_movk_i32 s4, 0x7f
	v_cmp_lt_i16_e32 vcc, s4, v6
	s_mov_b64 s[4:5], 0
                                        ; implicit-def: $sgpr10
	s_and_saveexec_b64 s[6:7], vcc
	s_xor_b64 s[6:7], exec, s[6:7]
	s_cbranch_execz .LBB2_2869
; %bb.38709:
	s_getpc_b64 s[14:15]
.Lpost_getpc22938:
	s_add_u32 s14, s14, (.LBB2_17205-.Lpost_getpc22938)&4294967295
	s_addc_u32 s15, s15, (.LBB2_17205-.Lpost_getpc22938)>>32
	s_setpc_b64 s[14:15]
.LBB2_2869:
	s_or_saveexec_b64 s[6:7], s[6:7]
	v_mov_b32_e32 v12, s10
	s_xor_b64 exec, exec, s[6:7]
	s_cbranch_execz .LBB2_2870
; %bb.38711:
	s_getpc_b64 s[14:15]
.Lpost_getpc22939:
	s_add_u32 s14, s14, (.LBB2_17208-.Lpost_getpc22939)&4294967295
	s_addc_u32 s15, s15, (.LBB2_17208-.Lpost_getpc22939)>>32
	s_setpc_b64 s[14:15]
.LBB2_2870:
	s_or_b64 exec, exec, s[6:7]
	s_and_saveexec_b64 s[6:7], s[4:5]
	s_cbranch_execz .LBB2_2872
.LBB2_2871:
	v_bfe_u32 v6, v3, 16, 3
	v_ffbh_u32_e32 v14, v6
	v_min_u32_e32 v14, 32, v14
	v_lshrrev_b32_e32 v12, 19, v3
	v_subrev_u32_e32 v15, 28, v14
	v_and_b32_e32 v12, 15, v12
	v_lshlrev_b32_sdwa v15, v15, v3 dst_sel:DWORD dst_unused:UNUSED_PAD src0_sel:DWORD src1_sel:WORD_1
	v_bfe_u32 v13, v3, 19, 4
	v_sub_u32_e32 v14, 29, v14
	v_and_b32_e32 v15, 7, v15
	v_cmp_eq_u16_e32 vcc, 0, v12
	v_cndmask_b32_e32 v6, v6, v15, vcc
	v_cndmask_b32_e32 v12, v13, v14, vcc
	v_lshlrev_b32_e32 v13, 8, v3
	v_mov_b32_e32 v14, 0x3b800000
	v_lshlrev_b32_e32 v6, 20, v6
	v_and_b32_e32 v13, 0x80000000, v13
	v_lshl_add_u32 v12, v12, 23, v14
	v_or3_b32 v12, v13, v12, v6
.LBB2_2872:
	s_or_b64 exec, exec, s[6:7]
	s_nop 0
	v_mfma_f32_16x16x4f32 a[0:3], v2, v12, a[0:3]
	s_movk_i32 s4, 0x7f
	v_cmp_gt_i16_sdwa s[6:7], v7, s4 src0_sel:BYTE_3 src1_sel:DWORD
	s_mov_b64 s[4:5], 0
                                        ; implicit-def: $sgpr10
	s_and_saveexec_b64 s[8:9], s[6:7]
	s_xor_b64 s[6:7], exec, s[8:9]
	s_cbranch_execz .LBB2_2873
; %bb.38713:
	s_getpc_b64 s[14:15]
.Lpost_getpc22940:
	s_add_u32 s14, s14, (.LBB2_17209-.Lpost_getpc22940)&4294967295
	s_addc_u32 s15, s15, (.LBB2_17209-.Lpost_getpc22940)>>32
	s_setpc_b64 s[14:15]
.LBB2_2873:
	s_or_saveexec_b64 s[6:7], s[6:7]
	v_mov_b32_e32 v2, s10
	s_xor_b64 exec, exec, s[6:7]
	s_cbranch_execz .LBB2_2874
; %bb.38715:
	s_getpc_b64 s[14:15]
.Lpost_getpc22941:
	s_add_u32 s14, s14, (.LBB2_17212-.Lpost_getpc22941)&4294967295
	s_addc_u32 s15, s15, (.LBB2_17212-.Lpost_getpc22941)>>32
	s_setpc_b64 s[14:15]
.LBB2_2874:
	s_or_b64 exec, exec, s[6:7]
	s_and_saveexec_b64 s[6:7], s[4:5]
	s_cbranch_execz .LBB2_2876
.LBB2_2875:
	v_bfe_u32 v2, v7, 24, 3
	v_ffbh_u32_e32 v14, v2
	v_min_u32_e32 v14, 32, v14
	v_lshrrev_b32_e32 v12, 27, v7
	v_subrev_u32_e32 v15, 28, v14
	v_and_b32_e32 v6, 0x80000000, v7
	v_and_b32_e32 v12, 15, v12
	v_bfe_u32 v13, v7, 27, 4
	v_lshlrev_b32_sdwa v7, v15, v7 dst_sel:DWORD dst_unused:UNUSED_PAD src0_sel:DWORD src1_sel:BYTE_3
	v_sub_u32_e32 v14, 29, v14
	v_and_b32_e32 v7, 7, v7
	v_cmp_eq_u16_e32 vcc, 0, v12
	v_cndmask_b32_e32 v2, v2, v7, vcc
	v_cndmask_b32_e32 v7, v13, v14, vcc
	v_mov_b32_e32 v12, 0x3b800000
	v_lshlrev_b32_e32 v2, 20, v2
	v_lshl_add_u32 v7, v7, 23, v12
	v_or3_b32 v2, v6, v7, v2
.LBB2_2876:
	s_or_b64 exec, exec, s[6:7]
	s_movk_i32 s4, 0x7f
	v_cmp_gt_i16_sdwa s[6:7], v3, s4 src0_sel:BYTE_3 src1_sel:DWORD
	s_mov_b64 s[4:5], 0
                                        ; implicit-def: $sgpr10
	s_and_saveexec_b64 s[8:9], s[6:7]
	s_xor_b64 s[6:7], exec, s[8:9]
	s_cbranch_execz .LBB2_2877
; %bb.38717:
	s_getpc_b64 s[14:15]
.Lpost_getpc22942:
	s_add_u32 s14, s14, (.LBB2_17213-.Lpost_getpc22942)&4294967295
	s_addc_u32 s15, s15, (.LBB2_17213-.Lpost_getpc22942)>>32
	s_setpc_b64 s[14:15]
.LBB2_2877:
	s_or_saveexec_b64 s[6:7], s[6:7]
	v_mov_b32_e32 v6, s10
	s_xor_b64 exec, exec, s[6:7]
	s_cbranch_execz .LBB2_2878
; %bb.38719:
	s_getpc_b64 s[14:15]
.Lpost_getpc22943:
	s_add_u32 s14, s14, (.LBB2_17216-.Lpost_getpc22943)&4294967295
	s_addc_u32 s15, s15, (.LBB2_17216-.Lpost_getpc22943)>>32
	s_setpc_b64 s[14:15]
.LBB2_2878:
	s_or_b64 exec, exec, s[6:7]
	s_and_saveexec_b64 s[6:7], s[4:5]
	s_cbranch_execz .LBB2_2880
.LBB2_2879:
	v_bfe_u32 v6, v3, 24, 3
	v_ffbh_u32_e32 v14, v6
	v_min_u32_e32 v14, 32, v14
	v_lshrrev_b32_e32 v12, 27, v3
	v_subrev_u32_e32 v15, 28, v14
	v_and_b32_e32 v7, 0x80000000, v3
	v_and_b32_e32 v12, 15, v12
	v_bfe_u32 v13, v3, 27, 4
	v_lshlrev_b32_sdwa v3, v15, v3 dst_sel:DWORD dst_unused:UNUSED_PAD src0_sel:DWORD src1_sel:BYTE_3
	v_sub_u32_e32 v14, 29, v14
	v_and_b32_e32 v3, 7, v3
	v_cmp_eq_u16_e32 vcc, 0, v12
	v_cndmask_b32_e32 v3, v6, v3, vcc
	v_cndmask_b32_e32 v6, v13, v14, vcc
	v_mov_b32_e32 v12, 0x3b800000
	v_lshlrev_b32_e32 v3, 20, v3
	v_lshl_add_u32 v6, v6, 23, v12
	v_or3_b32 v6, v7, v6, v3
.LBB2_2880:
	s_or_b64 exec, exec, s[6:7]
	s_nop 0
	v_mfma_f32_16x16x4f32 a[0:3], v2, v6, a[0:3]
	s_movk_i32 s4, 0x7f
	v_cmp_gt_i16_sdwa s[6:7], v8, s4 src0_sel:BYTE_0 src1_sel:DWORD
	s_mov_b64 s[4:5], 0
                                        ; implicit-def: $sgpr10
	s_and_saveexec_b64 s[8:9], s[6:7]
	s_xor_b64 s[6:7], exec, s[8:9]
	s_cbranch_execz .LBB2_2881
; %bb.38721:
	s_getpc_b64 s[14:15]
.Lpost_getpc22944:
	s_add_u32 s14, s14, (.LBB2_17217-.Lpost_getpc22944)&4294967295
	s_addc_u32 s15, s15, (.LBB2_17217-.Lpost_getpc22944)>>32
	s_setpc_b64 s[14:15]
.LBB2_2881:
	s_or_saveexec_b64 s[6:7], s[6:7]
	v_mov_b32_e32 v2, s10
	s_xor_b64 exec, exec, s[6:7]
	s_cbranch_execz .LBB2_2882
; %bb.38723:
	s_getpc_b64 s[14:15]
.Lpost_getpc22945:
	s_add_u32 s14, s14, (.LBB2_17220-.Lpost_getpc22945)&4294967295
	s_addc_u32 s15, s15, (.LBB2_17220-.Lpost_getpc22945)>>32
	s_setpc_b64 s[14:15]
.LBB2_2882:
	s_or_b64 exec, exec, s[6:7]
	s_and_saveexec_b64 s[6:7], s[4:5]
	s_cbranch_execz .LBB2_2884
.LBB2_2883:
	v_and_b32_e32 v2, 7, v8
	v_ffbh_u32_e32 v6, v2
	v_min_u32_e32 v6, 32, v6
	v_lshrrev_b16_e32 v3, 3, v8
	v_subrev_u32_e32 v7, 28, v6
	v_and_b32_e32 v3, 15, v3
	v_lshlrev_b32_e32 v7, v7, v8
	v_sub_u32_e32 v6, 29, v6
	v_and_b32_e32 v7, 7, v7
	v_cmp_eq_u16_e32 vcc, 0, v3
	v_cndmask_b32_e32 v2, v2, v7, vcc
	v_cndmask_b32_e32 v3, v3, v6, vcc
	v_lshlrev_b32_e32 v6, 24, v8
	v_mov_b32_e32 v7, 0x3b800000
	v_lshlrev_b32_e32 v2, 20, v2
	v_and_b32_e32 v6, 0x80000000, v6
	v_lshl_add_u32 v3, v3, 23, v7
	v_or3_b32 v2, v6, v3, v2
.LBB2_2884:
	s_or_b64 exec, exec, s[6:7]
	s_movk_i32 s4, 0x7f
	v_cmp_gt_i16_sdwa s[6:7], v4, s4 src0_sel:BYTE_0 src1_sel:DWORD
	s_mov_b64 s[4:5], 0
                                        ; implicit-def: $sgpr10
	s_and_saveexec_b64 s[8:9], s[6:7]
	s_xor_b64 s[6:7], exec, s[8:9]
	s_cbranch_execz .LBB2_2885
; %bb.38725:
	s_getpc_b64 s[14:15]
.Lpost_getpc22946:
	s_add_u32 s14, s14, (.LBB2_17221-.Lpost_getpc22946)&4294967295
	s_addc_u32 s15, s15, (.LBB2_17221-.Lpost_getpc22946)>>32
	s_setpc_b64 s[14:15]
.LBB2_2885:
	s_or_saveexec_b64 s[6:7], s[6:7]
	v_mov_b32_e32 v3, s10
	s_xor_b64 exec, exec, s[6:7]
	s_cbranch_execz .LBB2_2886
; %bb.38727:
	s_getpc_b64 s[14:15]
.Lpost_getpc22947:
	s_add_u32 s14, s14, (.LBB2_17224-.Lpost_getpc22947)&4294967295
	s_addc_u32 s15, s15, (.LBB2_17224-.Lpost_getpc22947)>>32
	s_setpc_b64 s[14:15]
.LBB2_2886:
	s_or_b64 exec, exec, s[6:7]
	s_and_saveexec_b64 s[6:7], s[4:5]
	s_cbranch_execz .LBB2_2888
.LBB2_2887:
	v_and_b32_e32 v3, 7, v4
	v_ffbh_u32_e32 v7, v3
	v_min_u32_e32 v7, 32, v7
	v_lshrrev_b16_e32 v6, 3, v4
	v_subrev_u32_e32 v12, 28, v7
	v_and_b32_e32 v6, 15, v6
	v_lshlrev_b32_e32 v12, v12, v4
	v_sub_u32_e32 v7, 29, v7
	v_and_b32_e32 v12, 7, v12
	v_cmp_eq_u16_e32 vcc, 0, v6
	v_cndmask_b32_e32 v3, v3, v12, vcc
	v_cndmask_b32_e32 v6, v6, v7, vcc
	v_lshlrev_b32_e32 v7, 24, v4
	v_mov_b32_e32 v12, 0x3b800000
	v_lshlrev_b32_e32 v3, 20, v3
	v_and_b32_e32 v7, 0x80000000, v7
	v_lshl_add_u32 v6, v6, 23, v12
	v_or3_b32 v3, v7, v6, v3
.LBB2_2888:
	s_or_b64 exec, exec, s[6:7]
	s_nop 0
	v_mfma_f32_16x16x4f32 a[0:3], v2, v3, a[0:3]
	v_lshrrev_b32_e32 v3, 8, v8
	s_movk_i32 s4, 0x7f
	v_cmp_gt_i16_sdwa s[6:7], v3, s4 src0_sel:BYTE_0 src1_sel:DWORD
	s_mov_b64 s[4:5], 0
                                        ; implicit-def: $sgpr10
	s_and_saveexec_b64 s[8:9], s[6:7]
	s_xor_b64 s[6:7], exec, s[8:9]
	s_cbranch_execz .LBB2_2889
; %bb.38729:
	s_getpc_b64 s[14:15]
.Lpost_getpc22948:
	s_add_u32 s14, s14, (.LBB2_17225-.Lpost_getpc22948)&4294967295
	s_addc_u32 s15, s15, (.LBB2_17225-.Lpost_getpc22948)>>32
	s_setpc_b64 s[14:15]
.LBB2_2889:
	s_or_saveexec_b64 s[6:7], s[6:7]
	v_mov_b32_e32 v2, s10
	s_xor_b64 exec, exec, s[6:7]
	s_cbranch_execz .LBB2_2890
; %bb.38731:
	s_getpc_b64 s[14:15]
.Lpost_getpc22949:
	s_add_u32 s14, s14, (.LBB2_17228-.Lpost_getpc22949)&4294967295
	s_addc_u32 s15, s15, (.LBB2_17228-.Lpost_getpc22949)>>32
	s_setpc_b64 s[14:15]
.LBB2_2890:
	s_or_b64 exec, exec, s[6:7]
	s_and_saveexec_b64 s[6:7], s[4:5]
	s_cbranch_execz .LBB2_2892
.LBB2_2891:
	v_bfe_u32 v2, v8, 8, 3
	v_ffbh_u32_e32 v7, v2
	v_min_u32_e32 v7, 32, v7
	v_lshrrev_b16_e32 v6, 3, v3
	v_subrev_u32_e32 v12, 28, v7
	v_and_b32_e32 v6, 15, v6
	v_lshlrev_b32_e32 v3, v12, v3
	v_sub_u32_e32 v7, 29, v7
	v_and_b32_e32 v3, 7, v3
	v_cmp_eq_u16_e32 vcc, 0, v6
	v_cndmask_b32_e32 v2, v2, v3, vcc
	v_cndmask_b32_e32 v3, v6, v7, vcc
	v_lshlrev_b32_e32 v6, 16, v8
	v_mov_b32_e32 v7, 0x3b800000
	v_lshlrev_b32_e32 v2, 20, v2
	v_and_b32_e32 v6, 0x80000000, v6
	v_lshl_add_u32 v3, v3, 23, v7
	v_or3_b32 v2, v6, v3, v2
.LBB2_2892:
	s_or_b64 exec, exec, s[6:7]
	v_lshrrev_b32_e32 v3, 8, v4
	s_movk_i32 s4, 0x7f
	v_cmp_gt_i16_sdwa s[6:7], v3, s4 src0_sel:BYTE_0 src1_sel:DWORD
	s_mov_b64 s[4:5], 0
                                        ; implicit-def: $sgpr10
	s_and_saveexec_b64 s[8:9], s[6:7]
	s_xor_b64 s[6:7], exec, s[8:9]
	s_cbranch_execz .LBB2_2893
; %bb.38733:
	s_getpc_b64 s[14:15]
.Lpost_getpc22950:
	s_add_u32 s14, s14, (.LBB2_17229-.Lpost_getpc22950)&4294967295
	s_addc_u32 s15, s15, (.LBB2_17229-.Lpost_getpc22950)>>32
	s_setpc_b64 s[14:15]
.LBB2_2893:
	s_or_saveexec_b64 s[6:7], s[6:7]
	v_mov_b32_e32 v6, s10
	s_xor_b64 exec, exec, s[6:7]
	s_cbranch_execz .LBB2_2894
; %bb.38735:
	s_getpc_b64 s[14:15]
.Lpost_getpc22951:
	s_add_u32 s14, s14, (.LBB2_17232-.Lpost_getpc22951)&4294967295
	s_addc_u32 s15, s15, (.LBB2_17232-.Lpost_getpc22951)>>32
	s_setpc_b64 s[14:15]
.LBB2_2894:
	s_or_b64 exec, exec, s[6:7]
	s_and_saveexec_b64 s[6:7], s[4:5]
	s_cbranch_execz .LBB2_2896
.LBB2_2895:
	v_bfe_u32 v6, v4, 8, 3
	v_ffbh_u32_e32 v12, v6
	v_min_u32_e32 v12, 32, v12
	v_lshrrev_b16_e32 v7, 3, v3
	v_subrev_u32_e32 v13, 28, v12
	v_and_b32_e32 v7, 15, v7
	v_lshlrev_b32_e32 v3, v13, v3
	v_sub_u32_e32 v12, 29, v12
	v_and_b32_e32 v3, 7, v3
	v_cmp_eq_u16_e32 vcc, 0, v7
	v_cndmask_b32_e32 v3, v6, v3, vcc
	v_cndmask_b32_e32 v6, v7, v12, vcc
	v_lshlrev_b32_e32 v7, 16, v4
	v_mov_b32_e32 v12, 0x3b800000
	v_lshlrev_b32_e32 v3, 20, v3
	v_and_b32_e32 v7, 0x80000000, v7
	v_lshl_add_u32 v6, v6, 23, v12
	v_or3_b32 v6, v7, v6, v3
.LBB2_2896:
	s_or_b64 exec, exec, s[6:7]
	s_nop 0
	v_mfma_f32_16x16x4f32 a[0:3], v2, v6, a[0:3]
	s_movk_i32 s4, 0xff
	v_and_b32_sdwa v3, v8, s4 dst_sel:DWORD dst_unused:UNUSED_PAD src0_sel:WORD_1 src1_sel:DWORD
	s_movk_i32 s4, 0x7f
	v_cmp_lt_i16_e32 vcc, s4, v3
	s_mov_b64 s[4:5], 0
                                        ; implicit-def: $sgpr10
	s_and_saveexec_b64 s[6:7], vcc
	s_xor_b64 s[6:7], exec, s[6:7]
	s_cbranch_execz .LBB2_2897
; %bb.38737:
	s_getpc_b64 s[14:15]
.Lpost_getpc22952:
	s_add_u32 s14, s14, (.LBB2_17233-.Lpost_getpc22952)&4294967295
	s_addc_u32 s15, s15, (.LBB2_17233-.Lpost_getpc22952)>>32
	s_setpc_b64 s[14:15]
.LBB2_2897:
	s_or_saveexec_b64 s[6:7], s[6:7]
	v_mov_b32_e32 v2, s10
	s_xor_b64 exec, exec, s[6:7]
	s_cbranch_execz .LBB2_2898
; %bb.38739:
	s_getpc_b64 s[14:15]
.Lpost_getpc22953:
	s_add_u32 s14, s14, (.LBB2_17236-.Lpost_getpc22953)&4294967295
	s_addc_u32 s15, s15, (.LBB2_17236-.Lpost_getpc22953)>>32
	s_setpc_b64 s[14:15]
.LBB2_2898:
	s_or_b64 exec, exec, s[6:7]
	s_and_saveexec_b64 s[6:7], s[4:5]
	s_cbranch_execz .LBB2_2900
.LBB2_2899:
	v_bfe_u32 v2, v8, 16, 3
	v_ffbh_u32_e32 v7, v2
	v_min_u32_e32 v7, 32, v7
	v_lshrrev_b32_e32 v3, 19, v8
	v_subrev_u32_e32 v12, 28, v7
	v_and_b32_e32 v3, 15, v3
	v_lshlrev_b32_sdwa v12, v12, v8 dst_sel:DWORD dst_unused:UNUSED_PAD src0_sel:DWORD src1_sel:WORD_1
	v_bfe_u32 v6, v8, 19, 4
	v_sub_u32_e32 v7, 29, v7
	v_and_b32_e32 v12, 7, v12
	v_cmp_eq_u16_e32 vcc, 0, v3
	v_cndmask_b32_e32 v2, v2, v12, vcc
	v_cndmask_b32_e32 v3, v6, v7, vcc
	v_lshlrev_b32_e32 v6, 8, v8
	v_mov_b32_e32 v7, 0x3b800000
	v_lshlrev_b32_e32 v2, 20, v2
	v_and_b32_e32 v6, 0x80000000, v6
	v_lshl_add_u32 v3, v3, 23, v7
	v_or3_b32 v2, v6, v3, v2
.LBB2_2900:
	s_or_b64 exec, exec, s[6:7]
	s_movk_i32 s4, 0xff
	v_and_b32_sdwa v3, v4, s4 dst_sel:DWORD dst_unused:UNUSED_PAD src0_sel:WORD_1 src1_sel:DWORD
	s_movk_i32 s4, 0x7f
	v_cmp_lt_i16_e32 vcc, s4, v3
	s_mov_b64 s[4:5], 0
                                        ; implicit-def: $sgpr10
	s_and_saveexec_b64 s[6:7], vcc
	s_xor_b64 s[6:7], exec, s[6:7]
	s_cbranch_execz .LBB2_2901
; %bb.38741:
	s_getpc_b64 s[14:15]
.Lpost_getpc22954:
	s_add_u32 s14, s14, (.LBB2_17237-.Lpost_getpc22954)&4294967295
	s_addc_u32 s15, s15, (.LBB2_17237-.Lpost_getpc22954)>>32
	s_setpc_b64 s[14:15]
.LBB2_2901:
	s_or_saveexec_b64 s[6:7], s[6:7]
	v_mov_b32_e32 v6, s10
	s_xor_b64 exec, exec, s[6:7]
	s_cbranch_execz .LBB2_2902
; %bb.38743:
	s_getpc_b64 s[14:15]
.Lpost_getpc22955:
	s_add_u32 s14, s14, (.LBB2_17240-.Lpost_getpc22955)&4294967295
	s_addc_u32 s15, s15, (.LBB2_17240-.Lpost_getpc22955)>>32
	s_setpc_b64 s[14:15]
.LBB2_2902:
	s_or_b64 exec, exec, s[6:7]
	s_and_saveexec_b64 s[6:7], s[4:5]
	s_cbranch_execz .LBB2_2904
.LBB2_2903:
	v_bfe_u32 v3, v4, 16, 3
	v_ffbh_u32_e32 v12, v3
	v_min_u32_e32 v12, 32, v12
	v_lshrrev_b32_e32 v6, 19, v4
	v_subrev_u32_e32 v13, 28, v12
	v_and_b32_e32 v6, 15, v6
	v_lshlrev_b32_sdwa v13, v13, v4 dst_sel:DWORD dst_unused:UNUSED_PAD src0_sel:DWORD src1_sel:WORD_1
	v_bfe_u32 v7, v4, 19, 4
	v_sub_u32_e32 v12, 29, v12
	v_and_b32_e32 v13, 7, v13
	v_cmp_eq_u16_e32 vcc, 0, v6
	v_cndmask_b32_e32 v3, v3, v13, vcc
	v_cndmask_b32_e32 v6, v7, v12, vcc
	v_lshlrev_b32_e32 v7, 8, v4
	v_mov_b32_e32 v12, 0x3b800000
	v_lshlrev_b32_e32 v3, 20, v3
	v_and_b32_e32 v7, 0x80000000, v7
	v_lshl_add_u32 v6, v6, 23, v12
	v_or3_b32 v6, v7, v6, v3
.LBB2_2904:
	s_or_b64 exec, exec, s[6:7]
	s_nop 0
	v_mfma_f32_16x16x4f32 a[0:3], v2, v6, a[0:3]
	s_movk_i32 s4, 0x7f
	v_cmp_gt_i16_sdwa s[6:7], v8, s4 src0_sel:BYTE_3 src1_sel:DWORD
	s_mov_b64 s[4:5], 0
                                        ; implicit-def: $sgpr10
	s_and_saveexec_b64 s[8:9], s[6:7]
	s_xor_b64 s[6:7], exec, s[8:9]
	s_cbranch_execz .LBB2_2905
; %bb.38745:
	s_getpc_b64 s[14:15]
.Lpost_getpc22956:
	s_add_u32 s14, s14, (.LBB2_17241-.Lpost_getpc22956)&4294967295
	s_addc_u32 s15, s15, (.LBB2_17241-.Lpost_getpc22956)>>32
	s_setpc_b64 s[14:15]
.LBB2_2905:
	s_or_saveexec_b64 s[6:7], s[6:7]
	v_mov_b32_e32 v2, s10
	s_xor_b64 exec, exec, s[6:7]
	s_cbranch_execz .LBB2_2906
; %bb.38747:
	s_getpc_b64 s[14:15]
.Lpost_getpc22957:
	s_add_u32 s14, s14, (.LBB2_17244-.Lpost_getpc22957)&4294967295
	s_addc_u32 s15, s15, (.LBB2_17244-.Lpost_getpc22957)>>32
	s_setpc_b64 s[14:15]
.LBB2_2906:
	s_or_b64 exec, exec, s[6:7]
	s_and_saveexec_b64 s[6:7], s[4:5]
	s_cbranch_execz .LBB2_2908
.LBB2_2907:
	v_bfe_u32 v2, v8, 24, 3
	v_ffbh_u32_e32 v12, v2
	v_min_u32_e32 v12, 32, v12
	v_lshrrev_b32_e32 v6, 27, v8
	v_subrev_u32_e32 v13, 28, v12
	v_and_b32_e32 v3, 0x80000000, v8
	v_and_b32_e32 v6, 15, v6
	v_bfe_u32 v7, v8, 27, 4
	v_lshlrev_b32_sdwa v8, v13, v8 dst_sel:DWORD dst_unused:UNUSED_PAD src0_sel:DWORD src1_sel:BYTE_3
	v_sub_u32_e32 v12, 29, v12
	v_and_b32_e32 v8, 7, v8
	v_cmp_eq_u16_e32 vcc, 0, v6
	v_cndmask_b32_e32 v2, v2, v8, vcc
	v_cndmask_b32_e32 v6, v7, v12, vcc
	v_mov_b32_e32 v7, 0x3b800000
	v_lshlrev_b32_e32 v2, 20, v2
	v_lshl_add_u32 v6, v6, 23, v7
	v_or3_b32 v2, v3, v6, v2
.LBB2_2908:
	s_or_b64 exec, exec, s[6:7]
	s_movk_i32 s4, 0x7f
	v_cmp_gt_i16_sdwa s[6:7], v4, s4 src0_sel:BYTE_3 src1_sel:DWORD
	s_mov_b64 s[4:5], 0
                                        ; implicit-def: $sgpr10
	s_and_saveexec_b64 s[8:9], s[6:7]
	s_xor_b64 s[6:7], exec, s[8:9]
	s_cbranch_execz .LBB2_2909
; %bb.38749:
	s_getpc_b64 s[14:15]
.Lpost_getpc22958:
	s_add_u32 s14, s14, (.LBB2_17245-.Lpost_getpc22958)&4294967295
	s_addc_u32 s15, s15, (.LBB2_17245-.Lpost_getpc22958)>>32
	s_setpc_b64 s[14:15]
.LBB2_2909:
	s_or_saveexec_b64 s[6:7], s[6:7]
	v_mov_b32_e32 v3, s10
	s_xor_b64 exec, exec, s[6:7]
	s_cbranch_execz .LBB2_2910
; %bb.38751:
	s_getpc_b64 s[14:15]
.Lpost_getpc22959:
	s_add_u32 s14, s14, (.LBB2_17248-.Lpost_getpc22959)&4294967295
	s_addc_u32 s15, s15, (.LBB2_17248-.Lpost_getpc22959)>>32
	s_setpc_b64 s[14:15]
.LBB2_2910:
	s_or_b64 exec, exec, s[6:7]
	s_and_saveexec_b64 s[6:7], s[4:5]
	s_cbranch_execz .LBB2_2912
.LBB2_2911:
	v_bfe_u32 v3, v4, 24, 3
	v_ffbh_u32_e32 v12, v3
	v_min_u32_e32 v12, 32, v12
	v_lshrrev_b32_e32 v7, 27, v4
	v_subrev_u32_e32 v13, 28, v12
	v_and_b32_e32 v6, 0x80000000, v4
	v_and_b32_e32 v7, 15, v7
	v_bfe_u32 v8, v4, 27, 4
	v_lshlrev_b32_sdwa v4, v13, v4 dst_sel:DWORD dst_unused:UNUSED_PAD src0_sel:DWORD src1_sel:BYTE_3
	v_sub_u32_e32 v12, 29, v12
	v_and_b32_e32 v4, 7, v4
	v_cmp_eq_u16_e32 vcc, 0, v7
	v_cndmask_b32_e32 v3, v3, v4, vcc
	v_cndmask_b32_e32 v4, v8, v12, vcc
	v_mov_b32_e32 v7, 0x3b800000
	v_lshlrev_b32_e32 v3, 20, v3
	v_lshl_add_u32 v4, v4, 23, v7
	v_or3_b32 v3, v6, v4, v3
.LBB2_2912:
	s_or_b64 exec, exec, s[6:7]
	s_nop 0
	v_mfma_f32_16x16x4f32 a[0:3], v2, v3, a[0:3]
	s_movk_i32 s4, 0x7f
	v_cmp_gt_i16_sdwa s[6:7], v9, s4 src0_sel:BYTE_0 src1_sel:DWORD
	s_mov_b64 s[4:5], 0
                                        ; implicit-def: $sgpr10
	s_and_saveexec_b64 s[8:9], s[6:7]
	s_xor_b64 s[6:7], exec, s[8:9]
	s_cbranch_execz .LBB2_2913
; %bb.38753:
	s_getpc_b64 s[14:15]
.Lpost_getpc22960:
	s_add_u32 s14, s14, (.LBB2_17249-.Lpost_getpc22960)&4294967295
	s_addc_u32 s15, s15, (.LBB2_17249-.Lpost_getpc22960)>>32
	s_setpc_b64 s[14:15]
.LBB2_2913:
	s_or_saveexec_b64 s[6:7], s[6:7]
	v_mov_b32_e32 v2, s10
	s_xor_b64 exec, exec, s[6:7]
	s_cbranch_execz .LBB2_2914
; %bb.38755:
	s_getpc_b64 s[14:15]
.Lpost_getpc22961:
	s_add_u32 s14, s14, (.LBB2_17252-.Lpost_getpc22961)&4294967295
	s_addc_u32 s15, s15, (.LBB2_17252-.Lpost_getpc22961)>>32
	s_setpc_b64 s[14:15]
.LBB2_2914:
	s_or_b64 exec, exec, s[6:7]
	s_and_saveexec_b64 s[6:7], s[4:5]
	s_cbranch_execz .LBB2_2916
.LBB2_2915:
	v_mov_b32_e32 v2, 8
	v_and_b32_e32 v3, 7, v9
	v_lshrrev_b32_sdwa v2, v2, v9 dst_sel:BYTE_1 dst_unused:UNUSED_PAD src0_sel:DWORD src1_sel:DWORD
	v_ffbh_u32_e32 v4, v3
	v_or_b32_sdwa v2, v9, v2 dst_sel:DWORD dst_unused:UNUSED_PAD src0_sel:BYTE_0 src1_sel:DWORD
	v_min_u32_e32 v4, 32, v4
	v_lshrrev_b16_e32 v2, 3, v2
	v_subrev_u32_e32 v6, 28, v4
	v_and_b32_e32 v2, 15, v2
	v_lshlrev_b32_e32 v6, v6, v9
	v_sub_u32_e32 v4, 29, v4
	v_and_b32_e32 v6, 7, v6
	v_cmp_eq_u16_e32 vcc, 0, v2
	v_cndmask_b32_e32 v3, v3, v6, vcc
	v_cndmask_b32_e32 v2, v2, v4, vcc
	v_lshlrev_b32_e32 v4, 24, v9
	v_mov_b32_e32 v6, 0x3b800000
	v_lshlrev_b32_e32 v3, 20, v3
	v_and_b32_e32 v4, 0x80000000, v4
	v_lshl_add_u32 v2, v2, 23, v6
	v_or3_b32 v2, v4, v2, v3
.LBB2_2916:
	s_or_b64 exec, exec, s[6:7]
	s_movk_i32 s4, 0x7f
	v_cmp_gt_i16_sdwa s[6:7], v5, s4 src0_sel:BYTE_0 src1_sel:DWORD
	s_mov_b64 s[4:5], 0
                                        ; implicit-def: $sgpr10
	s_and_saveexec_b64 s[8:9], s[6:7]
	s_xor_b64 s[6:7], exec, s[8:9]
	s_cbranch_execz .LBB2_2917
; %bb.38757:
	s_getpc_b64 s[14:15]
.Lpost_getpc22962:
	s_add_u32 s14, s14, (.LBB2_17253-.Lpost_getpc22962)&4294967295
	s_addc_u32 s15, s15, (.LBB2_17253-.Lpost_getpc22962)>>32
	s_setpc_b64 s[14:15]
.LBB2_2917:
	s_or_saveexec_b64 s[6:7], s[6:7]
	v_mov_b32_e32 v3, s10
	s_xor_b64 exec, exec, s[6:7]
	s_cbranch_execz .LBB2_2918
; %bb.38759:
	s_getpc_b64 s[14:15]
.Lpost_getpc22963:
	s_add_u32 s14, s14, (.LBB2_17256-.Lpost_getpc22963)&4294967295
	s_addc_u32 s15, s15, (.LBB2_17256-.Lpost_getpc22963)>>32
	s_setpc_b64 s[14:15]
.LBB2_2918:
	s_or_b64 exec, exec, s[6:7]
	s_and_saveexec_b64 s[6:7], s[4:5]
	s_cbranch_execz .LBB2_2920
.LBB2_2919:
	v_mov_b32_e32 v3, 8
	v_and_b32_e32 v4, 7, v5
	v_lshrrev_b32_sdwa v3, v3, v5 dst_sel:BYTE_1 dst_unused:UNUSED_PAD src0_sel:DWORD src1_sel:DWORD
	v_ffbh_u32_e32 v6, v4
	v_or_b32_sdwa v3, v5, v3 dst_sel:DWORD dst_unused:UNUSED_PAD src0_sel:BYTE_0 src1_sel:DWORD
	v_min_u32_e32 v6, 32, v6
	v_lshrrev_b16_e32 v3, 3, v3
	v_subrev_u32_e32 v7, 28, v6
	v_and_b32_e32 v3, 15, v3
	v_lshlrev_b32_e32 v7, v7, v5
	v_sub_u32_e32 v6, 29, v6
	v_and_b32_e32 v7, 7, v7
	v_cmp_eq_u16_e32 vcc, 0, v3
	v_cndmask_b32_e32 v4, v4, v7, vcc
	v_cndmask_b32_e32 v3, v3, v6, vcc
	v_lshlrev_b32_e32 v6, 24, v5
	v_mov_b32_e32 v7, 0x3b800000
	v_lshlrev_b32_e32 v4, 20, v4
	v_and_b32_e32 v6, 0x80000000, v6
	v_lshl_add_u32 v3, v3, 23, v7
	v_or3_b32 v3, v6, v3, v4
.LBB2_2920:
	s_or_b64 exec, exec, s[6:7]
	s_nop 0
	v_mfma_f32_16x16x4f32 a[0:3], v2, v3, a[0:3]
	v_lshrrev_b32_e32 v3, 8, v9
	s_movk_i32 s4, 0x7f
	v_cmp_gt_i16_sdwa s[6:7], v3, s4 src0_sel:BYTE_0 src1_sel:DWORD
	s_mov_b64 s[4:5], 0
                                        ; implicit-def: $sgpr10
	s_and_saveexec_b64 s[8:9], s[6:7]
	s_xor_b64 s[6:7], exec, s[8:9]
	s_cbranch_execz .LBB2_2921
; %bb.38761:
	s_getpc_b64 s[14:15]
.Lpost_getpc22964:
	s_add_u32 s14, s14, (.LBB2_17257-.Lpost_getpc22964)&4294967295
	s_addc_u32 s15, s15, (.LBB2_17257-.Lpost_getpc22964)>>32
	s_setpc_b64 s[14:15]
.LBB2_2921:
	s_or_saveexec_b64 s[6:7], s[6:7]
	v_mov_b32_e32 v2, s10
	s_xor_b64 exec, exec, s[6:7]
	s_cbranch_execz .LBB2_2922
; %bb.38763:
	s_getpc_b64 s[14:15]
.Lpost_getpc22965:
	s_add_u32 s14, s14, (.LBB2_17260-.Lpost_getpc22965)&4294967295
	s_addc_u32 s15, s15, (.LBB2_17260-.Lpost_getpc22965)>>32
	s_setpc_b64 s[14:15]
.LBB2_2922:
	s_or_b64 exec, exec, s[6:7]
	s_and_saveexec_b64 s[6:7], s[4:5]
	s_cbranch_execz .LBB2_2924
.LBB2_2923:
	v_bfe_u32 v2, v9, 8, 3
	v_ffbh_u32_e32 v6, v2
	v_min_u32_e32 v6, 32, v6
	v_lshrrev_b16_e32 v4, 3, v3
	v_subrev_u32_e32 v7, 28, v6
	v_and_b32_e32 v4, 15, v4
	v_lshlrev_b32_e32 v3, v7, v3
	v_sub_u32_e32 v6, 29, v6
	v_and_b32_e32 v3, 7, v3
	v_cmp_eq_u16_e32 vcc, 0, v4
	v_cndmask_b32_e32 v2, v2, v3, vcc
	v_cndmask_b32_e32 v3, v4, v6, vcc
	v_lshlrev_b32_e32 v4, 16, v9
	v_mov_b32_e32 v6, 0x3b800000
	v_lshlrev_b32_e32 v2, 20, v2
	v_and_b32_e32 v4, 0x80000000, v4
	v_lshl_add_u32 v3, v3, 23, v6
	v_or3_b32 v2, v4, v3, v2
.LBB2_2924:
	s_or_b64 exec, exec, s[6:7]
	v_lshrrev_b32_e32 v3, 8, v5
	s_movk_i32 s4, 0x7f
	v_cmp_gt_i16_sdwa s[6:7], v3, s4 src0_sel:BYTE_0 src1_sel:DWORD
	s_mov_b64 s[4:5], 0
                                        ; implicit-def: $sgpr10
	s_and_saveexec_b64 s[8:9], s[6:7]
	s_xor_b64 s[6:7], exec, s[8:9]
	s_cbranch_execz .LBB2_2925
; %bb.38765:
	s_getpc_b64 s[14:15]
.Lpost_getpc22966:
	s_add_u32 s14, s14, (.LBB2_17261-.Lpost_getpc22966)&4294967295
	s_addc_u32 s15, s15, (.LBB2_17261-.Lpost_getpc22966)>>32
	s_setpc_b64 s[14:15]
.LBB2_2925:
	s_or_saveexec_b64 s[6:7], s[6:7]
	v_mov_b32_e32 v4, s10
	s_xor_b64 exec, exec, s[6:7]
	s_cbranch_execz .LBB2_2926
; %bb.38767:
	s_getpc_b64 s[14:15]
.Lpost_getpc22967:
	s_add_u32 s14, s14, (.LBB2_17264-.Lpost_getpc22967)&4294967295
	s_addc_u32 s15, s15, (.LBB2_17264-.Lpost_getpc22967)>>32
	s_setpc_b64 s[14:15]
.LBB2_2926:
	s_or_b64 exec, exec, s[6:7]
	s_and_saveexec_b64 s[6:7], s[4:5]
	s_cbranch_execz .LBB2_2928
.LBB2_2927:
	v_bfe_u32 v4, v5, 8, 3
	v_ffbh_u32_e32 v7, v4
	v_min_u32_e32 v7, 32, v7
	v_lshrrev_b16_e32 v6, 3, v3
	v_subrev_u32_e32 v8, 28, v7
	v_and_b32_e32 v6, 15, v6
	v_lshlrev_b32_e32 v3, v8, v3
	v_sub_u32_e32 v7, 29, v7
	v_and_b32_e32 v3, 7, v3
	v_cmp_eq_u16_e32 vcc, 0, v6
	v_cndmask_b32_e32 v3, v4, v3, vcc
	v_cndmask_b32_e32 v4, v6, v7, vcc
	v_lshlrev_b32_e32 v6, 16, v5
	v_mov_b32_e32 v7, 0x3b800000
	v_lshlrev_b32_e32 v3, 20, v3
	v_and_b32_e32 v6, 0x80000000, v6
	v_lshl_add_u32 v4, v4, 23, v7
	v_or3_b32 v4, v6, v4, v3
.LBB2_2928:
	s_or_b64 exec, exec, s[6:7]
	s_nop 0
	v_mfma_f32_16x16x4f32 a[0:3], v2, v4, a[0:3]
	s_movk_i32 s4, 0xff
	v_and_b32_sdwa v3, v9, s4 dst_sel:DWORD dst_unused:UNUSED_PAD src0_sel:WORD_1 src1_sel:DWORD
	s_movk_i32 s4, 0x7f
	v_cmp_lt_i16_e32 vcc, s4, v3
	s_mov_b64 s[4:5], 0
                                        ; implicit-def: $sgpr10
	s_and_saveexec_b64 s[6:7], vcc
	s_xor_b64 s[6:7], exec, s[6:7]
	s_cbranch_execz .LBB2_2929
; %bb.38769:
	s_getpc_b64 s[14:15]
.Lpost_getpc22968:
	s_add_u32 s14, s14, (.LBB2_17265-.Lpost_getpc22968)&4294967295
	s_addc_u32 s15, s15, (.LBB2_17265-.Lpost_getpc22968)>>32
	s_setpc_b64 s[14:15]
.LBB2_2929:
	s_or_saveexec_b64 s[6:7], s[6:7]
	v_mov_b32_e32 v2, s10
	s_xor_b64 exec, exec, s[6:7]
	s_cbranch_execz .LBB2_2930
; %bb.38771:
	s_getpc_b64 s[14:15]
.Lpost_getpc22969:
	s_add_u32 s14, s14, (.LBB2_17268-.Lpost_getpc22969)&4294967295
	s_addc_u32 s15, s15, (.LBB2_17268-.Lpost_getpc22969)>>32
	s_setpc_b64 s[14:15]
.LBB2_2930:
	s_or_b64 exec, exec, s[6:7]
	s_and_saveexec_b64 s[6:7], s[4:5]
	s_cbranch_execz .LBB2_2932
.LBB2_2931:
	v_bfe_u32 v2, v9, 16, 3
	v_ffbh_u32_e32 v6, v2
	v_min_u32_e32 v6, 32, v6
	v_lshrrev_b32_e32 v3, 19, v9
	v_subrev_u32_e32 v7, 28, v6
	v_and_b32_e32 v3, 15, v3
	v_lshlrev_b32_sdwa v7, v7, v9 dst_sel:DWORD dst_unused:UNUSED_PAD src0_sel:DWORD src1_sel:WORD_1
	v_bfe_u32 v4, v9, 19, 4
	v_sub_u32_e32 v6, 29, v6
	v_and_b32_e32 v7, 7, v7
	v_cmp_eq_u16_e32 vcc, 0, v3
	v_cndmask_b32_e32 v2, v2, v7, vcc
	v_cndmask_b32_e32 v3, v4, v6, vcc
	v_lshlrev_b32_e32 v4, 8, v9
	v_mov_b32_e32 v6, 0x3b800000
	v_lshlrev_b32_e32 v2, 20, v2
	v_and_b32_e32 v4, 0x80000000, v4
	v_lshl_add_u32 v3, v3, 23, v6
	v_or3_b32 v2, v4, v3, v2
.LBB2_2932:
	s_or_b64 exec, exec, s[6:7]
	s_movk_i32 s4, 0xff
	v_and_b32_sdwa v3, v5, s4 dst_sel:DWORD dst_unused:UNUSED_PAD src0_sel:WORD_1 src1_sel:DWORD
	s_movk_i32 s4, 0x7f
	v_cmp_lt_i16_e32 vcc, s4, v3
	s_mov_b64 s[4:5], 0
                                        ; implicit-def: $sgpr10
	s_and_saveexec_b64 s[6:7], vcc
	s_xor_b64 s[6:7], exec, s[6:7]
	s_cbranch_execz .LBB2_2933
; %bb.38773:
	s_getpc_b64 s[14:15]
.Lpost_getpc22970:
	s_add_u32 s14, s14, (.LBB2_17269-.Lpost_getpc22970)&4294967295
	s_addc_u32 s15, s15, (.LBB2_17269-.Lpost_getpc22970)>>32
	s_setpc_b64 s[14:15]
.LBB2_2933:
	s_or_saveexec_b64 s[6:7], s[6:7]
	v_mov_b32_e32 v4, s10
	s_xor_b64 exec, exec, s[6:7]
	s_cbranch_execz .LBB2_2934
; %bb.38775:
	s_getpc_b64 s[14:15]
.Lpost_getpc22971:
	s_add_u32 s14, s14, (.LBB2_17272-.Lpost_getpc22971)&4294967295
	s_addc_u32 s15, s15, (.LBB2_17272-.Lpost_getpc22971)>>32
	s_setpc_b64 s[14:15]
.LBB2_2934:
	s_or_b64 exec, exec, s[6:7]
	s_and_saveexec_b64 s[6:7], s[4:5]
	s_cbranch_execz .LBB2_2936
.LBB2_2935:
	v_bfe_u32 v3, v5, 16, 3
	v_ffbh_u32_e32 v7, v3
	v_min_u32_e32 v7, 32, v7
	v_lshrrev_b32_e32 v4, 19, v5
	v_subrev_u32_e32 v8, 28, v7
	v_and_b32_e32 v4, 15, v4
	v_lshlrev_b32_sdwa v8, v8, v5 dst_sel:DWORD dst_unused:UNUSED_PAD src0_sel:DWORD src1_sel:WORD_1
	v_bfe_u32 v6, v5, 19, 4
	v_sub_u32_e32 v7, 29, v7
	v_and_b32_e32 v8, 7, v8
	v_cmp_eq_u16_e32 vcc, 0, v4
	v_cndmask_b32_e32 v3, v3, v8, vcc
	v_cndmask_b32_e32 v4, v6, v7, vcc
	v_lshlrev_b32_e32 v6, 8, v5
	v_mov_b32_e32 v7, 0x3b800000
	v_lshlrev_b32_e32 v3, 20, v3
	v_and_b32_e32 v6, 0x80000000, v6
	v_lshl_add_u32 v4, v4, 23, v7
	v_or3_b32 v4, v6, v4, v3
.LBB2_2936:
	s_or_b64 exec, exec, s[6:7]
	s_nop 0
	v_mfma_f32_16x16x4f32 a[0:3], v2, v4, a[0:3]
	s_movk_i32 s4, 0x7f
	v_cmp_gt_i16_sdwa s[6:7], v9, s4 src0_sel:BYTE_3 src1_sel:DWORD
	s_mov_b64 s[4:5], 0
                                        ; implicit-def: $sgpr10
	s_and_saveexec_b64 s[8:9], s[6:7]
	s_xor_b64 s[6:7], exec, s[8:9]
	s_cbranch_execz .LBB2_2937
; %bb.38777:
	s_getpc_b64 s[14:15]
.Lpost_getpc22972:
	s_add_u32 s14, s14, (.LBB2_17273-.Lpost_getpc22972)&4294967295
	s_addc_u32 s15, s15, (.LBB2_17273-.Lpost_getpc22972)>>32
	s_setpc_b64 s[14:15]
.LBB2_2937:
	s_or_saveexec_b64 s[6:7], s[6:7]
	v_mov_b32_e32 v2, s10
	s_xor_b64 exec, exec, s[6:7]
	s_cbranch_execz .LBB2_2938
; %bb.38779:
	s_getpc_b64 s[14:15]
.Lpost_getpc22973:
	s_add_u32 s14, s14, (.LBB2_17276-.Lpost_getpc22973)&4294967295
	s_addc_u32 s15, s15, (.LBB2_17276-.Lpost_getpc22973)>>32
	s_setpc_b64 s[14:15]
.LBB2_2938:
	s_or_b64 exec, exec, s[6:7]
	s_and_saveexec_b64 s[6:7], s[4:5]
	s_cbranch_execz .LBB2_2940
.LBB2_2939:
	v_bfe_u32 v2, v9, 24, 3
	v_ffbh_u32_e32 v7, v2
	v_min_u32_e32 v7, 32, v7
	v_lshrrev_b32_e32 v4, 27, v9
	v_subrev_u32_e32 v8, 28, v7
	v_and_b32_e32 v4, 15, v4
	v_lshlrev_b32_sdwa v8, v8, v9 dst_sel:DWORD dst_unused:UNUSED_PAD src0_sel:DWORD src1_sel:BYTE_3
	v_bfe_u32 v6, v9, 27, 4
	v_sub_u32_e32 v7, 29, v7
	v_and_b32_e32 v8, 7, v8
	v_cmp_eq_u16_e32 vcc, 0, v4
	v_cndmask_b32_e32 v2, v2, v8, vcc
	v_cndmask_b32_e32 v4, v6, v7, vcc
	v_mov_b32_e32 v6, 0x3b800000
	v_and_b32_e32 v3, 0x80000000, v9
	v_lshlrev_b32_e32 v2, 20, v2
	v_lshl_add_u32 v4, v4, 23, v6
	v_or3_b32 v2, v3, v4, v2
.LBB2_2940:
	s_or_b64 exec, exec, s[6:7]
	s_movk_i32 s4, 0x7f
	v_cmp_gt_i16_sdwa s[6:7], v5, s4 src0_sel:BYTE_3 src1_sel:DWORD
	s_mov_b64 s[4:5], 0
                                        ; implicit-def: $sgpr10
	s_and_saveexec_b64 s[8:9], s[6:7]
	s_xor_b64 s[6:7], exec, s[8:9]
	s_cbranch_execz .LBB2_2941
; %bb.38781:
	s_getpc_b64 s[14:15]
.Lpost_getpc22974:
	s_add_u32 s14, s14, (.LBB2_17277-.Lpost_getpc22974)&4294967295
	s_addc_u32 s15, s15, (.LBB2_17277-.Lpost_getpc22974)>>32
	s_setpc_b64 s[14:15]
.LBB2_2941:
	s_or_saveexec_b64 s[6:7], s[6:7]
	v_mov_b32_e32 v3, s10
	s_xor_b64 exec, exec, s[6:7]
	s_cbranch_execz .LBB2_2942
; %bb.38783:
	s_getpc_b64 s[14:15]
.Lpost_getpc22975:
	s_add_u32 s14, s14, (.LBB2_17280-.Lpost_getpc22975)&4294967295
	s_addc_u32 s15, s15, (.LBB2_17280-.Lpost_getpc22975)>>32
	s_setpc_b64 s[14:15]
.LBB2_2942:
	s_or_b64 exec, exec, s[6:7]
	s_and_saveexec_b64 s[6:7], s[4:5]
	s_cbranch_execz .LBB2_2944
.LBB2_2943:
	v_bfe_u32 v3, v5, 24, 3
	v_ffbh_u32_e32 v8, v3
	v_min_u32_e32 v8, 32, v8
	v_lshrrev_b32_e32 v6, 27, v5
	v_subrev_u32_e32 v9, 28, v8
	v_and_b32_e32 v4, 0x80000000, v5
	v_and_b32_e32 v6, 15, v6
	v_bfe_u32 v7, v5, 27, 4
	v_lshlrev_b32_sdwa v5, v9, v5 dst_sel:DWORD dst_unused:UNUSED_PAD src0_sel:DWORD src1_sel:BYTE_3
	v_sub_u32_e32 v8, 29, v8
	v_and_b32_e32 v5, 7, v5
	v_cmp_eq_u16_e32 vcc, 0, v6
	v_cndmask_b32_e32 v3, v3, v5, vcc
	v_cndmask_b32_e32 v5, v7, v8, vcc
	v_mov_b32_e32 v6, 0x3b800000
	v_lshlrev_b32_e32 v3, 20, v3
	v_lshl_add_u32 v5, v5, 23, v6
	v_or3_b32 v3, v4, v5, v3
.LBB2_2944:
	s_or_b64 exec, exec, s[6:7]
	s_nop 0
	v_mfma_f32_16x16x4f32 a[0:3], v2, v3, a[0:3]
	s_movk_i32 s4, 0x7f
                                        ; implicit-def: $sgpr10
	s_nop 7
	s_nop 1
	flat_store_dwordx4 v[10:11], a[0:3] offset:352
	flat_load_dwordx4 v[12:15], v[0:1]
	s_nop 0
	flat_load_dwordx2 v[10:11], v[0:1] offset:16
	s_waitcnt vmcnt(0) lgkmcnt(0)
	flat_load_dwordx4 v[6:9], v[12:13] offset:32
	flat_load_dwordx4 v[2:5], v[14:15] offset:112
	s_waitcnt vmcnt(0) lgkmcnt(0)
	v_cmp_gt_i16_sdwa s[6:7], v6, s4 src0_sel:BYTE_0 src1_sel:DWORD
	s_mov_b64 s[4:5], 0
	s_and_saveexec_b64 s[8:9], s[6:7]
	s_xor_b64 s[6:7], exec, s[8:9]
	s_cbranch_execz .LBB2_2945
; %bb.38785:
	s_getpc_b64 s[14:15]
.Lpost_getpc22976:
	s_add_u32 s14, s14, (.LBB2_17281-.Lpost_getpc22976)&4294967295
	s_addc_u32 s15, s15, (.LBB2_17281-.Lpost_getpc22976)>>32
	s_setpc_b64 s[14:15]
.LBB2_2945:
	s_or_saveexec_b64 s[6:7], s[6:7]
	v_mov_b32_e32 v12, s10
	s_xor_b64 exec, exec, s[6:7]
	s_cbranch_execz .LBB2_2946
; %bb.38787:
	s_getpc_b64 s[14:15]
.Lpost_getpc22977:
	s_add_u32 s14, s14, (.LBB2_17284-.Lpost_getpc22977)&4294967295
	s_addc_u32 s15, s15, (.LBB2_17284-.Lpost_getpc22977)>>32
	s_setpc_b64 s[14:15]
.LBB2_2946:
	s_or_b64 exec, exec, s[6:7]
	s_and_saveexec_b64 s[6:7], s[4:5]
	s_cbranch_execz .LBB2_2948
.LBB2_2947:
	v_and_b32_e32 v12, 7, v6
	v_ffbh_u32_e32 v14, v12
	v_min_u32_e32 v14, 32, v14
	v_lshrrev_b16_e32 v13, 3, v6
	v_subrev_u32_e32 v15, 28, v14
	v_and_b32_e32 v13, 15, v13
	v_lshlrev_b32_e32 v15, v15, v6
	v_sub_u32_e32 v14, 29, v14
	v_and_b32_e32 v15, 7, v15
	v_cmp_eq_u16_e32 vcc, 0, v13
	v_cndmask_b32_e32 v12, v12, v15, vcc
	v_cndmask_b32_e32 v13, v13, v14, vcc
	v_lshlrev_b32_e32 v14, 24, v6
	v_mov_b32_e32 v15, 0x3b800000
	v_lshlrev_b32_e32 v12, 20, v12
	v_and_b32_e32 v14, 0x80000000, v14
	v_lshl_add_u32 v13, v13, 23, v15
	v_or3_b32 v12, v14, v13, v12
.LBB2_2948:
	s_or_b64 exec, exec, s[6:7]
	s_movk_i32 s4, 0x7f
	v_cmp_gt_i16_sdwa s[6:7], v2, s4 src0_sel:BYTE_0 src1_sel:DWORD
	s_mov_b64 s[4:5], 0
                                        ; implicit-def: $sgpr10
	s_and_saveexec_b64 s[8:9], s[6:7]
	s_xor_b64 s[6:7], exec, s[8:9]
	s_cbranch_execz .LBB2_2949
; %bb.38789:
	s_getpc_b64 s[14:15]
.Lpost_getpc22978:
	s_add_u32 s14, s14, (.LBB2_17285-.Lpost_getpc22978)&4294967295
	s_addc_u32 s15, s15, (.LBB2_17285-.Lpost_getpc22978)>>32
	s_setpc_b64 s[14:15]
.LBB2_2949:
	s_or_saveexec_b64 s[6:7], s[6:7]
	v_mov_b32_e32 v13, s10
	s_xor_b64 exec, exec, s[6:7]
	s_cbranch_execz .LBB2_2950
; %bb.38791:
	s_getpc_b64 s[14:15]
.Lpost_getpc22979:
	s_add_u32 s14, s14, (.LBB2_17288-.Lpost_getpc22979)&4294967295
	s_addc_u32 s15, s15, (.LBB2_17288-.Lpost_getpc22979)>>32
	s_setpc_b64 s[14:15]
.LBB2_2950:
	s_or_b64 exec, exec, s[6:7]
	s_and_saveexec_b64 s[6:7], s[4:5]
	s_cbranch_execz .LBB2_2952
.LBB2_2951:
	v_and_b32_e32 v13, 7, v2
	v_ffbh_u32_e32 v15, v13
	v_min_u32_e32 v15, 32, v15
	v_lshrrev_b16_e32 v14, 3, v2
	v_subrev_u32_e32 v16, 28, v15
	v_and_b32_e32 v14, 15, v14
	v_lshlrev_b32_e32 v16, v16, v2
	v_sub_u32_e32 v15, 29, v15
	v_and_b32_e32 v16, 7, v16
	v_cmp_eq_u16_e32 vcc, 0, v14
	v_cndmask_b32_e32 v13, v13, v16, vcc
	v_cndmask_b32_e32 v14, v14, v15, vcc
	v_lshlrev_b32_e32 v15, 24, v2
	v_mov_b32_e32 v16, 0x3b800000
	v_lshlrev_b32_e32 v13, 20, v13
	v_and_b32_e32 v15, 0x80000000, v15
	v_lshl_add_u32 v14, v14, 23, v16
	v_or3_b32 v13, v15, v14, v13
.LBB2_2952:
	s_or_b64 exec, exec, s[6:7]
	flat_load_dwordx4 a[0:3], v[10:11] offset:368
	s_movk_i32 s4, 0x7f
                                        ; implicit-def: $sgpr10
	s_waitcnt vmcnt(0) lgkmcnt(0)
	v_mfma_f32_16x16x4f32 a[0:3], v12, v13, a[0:3]
	v_lshrrev_b32_e32 v13, 8, v6
	v_cmp_gt_i16_sdwa s[6:7], v13, s4 src0_sel:BYTE_0 src1_sel:DWORD
	s_mov_b64 s[4:5], 0
	s_and_saveexec_b64 s[8:9], s[6:7]
	s_xor_b64 s[6:7], exec, s[8:9]
	s_cbranch_execz .LBB2_2953
; %bb.38793:
	s_getpc_b64 s[14:15]
.Lpost_getpc22980:
	s_add_u32 s14, s14, (.LBB2_17289-.Lpost_getpc22980)&4294967295
	s_addc_u32 s15, s15, (.LBB2_17289-.Lpost_getpc22980)>>32
	s_setpc_b64 s[14:15]
.LBB2_2953:
	s_or_saveexec_b64 s[6:7], s[6:7]
	v_mov_b32_e32 v12, s10
	s_xor_b64 exec, exec, s[6:7]
	s_cbranch_execz .LBB2_2954
; %bb.38795:
	s_getpc_b64 s[14:15]
.Lpost_getpc22981:
	s_add_u32 s14, s14, (.LBB2_17292-.Lpost_getpc22981)&4294967295
	s_addc_u32 s15, s15, (.LBB2_17292-.Lpost_getpc22981)>>32
	s_setpc_b64 s[14:15]
.LBB2_2954:
	s_or_b64 exec, exec, s[6:7]
	s_and_saveexec_b64 s[6:7], s[4:5]
	s_cbranch_execz .LBB2_2956
.LBB2_2955:
	v_bfe_u32 v12, v6, 8, 3
	v_ffbh_u32_e32 v15, v12
	v_min_u32_e32 v15, 32, v15
	v_lshrrev_b16_e32 v14, 3, v13
	v_subrev_u32_e32 v16, 28, v15
	v_and_b32_e32 v14, 15, v14
	v_lshlrev_b32_e32 v13, v16, v13
	v_sub_u32_e32 v15, 29, v15
	v_and_b32_e32 v13, 7, v13
	v_cmp_eq_u16_e32 vcc, 0, v14
	v_cndmask_b32_e32 v12, v12, v13, vcc
	v_cndmask_b32_e32 v13, v14, v15, vcc
	v_lshlrev_b32_e32 v14, 16, v6
	v_mov_b32_e32 v15, 0x3b800000
	v_lshlrev_b32_e32 v12, 20, v12
	v_and_b32_e32 v14, 0x80000000, v14
	v_lshl_add_u32 v13, v13, 23, v15
	v_or3_b32 v12, v14, v13, v12
.LBB2_2956:
	s_or_b64 exec, exec, s[6:7]
	v_lshrrev_b32_e32 v13, 8, v2
	s_movk_i32 s4, 0x7f
	v_cmp_gt_i16_sdwa s[6:7], v13, s4 src0_sel:BYTE_0 src1_sel:DWORD
	s_mov_b64 s[4:5], 0
                                        ; implicit-def: $sgpr10
	s_and_saveexec_b64 s[8:9], s[6:7]
	s_xor_b64 s[6:7], exec, s[8:9]
	s_cbranch_execz .LBB2_2957
; %bb.38797:
	s_getpc_b64 s[14:15]
.Lpost_getpc22982:
	s_add_u32 s14, s14, (.LBB2_17293-.Lpost_getpc22982)&4294967295
	s_addc_u32 s15, s15, (.LBB2_17293-.Lpost_getpc22982)>>32
	s_setpc_b64 s[14:15]
.LBB2_2957:
	s_or_saveexec_b64 s[6:7], s[6:7]
	v_mov_b32_e32 v14, s10
	s_xor_b64 exec, exec, s[6:7]
	s_cbranch_execz .LBB2_2958
; %bb.38799:
	s_getpc_b64 s[14:15]
.Lpost_getpc22983:
	s_add_u32 s14, s14, (.LBB2_17296-.Lpost_getpc22983)&4294967295
	s_addc_u32 s15, s15, (.LBB2_17296-.Lpost_getpc22983)>>32
	s_setpc_b64 s[14:15]
.LBB2_2958:
	s_or_b64 exec, exec, s[6:7]
	s_and_saveexec_b64 s[6:7], s[4:5]
	s_cbranch_execz .LBB2_2960
.LBB2_2959:
	v_bfe_u32 v14, v2, 8, 3
	v_ffbh_u32_e32 v16, v14
	v_min_u32_e32 v16, 32, v16
	v_lshrrev_b16_e32 v15, 3, v13
	v_subrev_u32_e32 v17, 28, v16
	v_and_b32_e32 v15, 15, v15
	v_lshlrev_b32_e32 v13, v17, v13
	v_sub_u32_e32 v16, 29, v16
	v_and_b32_e32 v13, 7, v13
	v_cmp_eq_u16_e32 vcc, 0, v15
	v_cndmask_b32_e32 v13, v14, v13, vcc
	v_cndmask_b32_e32 v14, v15, v16, vcc
	v_lshlrev_b32_e32 v15, 16, v2
	v_mov_b32_e32 v16, 0x3b800000
	v_lshlrev_b32_e32 v13, 20, v13
	v_and_b32_e32 v15, 0x80000000, v15
	v_lshl_add_u32 v14, v14, 23, v16
	v_or3_b32 v14, v15, v14, v13
.LBB2_2960:
	s_or_b64 exec, exec, s[6:7]
	s_nop 0
	v_mfma_f32_16x16x4f32 a[0:3], v12, v14, a[0:3]
	s_movk_i32 s4, 0xff
	v_and_b32_sdwa v13, v6, s4 dst_sel:DWORD dst_unused:UNUSED_PAD src0_sel:WORD_1 src1_sel:DWORD
	s_movk_i32 s4, 0x7f
	v_cmp_lt_i16_e32 vcc, s4, v13
	s_mov_b64 s[4:5], 0
                                        ; implicit-def: $sgpr10
	s_and_saveexec_b64 s[6:7], vcc
	s_xor_b64 s[6:7], exec, s[6:7]
	s_cbranch_execz .LBB2_2961
; %bb.38801:
	s_getpc_b64 s[14:15]
.Lpost_getpc22984:
	s_add_u32 s14, s14, (.LBB2_17297-.Lpost_getpc22984)&4294967295
	s_addc_u32 s15, s15, (.LBB2_17297-.Lpost_getpc22984)>>32
	s_setpc_b64 s[14:15]
.LBB2_2961:
	s_or_saveexec_b64 s[6:7], s[6:7]
	v_mov_b32_e32 v12, s10
	s_xor_b64 exec, exec, s[6:7]
	s_cbranch_execz .LBB2_2962
; %bb.38803:
	s_getpc_b64 s[14:15]
.Lpost_getpc22985:
	s_add_u32 s14, s14, (.LBB2_17300-.Lpost_getpc22985)&4294967295
	s_addc_u32 s15, s15, (.LBB2_17300-.Lpost_getpc22985)>>32
	s_setpc_b64 s[14:15]
.LBB2_2962:
	s_or_b64 exec, exec, s[6:7]
	s_and_saveexec_b64 s[6:7], s[4:5]
	s_cbranch_execz .LBB2_2964
.LBB2_2963:
	v_bfe_u32 v12, v6, 16, 3
	v_ffbh_u32_e32 v15, v12
	v_min_u32_e32 v15, 32, v15
	v_lshrrev_b32_e32 v13, 19, v6
	v_subrev_u32_e32 v16, 28, v15
	v_and_b32_e32 v13, 15, v13
	v_lshlrev_b32_sdwa v16, v16, v6 dst_sel:DWORD dst_unused:UNUSED_PAD src0_sel:DWORD src1_sel:WORD_1
	v_bfe_u32 v14, v6, 19, 4
	v_sub_u32_e32 v15, 29, v15
	v_and_b32_e32 v16, 7, v16
	v_cmp_eq_u16_e32 vcc, 0, v13
	v_cndmask_b32_e32 v12, v12, v16, vcc
	v_cndmask_b32_e32 v13, v14, v15, vcc
	v_lshlrev_b32_e32 v14, 8, v6
	v_mov_b32_e32 v15, 0x3b800000
	v_lshlrev_b32_e32 v12, 20, v12
	v_and_b32_e32 v14, 0x80000000, v14
	v_lshl_add_u32 v13, v13, 23, v15
	v_or3_b32 v12, v14, v13, v12
.LBB2_2964:
	s_or_b64 exec, exec, s[6:7]
	s_movk_i32 s4, 0xff
	v_and_b32_sdwa v13, v2, s4 dst_sel:DWORD dst_unused:UNUSED_PAD src0_sel:WORD_1 src1_sel:DWORD
	s_movk_i32 s4, 0x7f
	v_cmp_lt_i16_e32 vcc, s4, v13
	s_mov_b64 s[4:5], 0
                                        ; implicit-def: $sgpr10
	s_and_saveexec_b64 s[6:7], vcc
	s_xor_b64 s[6:7], exec, s[6:7]
	s_cbranch_execz .LBB2_2965
; %bb.38805:
	s_getpc_b64 s[14:15]
.Lpost_getpc22986:
	s_add_u32 s14, s14, (.LBB2_17301-.Lpost_getpc22986)&4294967295
	s_addc_u32 s15, s15, (.LBB2_17301-.Lpost_getpc22986)>>32
	s_setpc_b64 s[14:15]
.LBB2_2965:
	s_or_saveexec_b64 s[6:7], s[6:7]
	v_mov_b32_e32 v14, s10
	s_xor_b64 exec, exec, s[6:7]
	s_cbranch_execz .LBB2_2966
; %bb.38807:
	s_getpc_b64 s[14:15]
.Lpost_getpc22987:
	s_add_u32 s14, s14, (.LBB2_17304-.Lpost_getpc22987)&4294967295
	s_addc_u32 s15, s15, (.LBB2_17304-.Lpost_getpc22987)>>32
	s_setpc_b64 s[14:15]
.LBB2_2966:
	s_or_b64 exec, exec, s[6:7]
	s_and_saveexec_b64 s[6:7], s[4:5]
	s_cbranch_execz .LBB2_2968
.LBB2_2967:
	v_bfe_u32 v13, v2, 16, 3
	v_ffbh_u32_e32 v16, v13
	v_min_u32_e32 v16, 32, v16
	v_lshrrev_b32_e32 v14, 19, v2
	v_subrev_u32_e32 v17, 28, v16
	v_and_b32_e32 v14, 15, v14
	v_lshlrev_b32_sdwa v17, v17, v2 dst_sel:DWORD dst_unused:UNUSED_PAD src0_sel:DWORD src1_sel:WORD_1
	v_bfe_u32 v15, v2, 19, 4
	v_sub_u32_e32 v16, 29, v16
	v_and_b32_e32 v17, 7, v17
	v_cmp_eq_u16_e32 vcc, 0, v14
	v_cndmask_b32_e32 v13, v13, v17, vcc
	v_cndmask_b32_e32 v14, v15, v16, vcc
	v_lshlrev_b32_e32 v15, 8, v2
	v_mov_b32_e32 v16, 0x3b800000
	v_lshlrev_b32_e32 v13, 20, v13
	v_and_b32_e32 v15, 0x80000000, v15
	v_lshl_add_u32 v14, v14, 23, v16
	v_or3_b32 v14, v15, v14, v13
.LBB2_2968:
	s_or_b64 exec, exec, s[6:7]
	s_nop 0
	v_mfma_f32_16x16x4f32 a[0:3], v12, v14, a[0:3]
	s_movk_i32 s4, 0x7f
	v_cmp_gt_i16_sdwa s[6:7], v6, s4 src0_sel:BYTE_3 src1_sel:DWORD
	s_mov_b64 s[4:5], 0
                                        ; implicit-def: $sgpr10
	s_and_saveexec_b64 s[8:9], s[6:7]
	s_xor_b64 s[6:7], exec, s[8:9]
	s_cbranch_execz .LBB2_2969
; %bb.38809:
	s_getpc_b64 s[14:15]
.Lpost_getpc22988:
	s_add_u32 s14, s14, (.LBB2_17305-.Lpost_getpc22988)&4294967295
	s_addc_u32 s15, s15, (.LBB2_17305-.Lpost_getpc22988)>>32
	s_setpc_b64 s[14:15]
.LBB2_2969:
	s_or_saveexec_b64 s[6:7], s[6:7]
	v_mov_b32_e32 v12, s10
	s_xor_b64 exec, exec, s[6:7]
	s_cbranch_execz .LBB2_2970
; %bb.38811:
	s_getpc_b64 s[14:15]
.Lpost_getpc22989:
	s_add_u32 s14, s14, (.LBB2_17308-.Lpost_getpc22989)&4294967295
	s_addc_u32 s15, s15, (.LBB2_17308-.Lpost_getpc22989)>>32
	s_setpc_b64 s[14:15]
.LBB2_2970:
	s_or_b64 exec, exec, s[6:7]
	s_and_saveexec_b64 s[6:7], s[4:5]
	s_cbranch_execz .LBB2_2972
.LBB2_2971:
	v_bfe_u32 v12, v6, 24, 3
	v_ffbh_u32_e32 v16, v12
	v_min_u32_e32 v16, 32, v16
	v_lshrrev_b32_e32 v14, 27, v6
	v_subrev_u32_e32 v17, 28, v16
	v_and_b32_e32 v13, 0x80000000, v6
	v_and_b32_e32 v14, 15, v14
	v_bfe_u32 v15, v6, 27, 4
	v_lshlrev_b32_sdwa v6, v17, v6 dst_sel:DWORD dst_unused:UNUSED_PAD src0_sel:DWORD src1_sel:BYTE_3
	v_sub_u32_e32 v16, 29, v16
	v_and_b32_e32 v6, 7, v6
	v_cmp_eq_u16_e32 vcc, 0, v14
	v_cndmask_b32_e32 v6, v12, v6, vcc
	v_cndmask_b32_e32 v12, v15, v16, vcc
	v_mov_b32_e32 v14, 0x3b800000
	v_lshlrev_b32_e32 v6, 20, v6
	v_lshl_add_u32 v12, v12, 23, v14
	v_or3_b32 v12, v13, v12, v6
.LBB2_2972:
	s_or_b64 exec, exec, s[6:7]
	s_movk_i32 s4, 0x7f
	v_cmp_gt_i16_sdwa s[6:7], v2, s4 src0_sel:BYTE_3 src1_sel:DWORD
	s_mov_b64 s[4:5], 0
                                        ; implicit-def: $sgpr10
	s_and_saveexec_b64 s[8:9], s[6:7]
	s_xor_b64 s[6:7], exec, s[8:9]
	s_cbranch_execz .LBB2_2973
; %bb.38813:
	s_getpc_b64 s[14:15]
.Lpost_getpc22990:
	s_add_u32 s14, s14, (.LBB2_17309-.Lpost_getpc22990)&4294967295
	s_addc_u32 s15, s15, (.LBB2_17309-.Lpost_getpc22990)>>32
	s_setpc_b64 s[14:15]
.LBB2_2973:
	s_or_saveexec_b64 s[6:7], s[6:7]
	v_mov_b32_e32 v6, s10
	s_xor_b64 exec, exec, s[6:7]
	s_cbranch_execz .LBB2_2974
; %bb.38815:
	s_getpc_b64 s[14:15]
.Lpost_getpc22991:
	s_add_u32 s14, s14, (.LBB2_17312-.Lpost_getpc22991)&4294967295
	s_addc_u32 s15, s15, (.LBB2_17312-.Lpost_getpc22991)>>32
	s_setpc_b64 s[14:15]
.LBB2_2974:
	s_or_b64 exec, exec, s[6:7]
	s_and_saveexec_b64 s[6:7], s[4:5]
	s_cbranch_execz .LBB2_2976
.LBB2_2975:
	v_bfe_u32 v6, v2, 24, 3
	v_ffbh_u32_e32 v16, v6
	v_min_u32_e32 v16, 32, v16
	v_lshrrev_b32_e32 v14, 27, v2
	v_subrev_u32_e32 v17, 28, v16
	v_and_b32_e32 v13, 0x80000000, v2
	v_and_b32_e32 v14, 15, v14
	v_bfe_u32 v15, v2, 27, 4
	v_lshlrev_b32_sdwa v2, v17, v2 dst_sel:DWORD dst_unused:UNUSED_PAD src0_sel:DWORD src1_sel:BYTE_3
	v_sub_u32_e32 v16, 29, v16
	v_and_b32_e32 v2, 7, v2
	v_cmp_eq_u16_e32 vcc, 0, v14
	v_cndmask_b32_e32 v2, v6, v2, vcc
	v_cndmask_b32_e32 v6, v15, v16, vcc
	v_mov_b32_e32 v14, 0x3b800000
	v_lshlrev_b32_e32 v2, 20, v2
	v_lshl_add_u32 v6, v6, 23, v14
	v_or3_b32 v6, v13, v6, v2
.LBB2_2976:
	s_or_b64 exec, exec, s[6:7]
	s_nop 0
	v_mfma_f32_16x16x4f32 a[0:3], v12, v6, a[0:3]
	s_movk_i32 s4, 0x7f
	v_cmp_gt_i16_sdwa s[6:7], v7, s4 src0_sel:BYTE_0 src1_sel:DWORD
	s_mov_b64 s[4:5], 0
                                        ; implicit-def: $sgpr10
	s_and_saveexec_b64 s[8:9], s[6:7]
	s_xor_b64 s[6:7], exec, s[8:9]
	s_cbranch_execz .LBB2_2977
; %bb.38817:
	s_getpc_b64 s[14:15]
.Lpost_getpc22992:
	s_add_u32 s14, s14, (.LBB2_17313-.Lpost_getpc22992)&4294967295
	s_addc_u32 s15, s15, (.LBB2_17313-.Lpost_getpc22992)>>32
	s_setpc_b64 s[14:15]
.LBB2_2977:
	s_or_saveexec_b64 s[6:7], s[6:7]
	v_mov_b32_e32 v2, s10
	s_xor_b64 exec, exec, s[6:7]
	s_cbranch_execz .LBB2_2978
; %bb.38819:
	s_getpc_b64 s[14:15]
.Lpost_getpc22993:
	s_add_u32 s14, s14, (.LBB2_17316-.Lpost_getpc22993)&4294967295
	s_addc_u32 s15, s15, (.LBB2_17316-.Lpost_getpc22993)>>32
	s_setpc_b64 s[14:15]
.LBB2_2978:
	s_or_b64 exec, exec, s[6:7]
	s_and_saveexec_b64 s[6:7], s[4:5]
	s_cbranch_execz .LBB2_2980
.LBB2_2979:
	v_and_b32_e32 v2, 7, v7
	v_ffbh_u32_e32 v12, v2
	v_min_u32_e32 v12, 32, v12
	v_lshrrev_b16_e32 v6, 3, v7
	v_subrev_u32_e32 v13, 28, v12
	v_and_b32_e32 v6, 15, v6
	v_lshlrev_b32_e32 v13, v13, v7
	v_sub_u32_e32 v12, 29, v12
	v_and_b32_e32 v13, 7, v13
	v_cmp_eq_u16_e32 vcc, 0, v6
	v_cndmask_b32_e32 v2, v2, v13, vcc
	v_cndmask_b32_e32 v6, v6, v12, vcc
	v_lshlrev_b32_e32 v12, 24, v7
	v_mov_b32_e32 v13, 0x3b800000
	v_lshlrev_b32_e32 v2, 20, v2
	v_and_b32_e32 v12, 0x80000000, v12
	v_lshl_add_u32 v6, v6, 23, v13
	v_or3_b32 v2, v12, v6, v2
.LBB2_2980:
	s_or_b64 exec, exec, s[6:7]
	s_movk_i32 s4, 0x7f
	v_cmp_gt_i16_sdwa s[6:7], v3, s4 src0_sel:BYTE_0 src1_sel:DWORD
	s_mov_b64 s[4:5], 0
                                        ; implicit-def: $sgpr10
	s_and_saveexec_b64 s[8:9], s[6:7]
	s_xor_b64 s[6:7], exec, s[8:9]
	s_cbranch_execz .LBB2_2981
; %bb.38821:
	s_getpc_b64 s[14:15]
.Lpost_getpc22994:
	s_add_u32 s14, s14, (.LBB2_17317-.Lpost_getpc22994)&4294967295
	s_addc_u32 s15, s15, (.LBB2_17317-.Lpost_getpc22994)>>32
	s_setpc_b64 s[14:15]
.LBB2_2981:
	s_or_saveexec_b64 s[6:7], s[6:7]
	v_mov_b32_e32 v6, s10
	s_xor_b64 exec, exec, s[6:7]
	s_cbranch_execz .LBB2_2982
; %bb.38823:
	s_getpc_b64 s[14:15]
.Lpost_getpc22995:
	s_add_u32 s14, s14, (.LBB2_17320-.Lpost_getpc22995)&4294967295
	s_addc_u32 s15, s15, (.LBB2_17320-.Lpost_getpc22995)>>32
	s_setpc_b64 s[14:15]
.LBB2_2982:
	s_or_b64 exec, exec, s[6:7]
	s_and_saveexec_b64 s[6:7], s[4:5]
	s_cbranch_execz .LBB2_2984
.LBB2_2983:
	v_and_b32_e32 v6, 7, v3
	v_ffbh_u32_e32 v13, v6
	v_min_u32_e32 v13, 32, v13
	v_lshrrev_b16_e32 v12, 3, v3
	v_subrev_u32_e32 v14, 28, v13
	v_and_b32_e32 v12, 15, v12
	v_lshlrev_b32_e32 v14, v14, v3
	v_sub_u32_e32 v13, 29, v13
	v_and_b32_e32 v14, 7, v14
	v_cmp_eq_u16_e32 vcc, 0, v12
	v_cndmask_b32_e32 v6, v6, v14, vcc
	v_cndmask_b32_e32 v12, v12, v13, vcc
	v_lshlrev_b32_e32 v13, 24, v3
	v_mov_b32_e32 v14, 0x3b800000
	v_lshlrev_b32_e32 v6, 20, v6
	v_and_b32_e32 v13, 0x80000000, v13
	v_lshl_add_u32 v12, v12, 23, v14
	v_or3_b32 v6, v13, v12, v6
.LBB2_2984:
	s_or_b64 exec, exec, s[6:7]
	s_nop 0
	v_mfma_f32_16x16x4f32 a[0:3], v2, v6, a[0:3]
	v_lshrrev_b32_e32 v6, 8, v7
	s_movk_i32 s4, 0x7f
	v_cmp_gt_i16_sdwa s[6:7], v6, s4 src0_sel:BYTE_0 src1_sel:DWORD
	s_mov_b64 s[4:5], 0
                                        ; implicit-def: $sgpr10
	s_and_saveexec_b64 s[8:9], s[6:7]
	s_xor_b64 s[6:7], exec, s[8:9]
	s_cbranch_execz .LBB2_2985
; %bb.38825:
	s_getpc_b64 s[14:15]
.Lpost_getpc22996:
	s_add_u32 s14, s14, (.LBB2_17321-.Lpost_getpc22996)&4294967295
	s_addc_u32 s15, s15, (.LBB2_17321-.Lpost_getpc22996)>>32
	s_setpc_b64 s[14:15]
.LBB2_2985:
	s_or_saveexec_b64 s[6:7], s[6:7]
	v_mov_b32_e32 v2, s10
	s_xor_b64 exec, exec, s[6:7]
	s_cbranch_execz .LBB2_2986
; %bb.38827:
	s_getpc_b64 s[14:15]
.Lpost_getpc22997:
	s_add_u32 s14, s14, (.LBB2_17324-.Lpost_getpc22997)&4294967295
	s_addc_u32 s15, s15, (.LBB2_17324-.Lpost_getpc22997)>>32
	s_setpc_b64 s[14:15]
.LBB2_2986:
	s_or_b64 exec, exec, s[6:7]
	s_and_saveexec_b64 s[6:7], s[4:5]
	s_cbranch_execz .LBB2_2988
.LBB2_2987:
	v_bfe_u32 v2, v7, 8, 3
	v_ffbh_u32_e32 v13, v2
	v_min_u32_e32 v13, 32, v13
	v_lshrrev_b16_e32 v12, 3, v6
	v_subrev_u32_e32 v14, 28, v13
	v_and_b32_e32 v12, 15, v12
	v_lshlrev_b32_e32 v6, v14, v6
	v_sub_u32_e32 v13, 29, v13
	v_and_b32_e32 v6, 7, v6
	v_cmp_eq_u16_e32 vcc, 0, v12
	v_cndmask_b32_e32 v2, v2, v6, vcc
	v_cndmask_b32_e32 v6, v12, v13, vcc
	v_lshlrev_b32_e32 v12, 16, v7
	v_mov_b32_e32 v13, 0x3b800000
	v_lshlrev_b32_e32 v2, 20, v2
	v_and_b32_e32 v12, 0x80000000, v12
	v_lshl_add_u32 v6, v6, 23, v13
	v_or3_b32 v2, v12, v6, v2
.LBB2_2988:
	s_or_b64 exec, exec, s[6:7]
	v_lshrrev_b32_e32 v6, 8, v3
	s_movk_i32 s4, 0x7f
	v_cmp_gt_i16_sdwa s[6:7], v6, s4 src0_sel:BYTE_0 src1_sel:DWORD
	s_mov_b64 s[4:5], 0
                                        ; implicit-def: $sgpr10
	s_and_saveexec_b64 s[8:9], s[6:7]
	s_xor_b64 s[6:7], exec, s[8:9]
	s_cbranch_execz .LBB2_2989
; %bb.38829:
	s_getpc_b64 s[14:15]
.Lpost_getpc22998:
	s_add_u32 s14, s14, (.LBB2_17325-.Lpost_getpc22998)&4294967295
	s_addc_u32 s15, s15, (.LBB2_17325-.Lpost_getpc22998)>>32
	s_setpc_b64 s[14:15]
.LBB2_2989:
	s_or_saveexec_b64 s[6:7], s[6:7]
	v_mov_b32_e32 v12, s10
	s_xor_b64 exec, exec, s[6:7]
	s_cbranch_execz .LBB2_2990
; %bb.38831:
	s_getpc_b64 s[14:15]
.Lpost_getpc22999:
	s_add_u32 s14, s14, (.LBB2_17328-.Lpost_getpc22999)&4294967295
	s_addc_u32 s15, s15, (.LBB2_17328-.Lpost_getpc22999)>>32
	s_setpc_b64 s[14:15]
.LBB2_2990:
	s_or_b64 exec, exec, s[6:7]
	s_and_saveexec_b64 s[6:7], s[4:5]
	s_cbranch_execz .LBB2_2992
.LBB2_2991:
	v_bfe_u32 v12, v3, 8, 3
	v_ffbh_u32_e32 v14, v12
	v_min_u32_e32 v14, 32, v14
	v_lshrrev_b16_e32 v13, 3, v6
	v_subrev_u32_e32 v15, 28, v14
	v_and_b32_e32 v13, 15, v13
	v_lshlrev_b32_e32 v6, v15, v6
	v_sub_u32_e32 v14, 29, v14
	v_and_b32_e32 v6, 7, v6
	v_cmp_eq_u16_e32 vcc, 0, v13
	v_cndmask_b32_e32 v6, v12, v6, vcc
	v_cndmask_b32_e32 v12, v13, v14, vcc
	v_lshlrev_b32_e32 v13, 16, v3
	v_mov_b32_e32 v14, 0x3b800000
	v_lshlrev_b32_e32 v6, 20, v6
	v_and_b32_e32 v13, 0x80000000, v13
	v_lshl_add_u32 v12, v12, 23, v14
	v_or3_b32 v12, v13, v12, v6
.LBB2_2992:
	s_or_b64 exec, exec, s[6:7]
	s_nop 0
	v_mfma_f32_16x16x4f32 a[0:3], v2, v12, a[0:3]
	s_movk_i32 s4, 0xff
	v_and_b32_sdwa v6, v7, s4 dst_sel:DWORD dst_unused:UNUSED_PAD src0_sel:WORD_1 src1_sel:DWORD
	s_movk_i32 s4, 0x7f
	v_cmp_lt_i16_e32 vcc, s4, v6
	s_mov_b64 s[4:5], 0
                                        ; implicit-def: $sgpr10
	s_and_saveexec_b64 s[6:7], vcc
	s_xor_b64 s[6:7], exec, s[6:7]
	s_cbranch_execz .LBB2_2993
; %bb.38833:
	s_getpc_b64 s[14:15]
.Lpost_getpc23000:
	s_add_u32 s14, s14, (.LBB2_17329-.Lpost_getpc23000)&4294967295
	s_addc_u32 s15, s15, (.LBB2_17329-.Lpost_getpc23000)>>32
	s_setpc_b64 s[14:15]
.LBB2_2993:
	s_or_saveexec_b64 s[6:7], s[6:7]
	v_mov_b32_e32 v2, s10
	s_xor_b64 exec, exec, s[6:7]
	s_cbranch_execz .LBB2_2994
; %bb.38835:
	s_getpc_b64 s[14:15]
.Lpost_getpc23001:
	s_add_u32 s14, s14, (.LBB2_17332-.Lpost_getpc23001)&4294967295
	s_addc_u32 s15, s15, (.LBB2_17332-.Lpost_getpc23001)>>32
	s_setpc_b64 s[14:15]
.LBB2_2994:
	s_or_b64 exec, exec, s[6:7]
	s_and_saveexec_b64 s[6:7], s[4:5]
	s_cbranch_execz .LBB2_2996
.LBB2_2995:
	v_bfe_u32 v2, v7, 16, 3
	v_ffbh_u32_e32 v13, v2
	v_min_u32_e32 v13, 32, v13
	v_lshrrev_b32_e32 v6, 19, v7
	v_subrev_u32_e32 v14, 28, v13
	v_and_b32_e32 v6, 15, v6
	v_lshlrev_b32_sdwa v14, v14, v7 dst_sel:DWORD dst_unused:UNUSED_PAD src0_sel:DWORD src1_sel:WORD_1
	v_bfe_u32 v12, v7, 19, 4
	v_sub_u32_e32 v13, 29, v13
	v_and_b32_e32 v14, 7, v14
	v_cmp_eq_u16_e32 vcc, 0, v6
	v_cndmask_b32_e32 v2, v2, v14, vcc
	v_cndmask_b32_e32 v6, v12, v13, vcc
	v_lshlrev_b32_e32 v12, 8, v7
	v_mov_b32_e32 v13, 0x3b800000
	v_lshlrev_b32_e32 v2, 20, v2
	v_and_b32_e32 v12, 0x80000000, v12
	v_lshl_add_u32 v6, v6, 23, v13
	v_or3_b32 v2, v12, v6, v2
.LBB2_2996:
	s_or_b64 exec, exec, s[6:7]
	s_movk_i32 s4, 0xff
	v_and_b32_sdwa v6, v3, s4 dst_sel:DWORD dst_unused:UNUSED_PAD src0_sel:WORD_1 src1_sel:DWORD
	s_movk_i32 s4, 0x7f
	v_cmp_lt_i16_e32 vcc, s4, v6
	s_mov_b64 s[4:5], 0
                                        ; implicit-def: $sgpr10
	s_and_saveexec_b64 s[6:7], vcc
	s_xor_b64 s[6:7], exec, s[6:7]
	s_cbranch_execz .LBB2_2997
; %bb.38837:
	s_getpc_b64 s[14:15]
.Lpost_getpc23002:
	s_add_u32 s14, s14, (.LBB2_17333-.Lpost_getpc23002)&4294967295
	s_addc_u32 s15, s15, (.LBB2_17333-.Lpost_getpc23002)>>32
	s_setpc_b64 s[14:15]
.LBB2_2997:
	s_or_saveexec_b64 s[6:7], s[6:7]
	v_mov_b32_e32 v12, s10
	s_xor_b64 exec, exec, s[6:7]
	s_cbranch_execz .LBB2_2998
; %bb.38839:
	s_getpc_b64 s[14:15]
.Lpost_getpc23003:
	s_add_u32 s14, s14, (.LBB2_17336-.Lpost_getpc23003)&4294967295
	s_addc_u32 s15, s15, (.LBB2_17336-.Lpost_getpc23003)>>32
	s_setpc_b64 s[14:15]
.LBB2_2998:
	s_or_b64 exec, exec, s[6:7]
	s_and_saveexec_b64 s[6:7], s[4:5]
	s_cbranch_execz .LBB2_3000
.LBB2_2999:
	v_bfe_u32 v6, v3, 16, 3
	v_ffbh_u32_e32 v14, v6
	v_min_u32_e32 v14, 32, v14
	v_lshrrev_b32_e32 v12, 19, v3
	v_subrev_u32_e32 v15, 28, v14
	v_and_b32_e32 v12, 15, v12
	v_lshlrev_b32_sdwa v15, v15, v3 dst_sel:DWORD dst_unused:UNUSED_PAD src0_sel:DWORD src1_sel:WORD_1
	v_bfe_u32 v13, v3, 19, 4
	v_sub_u32_e32 v14, 29, v14
	v_and_b32_e32 v15, 7, v15
	v_cmp_eq_u16_e32 vcc, 0, v12
	v_cndmask_b32_e32 v6, v6, v15, vcc
	v_cndmask_b32_e32 v12, v13, v14, vcc
	v_lshlrev_b32_e32 v13, 8, v3
	v_mov_b32_e32 v14, 0x3b800000
	v_lshlrev_b32_e32 v6, 20, v6
	v_and_b32_e32 v13, 0x80000000, v13
	v_lshl_add_u32 v12, v12, 23, v14
	v_or3_b32 v12, v13, v12, v6
.LBB2_3000:
	s_or_b64 exec, exec, s[6:7]
	s_nop 0
	v_mfma_f32_16x16x4f32 a[0:3], v2, v12, a[0:3]
	s_movk_i32 s4, 0x7f
	v_cmp_gt_i16_sdwa s[6:7], v7, s4 src0_sel:BYTE_3 src1_sel:DWORD
	s_mov_b64 s[4:5], 0
                                        ; implicit-def: $sgpr10
	s_and_saveexec_b64 s[8:9], s[6:7]
	s_xor_b64 s[6:7], exec, s[8:9]
	s_cbranch_execz .LBB2_3001
; %bb.38841:
	s_getpc_b64 s[14:15]
.Lpost_getpc23004:
	s_add_u32 s14, s14, (.LBB2_17337-.Lpost_getpc23004)&4294967295
	s_addc_u32 s15, s15, (.LBB2_17337-.Lpost_getpc23004)>>32
	s_setpc_b64 s[14:15]
.LBB2_3001:
	s_or_saveexec_b64 s[6:7], s[6:7]
	v_mov_b32_e32 v2, s10
	s_xor_b64 exec, exec, s[6:7]
	s_cbranch_execz .LBB2_3002
; %bb.38843:
	s_getpc_b64 s[14:15]
.Lpost_getpc23005:
	s_add_u32 s14, s14, (.LBB2_17340-.Lpost_getpc23005)&4294967295
	s_addc_u32 s15, s15, (.LBB2_17340-.Lpost_getpc23005)>>32
	s_setpc_b64 s[14:15]
.LBB2_3002:
	s_or_b64 exec, exec, s[6:7]
	s_and_saveexec_b64 s[6:7], s[4:5]
	s_cbranch_execz .LBB2_3004
.LBB2_3003:
	v_bfe_u32 v2, v7, 24, 3
	v_ffbh_u32_e32 v14, v2
	v_min_u32_e32 v14, 32, v14
	v_lshrrev_b32_e32 v12, 27, v7
	v_subrev_u32_e32 v15, 28, v14
	v_and_b32_e32 v6, 0x80000000, v7
	v_and_b32_e32 v12, 15, v12
	v_bfe_u32 v13, v7, 27, 4
	v_lshlrev_b32_sdwa v7, v15, v7 dst_sel:DWORD dst_unused:UNUSED_PAD src0_sel:DWORD src1_sel:BYTE_3
	v_sub_u32_e32 v14, 29, v14
	v_and_b32_e32 v7, 7, v7
	v_cmp_eq_u16_e32 vcc, 0, v12
	v_cndmask_b32_e32 v2, v2, v7, vcc
	v_cndmask_b32_e32 v7, v13, v14, vcc
	v_mov_b32_e32 v12, 0x3b800000
	v_lshlrev_b32_e32 v2, 20, v2
	v_lshl_add_u32 v7, v7, 23, v12
	v_or3_b32 v2, v6, v7, v2
.LBB2_3004:
	s_or_b64 exec, exec, s[6:7]
	s_movk_i32 s4, 0x7f
	v_cmp_gt_i16_sdwa s[6:7], v3, s4 src0_sel:BYTE_3 src1_sel:DWORD
	s_mov_b64 s[4:5], 0
                                        ; implicit-def: $sgpr10
	s_and_saveexec_b64 s[8:9], s[6:7]
	s_xor_b64 s[6:7], exec, s[8:9]
	s_cbranch_execz .LBB2_3005
; %bb.38845:
	s_getpc_b64 s[14:15]
.Lpost_getpc23006:
	s_add_u32 s14, s14, (.LBB2_17341-.Lpost_getpc23006)&4294967295
	s_addc_u32 s15, s15, (.LBB2_17341-.Lpost_getpc23006)>>32
	s_setpc_b64 s[14:15]
.LBB2_3005:
	s_or_saveexec_b64 s[6:7], s[6:7]
	v_mov_b32_e32 v6, s10
	s_xor_b64 exec, exec, s[6:7]
	s_cbranch_execz .LBB2_3006
; %bb.38847:
	s_getpc_b64 s[14:15]
.Lpost_getpc23007:
	s_add_u32 s14, s14, (.LBB2_17344-.Lpost_getpc23007)&4294967295
	s_addc_u32 s15, s15, (.LBB2_17344-.Lpost_getpc23007)>>32
	s_setpc_b64 s[14:15]
.LBB2_3006:
	s_or_b64 exec, exec, s[6:7]
	s_and_saveexec_b64 s[6:7], s[4:5]
	s_cbranch_execz .LBB2_3008
.LBB2_3007:
	v_bfe_u32 v6, v3, 24, 3
	v_ffbh_u32_e32 v14, v6
	v_min_u32_e32 v14, 32, v14
	v_lshrrev_b32_e32 v12, 27, v3
	v_subrev_u32_e32 v15, 28, v14
	v_and_b32_e32 v7, 0x80000000, v3
	v_and_b32_e32 v12, 15, v12
	v_bfe_u32 v13, v3, 27, 4
	v_lshlrev_b32_sdwa v3, v15, v3 dst_sel:DWORD dst_unused:UNUSED_PAD src0_sel:DWORD src1_sel:BYTE_3
	v_sub_u32_e32 v14, 29, v14
	v_and_b32_e32 v3, 7, v3
	v_cmp_eq_u16_e32 vcc, 0, v12
	v_cndmask_b32_e32 v3, v6, v3, vcc
	v_cndmask_b32_e32 v6, v13, v14, vcc
	v_mov_b32_e32 v12, 0x3b800000
	v_lshlrev_b32_e32 v3, 20, v3
	v_lshl_add_u32 v6, v6, 23, v12
	v_or3_b32 v6, v7, v6, v3
.LBB2_3008:
	s_or_b64 exec, exec, s[6:7]
	s_nop 0
	v_mfma_f32_16x16x4f32 a[0:3], v2, v6, a[0:3]
	s_movk_i32 s4, 0x7f
	v_cmp_gt_i16_sdwa s[6:7], v8, s4 src0_sel:BYTE_0 src1_sel:DWORD
	s_mov_b64 s[4:5], 0
                                        ; implicit-def: $sgpr10
	s_and_saveexec_b64 s[8:9], s[6:7]
	s_xor_b64 s[6:7], exec, s[8:9]
	s_cbranch_execz .LBB2_3009
; %bb.38849:
	s_getpc_b64 s[14:15]
.Lpost_getpc23008:
	s_add_u32 s14, s14, (.LBB2_17345-.Lpost_getpc23008)&4294967295
	s_addc_u32 s15, s15, (.LBB2_17345-.Lpost_getpc23008)>>32
	s_setpc_b64 s[14:15]
.LBB2_3009:
	s_or_saveexec_b64 s[6:7], s[6:7]
	v_mov_b32_e32 v2, s10
	s_xor_b64 exec, exec, s[6:7]
	s_cbranch_execz .LBB2_3010
; %bb.38851:
	s_getpc_b64 s[14:15]
.Lpost_getpc23009:
	s_add_u32 s14, s14, (.LBB2_17348-.Lpost_getpc23009)&4294967295
	s_addc_u32 s15, s15, (.LBB2_17348-.Lpost_getpc23009)>>32
	s_setpc_b64 s[14:15]
.LBB2_3010:
	s_or_b64 exec, exec, s[6:7]
	s_and_saveexec_b64 s[6:7], s[4:5]
	s_cbranch_execz .LBB2_3012
.LBB2_3011:
	v_and_b32_e32 v2, 7, v8
	v_ffbh_u32_e32 v6, v2
	v_min_u32_e32 v6, 32, v6
	v_lshrrev_b16_e32 v3, 3, v8
	v_subrev_u32_e32 v7, 28, v6
	v_and_b32_e32 v3, 15, v3
	v_lshlrev_b32_e32 v7, v7, v8
	v_sub_u32_e32 v6, 29, v6
	v_and_b32_e32 v7, 7, v7
	v_cmp_eq_u16_e32 vcc, 0, v3
	v_cndmask_b32_e32 v2, v2, v7, vcc
	v_cndmask_b32_e32 v3, v3, v6, vcc
	v_lshlrev_b32_e32 v6, 24, v8
	v_mov_b32_e32 v7, 0x3b800000
	v_lshlrev_b32_e32 v2, 20, v2
	v_and_b32_e32 v6, 0x80000000, v6
	v_lshl_add_u32 v3, v3, 23, v7
	v_or3_b32 v2, v6, v3, v2
.LBB2_3012:
	s_or_b64 exec, exec, s[6:7]
	s_movk_i32 s4, 0x7f
	v_cmp_gt_i16_sdwa s[6:7], v4, s4 src0_sel:BYTE_0 src1_sel:DWORD
	s_mov_b64 s[4:5], 0
                                        ; implicit-def: $sgpr10
	s_and_saveexec_b64 s[8:9], s[6:7]
	s_xor_b64 s[6:7], exec, s[8:9]
	s_cbranch_execz .LBB2_3013
; %bb.38853:
	s_getpc_b64 s[14:15]
.Lpost_getpc23010:
	s_add_u32 s14, s14, (.LBB2_17349-.Lpost_getpc23010)&4294967295
	s_addc_u32 s15, s15, (.LBB2_17349-.Lpost_getpc23010)>>32
	s_setpc_b64 s[14:15]
.LBB2_3013:
	s_or_saveexec_b64 s[6:7], s[6:7]
	v_mov_b32_e32 v3, s10
	s_xor_b64 exec, exec, s[6:7]
	s_cbranch_execz .LBB2_3014
; %bb.38855:
	s_getpc_b64 s[14:15]
.Lpost_getpc23011:
	s_add_u32 s14, s14, (.LBB2_17352-.Lpost_getpc23011)&4294967295
	s_addc_u32 s15, s15, (.LBB2_17352-.Lpost_getpc23011)>>32
	s_setpc_b64 s[14:15]
.LBB2_3014:
	s_or_b64 exec, exec, s[6:7]
	s_and_saveexec_b64 s[6:7], s[4:5]
	s_cbranch_execz .LBB2_3016
.LBB2_3015:
	v_and_b32_e32 v3, 7, v4
	v_ffbh_u32_e32 v7, v3
	v_min_u32_e32 v7, 32, v7
	v_lshrrev_b16_e32 v6, 3, v4
	v_subrev_u32_e32 v12, 28, v7
	v_and_b32_e32 v6, 15, v6
	v_lshlrev_b32_e32 v12, v12, v4
	v_sub_u32_e32 v7, 29, v7
	v_and_b32_e32 v12, 7, v12
	v_cmp_eq_u16_e32 vcc, 0, v6
	v_cndmask_b32_e32 v3, v3, v12, vcc
	v_cndmask_b32_e32 v6, v6, v7, vcc
	v_lshlrev_b32_e32 v7, 24, v4
	v_mov_b32_e32 v12, 0x3b800000
	v_lshlrev_b32_e32 v3, 20, v3
	v_and_b32_e32 v7, 0x80000000, v7
	v_lshl_add_u32 v6, v6, 23, v12
	v_or3_b32 v3, v7, v6, v3
.LBB2_3016:
	s_or_b64 exec, exec, s[6:7]
	s_nop 0
	v_mfma_f32_16x16x4f32 a[0:3], v2, v3, a[0:3]
	v_lshrrev_b32_e32 v3, 8, v8
	s_movk_i32 s4, 0x7f
	v_cmp_gt_i16_sdwa s[6:7], v3, s4 src0_sel:BYTE_0 src1_sel:DWORD
	s_mov_b64 s[4:5], 0
                                        ; implicit-def: $sgpr10
	s_and_saveexec_b64 s[8:9], s[6:7]
	s_xor_b64 s[6:7], exec, s[8:9]
	s_cbranch_execz .LBB2_3017
; %bb.38857:
	s_getpc_b64 s[14:15]
.Lpost_getpc23012:
	s_add_u32 s14, s14, (.LBB2_17353-.Lpost_getpc23012)&4294967295
	s_addc_u32 s15, s15, (.LBB2_17353-.Lpost_getpc23012)>>32
	s_setpc_b64 s[14:15]
.LBB2_3017:
	s_or_saveexec_b64 s[6:7], s[6:7]
	v_mov_b32_e32 v2, s10
	s_xor_b64 exec, exec, s[6:7]
	s_cbranch_execz .LBB2_3018
; %bb.38859:
	s_getpc_b64 s[14:15]
.Lpost_getpc23013:
	s_add_u32 s14, s14, (.LBB2_17356-.Lpost_getpc23013)&4294967295
	s_addc_u32 s15, s15, (.LBB2_17356-.Lpost_getpc23013)>>32
	s_setpc_b64 s[14:15]
.LBB2_3018:
	s_or_b64 exec, exec, s[6:7]
	s_and_saveexec_b64 s[6:7], s[4:5]
	s_cbranch_execz .LBB2_3020
.LBB2_3019:
	v_bfe_u32 v2, v8, 8, 3
	v_ffbh_u32_e32 v7, v2
	v_min_u32_e32 v7, 32, v7
	v_lshrrev_b16_e32 v6, 3, v3
	v_subrev_u32_e32 v12, 28, v7
	v_and_b32_e32 v6, 15, v6
	v_lshlrev_b32_e32 v3, v12, v3
	v_sub_u32_e32 v7, 29, v7
	v_and_b32_e32 v3, 7, v3
	v_cmp_eq_u16_e32 vcc, 0, v6
	v_cndmask_b32_e32 v2, v2, v3, vcc
	v_cndmask_b32_e32 v3, v6, v7, vcc
	v_lshlrev_b32_e32 v6, 16, v8
	v_mov_b32_e32 v7, 0x3b800000
	v_lshlrev_b32_e32 v2, 20, v2
	v_and_b32_e32 v6, 0x80000000, v6
	v_lshl_add_u32 v3, v3, 23, v7
	v_or3_b32 v2, v6, v3, v2
.LBB2_3020:
	s_or_b64 exec, exec, s[6:7]
	v_lshrrev_b32_e32 v3, 8, v4
	s_movk_i32 s4, 0x7f
	v_cmp_gt_i16_sdwa s[6:7], v3, s4 src0_sel:BYTE_0 src1_sel:DWORD
	s_mov_b64 s[4:5], 0
                                        ; implicit-def: $sgpr10
	s_and_saveexec_b64 s[8:9], s[6:7]
	s_xor_b64 s[6:7], exec, s[8:9]
	s_cbranch_execz .LBB2_3021
; %bb.38861:
	s_getpc_b64 s[14:15]
.Lpost_getpc23014:
	s_add_u32 s14, s14, (.LBB2_17357-.Lpost_getpc23014)&4294967295
	s_addc_u32 s15, s15, (.LBB2_17357-.Lpost_getpc23014)>>32
	s_setpc_b64 s[14:15]
.LBB2_3021:
	s_or_saveexec_b64 s[6:7], s[6:7]
	v_mov_b32_e32 v6, s10
	s_xor_b64 exec, exec, s[6:7]
	s_cbranch_execz .LBB2_3022
; %bb.38863:
	s_getpc_b64 s[14:15]
.Lpost_getpc23015:
	s_add_u32 s14, s14, (.LBB2_17360-.Lpost_getpc23015)&4294967295
	s_addc_u32 s15, s15, (.LBB2_17360-.Lpost_getpc23015)>>32
	s_setpc_b64 s[14:15]
.LBB2_3022:
	s_or_b64 exec, exec, s[6:7]
	s_and_saveexec_b64 s[6:7], s[4:5]
	s_cbranch_execz .LBB2_3024
.LBB2_3023:
	v_bfe_u32 v6, v4, 8, 3
	v_ffbh_u32_e32 v12, v6
	v_min_u32_e32 v12, 32, v12
	v_lshrrev_b16_e32 v7, 3, v3
	v_subrev_u32_e32 v13, 28, v12
	v_and_b32_e32 v7, 15, v7
	v_lshlrev_b32_e32 v3, v13, v3
	v_sub_u32_e32 v12, 29, v12
	v_and_b32_e32 v3, 7, v3
	v_cmp_eq_u16_e32 vcc, 0, v7
	v_cndmask_b32_e32 v3, v6, v3, vcc
	v_cndmask_b32_e32 v6, v7, v12, vcc
	v_lshlrev_b32_e32 v7, 16, v4
	v_mov_b32_e32 v12, 0x3b800000
	v_lshlrev_b32_e32 v3, 20, v3
	v_and_b32_e32 v7, 0x80000000, v7
	v_lshl_add_u32 v6, v6, 23, v12
	v_or3_b32 v6, v7, v6, v3
.LBB2_3024:
	s_or_b64 exec, exec, s[6:7]
	s_nop 0
	v_mfma_f32_16x16x4f32 a[0:3], v2, v6, a[0:3]
	s_movk_i32 s4, 0xff
	v_and_b32_sdwa v3, v8, s4 dst_sel:DWORD dst_unused:UNUSED_PAD src0_sel:WORD_1 src1_sel:DWORD
	s_movk_i32 s4, 0x7f
	v_cmp_lt_i16_e32 vcc, s4, v3
	s_mov_b64 s[4:5], 0
                                        ; implicit-def: $sgpr10
	s_and_saveexec_b64 s[6:7], vcc
	s_xor_b64 s[6:7], exec, s[6:7]
	s_cbranch_execz .LBB2_3025
; %bb.38865:
	s_getpc_b64 s[14:15]
.Lpost_getpc23016:
	s_add_u32 s14, s14, (.LBB2_17361-.Lpost_getpc23016)&4294967295
	s_addc_u32 s15, s15, (.LBB2_17361-.Lpost_getpc23016)>>32
	s_setpc_b64 s[14:15]
.LBB2_3025:
	s_or_saveexec_b64 s[6:7], s[6:7]
	v_mov_b32_e32 v2, s10
	s_xor_b64 exec, exec, s[6:7]
	s_cbranch_execz .LBB2_3026
; %bb.38867:
	s_getpc_b64 s[14:15]
.Lpost_getpc23017:
	s_add_u32 s14, s14, (.LBB2_17364-.Lpost_getpc23017)&4294967295
	s_addc_u32 s15, s15, (.LBB2_17364-.Lpost_getpc23017)>>32
	s_setpc_b64 s[14:15]
.LBB2_3026:
	s_or_b64 exec, exec, s[6:7]
	s_and_saveexec_b64 s[6:7], s[4:5]
	s_cbranch_execz .LBB2_3028
.LBB2_3027:
	v_bfe_u32 v2, v8, 16, 3
	v_ffbh_u32_e32 v7, v2
	v_min_u32_e32 v7, 32, v7
	v_lshrrev_b32_e32 v3, 19, v8
	v_subrev_u32_e32 v12, 28, v7
	v_and_b32_e32 v3, 15, v3
	v_lshlrev_b32_sdwa v12, v12, v8 dst_sel:DWORD dst_unused:UNUSED_PAD src0_sel:DWORD src1_sel:WORD_1
	v_bfe_u32 v6, v8, 19, 4
	v_sub_u32_e32 v7, 29, v7
	v_and_b32_e32 v12, 7, v12
	v_cmp_eq_u16_e32 vcc, 0, v3
	v_cndmask_b32_e32 v2, v2, v12, vcc
	v_cndmask_b32_e32 v3, v6, v7, vcc
	v_lshlrev_b32_e32 v6, 8, v8
	v_mov_b32_e32 v7, 0x3b800000
	v_lshlrev_b32_e32 v2, 20, v2
	v_and_b32_e32 v6, 0x80000000, v6
	v_lshl_add_u32 v3, v3, 23, v7
	v_or3_b32 v2, v6, v3, v2
.LBB2_3028:
	s_or_b64 exec, exec, s[6:7]
	s_movk_i32 s4, 0xff
	v_and_b32_sdwa v3, v4, s4 dst_sel:DWORD dst_unused:UNUSED_PAD src0_sel:WORD_1 src1_sel:DWORD
	s_movk_i32 s4, 0x7f
	v_cmp_lt_i16_e32 vcc, s4, v3
	s_mov_b64 s[4:5], 0
                                        ; implicit-def: $sgpr10
	s_and_saveexec_b64 s[6:7], vcc
	s_xor_b64 s[6:7], exec, s[6:7]
	s_cbranch_execz .LBB2_3029
; %bb.38869:
	s_getpc_b64 s[14:15]
.Lpost_getpc23018:
	s_add_u32 s14, s14, (.LBB2_17365-.Lpost_getpc23018)&4294967295
	s_addc_u32 s15, s15, (.LBB2_17365-.Lpost_getpc23018)>>32
	s_setpc_b64 s[14:15]
.LBB2_3029:
	s_or_saveexec_b64 s[6:7], s[6:7]
	v_mov_b32_e32 v6, s10
	s_xor_b64 exec, exec, s[6:7]
	s_cbranch_execz .LBB2_3030
; %bb.38871:
	s_getpc_b64 s[14:15]
.Lpost_getpc23019:
	s_add_u32 s14, s14, (.LBB2_17368-.Lpost_getpc23019)&4294967295
	s_addc_u32 s15, s15, (.LBB2_17368-.Lpost_getpc23019)>>32
	s_setpc_b64 s[14:15]
.LBB2_3030:
	s_or_b64 exec, exec, s[6:7]
	s_and_saveexec_b64 s[6:7], s[4:5]
	s_cbranch_execz .LBB2_3032
.LBB2_3031:
	v_bfe_u32 v3, v4, 16, 3
	v_ffbh_u32_e32 v12, v3
	v_min_u32_e32 v12, 32, v12
	v_lshrrev_b32_e32 v6, 19, v4
	v_subrev_u32_e32 v13, 28, v12
	v_and_b32_e32 v6, 15, v6
	v_lshlrev_b32_sdwa v13, v13, v4 dst_sel:DWORD dst_unused:UNUSED_PAD src0_sel:DWORD src1_sel:WORD_1
	v_bfe_u32 v7, v4, 19, 4
	v_sub_u32_e32 v12, 29, v12
	v_and_b32_e32 v13, 7, v13
	v_cmp_eq_u16_e32 vcc, 0, v6
	v_cndmask_b32_e32 v3, v3, v13, vcc
	v_cndmask_b32_e32 v6, v7, v12, vcc
	v_lshlrev_b32_e32 v7, 8, v4
	v_mov_b32_e32 v12, 0x3b800000
	v_lshlrev_b32_e32 v3, 20, v3
	v_and_b32_e32 v7, 0x80000000, v7
	v_lshl_add_u32 v6, v6, 23, v12
	v_or3_b32 v6, v7, v6, v3
.LBB2_3032:
	s_or_b64 exec, exec, s[6:7]
	s_nop 0
	v_mfma_f32_16x16x4f32 a[0:3], v2, v6, a[0:3]
	s_movk_i32 s4, 0x7f
	v_cmp_gt_i16_sdwa s[6:7], v8, s4 src0_sel:BYTE_3 src1_sel:DWORD
	s_mov_b64 s[4:5], 0
                                        ; implicit-def: $sgpr10
	s_and_saveexec_b64 s[8:9], s[6:7]
	s_xor_b64 s[6:7], exec, s[8:9]
	s_cbranch_execz .LBB2_3033
; %bb.38873:
	s_getpc_b64 s[14:15]
.Lpost_getpc23020:
	s_add_u32 s14, s14, (.LBB2_17369-.Lpost_getpc23020)&4294967295
	s_addc_u32 s15, s15, (.LBB2_17369-.Lpost_getpc23020)>>32
	s_setpc_b64 s[14:15]
.LBB2_3033:
	s_or_saveexec_b64 s[6:7], s[6:7]
	v_mov_b32_e32 v2, s10
	s_xor_b64 exec, exec, s[6:7]
	s_cbranch_execz .LBB2_3034
; %bb.38875:
	s_getpc_b64 s[14:15]
.Lpost_getpc23021:
	s_add_u32 s14, s14, (.LBB2_17372-.Lpost_getpc23021)&4294967295
	s_addc_u32 s15, s15, (.LBB2_17372-.Lpost_getpc23021)>>32
	s_setpc_b64 s[14:15]
.LBB2_3034:
	s_or_b64 exec, exec, s[6:7]
	s_and_saveexec_b64 s[6:7], s[4:5]
	s_cbranch_execz .LBB2_3036
.LBB2_3035:
	v_bfe_u32 v2, v8, 24, 3
	v_ffbh_u32_e32 v12, v2
	v_min_u32_e32 v12, 32, v12
	v_lshrrev_b32_e32 v6, 27, v8
	v_subrev_u32_e32 v13, 28, v12
	v_and_b32_e32 v3, 0x80000000, v8
	v_and_b32_e32 v6, 15, v6
	v_bfe_u32 v7, v8, 27, 4
	v_lshlrev_b32_sdwa v8, v13, v8 dst_sel:DWORD dst_unused:UNUSED_PAD src0_sel:DWORD src1_sel:BYTE_3
	v_sub_u32_e32 v12, 29, v12
	v_and_b32_e32 v8, 7, v8
	v_cmp_eq_u16_e32 vcc, 0, v6
	v_cndmask_b32_e32 v2, v2, v8, vcc
	v_cndmask_b32_e32 v6, v7, v12, vcc
	v_mov_b32_e32 v7, 0x3b800000
	v_lshlrev_b32_e32 v2, 20, v2
	v_lshl_add_u32 v6, v6, 23, v7
	v_or3_b32 v2, v3, v6, v2
.LBB2_3036:
	s_or_b64 exec, exec, s[6:7]
	s_movk_i32 s4, 0x7f
	v_cmp_gt_i16_sdwa s[6:7], v4, s4 src0_sel:BYTE_3 src1_sel:DWORD
	s_mov_b64 s[4:5], 0
                                        ; implicit-def: $sgpr10
	s_and_saveexec_b64 s[8:9], s[6:7]
	s_xor_b64 s[6:7], exec, s[8:9]
	s_cbranch_execz .LBB2_3037
; %bb.38877:
	s_getpc_b64 s[14:15]
.Lpost_getpc23022:
	s_add_u32 s14, s14, (.LBB2_17373-.Lpost_getpc23022)&4294967295
	s_addc_u32 s15, s15, (.LBB2_17373-.Lpost_getpc23022)>>32
	s_setpc_b64 s[14:15]
.LBB2_3037:
	s_or_saveexec_b64 s[6:7], s[6:7]
	v_mov_b32_e32 v3, s10
	s_xor_b64 exec, exec, s[6:7]
	s_cbranch_execz .LBB2_3038
; %bb.38879:
	s_getpc_b64 s[14:15]
.Lpost_getpc23023:
	s_add_u32 s14, s14, (.LBB2_17376-.Lpost_getpc23023)&4294967295
	s_addc_u32 s15, s15, (.LBB2_17376-.Lpost_getpc23023)>>32
	s_setpc_b64 s[14:15]
.LBB2_3038:
	s_or_b64 exec, exec, s[6:7]
	s_and_saveexec_b64 s[6:7], s[4:5]
	s_cbranch_execz .LBB2_3040
.LBB2_3039:
	v_bfe_u32 v3, v4, 24, 3
	v_ffbh_u32_e32 v12, v3
	v_min_u32_e32 v12, 32, v12
	v_lshrrev_b32_e32 v7, 27, v4
	v_subrev_u32_e32 v13, 28, v12
	v_and_b32_e32 v6, 0x80000000, v4
	v_and_b32_e32 v7, 15, v7
	v_bfe_u32 v8, v4, 27, 4
	v_lshlrev_b32_sdwa v4, v13, v4 dst_sel:DWORD dst_unused:UNUSED_PAD src0_sel:DWORD src1_sel:BYTE_3
	v_sub_u32_e32 v12, 29, v12
	v_and_b32_e32 v4, 7, v4
	v_cmp_eq_u16_e32 vcc, 0, v7
	v_cndmask_b32_e32 v3, v3, v4, vcc
	v_cndmask_b32_e32 v4, v8, v12, vcc
	v_mov_b32_e32 v7, 0x3b800000
	v_lshlrev_b32_e32 v3, 20, v3
	v_lshl_add_u32 v4, v4, 23, v7
	v_or3_b32 v3, v6, v4, v3
.LBB2_3040:
	s_or_b64 exec, exec, s[6:7]
	s_nop 0
	v_mfma_f32_16x16x4f32 a[0:3], v2, v3, a[0:3]
	s_movk_i32 s4, 0x7f
	v_cmp_gt_i16_sdwa s[6:7], v9, s4 src0_sel:BYTE_0 src1_sel:DWORD
	s_mov_b64 s[4:5], 0
                                        ; implicit-def: $sgpr10
	s_and_saveexec_b64 s[8:9], s[6:7]
	s_xor_b64 s[6:7], exec, s[8:9]
	s_cbranch_execz .LBB2_3041
; %bb.38881:
	s_getpc_b64 s[14:15]
.Lpost_getpc23024:
	s_add_u32 s14, s14, (.LBB2_17377-.Lpost_getpc23024)&4294967295
	s_addc_u32 s15, s15, (.LBB2_17377-.Lpost_getpc23024)>>32
	s_setpc_b64 s[14:15]
.LBB2_3041:
	s_or_saveexec_b64 s[6:7], s[6:7]
	v_mov_b32_e32 v2, s10
	s_xor_b64 exec, exec, s[6:7]
	s_cbranch_execz .LBB2_3042
; %bb.38883:
	s_getpc_b64 s[14:15]
.Lpost_getpc23025:
	s_add_u32 s14, s14, (.LBB2_17380-.Lpost_getpc23025)&4294967295
	s_addc_u32 s15, s15, (.LBB2_17380-.Lpost_getpc23025)>>32
	s_setpc_b64 s[14:15]
.LBB2_3042:
	s_or_b64 exec, exec, s[6:7]
	s_and_saveexec_b64 s[6:7], s[4:5]
	s_cbranch_execz .LBB2_3044
.LBB2_3043:
	v_mov_b32_e32 v2, 8
	v_and_b32_e32 v3, 7, v9
	v_lshrrev_b32_sdwa v2, v2, v9 dst_sel:BYTE_1 dst_unused:UNUSED_PAD src0_sel:DWORD src1_sel:DWORD
	v_ffbh_u32_e32 v4, v3
	v_or_b32_sdwa v2, v9, v2 dst_sel:DWORD dst_unused:UNUSED_PAD src0_sel:BYTE_0 src1_sel:DWORD
	v_min_u32_e32 v4, 32, v4
	v_lshrrev_b16_e32 v2, 3, v2
	v_subrev_u32_e32 v6, 28, v4
	v_and_b32_e32 v2, 15, v2
	v_lshlrev_b32_e32 v6, v6, v9
	v_sub_u32_e32 v4, 29, v4
	v_and_b32_e32 v6, 7, v6
	v_cmp_eq_u16_e32 vcc, 0, v2
	v_cndmask_b32_e32 v3, v3, v6, vcc
	v_cndmask_b32_e32 v2, v2, v4, vcc
	v_lshlrev_b32_e32 v4, 24, v9
	v_mov_b32_e32 v6, 0x3b800000
	v_lshlrev_b32_e32 v3, 20, v3
	v_and_b32_e32 v4, 0x80000000, v4
	v_lshl_add_u32 v2, v2, 23, v6
	v_or3_b32 v2, v4, v2, v3
.LBB2_3044:
	s_or_b64 exec, exec, s[6:7]
	s_movk_i32 s4, 0x7f
	v_cmp_gt_i16_sdwa s[6:7], v5, s4 src0_sel:BYTE_0 src1_sel:DWORD
	s_mov_b64 s[4:5], 0
                                        ; implicit-def: $sgpr10
	s_and_saveexec_b64 s[8:9], s[6:7]
	s_xor_b64 s[6:7], exec, s[8:9]
	s_cbranch_execz .LBB2_3045
; %bb.38885:
	s_getpc_b64 s[14:15]
.Lpost_getpc23026:
	s_add_u32 s14, s14, (.LBB2_17381-.Lpost_getpc23026)&4294967295
	s_addc_u32 s15, s15, (.LBB2_17381-.Lpost_getpc23026)>>32
	s_setpc_b64 s[14:15]
.LBB2_3045:
	s_or_saveexec_b64 s[6:7], s[6:7]
	v_mov_b32_e32 v3, s10
	s_xor_b64 exec, exec, s[6:7]
	s_cbranch_execz .LBB2_3046
; %bb.38887:
	s_getpc_b64 s[14:15]
.Lpost_getpc23027:
	s_add_u32 s14, s14, (.LBB2_17384-.Lpost_getpc23027)&4294967295
	s_addc_u32 s15, s15, (.LBB2_17384-.Lpost_getpc23027)>>32
	s_setpc_b64 s[14:15]
.LBB2_3046:
	s_or_b64 exec, exec, s[6:7]
	s_and_saveexec_b64 s[6:7], s[4:5]
	s_cbranch_execz .LBB2_3048
.LBB2_3047:
	v_mov_b32_e32 v3, 8
	v_and_b32_e32 v4, 7, v5
	v_lshrrev_b32_sdwa v3, v3, v5 dst_sel:BYTE_1 dst_unused:UNUSED_PAD src0_sel:DWORD src1_sel:DWORD
	v_ffbh_u32_e32 v6, v4
	v_or_b32_sdwa v3, v5, v3 dst_sel:DWORD dst_unused:UNUSED_PAD src0_sel:BYTE_0 src1_sel:DWORD
	v_min_u32_e32 v6, 32, v6
	v_lshrrev_b16_e32 v3, 3, v3
	v_subrev_u32_e32 v7, 28, v6
	v_and_b32_e32 v3, 15, v3
	v_lshlrev_b32_e32 v7, v7, v5
	v_sub_u32_e32 v6, 29, v6
	v_and_b32_e32 v7, 7, v7
	v_cmp_eq_u16_e32 vcc, 0, v3
	v_cndmask_b32_e32 v4, v4, v7, vcc
	v_cndmask_b32_e32 v3, v3, v6, vcc
	v_lshlrev_b32_e32 v6, 24, v5
	v_mov_b32_e32 v7, 0x3b800000
	v_lshlrev_b32_e32 v4, 20, v4
	v_and_b32_e32 v6, 0x80000000, v6
	v_lshl_add_u32 v3, v3, 23, v7
	v_or3_b32 v3, v6, v3, v4
.LBB2_3048:
	s_or_b64 exec, exec, s[6:7]
	s_nop 0
	v_mfma_f32_16x16x4f32 a[0:3], v2, v3, a[0:3]
	v_lshrrev_b32_e32 v3, 8, v9
	s_movk_i32 s4, 0x7f
	v_cmp_gt_i16_sdwa s[6:7], v3, s4 src0_sel:BYTE_0 src1_sel:DWORD
	s_mov_b64 s[4:5], 0
                                        ; implicit-def: $sgpr10
	s_and_saveexec_b64 s[8:9], s[6:7]
	s_xor_b64 s[6:7], exec, s[8:9]
	s_cbranch_execz .LBB2_3049
; %bb.38889:
	s_getpc_b64 s[14:15]
.Lpost_getpc23028:
	s_add_u32 s14, s14, (.LBB2_17385-.Lpost_getpc23028)&4294967295
	s_addc_u32 s15, s15, (.LBB2_17385-.Lpost_getpc23028)>>32
	s_setpc_b64 s[14:15]
.LBB2_3049:
	s_or_saveexec_b64 s[6:7], s[6:7]
	v_mov_b32_e32 v2, s10
	s_xor_b64 exec, exec, s[6:7]
	s_cbranch_execz .LBB2_3050
; %bb.38891:
	s_getpc_b64 s[14:15]
.Lpost_getpc23029:
	s_add_u32 s14, s14, (.LBB2_17388-.Lpost_getpc23029)&4294967295
	s_addc_u32 s15, s15, (.LBB2_17388-.Lpost_getpc23029)>>32
	s_setpc_b64 s[14:15]
.LBB2_3050:
	s_or_b64 exec, exec, s[6:7]
	s_and_saveexec_b64 s[6:7], s[4:5]
	s_cbranch_execz .LBB2_3052
.LBB2_3051:
	v_bfe_u32 v2, v9, 8, 3
	v_ffbh_u32_e32 v6, v2
	v_min_u32_e32 v6, 32, v6
	v_lshrrev_b16_e32 v4, 3, v3
	v_subrev_u32_e32 v7, 28, v6
	v_and_b32_e32 v4, 15, v4
	v_lshlrev_b32_e32 v3, v7, v3
	v_sub_u32_e32 v6, 29, v6
	v_and_b32_e32 v3, 7, v3
	v_cmp_eq_u16_e32 vcc, 0, v4
	v_cndmask_b32_e32 v2, v2, v3, vcc
	v_cndmask_b32_e32 v3, v4, v6, vcc
	v_lshlrev_b32_e32 v4, 16, v9
	v_mov_b32_e32 v6, 0x3b800000
	v_lshlrev_b32_e32 v2, 20, v2
	v_and_b32_e32 v4, 0x80000000, v4
	v_lshl_add_u32 v3, v3, 23, v6
	v_or3_b32 v2, v4, v3, v2
.LBB2_3052:
	s_or_b64 exec, exec, s[6:7]
	v_lshrrev_b32_e32 v3, 8, v5
	s_movk_i32 s4, 0x7f
	v_cmp_gt_i16_sdwa s[6:7], v3, s4 src0_sel:BYTE_0 src1_sel:DWORD
	s_mov_b64 s[4:5], 0
                                        ; implicit-def: $sgpr10
	s_and_saveexec_b64 s[8:9], s[6:7]
	s_xor_b64 s[6:7], exec, s[8:9]
	s_cbranch_execz .LBB2_3053
; %bb.38893:
	s_getpc_b64 s[14:15]
.Lpost_getpc23030:
	s_add_u32 s14, s14, (.LBB2_17389-.Lpost_getpc23030)&4294967295
	s_addc_u32 s15, s15, (.LBB2_17389-.Lpost_getpc23030)>>32
	s_setpc_b64 s[14:15]
.LBB2_3053:
	s_or_saveexec_b64 s[6:7], s[6:7]
	v_mov_b32_e32 v4, s10
	s_xor_b64 exec, exec, s[6:7]
	s_cbranch_execz .LBB2_3054
; %bb.38895:
	s_getpc_b64 s[14:15]
.Lpost_getpc23031:
	s_add_u32 s14, s14, (.LBB2_17392-.Lpost_getpc23031)&4294967295
	s_addc_u32 s15, s15, (.LBB2_17392-.Lpost_getpc23031)>>32
	s_setpc_b64 s[14:15]
.LBB2_3054:
	s_or_b64 exec, exec, s[6:7]
	s_and_saveexec_b64 s[6:7], s[4:5]
	s_cbranch_execz .LBB2_3056
.LBB2_3055:
	v_bfe_u32 v4, v5, 8, 3
	v_ffbh_u32_e32 v7, v4
	v_min_u32_e32 v7, 32, v7
	v_lshrrev_b16_e32 v6, 3, v3
	v_subrev_u32_e32 v8, 28, v7
	v_and_b32_e32 v6, 15, v6
	v_lshlrev_b32_e32 v3, v8, v3
	v_sub_u32_e32 v7, 29, v7
	v_and_b32_e32 v3, 7, v3
	v_cmp_eq_u16_e32 vcc, 0, v6
	v_cndmask_b32_e32 v3, v4, v3, vcc
	v_cndmask_b32_e32 v4, v6, v7, vcc
	v_lshlrev_b32_e32 v6, 16, v5
	v_mov_b32_e32 v7, 0x3b800000
	v_lshlrev_b32_e32 v3, 20, v3
	v_and_b32_e32 v6, 0x80000000, v6
	v_lshl_add_u32 v4, v4, 23, v7
	v_or3_b32 v4, v6, v4, v3
.LBB2_3056:
	s_or_b64 exec, exec, s[6:7]
	s_nop 0
	v_mfma_f32_16x16x4f32 a[0:3], v2, v4, a[0:3]
	s_movk_i32 s4, 0xff
	v_and_b32_sdwa v3, v9, s4 dst_sel:DWORD dst_unused:UNUSED_PAD src0_sel:WORD_1 src1_sel:DWORD
	s_movk_i32 s4, 0x7f
	v_cmp_lt_i16_e32 vcc, s4, v3
	s_mov_b64 s[4:5], 0
                                        ; implicit-def: $sgpr10
	s_and_saveexec_b64 s[6:7], vcc
	s_xor_b64 s[6:7], exec, s[6:7]
	s_cbranch_execz .LBB2_3057
; %bb.38897:
	s_getpc_b64 s[14:15]
.Lpost_getpc23032:
	s_add_u32 s14, s14, (.LBB2_17393-.Lpost_getpc23032)&4294967295
	s_addc_u32 s15, s15, (.LBB2_17393-.Lpost_getpc23032)>>32
	s_setpc_b64 s[14:15]
.LBB2_3057:
	s_or_saveexec_b64 s[6:7], s[6:7]
	v_mov_b32_e32 v2, s10
	s_xor_b64 exec, exec, s[6:7]
	s_cbranch_execz .LBB2_3058
; %bb.38899:
	s_getpc_b64 s[14:15]
.Lpost_getpc23033:
	s_add_u32 s14, s14, (.LBB2_17396-.Lpost_getpc23033)&4294967295
	s_addc_u32 s15, s15, (.LBB2_17396-.Lpost_getpc23033)>>32
	s_setpc_b64 s[14:15]
.LBB2_3058:
	s_or_b64 exec, exec, s[6:7]
	s_and_saveexec_b64 s[6:7], s[4:5]
	s_cbranch_execz .LBB2_3060
.LBB2_3059:
	v_bfe_u32 v2, v9, 16, 3
	v_ffbh_u32_e32 v6, v2
	v_min_u32_e32 v6, 32, v6
	v_lshrrev_b32_e32 v3, 19, v9
	v_subrev_u32_e32 v7, 28, v6
	v_and_b32_e32 v3, 15, v3
	v_lshlrev_b32_sdwa v7, v7, v9 dst_sel:DWORD dst_unused:UNUSED_PAD src0_sel:DWORD src1_sel:WORD_1
	v_bfe_u32 v4, v9, 19, 4
	v_sub_u32_e32 v6, 29, v6
	v_and_b32_e32 v7, 7, v7
	v_cmp_eq_u16_e32 vcc, 0, v3
	v_cndmask_b32_e32 v2, v2, v7, vcc
	v_cndmask_b32_e32 v3, v4, v6, vcc
	v_lshlrev_b32_e32 v4, 8, v9
	v_mov_b32_e32 v6, 0x3b800000
	v_lshlrev_b32_e32 v2, 20, v2
	v_and_b32_e32 v4, 0x80000000, v4
	v_lshl_add_u32 v3, v3, 23, v6
	v_or3_b32 v2, v4, v3, v2
.LBB2_3060:
	s_or_b64 exec, exec, s[6:7]
	s_movk_i32 s4, 0xff
	v_and_b32_sdwa v3, v5, s4 dst_sel:DWORD dst_unused:UNUSED_PAD src0_sel:WORD_1 src1_sel:DWORD
	s_movk_i32 s4, 0x7f
	v_cmp_lt_i16_e32 vcc, s4, v3
	s_mov_b64 s[4:5], 0
                                        ; implicit-def: $sgpr10
	s_and_saveexec_b64 s[6:7], vcc
	s_xor_b64 s[6:7], exec, s[6:7]
	s_cbranch_execz .LBB2_3061
; %bb.38901:
	s_getpc_b64 s[14:15]
.Lpost_getpc23034:
	s_add_u32 s14, s14, (.LBB2_17397-.Lpost_getpc23034)&4294967295
	s_addc_u32 s15, s15, (.LBB2_17397-.Lpost_getpc23034)>>32
	s_setpc_b64 s[14:15]
.LBB2_3061:
	s_or_saveexec_b64 s[6:7], s[6:7]
	v_mov_b32_e32 v4, s10
	s_xor_b64 exec, exec, s[6:7]
	s_cbranch_execz .LBB2_3062
; %bb.38903:
	s_getpc_b64 s[14:15]
.Lpost_getpc23035:
	s_add_u32 s14, s14, (.LBB2_17400-.Lpost_getpc23035)&4294967295
	s_addc_u32 s15, s15, (.LBB2_17400-.Lpost_getpc23035)>>32
	s_setpc_b64 s[14:15]
.LBB2_3062:
	s_or_b64 exec, exec, s[6:7]
	s_and_saveexec_b64 s[6:7], s[4:5]
	s_cbranch_execz .LBB2_3064
.LBB2_3063:
	v_bfe_u32 v3, v5, 16, 3
	v_ffbh_u32_e32 v7, v3
	v_min_u32_e32 v7, 32, v7
	v_lshrrev_b32_e32 v4, 19, v5
	v_subrev_u32_e32 v8, 28, v7
	v_and_b32_e32 v4, 15, v4
	v_lshlrev_b32_sdwa v8, v8, v5 dst_sel:DWORD dst_unused:UNUSED_PAD src0_sel:DWORD src1_sel:WORD_1
	v_bfe_u32 v6, v5, 19, 4
	v_sub_u32_e32 v7, 29, v7
	v_and_b32_e32 v8, 7, v8
	v_cmp_eq_u16_e32 vcc, 0, v4
	v_cndmask_b32_e32 v3, v3, v8, vcc
	v_cndmask_b32_e32 v4, v6, v7, vcc
	v_lshlrev_b32_e32 v6, 8, v5
	v_mov_b32_e32 v7, 0x3b800000
	v_lshlrev_b32_e32 v3, 20, v3
	v_and_b32_e32 v6, 0x80000000, v6
	v_lshl_add_u32 v4, v4, 23, v7
	v_or3_b32 v4, v6, v4, v3
.LBB2_3064:
	s_or_b64 exec, exec, s[6:7]
	s_nop 0
	v_mfma_f32_16x16x4f32 a[0:3], v2, v4, a[0:3]
	s_movk_i32 s4, 0x7f
	v_cmp_gt_i16_sdwa s[6:7], v9, s4 src0_sel:BYTE_3 src1_sel:DWORD
	s_mov_b64 s[4:5], 0
                                        ; implicit-def: $sgpr10
	s_and_saveexec_b64 s[8:9], s[6:7]
	s_xor_b64 s[6:7], exec, s[8:9]
	s_cbranch_execz .LBB2_3065
; %bb.38905:
	s_getpc_b64 s[14:15]
.Lpost_getpc23036:
	s_add_u32 s14, s14, (.LBB2_17401-.Lpost_getpc23036)&4294967295
	s_addc_u32 s15, s15, (.LBB2_17401-.Lpost_getpc23036)>>32
	s_setpc_b64 s[14:15]
.LBB2_3065:
	s_or_saveexec_b64 s[6:7], s[6:7]
	v_mov_b32_e32 v2, s10
	s_xor_b64 exec, exec, s[6:7]
	s_cbranch_execz .LBB2_3066
; %bb.38907:
	s_getpc_b64 s[14:15]
.Lpost_getpc23037:
	s_add_u32 s14, s14, (.LBB2_17404-.Lpost_getpc23037)&4294967295
	s_addc_u32 s15, s15, (.LBB2_17404-.Lpost_getpc23037)>>32
	s_setpc_b64 s[14:15]
.LBB2_3066:
	s_or_b64 exec, exec, s[6:7]
	s_and_saveexec_b64 s[6:7], s[4:5]
	s_cbranch_execz .LBB2_3068
.LBB2_3067:
	v_bfe_u32 v2, v9, 24, 3
	v_ffbh_u32_e32 v7, v2
	v_min_u32_e32 v7, 32, v7
	v_lshrrev_b32_e32 v4, 27, v9
	v_subrev_u32_e32 v8, 28, v7
	v_and_b32_e32 v4, 15, v4
	v_lshlrev_b32_sdwa v8, v8, v9 dst_sel:DWORD dst_unused:UNUSED_PAD src0_sel:DWORD src1_sel:BYTE_3
	v_bfe_u32 v6, v9, 27, 4
	v_sub_u32_e32 v7, 29, v7
	v_and_b32_e32 v8, 7, v8
	v_cmp_eq_u16_e32 vcc, 0, v4
	v_cndmask_b32_e32 v2, v2, v8, vcc
	v_cndmask_b32_e32 v4, v6, v7, vcc
	v_mov_b32_e32 v6, 0x3b800000
	v_and_b32_e32 v3, 0x80000000, v9
	v_lshlrev_b32_e32 v2, 20, v2
	v_lshl_add_u32 v4, v4, 23, v6
	v_or3_b32 v2, v3, v4, v2
.LBB2_3068:
	s_or_b64 exec, exec, s[6:7]
	s_movk_i32 s4, 0x7f
	v_cmp_gt_i16_sdwa s[6:7], v5, s4 src0_sel:BYTE_3 src1_sel:DWORD
	s_mov_b64 s[4:5], 0
                                        ; implicit-def: $sgpr10
	s_and_saveexec_b64 s[8:9], s[6:7]
	s_xor_b64 s[6:7], exec, s[8:9]
	s_cbranch_execz .LBB2_3069
; %bb.38909:
	s_getpc_b64 s[14:15]
.Lpost_getpc23038:
	s_add_u32 s14, s14, (.LBB2_17405-.Lpost_getpc23038)&4294967295
	s_addc_u32 s15, s15, (.LBB2_17405-.Lpost_getpc23038)>>32
	s_setpc_b64 s[14:15]
.LBB2_3069:
	s_or_saveexec_b64 s[6:7], s[6:7]
	v_mov_b32_e32 v3, s10
	s_xor_b64 exec, exec, s[6:7]
	s_cbranch_execz .LBB2_3070
; %bb.38911:
	s_getpc_b64 s[14:15]
.Lpost_getpc23039:
	s_add_u32 s14, s14, (.LBB2_17408-.Lpost_getpc23039)&4294967295
	s_addc_u32 s15, s15, (.LBB2_17408-.Lpost_getpc23039)>>32
	s_setpc_b64 s[14:15]
.LBB2_3070:
	s_or_b64 exec, exec, s[6:7]
	s_and_saveexec_b64 s[6:7], s[4:5]
	s_cbranch_execz .LBB2_3072
.LBB2_3071:
	v_bfe_u32 v3, v5, 24, 3
	v_ffbh_u32_e32 v8, v3
	v_min_u32_e32 v8, 32, v8
	v_lshrrev_b32_e32 v6, 27, v5
	v_subrev_u32_e32 v9, 28, v8
	v_and_b32_e32 v4, 0x80000000, v5
	v_and_b32_e32 v6, 15, v6
	v_bfe_u32 v7, v5, 27, 4
	v_lshlrev_b32_sdwa v5, v9, v5 dst_sel:DWORD dst_unused:UNUSED_PAD src0_sel:DWORD src1_sel:BYTE_3
	v_sub_u32_e32 v8, 29, v8
	v_and_b32_e32 v5, 7, v5
	v_cmp_eq_u16_e32 vcc, 0, v6
	v_cndmask_b32_e32 v3, v3, v5, vcc
	v_cndmask_b32_e32 v5, v7, v8, vcc
	v_mov_b32_e32 v6, 0x3b800000
	v_lshlrev_b32_e32 v3, 20, v3
	v_lshl_add_u32 v5, v5, 23, v6
	v_or3_b32 v3, v4, v5, v3
.LBB2_3072:
	s_or_b64 exec, exec, s[6:7]
	s_nop 0
	v_mfma_f32_16x16x4f32 a[0:3], v2, v3, a[0:3]
	s_movk_i32 s4, 0x7f
                                        ; implicit-def: $sgpr10
	s_nop 7
	s_nop 1
	flat_store_dwordx4 v[10:11], a[0:3] offset:368
	flat_load_dwordx4 v[12:15], v[0:1]
	s_nop 0
	flat_load_dwordx2 v[10:11], v[0:1] offset:16
	s_waitcnt vmcnt(0) lgkmcnt(0)
	flat_load_dwordx4 v[6:9], v[12:13] offset:48
	flat_load_dwordx4 v[2:5], v[14:15]
	s_waitcnt vmcnt(0) lgkmcnt(0)
	v_cmp_gt_i16_sdwa s[6:7], v6, s4 src0_sel:BYTE_0 src1_sel:DWORD
	s_mov_b64 s[4:5], 0
	s_and_saveexec_b64 s[8:9], s[6:7]
	s_xor_b64 s[6:7], exec, s[8:9]
	s_cbranch_execz .LBB2_3073
; %bb.38913:
	s_getpc_b64 s[14:15]
.Lpost_getpc23040:
	s_add_u32 s14, s14, (.LBB2_17409-.Lpost_getpc23040)&4294967295
	s_addc_u32 s15, s15, (.LBB2_17409-.Lpost_getpc23040)>>32
	s_setpc_b64 s[14:15]
.LBB2_3073:
	s_or_saveexec_b64 s[6:7], s[6:7]
	v_mov_b32_e32 v12, s10
	s_xor_b64 exec, exec, s[6:7]
	s_cbranch_execz .LBB2_3074
; %bb.38915:
	s_getpc_b64 s[14:15]
.Lpost_getpc23041:
	s_add_u32 s14, s14, (.LBB2_17412-.Lpost_getpc23041)&4294967295
	s_addc_u32 s15, s15, (.LBB2_17412-.Lpost_getpc23041)>>32
	s_setpc_b64 s[14:15]
.LBB2_3074:
	s_or_b64 exec, exec, s[6:7]
	s_and_saveexec_b64 s[6:7], s[4:5]
	s_cbranch_execz .LBB2_3076
.LBB2_3075:
	v_and_b32_e32 v12, 7, v6
	v_ffbh_u32_e32 v14, v12
	v_min_u32_e32 v14, 32, v14
	v_lshrrev_b16_e32 v13, 3, v6
	v_subrev_u32_e32 v15, 28, v14
	v_and_b32_e32 v13, 15, v13
	v_lshlrev_b32_e32 v15, v15, v6
	v_sub_u32_e32 v14, 29, v14
	v_and_b32_e32 v15, 7, v15
	v_cmp_eq_u16_e32 vcc, 0, v13
	v_cndmask_b32_e32 v12, v12, v15, vcc
	v_cndmask_b32_e32 v13, v13, v14, vcc
	v_lshlrev_b32_e32 v14, 24, v6
	v_mov_b32_e32 v15, 0x3b800000
	v_lshlrev_b32_e32 v12, 20, v12
	v_and_b32_e32 v14, 0x80000000, v14
	v_lshl_add_u32 v13, v13, 23, v15
	v_or3_b32 v12, v14, v13, v12
.LBB2_3076:
	s_or_b64 exec, exec, s[6:7]
	s_movk_i32 s4, 0x7f
	v_cmp_gt_i16_sdwa s[6:7], v2, s4 src0_sel:BYTE_0 src1_sel:DWORD
	s_mov_b64 s[4:5], 0
                                        ; implicit-def: $sgpr10
	s_and_saveexec_b64 s[8:9], s[6:7]
	s_xor_b64 s[6:7], exec, s[8:9]
	s_cbranch_execz .LBB2_3077
; %bb.38917:
	s_getpc_b64 s[14:15]
.Lpost_getpc23042:
	s_add_u32 s14, s14, (.LBB2_17413-.Lpost_getpc23042)&4294967295
	s_addc_u32 s15, s15, (.LBB2_17413-.Lpost_getpc23042)>>32
	s_setpc_b64 s[14:15]
.LBB2_3077:
	s_or_saveexec_b64 s[6:7], s[6:7]
	v_mov_b32_e32 v13, s10
	s_xor_b64 exec, exec, s[6:7]
	s_cbranch_execz .LBB2_3078
; %bb.38919:
	s_getpc_b64 s[14:15]
.Lpost_getpc23043:
	s_add_u32 s14, s14, (.LBB2_17416-.Lpost_getpc23043)&4294967295
	s_addc_u32 s15, s15, (.LBB2_17416-.Lpost_getpc23043)>>32
	s_setpc_b64 s[14:15]
.LBB2_3078:
	s_or_b64 exec, exec, s[6:7]
	s_and_saveexec_b64 s[6:7], s[4:5]
	s_cbranch_execz .LBB2_3080
.LBB2_3079:
	v_and_b32_e32 v13, 7, v2
	v_ffbh_u32_e32 v15, v13
	v_min_u32_e32 v15, 32, v15
	v_lshrrev_b16_e32 v14, 3, v2
	v_subrev_u32_e32 v16, 28, v15
	v_and_b32_e32 v14, 15, v14
	v_lshlrev_b32_e32 v16, v16, v2
	v_sub_u32_e32 v15, 29, v15
	v_and_b32_e32 v16, 7, v16
	v_cmp_eq_u16_e32 vcc, 0, v14
	v_cndmask_b32_e32 v13, v13, v16, vcc
	v_cndmask_b32_e32 v14, v14, v15, vcc
	v_lshlrev_b32_e32 v15, 24, v2
	v_mov_b32_e32 v16, 0x3b800000
	v_lshlrev_b32_e32 v13, 20, v13
	v_and_b32_e32 v15, 0x80000000, v15
	v_lshl_add_u32 v14, v14, 23, v16
	v_or3_b32 v13, v15, v14, v13
.LBB2_3080:
	s_or_b64 exec, exec, s[6:7]
	flat_load_dwordx4 a[0:3], v[10:11] offset:384
	s_movk_i32 s4, 0x7f
                                        ; implicit-def: $sgpr10
	s_waitcnt vmcnt(0) lgkmcnt(0)
	v_mfma_f32_16x16x4f32 a[0:3], v12, v13, a[0:3]
	v_lshrrev_b32_e32 v13, 8, v6
	v_cmp_gt_i16_sdwa s[6:7], v13, s4 src0_sel:BYTE_0 src1_sel:DWORD
	s_mov_b64 s[4:5], 0
	s_and_saveexec_b64 s[8:9], s[6:7]
	s_xor_b64 s[6:7], exec, s[8:9]
	s_cbranch_execz .LBB2_3081
; %bb.38921:
	s_getpc_b64 s[14:15]
.Lpost_getpc23044:
	s_add_u32 s14, s14, (.LBB2_17417-.Lpost_getpc23044)&4294967295
	s_addc_u32 s15, s15, (.LBB2_17417-.Lpost_getpc23044)>>32
	s_setpc_b64 s[14:15]
.LBB2_3081:
	s_or_saveexec_b64 s[6:7], s[6:7]
	v_mov_b32_e32 v12, s10
	s_xor_b64 exec, exec, s[6:7]
	s_cbranch_execz .LBB2_3082
; %bb.38923:
	s_getpc_b64 s[14:15]
.Lpost_getpc23045:
	s_add_u32 s14, s14, (.LBB2_17420-.Lpost_getpc23045)&4294967295
	s_addc_u32 s15, s15, (.LBB2_17420-.Lpost_getpc23045)>>32
	s_setpc_b64 s[14:15]
.LBB2_3082:
	s_or_b64 exec, exec, s[6:7]
	s_and_saveexec_b64 s[6:7], s[4:5]
	s_cbranch_execz .LBB2_3084
.LBB2_3083:
	v_bfe_u32 v12, v6, 8, 3
	v_ffbh_u32_e32 v15, v12
	v_min_u32_e32 v15, 32, v15
	v_lshrrev_b16_e32 v14, 3, v13
	v_subrev_u32_e32 v16, 28, v15
	v_and_b32_e32 v14, 15, v14
	v_lshlrev_b32_e32 v13, v16, v13
	v_sub_u32_e32 v15, 29, v15
	v_and_b32_e32 v13, 7, v13
	v_cmp_eq_u16_e32 vcc, 0, v14
	v_cndmask_b32_e32 v12, v12, v13, vcc
	v_cndmask_b32_e32 v13, v14, v15, vcc
	v_lshlrev_b32_e32 v14, 16, v6
	v_mov_b32_e32 v15, 0x3b800000
	v_lshlrev_b32_e32 v12, 20, v12
	v_and_b32_e32 v14, 0x80000000, v14
	v_lshl_add_u32 v13, v13, 23, v15
	v_or3_b32 v12, v14, v13, v12
.LBB2_3084:
	s_or_b64 exec, exec, s[6:7]
	v_lshrrev_b32_e32 v13, 8, v2
	s_movk_i32 s4, 0x7f
	v_cmp_gt_i16_sdwa s[6:7], v13, s4 src0_sel:BYTE_0 src1_sel:DWORD
	s_mov_b64 s[4:5], 0
                                        ; implicit-def: $sgpr10
	s_and_saveexec_b64 s[8:9], s[6:7]
	s_xor_b64 s[6:7], exec, s[8:9]
	s_cbranch_execz .LBB2_3085
; %bb.38925:
	s_getpc_b64 s[14:15]
.Lpost_getpc23046:
	s_add_u32 s14, s14, (.LBB2_17421-.Lpost_getpc23046)&4294967295
	s_addc_u32 s15, s15, (.LBB2_17421-.Lpost_getpc23046)>>32
	s_setpc_b64 s[14:15]
.LBB2_3085:
	s_or_saveexec_b64 s[6:7], s[6:7]
	v_mov_b32_e32 v14, s10
	s_xor_b64 exec, exec, s[6:7]
	s_cbranch_execz .LBB2_3086
; %bb.38927:
	s_getpc_b64 s[14:15]
.Lpost_getpc23047:
	s_add_u32 s14, s14, (.LBB2_17424-.Lpost_getpc23047)&4294967295
	s_addc_u32 s15, s15, (.LBB2_17424-.Lpost_getpc23047)>>32
	s_setpc_b64 s[14:15]
.LBB2_3086:
	s_or_b64 exec, exec, s[6:7]
	s_and_saveexec_b64 s[6:7], s[4:5]
	s_cbranch_execz .LBB2_3088
.LBB2_3087:
	v_bfe_u32 v14, v2, 8, 3
	v_ffbh_u32_e32 v16, v14
	v_min_u32_e32 v16, 32, v16
	v_lshrrev_b16_e32 v15, 3, v13
	v_subrev_u32_e32 v17, 28, v16
	v_and_b32_e32 v15, 15, v15
	v_lshlrev_b32_e32 v13, v17, v13
	v_sub_u32_e32 v16, 29, v16
	v_and_b32_e32 v13, 7, v13
	v_cmp_eq_u16_e32 vcc, 0, v15
	v_cndmask_b32_e32 v13, v14, v13, vcc
	v_cndmask_b32_e32 v14, v15, v16, vcc
	v_lshlrev_b32_e32 v15, 16, v2
	v_mov_b32_e32 v16, 0x3b800000
	v_lshlrev_b32_e32 v13, 20, v13
	v_and_b32_e32 v15, 0x80000000, v15
	v_lshl_add_u32 v14, v14, 23, v16
	v_or3_b32 v14, v15, v14, v13
.LBB2_3088:
	s_or_b64 exec, exec, s[6:7]
	s_nop 0
	v_mfma_f32_16x16x4f32 a[0:3], v12, v14, a[0:3]
	s_movk_i32 s4, 0xff
	v_and_b32_sdwa v13, v6, s4 dst_sel:DWORD dst_unused:UNUSED_PAD src0_sel:WORD_1 src1_sel:DWORD
	s_movk_i32 s4, 0x7f
	v_cmp_lt_i16_e32 vcc, s4, v13
	s_mov_b64 s[4:5], 0
                                        ; implicit-def: $sgpr10
	s_and_saveexec_b64 s[6:7], vcc
	s_xor_b64 s[6:7], exec, s[6:7]
	s_cbranch_execz .LBB2_3089
; %bb.38929:
	s_getpc_b64 s[14:15]
.Lpost_getpc23048:
	s_add_u32 s14, s14, (.LBB2_17425-.Lpost_getpc23048)&4294967295
	s_addc_u32 s15, s15, (.LBB2_17425-.Lpost_getpc23048)>>32
	s_setpc_b64 s[14:15]
.LBB2_3089:
	s_or_saveexec_b64 s[6:7], s[6:7]
	v_mov_b32_e32 v12, s10
	s_xor_b64 exec, exec, s[6:7]
	s_cbranch_execz .LBB2_3090
; %bb.38931:
	s_getpc_b64 s[14:15]
.Lpost_getpc23049:
	s_add_u32 s14, s14, (.LBB2_17428-.Lpost_getpc23049)&4294967295
	s_addc_u32 s15, s15, (.LBB2_17428-.Lpost_getpc23049)>>32
	s_setpc_b64 s[14:15]
.LBB2_3090:
	s_or_b64 exec, exec, s[6:7]
	s_and_saveexec_b64 s[6:7], s[4:5]
	s_cbranch_execz .LBB2_3092
.LBB2_3091:
	v_bfe_u32 v12, v6, 16, 3
	v_ffbh_u32_e32 v15, v12
	v_min_u32_e32 v15, 32, v15
	v_lshrrev_b32_e32 v13, 19, v6
	v_subrev_u32_e32 v16, 28, v15
	v_and_b32_e32 v13, 15, v13
	v_lshlrev_b32_sdwa v16, v16, v6 dst_sel:DWORD dst_unused:UNUSED_PAD src0_sel:DWORD src1_sel:WORD_1
	v_bfe_u32 v14, v6, 19, 4
	v_sub_u32_e32 v15, 29, v15
	v_and_b32_e32 v16, 7, v16
	v_cmp_eq_u16_e32 vcc, 0, v13
	v_cndmask_b32_e32 v12, v12, v16, vcc
	v_cndmask_b32_e32 v13, v14, v15, vcc
	v_lshlrev_b32_e32 v14, 8, v6
	v_mov_b32_e32 v15, 0x3b800000
	v_lshlrev_b32_e32 v12, 20, v12
	v_and_b32_e32 v14, 0x80000000, v14
	v_lshl_add_u32 v13, v13, 23, v15
	v_or3_b32 v12, v14, v13, v12
.LBB2_3092:
	s_or_b64 exec, exec, s[6:7]
	s_movk_i32 s4, 0xff
	v_and_b32_sdwa v13, v2, s4 dst_sel:DWORD dst_unused:UNUSED_PAD src0_sel:WORD_1 src1_sel:DWORD
	s_movk_i32 s4, 0x7f
	v_cmp_lt_i16_e32 vcc, s4, v13
	s_mov_b64 s[4:5], 0
                                        ; implicit-def: $sgpr10
	s_and_saveexec_b64 s[6:7], vcc
	s_xor_b64 s[6:7], exec, s[6:7]
	s_cbranch_execz .LBB2_3093
; %bb.38933:
	s_getpc_b64 s[14:15]
.Lpost_getpc23050:
	s_add_u32 s14, s14, (.LBB2_17429-.Lpost_getpc23050)&4294967295
	s_addc_u32 s15, s15, (.LBB2_17429-.Lpost_getpc23050)>>32
	s_setpc_b64 s[14:15]
.LBB2_3093:
	s_or_saveexec_b64 s[6:7], s[6:7]
	v_mov_b32_e32 v14, s10
	s_xor_b64 exec, exec, s[6:7]
	s_cbranch_execz .LBB2_3094
; %bb.38935:
	s_getpc_b64 s[14:15]
.Lpost_getpc23051:
	s_add_u32 s14, s14, (.LBB2_17432-.Lpost_getpc23051)&4294967295
	s_addc_u32 s15, s15, (.LBB2_17432-.Lpost_getpc23051)>>32
	s_setpc_b64 s[14:15]
.LBB2_3094:
	s_or_b64 exec, exec, s[6:7]
	s_and_saveexec_b64 s[6:7], s[4:5]
	s_cbranch_execz .LBB2_3096
.LBB2_3095:
	v_bfe_u32 v13, v2, 16, 3
	v_ffbh_u32_e32 v16, v13
	v_min_u32_e32 v16, 32, v16
	v_lshrrev_b32_e32 v14, 19, v2
	v_subrev_u32_e32 v17, 28, v16
	v_and_b32_e32 v14, 15, v14
	v_lshlrev_b32_sdwa v17, v17, v2 dst_sel:DWORD dst_unused:UNUSED_PAD src0_sel:DWORD src1_sel:WORD_1
	v_bfe_u32 v15, v2, 19, 4
	v_sub_u32_e32 v16, 29, v16
	v_and_b32_e32 v17, 7, v17
	v_cmp_eq_u16_e32 vcc, 0, v14
	v_cndmask_b32_e32 v13, v13, v17, vcc
	v_cndmask_b32_e32 v14, v15, v16, vcc
	v_lshlrev_b32_e32 v15, 8, v2
	v_mov_b32_e32 v16, 0x3b800000
	v_lshlrev_b32_e32 v13, 20, v13
	v_and_b32_e32 v15, 0x80000000, v15
	v_lshl_add_u32 v14, v14, 23, v16
	v_or3_b32 v14, v15, v14, v13
.LBB2_3096:
	s_or_b64 exec, exec, s[6:7]
	s_nop 0
	v_mfma_f32_16x16x4f32 a[0:3], v12, v14, a[0:3]
	s_movk_i32 s4, 0x7f
	v_cmp_gt_i16_sdwa s[6:7], v6, s4 src0_sel:BYTE_3 src1_sel:DWORD
	s_mov_b64 s[4:5], 0
                                        ; implicit-def: $sgpr10
	s_and_saveexec_b64 s[8:9], s[6:7]
	s_xor_b64 s[6:7], exec, s[8:9]
	s_cbranch_execz .LBB2_3097
; %bb.38937:
	s_getpc_b64 s[14:15]
.Lpost_getpc23052:
	s_add_u32 s14, s14, (.LBB2_17433-.Lpost_getpc23052)&4294967295
	s_addc_u32 s15, s15, (.LBB2_17433-.Lpost_getpc23052)>>32
	s_setpc_b64 s[14:15]
.LBB2_3097:
	s_or_saveexec_b64 s[6:7], s[6:7]
	v_mov_b32_e32 v12, s10
	s_xor_b64 exec, exec, s[6:7]
	s_cbranch_execz .LBB2_3098
; %bb.38939:
	s_getpc_b64 s[14:15]
.Lpost_getpc23053:
	s_add_u32 s14, s14, (.LBB2_17436-.Lpost_getpc23053)&4294967295
	s_addc_u32 s15, s15, (.LBB2_17436-.Lpost_getpc23053)>>32
	s_setpc_b64 s[14:15]
.LBB2_3098:
	s_or_b64 exec, exec, s[6:7]
	s_and_saveexec_b64 s[6:7], s[4:5]
	s_cbranch_execz .LBB2_3100
.LBB2_3099:
	v_bfe_u32 v12, v6, 24, 3
	v_ffbh_u32_e32 v16, v12
	v_min_u32_e32 v16, 32, v16
	v_lshrrev_b32_e32 v14, 27, v6
	v_subrev_u32_e32 v17, 28, v16
	v_and_b32_e32 v13, 0x80000000, v6
	v_and_b32_e32 v14, 15, v14
	v_bfe_u32 v15, v6, 27, 4
	v_lshlrev_b32_sdwa v6, v17, v6 dst_sel:DWORD dst_unused:UNUSED_PAD src0_sel:DWORD src1_sel:BYTE_3
	v_sub_u32_e32 v16, 29, v16
	v_and_b32_e32 v6, 7, v6
	v_cmp_eq_u16_e32 vcc, 0, v14
	v_cndmask_b32_e32 v6, v12, v6, vcc
	v_cndmask_b32_e32 v12, v15, v16, vcc
	v_mov_b32_e32 v14, 0x3b800000
	v_lshlrev_b32_e32 v6, 20, v6
	v_lshl_add_u32 v12, v12, 23, v14
	v_or3_b32 v12, v13, v12, v6
.LBB2_3100:
	s_or_b64 exec, exec, s[6:7]
	s_movk_i32 s4, 0x7f
	v_cmp_gt_i16_sdwa s[6:7], v2, s4 src0_sel:BYTE_3 src1_sel:DWORD
	s_mov_b64 s[4:5], 0
                                        ; implicit-def: $sgpr10
	s_and_saveexec_b64 s[8:9], s[6:7]
	s_xor_b64 s[6:7], exec, s[8:9]
	s_cbranch_execz .LBB2_3101
; %bb.38941:
	s_getpc_b64 s[14:15]
.Lpost_getpc23054:
	s_add_u32 s14, s14, (.LBB2_17437-.Lpost_getpc23054)&4294967295
	s_addc_u32 s15, s15, (.LBB2_17437-.Lpost_getpc23054)>>32
	s_setpc_b64 s[14:15]
.LBB2_3101:
	s_or_saveexec_b64 s[6:7], s[6:7]
	v_mov_b32_e32 v6, s10
	s_xor_b64 exec, exec, s[6:7]
	s_cbranch_execz .LBB2_3102
; %bb.38943:
	s_getpc_b64 s[14:15]
.Lpost_getpc23055:
	s_add_u32 s14, s14, (.LBB2_17440-.Lpost_getpc23055)&4294967295
	s_addc_u32 s15, s15, (.LBB2_17440-.Lpost_getpc23055)>>32
	s_setpc_b64 s[14:15]
.LBB2_3102:
	s_or_b64 exec, exec, s[6:7]
	s_and_saveexec_b64 s[6:7], s[4:5]
	s_cbranch_execz .LBB2_3104
.LBB2_3103:
	v_bfe_u32 v6, v2, 24, 3
	v_ffbh_u32_e32 v16, v6
	v_min_u32_e32 v16, 32, v16
	v_lshrrev_b32_e32 v14, 27, v2
	v_subrev_u32_e32 v17, 28, v16
	v_and_b32_e32 v13, 0x80000000, v2
	v_and_b32_e32 v14, 15, v14
	v_bfe_u32 v15, v2, 27, 4
	v_lshlrev_b32_sdwa v2, v17, v2 dst_sel:DWORD dst_unused:UNUSED_PAD src0_sel:DWORD src1_sel:BYTE_3
	v_sub_u32_e32 v16, 29, v16
	v_and_b32_e32 v2, 7, v2
	v_cmp_eq_u16_e32 vcc, 0, v14
	v_cndmask_b32_e32 v2, v6, v2, vcc
	v_cndmask_b32_e32 v6, v15, v16, vcc
	v_mov_b32_e32 v14, 0x3b800000
	v_lshlrev_b32_e32 v2, 20, v2
	v_lshl_add_u32 v6, v6, 23, v14
	v_or3_b32 v6, v13, v6, v2
.LBB2_3104:
	s_or_b64 exec, exec, s[6:7]
	s_nop 0
	v_mfma_f32_16x16x4f32 a[0:3], v12, v6, a[0:3]
	s_movk_i32 s4, 0x7f
	v_cmp_gt_i16_sdwa s[6:7], v7, s4 src0_sel:BYTE_0 src1_sel:DWORD
	s_mov_b64 s[4:5], 0
                                        ; implicit-def: $sgpr10
	s_and_saveexec_b64 s[8:9], s[6:7]
	s_xor_b64 s[6:7], exec, s[8:9]
	s_cbranch_execz .LBB2_3105
; %bb.38945:
	s_getpc_b64 s[14:15]
.Lpost_getpc23056:
	s_add_u32 s14, s14, (.LBB2_17441-.Lpost_getpc23056)&4294967295
	s_addc_u32 s15, s15, (.LBB2_17441-.Lpost_getpc23056)>>32
	s_setpc_b64 s[14:15]
.LBB2_3105:
	s_or_saveexec_b64 s[6:7], s[6:7]
	v_mov_b32_e32 v2, s10
	s_xor_b64 exec, exec, s[6:7]
	s_cbranch_execz .LBB2_3106
; %bb.38947:
	s_getpc_b64 s[14:15]
.Lpost_getpc23057:
	s_add_u32 s14, s14, (.LBB2_17444-.Lpost_getpc23057)&4294967295
	s_addc_u32 s15, s15, (.LBB2_17444-.Lpost_getpc23057)>>32
	s_setpc_b64 s[14:15]
.LBB2_3106:
	s_or_b64 exec, exec, s[6:7]
	s_and_saveexec_b64 s[6:7], s[4:5]
	s_cbranch_execz .LBB2_3108
.LBB2_3107:
	v_and_b32_e32 v2, 7, v7
	v_ffbh_u32_e32 v12, v2
	v_min_u32_e32 v12, 32, v12
	v_lshrrev_b16_e32 v6, 3, v7
	v_subrev_u32_e32 v13, 28, v12
	v_and_b32_e32 v6, 15, v6
	v_lshlrev_b32_e32 v13, v13, v7
	v_sub_u32_e32 v12, 29, v12
	v_and_b32_e32 v13, 7, v13
	v_cmp_eq_u16_e32 vcc, 0, v6
	v_cndmask_b32_e32 v2, v2, v13, vcc
	v_cndmask_b32_e32 v6, v6, v12, vcc
	v_lshlrev_b32_e32 v12, 24, v7
	v_mov_b32_e32 v13, 0x3b800000
	v_lshlrev_b32_e32 v2, 20, v2
	v_and_b32_e32 v12, 0x80000000, v12
	v_lshl_add_u32 v6, v6, 23, v13
	v_or3_b32 v2, v12, v6, v2
.LBB2_3108:
	s_or_b64 exec, exec, s[6:7]
	s_movk_i32 s4, 0x7f
	v_cmp_gt_i16_sdwa s[6:7], v3, s4 src0_sel:BYTE_0 src1_sel:DWORD
	s_mov_b64 s[4:5], 0
                                        ; implicit-def: $sgpr10
	s_and_saveexec_b64 s[8:9], s[6:7]
	s_xor_b64 s[6:7], exec, s[8:9]
	s_cbranch_execz .LBB2_3109
; %bb.38949:
	s_getpc_b64 s[14:15]
.Lpost_getpc23058:
	s_add_u32 s14, s14, (.LBB2_17445-.Lpost_getpc23058)&4294967295
	s_addc_u32 s15, s15, (.LBB2_17445-.Lpost_getpc23058)>>32
	s_setpc_b64 s[14:15]
.LBB2_3109:
	s_or_saveexec_b64 s[6:7], s[6:7]
	v_mov_b32_e32 v6, s10
	s_xor_b64 exec, exec, s[6:7]
	s_cbranch_execz .LBB2_3110
; %bb.38951:
	s_getpc_b64 s[14:15]
.Lpost_getpc23059:
	s_add_u32 s14, s14, (.LBB2_17448-.Lpost_getpc23059)&4294967295
	s_addc_u32 s15, s15, (.LBB2_17448-.Lpost_getpc23059)>>32
	s_setpc_b64 s[14:15]
.LBB2_3110:
	s_or_b64 exec, exec, s[6:7]
	s_and_saveexec_b64 s[6:7], s[4:5]
	s_cbranch_execz .LBB2_3112
.LBB2_3111:
	v_and_b32_e32 v6, 7, v3
	v_ffbh_u32_e32 v13, v6
	v_min_u32_e32 v13, 32, v13
	v_lshrrev_b16_e32 v12, 3, v3
	v_subrev_u32_e32 v14, 28, v13
	v_and_b32_e32 v12, 15, v12
	v_lshlrev_b32_e32 v14, v14, v3
	v_sub_u32_e32 v13, 29, v13
	v_and_b32_e32 v14, 7, v14
	v_cmp_eq_u16_e32 vcc, 0, v12
	v_cndmask_b32_e32 v6, v6, v14, vcc
	v_cndmask_b32_e32 v12, v12, v13, vcc
	v_lshlrev_b32_e32 v13, 24, v3
	v_mov_b32_e32 v14, 0x3b800000
	v_lshlrev_b32_e32 v6, 20, v6
	v_and_b32_e32 v13, 0x80000000, v13
	v_lshl_add_u32 v12, v12, 23, v14
	v_or3_b32 v6, v13, v12, v6
.LBB2_3112:
	s_or_b64 exec, exec, s[6:7]
	s_nop 0
	v_mfma_f32_16x16x4f32 a[0:3], v2, v6, a[0:3]
	v_lshrrev_b32_e32 v6, 8, v7
	s_movk_i32 s4, 0x7f
	v_cmp_gt_i16_sdwa s[6:7], v6, s4 src0_sel:BYTE_0 src1_sel:DWORD
	s_mov_b64 s[4:5], 0
                                        ; implicit-def: $sgpr10
	s_and_saveexec_b64 s[8:9], s[6:7]
	s_xor_b64 s[6:7], exec, s[8:9]
	s_cbranch_execz .LBB2_3113
; %bb.38953:
	s_getpc_b64 s[14:15]
.Lpost_getpc23060:
	s_add_u32 s14, s14, (.LBB2_17449-.Lpost_getpc23060)&4294967295
	s_addc_u32 s15, s15, (.LBB2_17449-.Lpost_getpc23060)>>32
	s_setpc_b64 s[14:15]
.LBB2_3113:
	s_or_saveexec_b64 s[6:7], s[6:7]
	v_mov_b32_e32 v2, s10
	s_xor_b64 exec, exec, s[6:7]
	s_cbranch_execz .LBB2_3114
; %bb.38955:
	s_getpc_b64 s[14:15]
.Lpost_getpc23061:
	s_add_u32 s14, s14, (.LBB2_17452-.Lpost_getpc23061)&4294967295
	s_addc_u32 s15, s15, (.LBB2_17452-.Lpost_getpc23061)>>32
	s_setpc_b64 s[14:15]
.LBB2_3114:
	s_or_b64 exec, exec, s[6:7]
	s_and_saveexec_b64 s[6:7], s[4:5]
	s_cbranch_execz .LBB2_3116
.LBB2_3115:
	v_bfe_u32 v2, v7, 8, 3
	v_ffbh_u32_e32 v13, v2
	v_min_u32_e32 v13, 32, v13
	v_lshrrev_b16_e32 v12, 3, v6
	v_subrev_u32_e32 v14, 28, v13
	v_and_b32_e32 v12, 15, v12
	v_lshlrev_b32_e32 v6, v14, v6
	v_sub_u32_e32 v13, 29, v13
	v_and_b32_e32 v6, 7, v6
	v_cmp_eq_u16_e32 vcc, 0, v12
	v_cndmask_b32_e32 v2, v2, v6, vcc
	v_cndmask_b32_e32 v6, v12, v13, vcc
	v_lshlrev_b32_e32 v12, 16, v7
	v_mov_b32_e32 v13, 0x3b800000
	v_lshlrev_b32_e32 v2, 20, v2
	v_and_b32_e32 v12, 0x80000000, v12
	v_lshl_add_u32 v6, v6, 23, v13
	v_or3_b32 v2, v12, v6, v2
.LBB2_3116:
	s_or_b64 exec, exec, s[6:7]
	v_lshrrev_b32_e32 v6, 8, v3
	s_movk_i32 s4, 0x7f
	v_cmp_gt_i16_sdwa s[6:7], v6, s4 src0_sel:BYTE_0 src1_sel:DWORD
	s_mov_b64 s[4:5], 0
                                        ; implicit-def: $sgpr10
	s_and_saveexec_b64 s[8:9], s[6:7]
	s_xor_b64 s[6:7], exec, s[8:9]
	s_cbranch_execz .LBB2_3117
; %bb.38957:
	s_getpc_b64 s[14:15]
.Lpost_getpc23062:
	s_add_u32 s14, s14, (.LBB2_17453-.Lpost_getpc23062)&4294967295
	s_addc_u32 s15, s15, (.LBB2_17453-.Lpost_getpc23062)>>32
	s_setpc_b64 s[14:15]
.LBB2_3117:
	s_or_saveexec_b64 s[6:7], s[6:7]
	v_mov_b32_e32 v12, s10
	s_xor_b64 exec, exec, s[6:7]
	s_cbranch_execz .LBB2_3118
; %bb.38959:
	s_getpc_b64 s[14:15]
.Lpost_getpc23063:
	s_add_u32 s14, s14, (.LBB2_17456-.Lpost_getpc23063)&4294967295
	s_addc_u32 s15, s15, (.LBB2_17456-.Lpost_getpc23063)>>32
	s_setpc_b64 s[14:15]
.LBB2_3118:
	s_or_b64 exec, exec, s[6:7]
	s_and_saveexec_b64 s[6:7], s[4:5]
	s_cbranch_execz .LBB2_3120
.LBB2_3119:
	v_bfe_u32 v12, v3, 8, 3
	v_ffbh_u32_e32 v14, v12
	v_min_u32_e32 v14, 32, v14
	v_lshrrev_b16_e32 v13, 3, v6
	v_subrev_u32_e32 v15, 28, v14
	v_and_b32_e32 v13, 15, v13
	v_lshlrev_b32_e32 v6, v15, v6
	v_sub_u32_e32 v14, 29, v14
	v_and_b32_e32 v6, 7, v6
	v_cmp_eq_u16_e32 vcc, 0, v13
	v_cndmask_b32_e32 v6, v12, v6, vcc
	v_cndmask_b32_e32 v12, v13, v14, vcc
	v_lshlrev_b32_e32 v13, 16, v3
	v_mov_b32_e32 v14, 0x3b800000
	v_lshlrev_b32_e32 v6, 20, v6
	v_and_b32_e32 v13, 0x80000000, v13
	v_lshl_add_u32 v12, v12, 23, v14
	v_or3_b32 v12, v13, v12, v6
.LBB2_3120:
	s_or_b64 exec, exec, s[6:7]
	s_nop 0
	v_mfma_f32_16x16x4f32 a[0:3], v2, v12, a[0:3]
	s_movk_i32 s4, 0xff
	v_and_b32_sdwa v6, v7, s4 dst_sel:DWORD dst_unused:UNUSED_PAD src0_sel:WORD_1 src1_sel:DWORD
	s_movk_i32 s4, 0x7f
	v_cmp_lt_i16_e32 vcc, s4, v6
	s_mov_b64 s[4:5], 0
                                        ; implicit-def: $sgpr10
	s_and_saveexec_b64 s[6:7], vcc
	s_xor_b64 s[6:7], exec, s[6:7]
	s_cbranch_execz .LBB2_3121
; %bb.38961:
	s_getpc_b64 s[14:15]
.Lpost_getpc23064:
	s_add_u32 s14, s14, (.LBB2_17457-.Lpost_getpc23064)&4294967295
	s_addc_u32 s15, s15, (.LBB2_17457-.Lpost_getpc23064)>>32
	s_setpc_b64 s[14:15]
.LBB2_3121:
	s_or_saveexec_b64 s[6:7], s[6:7]
	v_mov_b32_e32 v2, s10
	s_xor_b64 exec, exec, s[6:7]
	s_cbranch_execz .LBB2_3122
; %bb.38963:
	s_getpc_b64 s[14:15]
.Lpost_getpc23065:
	s_add_u32 s14, s14, (.LBB2_17460-.Lpost_getpc23065)&4294967295
	s_addc_u32 s15, s15, (.LBB2_17460-.Lpost_getpc23065)>>32
	s_setpc_b64 s[14:15]
.LBB2_3122:
	s_or_b64 exec, exec, s[6:7]
	s_and_saveexec_b64 s[6:7], s[4:5]
	s_cbranch_execz .LBB2_3124
.LBB2_3123:
	v_bfe_u32 v2, v7, 16, 3
	v_ffbh_u32_e32 v13, v2
	v_min_u32_e32 v13, 32, v13
	v_lshrrev_b32_e32 v6, 19, v7
	v_subrev_u32_e32 v14, 28, v13
	v_and_b32_e32 v6, 15, v6
	v_lshlrev_b32_sdwa v14, v14, v7 dst_sel:DWORD dst_unused:UNUSED_PAD src0_sel:DWORD src1_sel:WORD_1
	v_bfe_u32 v12, v7, 19, 4
	v_sub_u32_e32 v13, 29, v13
	v_and_b32_e32 v14, 7, v14
	v_cmp_eq_u16_e32 vcc, 0, v6
	v_cndmask_b32_e32 v2, v2, v14, vcc
	v_cndmask_b32_e32 v6, v12, v13, vcc
	v_lshlrev_b32_e32 v12, 8, v7
	v_mov_b32_e32 v13, 0x3b800000
	v_lshlrev_b32_e32 v2, 20, v2
	v_and_b32_e32 v12, 0x80000000, v12
	v_lshl_add_u32 v6, v6, 23, v13
	v_or3_b32 v2, v12, v6, v2
.LBB2_3124:
	s_or_b64 exec, exec, s[6:7]
	s_movk_i32 s4, 0xff
	v_and_b32_sdwa v6, v3, s4 dst_sel:DWORD dst_unused:UNUSED_PAD src0_sel:WORD_1 src1_sel:DWORD
	s_movk_i32 s4, 0x7f
	v_cmp_lt_i16_e32 vcc, s4, v6
	s_mov_b64 s[4:5], 0
                                        ; implicit-def: $sgpr10
	s_and_saveexec_b64 s[6:7], vcc
	s_xor_b64 s[6:7], exec, s[6:7]
	s_cbranch_execz .LBB2_3125
; %bb.38965:
	s_getpc_b64 s[14:15]
.Lpost_getpc23066:
	s_add_u32 s14, s14, (.LBB2_17461-.Lpost_getpc23066)&4294967295
	s_addc_u32 s15, s15, (.LBB2_17461-.Lpost_getpc23066)>>32
	s_setpc_b64 s[14:15]
.LBB2_3125:
	s_or_saveexec_b64 s[6:7], s[6:7]
	v_mov_b32_e32 v12, s10
	s_xor_b64 exec, exec, s[6:7]
	s_cbranch_execz .LBB2_3126
; %bb.38967:
	s_getpc_b64 s[14:15]
.Lpost_getpc23067:
	s_add_u32 s14, s14, (.LBB2_17464-.Lpost_getpc23067)&4294967295
	s_addc_u32 s15, s15, (.LBB2_17464-.Lpost_getpc23067)>>32
	s_setpc_b64 s[14:15]
.LBB2_3126:
	s_or_b64 exec, exec, s[6:7]
	s_and_saveexec_b64 s[6:7], s[4:5]
	s_cbranch_execz .LBB2_3128
.LBB2_3127:
	v_bfe_u32 v6, v3, 16, 3
	v_ffbh_u32_e32 v14, v6
	v_min_u32_e32 v14, 32, v14
	v_lshrrev_b32_e32 v12, 19, v3
	v_subrev_u32_e32 v15, 28, v14
	v_and_b32_e32 v12, 15, v12
	v_lshlrev_b32_sdwa v15, v15, v3 dst_sel:DWORD dst_unused:UNUSED_PAD src0_sel:DWORD src1_sel:WORD_1
	v_bfe_u32 v13, v3, 19, 4
	v_sub_u32_e32 v14, 29, v14
	v_and_b32_e32 v15, 7, v15
	v_cmp_eq_u16_e32 vcc, 0, v12
	v_cndmask_b32_e32 v6, v6, v15, vcc
	v_cndmask_b32_e32 v12, v13, v14, vcc
	v_lshlrev_b32_e32 v13, 8, v3
	v_mov_b32_e32 v14, 0x3b800000
	v_lshlrev_b32_e32 v6, 20, v6
	v_and_b32_e32 v13, 0x80000000, v13
	v_lshl_add_u32 v12, v12, 23, v14
	v_or3_b32 v12, v13, v12, v6
.LBB2_3128:
	s_or_b64 exec, exec, s[6:7]
	s_nop 0
	v_mfma_f32_16x16x4f32 a[0:3], v2, v12, a[0:3]
	s_movk_i32 s4, 0x7f
	v_cmp_gt_i16_sdwa s[6:7], v7, s4 src0_sel:BYTE_3 src1_sel:DWORD
	s_mov_b64 s[4:5], 0
                                        ; implicit-def: $sgpr10
	s_and_saveexec_b64 s[8:9], s[6:7]
	s_xor_b64 s[6:7], exec, s[8:9]
	s_cbranch_execz .LBB2_3129
; %bb.38969:
	s_getpc_b64 s[14:15]
.Lpost_getpc23068:
	s_add_u32 s14, s14, (.LBB2_17465-.Lpost_getpc23068)&4294967295
	s_addc_u32 s15, s15, (.LBB2_17465-.Lpost_getpc23068)>>32
	s_setpc_b64 s[14:15]
.LBB2_3129:
	s_or_saveexec_b64 s[6:7], s[6:7]
	v_mov_b32_e32 v2, s10
	s_xor_b64 exec, exec, s[6:7]
	s_cbranch_execz .LBB2_3130
; %bb.38971:
	s_getpc_b64 s[14:15]
.Lpost_getpc23069:
	s_add_u32 s14, s14, (.LBB2_17468-.Lpost_getpc23069)&4294967295
	s_addc_u32 s15, s15, (.LBB2_17468-.Lpost_getpc23069)>>32
	s_setpc_b64 s[14:15]
.LBB2_3130:
	s_or_b64 exec, exec, s[6:7]
	s_and_saveexec_b64 s[6:7], s[4:5]
	s_cbranch_execz .LBB2_3132
.LBB2_3131:
	v_bfe_u32 v2, v7, 24, 3
	v_ffbh_u32_e32 v14, v2
	v_min_u32_e32 v14, 32, v14
	v_lshrrev_b32_e32 v12, 27, v7
	v_subrev_u32_e32 v15, 28, v14
	v_and_b32_e32 v6, 0x80000000, v7
	v_and_b32_e32 v12, 15, v12
	v_bfe_u32 v13, v7, 27, 4
	v_lshlrev_b32_sdwa v7, v15, v7 dst_sel:DWORD dst_unused:UNUSED_PAD src0_sel:DWORD src1_sel:BYTE_3
	v_sub_u32_e32 v14, 29, v14
	v_and_b32_e32 v7, 7, v7
	v_cmp_eq_u16_e32 vcc, 0, v12
	v_cndmask_b32_e32 v2, v2, v7, vcc
	v_cndmask_b32_e32 v7, v13, v14, vcc
	v_mov_b32_e32 v12, 0x3b800000
	v_lshlrev_b32_e32 v2, 20, v2
	v_lshl_add_u32 v7, v7, 23, v12
	v_or3_b32 v2, v6, v7, v2
.LBB2_3132:
	s_or_b64 exec, exec, s[6:7]
	s_movk_i32 s4, 0x7f
	v_cmp_gt_i16_sdwa s[6:7], v3, s4 src0_sel:BYTE_3 src1_sel:DWORD
	s_mov_b64 s[4:5], 0
                                        ; implicit-def: $sgpr10
	s_and_saveexec_b64 s[8:9], s[6:7]
	s_xor_b64 s[6:7], exec, s[8:9]
	s_cbranch_execz .LBB2_3133
; %bb.38973:
	s_getpc_b64 s[14:15]
.Lpost_getpc23070:
	s_add_u32 s14, s14, (.LBB2_17469-.Lpost_getpc23070)&4294967295
	s_addc_u32 s15, s15, (.LBB2_17469-.Lpost_getpc23070)>>32
	s_setpc_b64 s[14:15]
.LBB2_3133:
	s_or_saveexec_b64 s[6:7], s[6:7]
	v_mov_b32_e32 v6, s10
	s_xor_b64 exec, exec, s[6:7]
	s_cbranch_execz .LBB2_3134
; %bb.38975:
	s_getpc_b64 s[14:15]
.Lpost_getpc23071:
	s_add_u32 s14, s14, (.LBB2_17472-.Lpost_getpc23071)&4294967295
	s_addc_u32 s15, s15, (.LBB2_17472-.Lpost_getpc23071)>>32
	s_setpc_b64 s[14:15]
.LBB2_3134:
	s_or_b64 exec, exec, s[6:7]
	s_and_saveexec_b64 s[6:7], s[4:5]
	s_cbranch_execz .LBB2_3136
.LBB2_3135:
	v_bfe_u32 v6, v3, 24, 3
	v_ffbh_u32_e32 v14, v6
	v_min_u32_e32 v14, 32, v14
	v_lshrrev_b32_e32 v12, 27, v3
	v_subrev_u32_e32 v15, 28, v14
	v_and_b32_e32 v7, 0x80000000, v3
	v_and_b32_e32 v12, 15, v12
	v_bfe_u32 v13, v3, 27, 4
	v_lshlrev_b32_sdwa v3, v15, v3 dst_sel:DWORD dst_unused:UNUSED_PAD src0_sel:DWORD src1_sel:BYTE_3
	v_sub_u32_e32 v14, 29, v14
	v_and_b32_e32 v3, 7, v3
	v_cmp_eq_u16_e32 vcc, 0, v12
	v_cndmask_b32_e32 v3, v6, v3, vcc
	v_cndmask_b32_e32 v6, v13, v14, vcc
	v_mov_b32_e32 v12, 0x3b800000
	v_lshlrev_b32_e32 v3, 20, v3
	v_lshl_add_u32 v6, v6, 23, v12
	v_or3_b32 v6, v7, v6, v3
.LBB2_3136:
	s_or_b64 exec, exec, s[6:7]
	s_nop 0
	v_mfma_f32_16x16x4f32 a[0:3], v2, v6, a[0:3]
	s_movk_i32 s4, 0x7f
	v_cmp_gt_i16_sdwa s[6:7], v8, s4 src0_sel:BYTE_0 src1_sel:DWORD
	s_mov_b64 s[4:5], 0
                                        ; implicit-def: $sgpr10
	s_and_saveexec_b64 s[8:9], s[6:7]
	s_xor_b64 s[6:7], exec, s[8:9]
	s_cbranch_execz .LBB2_3137
; %bb.38977:
	s_getpc_b64 s[14:15]
.Lpost_getpc23072:
	s_add_u32 s14, s14, (.LBB2_17473-.Lpost_getpc23072)&4294967295
	s_addc_u32 s15, s15, (.LBB2_17473-.Lpost_getpc23072)>>32
	s_setpc_b64 s[14:15]
.LBB2_3137:
	s_or_saveexec_b64 s[6:7], s[6:7]
	v_mov_b32_e32 v2, s10
	s_xor_b64 exec, exec, s[6:7]
	s_cbranch_execz .LBB2_3138
; %bb.38979:
	s_getpc_b64 s[14:15]
.Lpost_getpc23073:
	s_add_u32 s14, s14, (.LBB2_17476-.Lpost_getpc23073)&4294967295
	s_addc_u32 s15, s15, (.LBB2_17476-.Lpost_getpc23073)>>32
	s_setpc_b64 s[14:15]
.LBB2_3138:
	s_or_b64 exec, exec, s[6:7]
	s_and_saveexec_b64 s[6:7], s[4:5]
	s_cbranch_execz .LBB2_3140
.LBB2_3139:
	v_and_b32_e32 v2, 7, v8
	v_ffbh_u32_e32 v6, v2
	v_min_u32_e32 v6, 32, v6
	v_lshrrev_b16_e32 v3, 3, v8
	v_subrev_u32_e32 v7, 28, v6
	v_and_b32_e32 v3, 15, v3
	v_lshlrev_b32_e32 v7, v7, v8
	v_sub_u32_e32 v6, 29, v6
	v_and_b32_e32 v7, 7, v7
	v_cmp_eq_u16_e32 vcc, 0, v3
	v_cndmask_b32_e32 v2, v2, v7, vcc
	v_cndmask_b32_e32 v3, v3, v6, vcc
	v_lshlrev_b32_e32 v6, 24, v8
	v_mov_b32_e32 v7, 0x3b800000
	v_lshlrev_b32_e32 v2, 20, v2
	v_and_b32_e32 v6, 0x80000000, v6
	v_lshl_add_u32 v3, v3, 23, v7
	v_or3_b32 v2, v6, v3, v2
.LBB2_3140:
	s_or_b64 exec, exec, s[6:7]
	s_movk_i32 s4, 0x7f
	v_cmp_gt_i16_sdwa s[6:7], v4, s4 src0_sel:BYTE_0 src1_sel:DWORD
	s_mov_b64 s[4:5], 0
                                        ; implicit-def: $sgpr10
	s_and_saveexec_b64 s[8:9], s[6:7]
	s_xor_b64 s[6:7], exec, s[8:9]
	s_cbranch_execz .LBB2_3141
; %bb.38981:
	s_getpc_b64 s[14:15]
.Lpost_getpc23074:
	s_add_u32 s14, s14, (.LBB2_17477-.Lpost_getpc23074)&4294967295
	s_addc_u32 s15, s15, (.LBB2_17477-.Lpost_getpc23074)>>32
	s_setpc_b64 s[14:15]
.LBB2_3141:
	s_or_saveexec_b64 s[6:7], s[6:7]
	v_mov_b32_e32 v3, s10
	s_xor_b64 exec, exec, s[6:7]
	s_cbranch_execz .LBB2_3142
; %bb.38983:
	s_getpc_b64 s[14:15]
.Lpost_getpc23075:
	s_add_u32 s14, s14, (.LBB2_17480-.Lpost_getpc23075)&4294967295
	s_addc_u32 s15, s15, (.LBB2_17480-.Lpost_getpc23075)>>32
	s_setpc_b64 s[14:15]
.LBB2_3142:
	s_or_b64 exec, exec, s[6:7]
	s_and_saveexec_b64 s[6:7], s[4:5]
	s_cbranch_execz .LBB2_3144
.LBB2_3143:
	v_and_b32_e32 v3, 7, v4
	v_ffbh_u32_e32 v7, v3
	v_min_u32_e32 v7, 32, v7
	v_lshrrev_b16_e32 v6, 3, v4
	v_subrev_u32_e32 v12, 28, v7
	v_and_b32_e32 v6, 15, v6
	v_lshlrev_b32_e32 v12, v12, v4
	v_sub_u32_e32 v7, 29, v7
	v_and_b32_e32 v12, 7, v12
	v_cmp_eq_u16_e32 vcc, 0, v6
	v_cndmask_b32_e32 v3, v3, v12, vcc
	v_cndmask_b32_e32 v6, v6, v7, vcc
	v_lshlrev_b32_e32 v7, 24, v4
	v_mov_b32_e32 v12, 0x3b800000
	v_lshlrev_b32_e32 v3, 20, v3
	v_and_b32_e32 v7, 0x80000000, v7
	v_lshl_add_u32 v6, v6, 23, v12
	v_or3_b32 v3, v7, v6, v3
.LBB2_3144:
	s_or_b64 exec, exec, s[6:7]
	s_nop 0
	v_mfma_f32_16x16x4f32 a[0:3], v2, v3, a[0:3]
	v_lshrrev_b32_e32 v3, 8, v8
	s_movk_i32 s4, 0x7f
	v_cmp_gt_i16_sdwa s[6:7], v3, s4 src0_sel:BYTE_0 src1_sel:DWORD
	s_mov_b64 s[4:5], 0
                                        ; implicit-def: $sgpr10
	s_and_saveexec_b64 s[8:9], s[6:7]
	s_xor_b64 s[6:7], exec, s[8:9]
	s_cbranch_execz .LBB2_3145
; %bb.38985:
	s_getpc_b64 s[14:15]
.Lpost_getpc23076:
	s_add_u32 s14, s14, (.LBB2_17481-.Lpost_getpc23076)&4294967295
	s_addc_u32 s15, s15, (.LBB2_17481-.Lpost_getpc23076)>>32
	s_setpc_b64 s[14:15]
.LBB2_3145:
	s_or_saveexec_b64 s[6:7], s[6:7]
	v_mov_b32_e32 v2, s10
	s_xor_b64 exec, exec, s[6:7]
	s_cbranch_execz .LBB2_3146
; %bb.38987:
	s_getpc_b64 s[14:15]
.Lpost_getpc23077:
	s_add_u32 s14, s14, (.LBB2_17484-.Lpost_getpc23077)&4294967295
	s_addc_u32 s15, s15, (.LBB2_17484-.Lpost_getpc23077)>>32
	s_setpc_b64 s[14:15]
.LBB2_3146:
	s_or_b64 exec, exec, s[6:7]
	s_and_saveexec_b64 s[6:7], s[4:5]
	s_cbranch_execz .LBB2_3148
.LBB2_3147:
	v_bfe_u32 v2, v8, 8, 3
	v_ffbh_u32_e32 v7, v2
	v_min_u32_e32 v7, 32, v7
	v_lshrrev_b16_e32 v6, 3, v3
	v_subrev_u32_e32 v12, 28, v7
	v_and_b32_e32 v6, 15, v6
	v_lshlrev_b32_e32 v3, v12, v3
	v_sub_u32_e32 v7, 29, v7
	v_and_b32_e32 v3, 7, v3
	v_cmp_eq_u16_e32 vcc, 0, v6
	v_cndmask_b32_e32 v2, v2, v3, vcc
	v_cndmask_b32_e32 v3, v6, v7, vcc
	v_lshlrev_b32_e32 v6, 16, v8
	v_mov_b32_e32 v7, 0x3b800000
	v_lshlrev_b32_e32 v2, 20, v2
	v_and_b32_e32 v6, 0x80000000, v6
	v_lshl_add_u32 v3, v3, 23, v7
	v_or3_b32 v2, v6, v3, v2
.LBB2_3148:
	s_or_b64 exec, exec, s[6:7]
	v_lshrrev_b32_e32 v3, 8, v4
	s_movk_i32 s4, 0x7f
	v_cmp_gt_i16_sdwa s[6:7], v3, s4 src0_sel:BYTE_0 src1_sel:DWORD
	s_mov_b64 s[4:5], 0
                                        ; implicit-def: $sgpr10
	s_and_saveexec_b64 s[8:9], s[6:7]
	s_xor_b64 s[6:7], exec, s[8:9]
	s_cbranch_execz .LBB2_3149
; %bb.38989:
	s_getpc_b64 s[14:15]
.Lpost_getpc23078:
	s_add_u32 s14, s14, (.LBB2_17485-.Lpost_getpc23078)&4294967295
	s_addc_u32 s15, s15, (.LBB2_17485-.Lpost_getpc23078)>>32
	s_setpc_b64 s[14:15]
.LBB2_3149:
	s_or_saveexec_b64 s[6:7], s[6:7]
	v_mov_b32_e32 v6, s10
	s_xor_b64 exec, exec, s[6:7]
	s_cbranch_execz .LBB2_3150
; %bb.38991:
	s_getpc_b64 s[14:15]
.Lpost_getpc23079:
	s_add_u32 s14, s14, (.LBB2_17488-.Lpost_getpc23079)&4294967295
	s_addc_u32 s15, s15, (.LBB2_17488-.Lpost_getpc23079)>>32
	s_setpc_b64 s[14:15]
.LBB2_3150:
	s_or_b64 exec, exec, s[6:7]
	s_and_saveexec_b64 s[6:7], s[4:5]
	s_cbranch_execz .LBB2_3152
.LBB2_3151:
	v_bfe_u32 v6, v4, 8, 3
	v_ffbh_u32_e32 v12, v6
	v_min_u32_e32 v12, 32, v12
	v_lshrrev_b16_e32 v7, 3, v3
	v_subrev_u32_e32 v13, 28, v12
	v_and_b32_e32 v7, 15, v7
	v_lshlrev_b32_e32 v3, v13, v3
	v_sub_u32_e32 v12, 29, v12
	v_and_b32_e32 v3, 7, v3
	v_cmp_eq_u16_e32 vcc, 0, v7
	v_cndmask_b32_e32 v3, v6, v3, vcc
	v_cndmask_b32_e32 v6, v7, v12, vcc
	v_lshlrev_b32_e32 v7, 16, v4
	v_mov_b32_e32 v12, 0x3b800000
	v_lshlrev_b32_e32 v3, 20, v3
	v_and_b32_e32 v7, 0x80000000, v7
	v_lshl_add_u32 v6, v6, 23, v12
	v_or3_b32 v6, v7, v6, v3
.LBB2_3152:
	s_or_b64 exec, exec, s[6:7]
	s_nop 0
	v_mfma_f32_16x16x4f32 a[0:3], v2, v6, a[0:3]
	s_movk_i32 s4, 0xff
	v_and_b32_sdwa v3, v8, s4 dst_sel:DWORD dst_unused:UNUSED_PAD src0_sel:WORD_1 src1_sel:DWORD
	s_movk_i32 s4, 0x7f
	v_cmp_lt_i16_e32 vcc, s4, v3
	s_mov_b64 s[4:5], 0
                                        ; implicit-def: $sgpr10
	s_and_saveexec_b64 s[6:7], vcc
	s_xor_b64 s[6:7], exec, s[6:7]
	s_cbranch_execz .LBB2_3153
; %bb.38993:
	s_getpc_b64 s[14:15]
.Lpost_getpc23080:
	s_add_u32 s14, s14, (.LBB2_17489-.Lpost_getpc23080)&4294967295
	s_addc_u32 s15, s15, (.LBB2_17489-.Lpost_getpc23080)>>32
	s_setpc_b64 s[14:15]
.LBB2_3153:
	s_or_saveexec_b64 s[6:7], s[6:7]
	v_mov_b32_e32 v2, s10
	s_xor_b64 exec, exec, s[6:7]
	s_cbranch_execz .LBB2_3154
; %bb.38995:
	s_getpc_b64 s[14:15]
.Lpost_getpc23081:
	s_add_u32 s14, s14, (.LBB2_17492-.Lpost_getpc23081)&4294967295
	s_addc_u32 s15, s15, (.LBB2_17492-.Lpost_getpc23081)>>32
	s_setpc_b64 s[14:15]
.LBB2_3154:
	s_or_b64 exec, exec, s[6:7]
	s_and_saveexec_b64 s[6:7], s[4:5]
	s_cbranch_execz .LBB2_3156
.LBB2_3155:
	v_bfe_u32 v2, v8, 16, 3
	v_ffbh_u32_e32 v7, v2
	v_min_u32_e32 v7, 32, v7
	v_lshrrev_b32_e32 v3, 19, v8
	v_subrev_u32_e32 v12, 28, v7
	v_and_b32_e32 v3, 15, v3
	v_lshlrev_b32_sdwa v12, v12, v8 dst_sel:DWORD dst_unused:UNUSED_PAD src0_sel:DWORD src1_sel:WORD_1
	v_bfe_u32 v6, v8, 19, 4
	v_sub_u32_e32 v7, 29, v7
	v_and_b32_e32 v12, 7, v12
	v_cmp_eq_u16_e32 vcc, 0, v3
	v_cndmask_b32_e32 v2, v2, v12, vcc
	v_cndmask_b32_e32 v3, v6, v7, vcc
	v_lshlrev_b32_e32 v6, 8, v8
	v_mov_b32_e32 v7, 0x3b800000
	v_lshlrev_b32_e32 v2, 20, v2
	v_and_b32_e32 v6, 0x80000000, v6
	v_lshl_add_u32 v3, v3, 23, v7
	v_or3_b32 v2, v6, v3, v2
.LBB2_3156:
	s_or_b64 exec, exec, s[6:7]
	s_movk_i32 s4, 0xff
	v_and_b32_sdwa v3, v4, s4 dst_sel:DWORD dst_unused:UNUSED_PAD src0_sel:WORD_1 src1_sel:DWORD
	s_movk_i32 s4, 0x7f
	v_cmp_lt_i16_e32 vcc, s4, v3
	s_mov_b64 s[4:5], 0
                                        ; implicit-def: $sgpr10
	s_and_saveexec_b64 s[6:7], vcc
	s_xor_b64 s[6:7], exec, s[6:7]
	s_cbranch_execz .LBB2_3157
; %bb.38997:
	s_getpc_b64 s[14:15]
.Lpost_getpc23082:
	s_add_u32 s14, s14, (.LBB2_17493-.Lpost_getpc23082)&4294967295
	s_addc_u32 s15, s15, (.LBB2_17493-.Lpost_getpc23082)>>32
	s_setpc_b64 s[14:15]
.LBB2_3157:
	s_or_saveexec_b64 s[6:7], s[6:7]
	v_mov_b32_e32 v6, s10
	s_xor_b64 exec, exec, s[6:7]
	s_cbranch_execz .LBB2_3158
; %bb.38999:
	s_getpc_b64 s[14:15]
.Lpost_getpc23083:
	s_add_u32 s14, s14, (.LBB2_17496-.Lpost_getpc23083)&4294967295
	s_addc_u32 s15, s15, (.LBB2_17496-.Lpost_getpc23083)>>32
	s_setpc_b64 s[14:15]
.LBB2_3158:
	s_or_b64 exec, exec, s[6:7]
	s_and_saveexec_b64 s[6:7], s[4:5]
	s_cbranch_execz .LBB2_3160
.LBB2_3159:
	v_bfe_u32 v3, v4, 16, 3
	v_ffbh_u32_e32 v12, v3
	v_min_u32_e32 v12, 32, v12
	v_lshrrev_b32_e32 v6, 19, v4
	v_subrev_u32_e32 v13, 28, v12
	v_and_b32_e32 v6, 15, v6
	v_lshlrev_b32_sdwa v13, v13, v4 dst_sel:DWORD dst_unused:UNUSED_PAD src0_sel:DWORD src1_sel:WORD_1
	v_bfe_u32 v7, v4, 19, 4
	v_sub_u32_e32 v12, 29, v12
	v_and_b32_e32 v13, 7, v13
	v_cmp_eq_u16_e32 vcc, 0, v6
	v_cndmask_b32_e32 v3, v3, v13, vcc
	v_cndmask_b32_e32 v6, v7, v12, vcc
	v_lshlrev_b32_e32 v7, 8, v4
	v_mov_b32_e32 v12, 0x3b800000
	v_lshlrev_b32_e32 v3, 20, v3
	v_and_b32_e32 v7, 0x80000000, v7
	v_lshl_add_u32 v6, v6, 23, v12
	v_or3_b32 v6, v7, v6, v3
.LBB2_3160:
	s_or_b64 exec, exec, s[6:7]
	s_nop 0
	v_mfma_f32_16x16x4f32 a[0:3], v2, v6, a[0:3]
	s_movk_i32 s4, 0x7f
	v_cmp_gt_i16_sdwa s[6:7], v8, s4 src0_sel:BYTE_3 src1_sel:DWORD
	s_mov_b64 s[4:5], 0
                                        ; implicit-def: $sgpr10
	s_and_saveexec_b64 s[8:9], s[6:7]
	s_xor_b64 s[6:7], exec, s[8:9]
	s_cbranch_execz .LBB2_3161
; %bb.39001:
	s_getpc_b64 s[14:15]
.Lpost_getpc23084:
	s_add_u32 s14, s14, (.LBB2_17497-.Lpost_getpc23084)&4294967295
	s_addc_u32 s15, s15, (.LBB2_17497-.Lpost_getpc23084)>>32
	s_setpc_b64 s[14:15]
.LBB2_3161:
	s_or_saveexec_b64 s[6:7], s[6:7]
	v_mov_b32_e32 v2, s10
	s_xor_b64 exec, exec, s[6:7]
	s_cbranch_execz .LBB2_3162
; %bb.39003:
	s_getpc_b64 s[14:15]
.Lpost_getpc23085:
	s_add_u32 s14, s14, (.LBB2_17500-.Lpost_getpc23085)&4294967295
	s_addc_u32 s15, s15, (.LBB2_17500-.Lpost_getpc23085)>>32
	s_setpc_b64 s[14:15]
.LBB2_3162:
	s_or_b64 exec, exec, s[6:7]
	s_and_saveexec_b64 s[6:7], s[4:5]
	s_cbranch_execz .LBB2_3164
.LBB2_3163:
	v_bfe_u32 v2, v8, 24, 3
	v_ffbh_u32_e32 v12, v2
	v_min_u32_e32 v12, 32, v12
	v_lshrrev_b32_e32 v6, 27, v8
	v_subrev_u32_e32 v13, 28, v12
	v_and_b32_e32 v3, 0x80000000, v8
	v_and_b32_e32 v6, 15, v6
	v_bfe_u32 v7, v8, 27, 4
	v_lshlrev_b32_sdwa v8, v13, v8 dst_sel:DWORD dst_unused:UNUSED_PAD src0_sel:DWORD src1_sel:BYTE_3
	v_sub_u32_e32 v12, 29, v12
	v_and_b32_e32 v8, 7, v8
	v_cmp_eq_u16_e32 vcc, 0, v6
	v_cndmask_b32_e32 v2, v2, v8, vcc
	v_cndmask_b32_e32 v6, v7, v12, vcc
	v_mov_b32_e32 v7, 0x3b800000
	v_lshlrev_b32_e32 v2, 20, v2
	v_lshl_add_u32 v6, v6, 23, v7
	v_or3_b32 v2, v3, v6, v2
.LBB2_3164:
	s_or_b64 exec, exec, s[6:7]
	s_movk_i32 s4, 0x7f
	v_cmp_gt_i16_sdwa s[6:7], v4, s4 src0_sel:BYTE_3 src1_sel:DWORD
	s_mov_b64 s[4:5], 0
                                        ; implicit-def: $sgpr10
	s_and_saveexec_b64 s[8:9], s[6:7]
	s_xor_b64 s[6:7], exec, s[8:9]
	s_cbranch_execz .LBB2_3165
; %bb.39005:
	s_getpc_b64 s[14:15]
.Lpost_getpc23086:
	s_add_u32 s14, s14, (.LBB2_17501-.Lpost_getpc23086)&4294967295
	s_addc_u32 s15, s15, (.LBB2_17501-.Lpost_getpc23086)>>32
	s_setpc_b64 s[14:15]
.LBB2_3165:
	s_or_saveexec_b64 s[6:7], s[6:7]
	v_mov_b32_e32 v3, s10
	s_xor_b64 exec, exec, s[6:7]
	s_cbranch_execz .LBB2_3166
; %bb.39007:
	s_getpc_b64 s[14:15]
.Lpost_getpc23087:
	s_add_u32 s14, s14, (.LBB2_17504-.Lpost_getpc23087)&4294967295
	s_addc_u32 s15, s15, (.LBB2_17504-.Lpost_getpc23087)>>32
	s_setpc_b64 s[14:15]
.LBB2_3166:
	s_or_b64 exec, exec, s[6:7]
	s_and_saveexec_b64 s[6:7], s[4:5]
	s_cbranch_execz .LBB2_3168
.LBB2_3167:
	v_bfe_u32 v3, v4, 24, 3
	v_ffbh_u32_e32 v12, v3
	v_min_u32_e32 v12, 32, v12
	v_lshrrev_b32_e32 v7, 27, v4
	v_subrev_u32_e32 v13, 28, v12
	v_and_b32_e32 v6, 0x80000000, v4
	v_and_b32_e32 v7, 15, v7
	v_bfe_u32 v8, v4, 27, 4
	v_lshlrev_b32_sdwa v4, v13, v4 dst_sel:DWORD dst_unused:UNUSED_PAD src0_sel:DWORD src1_sel:BYTE_3
	v_sub_u32_e32 v12, 29, v12
	v_and_b32_e32 v4, 7, v4
	v_cmp_eq_u16_e32 vcc, 0, v7
	v_cndmask_b32_e32 v3, v3, v4, vcc
	v_cndmask_b32_e32 v4, v8, v12, vcc
	v_mov_b32_e32 v7, 0x3b800000
	v_lshlrev_b32_e32 v3, 20, v3
	v_lshl_add_u32 v4, v4, 23, v7
	v_or3_b32 v3, v6, v4, v3
.LBB2_3168:
	s_or_b64 exec, exec, s[6:7]
	s_nop 0
	v_mfma_f32_16x16x4f32 a[0:3], v2, v3, a[0:3]
	s_movk_i32 s4, 0x7f
	v_cmp_gt_i16_sdwa s[6:7], v9, s4 src0_sel:BYTE_0 src1_sel:DWORD
	s_mov_b64 s[4:5], 0
                                        ; implicit-def: $sgpr10
	s_and_saveexec_b64 s[8:9], s[6:7]
	s_xor_b64 s[6:7], exec, s[8:9]
	s_cbranch_execz .LBB2_3169
; %bb.39009:
	s_getpc_b64 s[14:15]
.Lpost_getpc23088:
	s_add_u32 s14, s14, (.LBB2_17505-.Lpost_getpc23088)&4294967295
	s_addc_u32 s15, s15, (.LBB2_17505-.Lpost_getpc23088)>>32
	s_setpc_b64 s[14:15]
.LBB2_3169:
	s_or_saveexec_b64 s[6:7], s[6:7]
	v_mov_b32_e32 v2, s10
	s_xor_b64 exec, exec, s[6:7]
	s_cbranch_execz .LBB2_3170
; %bb.39011:
	s_getpc_b64 s[14:15]
.Lpost_getpc23089:
	s_add_u32 s14, s14, (.LBB2_17508-.Lpost_getpc23089)&4294967295
	s_addc_u32 s15, s15, (.LBB2_17508-.Lpost_getpc23089)>>32
	s_setpc_b64 s[14:15]
.LBB2_3170:
	s_or_b64 exec, exec, s[6:7]
	s_and_saveexec_b64 s[6:7], s[4:5]
	s_cbranch_execz .LBB2_3172
.LBB2_3171:
	v_mov_b32_e32 v2, 8
	v_and_b32_e32 v3, 7, v9
	v_lshrrev_b32_sdwa v2, v2, v9 dst_sel:BYTE_1 dst_unused:UNUSED_PAD src0_sel:DWORD src1_sel:DWORD
	v_ffbh_u32_e32 v4, v3
	v_or_b32_sdwa v2, v9, v2 dst_sel:DWORD dst_unused:UNUSED_PAD src0_sel:BYTE_0 src1_sel:DWORD
	v_min_u32_e32 v4, 32, v4
	v_lshrrev_b16_e32 v2, 3, v2
	v_subrev_u32_e32 v6, 28, v4
	v_and_b32_e32 v2, 15, v2
	v_lshlrev_b32_e32 v6, v6, v9
	v_sub_u32_e32 v4, 29, v4
	v_and_b32_e32 v6, 7, v6
	v_cmp_eq_u16_e32 vcc, 0, v2
	v_cndmask_b32_e32 v3, v3, v6, vcc
	v_cndmask_b32_e32 v2, v2, v4, vcc
	v_lshlrev_b32_e32 v4, 24, v9
	v_mov_b32_e32 v6, 0x3b800000
	v_lshlrev_b32_e32 v3, 20, v3
	v_and_b32_e32 v4, 0x80000000, v4
	v_lshl_add_u32 v2, v2, 23, v6
	v_or3_b32 v2, v4, v2, v3
.LBB2_3172:
	s_or_b64 exec, exec, s[6:7]
	s_movk_i32 s4, 0x7f
	v_cmp_gt_i16_sdwa s[6:7], v5, s4 src0_sel:BYTE_0 src1_sel:DWORD
	s_mov_b64 s[4:5], 0
                                        ; implicit-def: $sgpr10
	s_and_saveexec_b64 s[8:9], s[6:7]
	s_xor_b64 s[6:7], exec, s[8:9]
	s_cbranch_execz .LBB2_3173
; %bb.39013:
	s_getpc_b64 s[14:15]
.Lpost_getpc23090:
	s_add_u32 s14, s14, (.LBB2_17509-.Lpost_getpc23090)&4294967295
	s_addc_u32 s15, s15, (.LBB2_17509-.Lpost_getpc23090)>>32
	s_setpc_b64 s[14:15]
.LBB2_3173:
	s_or_saveexec_b64 s[6:7], s[6:7]
	v_mov_b32_e32 v3, s10
	s_xor_b64 exec, exec, s[6:7]
	s_cbranch_execz .LBB2_3174
; %bb.39015:
	s_getpc_b64 s[14:15]
.Lpost_getpc23091:
	s_add_u32 s14, s14, (.LBB2_17512-.Lpost_getpc23091)&4294967295
	s_addc_u32 s15, s15, (.LBB2_17512-.Lpost_getpc23091)>>32
	s_setpc_b64 s[14:15]
.LBB2_3174:
	s_or_b64 exec, exec, s[6:7]
	s_and_saveexec_b64 s[6:7], s[4:5]
	s_cbranch_execz .LBB2_3176
.LBB2_3175:
	v_mov_b32_e32 v3, 8
	v_and_b32_e32 v4, 7, v5
	v_lshrrev_b32_sdwa v3, v3, v5 dst_sel:BYTE_1 dst_unused:UNUSED_PAD src0_sel:DWORD src1_sel:DWORD
	v_ffbh_u32_e32 v6, v4
	v_or_b32_sdwa v3, v5, v3 dst_sel:DWORD dst_unused:UNUSED_PAD src0_sel:BYTE_0 src1_sel:DWORD
	v_min_u32_e32 v6, 32, v6
	v_lshrrev_b16_e32 v3, 3, v3
	v_subrev_u32_e32 v7, 28, v6
	v_and_b32_e32 v3, 15, v3
	v_lshlrev_b32_e32 v7, v7, v5
	v_sub_u32_e32 v6, 29, v6
	v_and_b32_e32 v7, 7, v7
	v_cmp_eq_u16_e32 vcc, 0, v3
	v_cndmask_b32_e32 v4, v4, v7, vcc
	v_cndmask_b32_e32 v3, v3, v6, vcc
	v_lshlrev_b32_e32 v6, 24, v5
	v_mov_b32_e32 v7, 0x3b800000
	v_lshlrev_b32_e32 v4, 20, v4
	v_and_b32_e32 v6, 0x80000000, v6
	v_lshl_add_u32 v3, v3, 23, v7
	v_or3_b32 v3, v6, v3, v4
.LBB2_3176:
	s_or_b64 exec, exec, s[6:7]
	s_nop 0
	v_mfma_f32_16x16x4f32 a[0:3], v2, v3, a[0:3]
	v_lshrrev_b32_e32 v3, 8, v9
	s_movk_i32 s4, 0x7f
	v_cmp_gt_i16_sdwa s[6:7], v3, s4 src0_sel:BYTE_0 src1_sel:DWORD
	s_mov_b64 s[4:5], 0
                                        ; implicit-def: $sgpr10
	s_and_saveexec_b64 s[8:9], s[6:7]
	s_xor_b64 s[6:7], exec, s[8:9]
	s_cbranch_execz .LBB2_3177
; %bb.39017:
	s_getpc_b64 s[14:15]
.Lpost_getpc23092:
	s_add_u32 s14, s14, (.LBB2_17513-.Lpost_getpc23092)&4294967295
	s_addc_u32 s15, s15, (.LBB2_17513-.Lpost_getpc23092)>>32
	s_setpc_b64 s[14:15]
.LBB2_3177:
	s_or_saveexec_b64 s[6:7], s[6:7]
	v_mov_b32_e32 v2, s10
	s_xor_b64 exec, exec, s[6:7]
	s_cbranch_execz .LBB2_3178
; %bb.39019:
	s_getpc_b64 s[14:15]
.Lpost_getpc23093:
	s_add_u32 s14, s14, (.LBB2_17516-.Lpost_getpc23093)&4294967295
	s_addc_u32 s15, s15, (.LBB2_17516-.Lpost_getpc23093)>>32
	s_setpc_b64 s[14:15]
.LBB2_3178:
	s_or_b64 exec, exec, s[6:7]
	s_and_saveexec_b64 s[6:7], s[4:5]
	s_cbranch_execz .LBB2_3180
.LBB2_3179:
	v_bfe_u32 v2, v9, 8, 3
	v_ffbh_u32_e32 v6, v2
	v_min_u32_e32 v6, 32, v6
	v_lshrrev_b16_e32 v4, 3, v3
	v_subrev_u32_e32 v7, 28, v6
	v_and_b32_e32 v4, 15, v4
	v_lshlrev_b32_e32 v3, v7, v3
	v_sub_u32_e32 v6, 29, v6
	v_and_b32_e32 v3, 7, v3
	v_cmp_eq_u16_e32 vcc, 0, v4
	v_cndmask_b32_e32 v2, v2, v3, vcc
	v_cndmask_b32_e32 v3, v4, v6, vcc
	v_lshlrev_b32_e32 v4, 16, v9
	v_mov_b32_e32 v6, 0x3b800000
	v_lshlrev_b32_e32 v2, 20, v2
	v_and_b32_e32 v4, 0x80000000, v4
	v_lshl_add_u32 v3, v3, 23, v6
	v_or3_b32 v2, v4, v3, v2
.LBB2_3180:
	s_or_b64 exec, exec, s[6:7]
	v_lshrrev_b32_e32 v3, 8, v5
	s_movk_i32 s4, 0x7f
	v_cmp_gt_i16_sdwa s[6:7], v3, s4 src0_sel:BYTE_0 src1_sel:DWORD
	s_mov_b64 s[4:5], 0
                                        ; implicit-def: $sgpr10
	s_and_saveexec_b64 s[8:9], s[6:7]
	s_xor_b64 s[6:7], exec, s[8:9]
	s_cbranch_execz .LBB2_3181
; %bb.39021:
	s_getpc_b64 s[14:15]
.Lpost_getpc23094:
	s_add_u32 s14, s14, (.LBB2_17517-.Lpost_getpc23094)&4294967295
	s_addc_u32 s15, s15, (.LBB2_17517-.Lpost_getpc23094)>>32
	s_setpc_b64 s[14:15]
.LBB2_3181:
	s_or_saveexec_b64 s[6:7], s[6:7]
	v_mov_b32_e32 v4, s10
	s_xor_b64 exec, exec, s[6:7]
	s_cbranch_execz .LBB2_3182
; %bb.39023:
	s_getpc_b64 s[14:15]
.Lpost_getpc23095:
	s_add_u32 s14, s14, (.LBB2_17520-.Lpost_getpc23095)&4294967295
	s_addc_u32 s15, s15, (.LBB2_17520-.Lpost_getpc23095)>>32
	s_setpc_b64 s[14:15]
.LBB2_3182:
	s_or_b64 exec, exec, s[6:7]
	s_and_saveexec_b64 s[6:7], s[4:5]
	s_cbranch_execz .LBB2_3184
.LBB2_3183:
	v_bfe_u32 v4, v5, 8, 3
	v_ffbh_u32_e32 v7, v4
	v_min_u32_e32 v7, 32, v7
	v_lshrrev_b16_e32 v6, 3, v3
	v_subrev_u32_e32 v8, 28, v7
	v_and_b32_e32 v6, 15, v6
	v_lshlrev_b32_e32 v3, v8, v3
	v_sub_u32_e32 v7, 29, v7
	v_and_b32_e32 v3, 7, v3
	v_cmp_eq_u16_e32 vcc, 0, v6
	v_cndmask_b32_e32 v3, v4, v3, vcc
	v_cndmask_b32_e32 v4, v6, v7, vcc
	v_lshlrev_b32_e32 v6, 16, v5
	v_mov_b32_e32 v7, 0x3b800000
	v_lshlrev_b32_e32 v3, 20, v3
	v_and_b32_e32 v6, 0x80000000, v6
	v_lshl_add_u32 v4, v4, 23, v7
	v_or3_b32 v4, v6, v4, v3
.LBB2_3184:
	s_or_b64 exec, exec, s[6:7]
	s_nop 0
	v_mfma_f32_16x16x4f32 a[0:3], v2, v4, a[0:3]
	s_movk_i32 s4, 0xff
	v_and_b32_sdwa v3, v9, s4 dst_sel:DWORD dst_unused:UNUSED_PAD src0_sel:WORD_1 src1_sel:DWORD
	s_movk_i32 s4, 0x7f
	v_cmp_lt_i16_e32 vcc, s4, v3
	s_mov_b64 s[4:5], 0
                                        ; implicit-def: $sgpr10
	s_and_saveexec_b64 s[6:7], vcc
	s_xor_b64 s[6:7], exec, s[6:7]
	s_cbranch_execz .LBB2_3185
; %bb.39025:
	s_getpc_b64 s[14:15]
.Lpost_getpc23096:
	s_add_u32 s14, s14, (.LBB2_17521-.Lpost_getpc23096)&4294967295
	s_addc_u32 s15, s15, (.LBB2_17521-.Lpost_getpc23096)>>32
	s_setpc_b64 s[14:15]
.LBB2_3185:
	s_or_saveexec_b64 s[6:7], s[6:7]
	v_mov_b32_e32 v2, s10
	s_xor_b64 exec, exec, s[6:7]
	s_cbranch_execz .LBB2_3186
; %bb.39027:
	s_getpc_b64 s[14:15]
.Lpost_getpc23097:
	s_add_u32 s14, s14, (.LBB2_17524-.Lpost_getpc23097)&4294967295
	s_addc_u32 s15, s15, (.LBB2_17524-.Lpost_getpc23097)>>32
	s_setpc_b64 s[14:15]
.LBB2_3186:
	s_or_b64 exec, exec, s[6:7]
	s_and_saveexec_b64 s[6:7], s[4:5]
	s_cbranch_execz .LBB2_3188
.LBB2_3187:
	v_bfe_u32 v2, v9, 16, 3
	v_ffbh_u32_e32 v6, v2
	v_min_u32_e32 v6, 32, v6
	v_lshrrev_b32_e32 v3, 19, v9
	v_subrev_u32_e32 v7, 28, v6
	v_and_b32_e32 v3, 15, v3
	v_lshlrev_b32_sdwa v7, v7, v9 dst_sel:DWORD dst_unused:UNUSED_PAD src0_sel:DWORD src1_sel:WORD_1
	v_bfe_u32 v4, v9, 19, 4
	v_sub_u32_e32 v6, 29, v6
	v_and_b32_e32 v7, 7, v7
	v_cmp_eq_u16_e32 vcc, 0, v3
	v_cndmask_b32_e32 v2, v2, v7, vcc
	v_cndmask_b32_e32 v3, v4, v6, vcc
	v_lshlrev_b32_e32 v4, 8, v9
	v_mov_b32_e32 v6, 0x3b800000
	v_lshlrev_b32_e32 v2, 20, v2
	v_and_b32_e32 v4, 0x80000000, v4
	v_lshl_add_u32 v3, v3, 23, v6
	v_or3_b32 v2, v4, v3, v2
.LBB2_3188:
	s_or_b64 exec, exec, s[6:7]
	s_movk_i32 s4, 0xff
	v_and_b32_sdwa v3, v5, s4 dst_sel:DWORD dst_unused:UNUSED_PAD src0_sel:WORD_1 src1_sel:DWORD
	s_movk_i32 s4, 0x7f
	v_cmp_lt_i16_e32 vcc, s4, v3
	s_mov_b64 s[4:5], 0
                                        ; implicit-def: $sgpr10
	s_and_saveexec_b64 s[6:7], vcc
	s_xor_b64 s[6:7], exec, s[6:7]
	s_cbranch_execz .LBB2_3189
; %bb.39029:
	s_getpc_b64 s[14:15]
.Lpost_getpc23098:
	s_add_u32 s14, s14, (.LBB2_17525-.Lpost_getpc23098)&4294967295
	s_addc_u32 s15, s15, (.LBB2_17525-.Lpost_getpc23098)>>32
	s_setpc_b64 s[14:15]
.LBB2_3189:
	s_or_saveexec_b64 s[6:7], s[6:7]
	v_mov_b32_e32 v4, s10
	s_xor_b64 exec, exec, s[6:7]
	s_cbranch_execz .LBB2_3190
; %bb.39031:
	s_getpc_b64 s[14:15]
.Lpost_getpc23099:
	s_add_u32 s14, s14, (.LBB2_17528-.Lpost_getpc23099)&4294967295
	s_addc_u32 s15, s15, (.LBB2_17528-.Lpost_getpc23099)>>32
	s_setpc_b64 s[14:15]
.LBB2_3190:
	s_or_b64 exec, exec, s[6:7]
	s_and_saveexec_b64 s[6:7], s[4:5]
	s_cbranch_execz .LBB2_3192
.LBB2_3191:
	v_bfe_u32 v3, v5, 16, 3
	v_ffbh_u32_e32 v7, v3
	v_min_u32_e32 v7, 32, v7
	v_lshrrev_b32_e32 v4, 19, v5
	v_subrev_u32_e32 v8, 28, v7
	v_and_b32_e32 v4, 15, v4
	v_lshlrev_b32_sdwa v8, v8, v5 dst_sel:DWORD dst_unused:UNUSED_PAD src0_sel:DWORD src1_sel:WORD_1
	v_bfe_u32 v6, v5, 19, 4
	v_sub_u32_e32 v7, 29, v7
	v_and_b32_e32 v8, 7, v8
	v_cmp_eq_u16_e32 vcc, 0, v4
	v_cndmask_b32_e32 v3, v3, v8, vcc
	v_cndmask_b32_e32 v4, v6, v7, vcc
	v_lshlrev_b32_e32 v6, 8, v5
	v_mov_b32_e32 v7, 0x3b800000
	v_lshlrev_b32_e32 v3, 20, v3
	v_and_b32_e32 v6, 0x80000000, v6
	v_lshl_add_u32 v4, v4, 23, v7
	v_or3_b32 v4, v6, v4, v3
.LBB2_3192:
	s_or_b64 exec, exec, s[6:7]
	s_nop 0
	v_mfma_f32_16x16x4f32 a[0:3], v2, v4, a[0:3]
	s_movk_i32 s4, 0x7f
	v_cmp_gt_i16_sdwa s[6:7], v9, s4 src0_sel:BYTE_3 src1_sel:DWORD
	s_mov_b64 s[4:5], 0
                                        ; implicit-def: $sgpr10
	s_and_saveexec_b64 s[8:9], s[6:7]
	s_xor_b64 s[6:7], exec, s[8:9]
	s_cbranch_execz .LBB2_3193
; %bb.39033:
	s_getpc_b64 s[14:15]
.Lpost_getpc23100:
	s_add_u32 s14, s14, (.LBB2_17529-.Lpost_getpc23100)&4294967295
	s_addc_u32 s15, s15, (.LBB2_17529-.Lpost_getpc23100)>>32
	s_setpc_b64 s[14:15]
.LBB2_3193:
	s_or_saveexec_b64 s[6:7], s[6:7]
	v_mov_b32_e32 v2, s10
	s_xor_b64 exec, exec, s[6:7]
	s_cbranch_execz .LBB2_3194
; %bb.39035:
	s_getpc_b64 s[14:15]
.Lpost_getpc23101:
	s_add_u32 s14, s14, (.LBB2_17532-.Lpost_getpc23101)&4294967295
	s_addc_u32 s15, s15, (.LBB2_17532-.Lpost_getpc23101)>>32
	s_setpc_b64 s[14:15]
.LBB2_3194:
	s_or_b64 exec, exec, s[6:7]
	s_and_saveexec_b64 s[6:7], s[4:5]
	s_cbranch_execz .LBB2_3196
.LBB2_3195:
	v_bfe_u32 v2, v9, 24, 3
	v_ffbh_u32_e32 v7, v2
	v_min_u32_e32 v7, 32, v7
	v_lshrrev_b32_e32 v4, 27, v9
	v_subrev_u32_e32 v8, 28, v7
	v_and_b32_e32 v4, 15, v4
	v_lshlrev_b32_sdwa v8, v8, v9 dst_sel:DWORD dst_unused:UNUSED_PAD src0_sel:DWORD src1_sel:BYTE_3
	v_bfe_u32 v6, v9, 27, 4
	v_sub_u32_e32 v7, 29, v7
	v_and_b32_e32 v8, 7, v8
	v_cmp_eq_u16_e32 vcc, 0, v4
	v_cndmask_b32_e32 v2, v2, v8, vcc
	v_cndmask_b32_e32 v4, v6, v7, vcc
	v_mov_b32_e32 v6, 0x3b800000
	v_and_b32_e32 v3, 0x80000000, v9
	v_lshlrev_b32_e32 v2, 20, v2
	v_lshl_add_u32 v4, v4, 23, v6
	v_or3_b32 v2, v3, v4, v2
.LBB2_3196:
	s_or_b64 exec, exec, s[6:7]
	s_movk_i32 s4, 0x7f
	v_cmp_gt_i16_sdwa s[6:7], v5, s4 src0_sel:BYTE_3 src1_sel:DWORD
	s_mov_b64 s[4:5], 0
                                        ; implicit-def: $sgpr10
	s_and_saveexec_b64 s[8:9], s[6:7]
	s_xor_b64 s[6:7], exec, s[8:9]
	s_cbranch_execz .LBB2_3197
; %bb.39037:
	s_getpc_b64 s[14:15]
.Lpost_getpc23102:
	s_add_u32 s14, s14, (.LBB2_17533-.Lpost_getpc23102)&4294967295
	s_addc_u32 s15, s15, (.LBB2_17533-.Lpost_getpc23102)>>32
	s_setpc_b64 s[14:15]
.LBB2_3197:
	s_or_saveexec_b64 s[6:7], s[6:7]
	v_mov_b32_e32 v3, s10
	s_xor_b64 exec, exec, s[6:7]
	s_cbranch_execz .LBB2_3198
; %bb.39039:
	s_getpc_b64 s[14:15]
.Lpost_getpc23103:
	s_add_u32 s14, s14, (.LBB2_17536-.Lpost_getpc23103)&4294967295
	s_addc_u32 s15, s15, (.LBB2_17536-.Lpost_getpc23103)>>32
	s_setpc_b64 s[14:15]
.LBB2_3198:
	s_or_b64 exec, exec, s[6:7]
	s_and_saveexec_b64 s[6:7], s[4:5]
	s_cbranch_execz .LBB2_3200
.LBB2_3199:
	v_bfe_u32 v3, v5, 24, 3
	v_ffbh_u32_e32 v8, v3
	v_min_u32_e32 v8, 32, v8
	v_lshrrev_b32_e32 v6, 27, v5
	v_subrev_u32_e32 v9, 28, v8
	v_and_b32_e32 v4, 0x80000000, v5
	v_and_b32_e32 v6, 15, v6
	v_bfe_u32 v7, v5, 27, 4
	v_lshlrev_b32_sdwa v5, v9, v5 dst_sel:DWORD dst_unused:UNUSED_PAD src0_sel:DWORD src1_sel:BYTE_3
	v_sub_u32_e32 v8, 29, v8
	v_and_b32_e32 v5, 7, v5
	v_cmp_eq_u16_e32 vcc, 0, v6
	v_cndmask_b32_e32 v3, v3, v5, vcc
	v_cndmask_b32_e32 v5, v7, v8, vcc
	v_mov_b32_e32 v6, 0x3b800000
	v_lshlrev_b32_e32 v3, 20, v3
	v_lshl_add_u32 v5, v5, 23, v6
	v_or3_b32 v3, v4, v5, v3
.LBB2_3200:
	s_or_b64 exec, exec, s[6:7]
	s_nop 0
	v_mfma_f32_16x16x4f32 a[0:3], v2, v3, a[0:3]
	s_movk_i32 s4, 0x7f
                                        ; implicit-def: $sgpr10
	s_nop 7
	s_nop 1
	flat_store_dwordx4 v[10:11], a[0:3] offset:384
	flat_load_dwordx4 v[12:15], v[0:1]
	s_nop 0
	flat_load_dwordx2 v[10:11], v[0:1] offset:16
	s_waitcnt vmcnt(0) lgkmcnt(0)
	flat_load_dwordx4 v[6:9], v[12:13] offset:48
	flat_load_dwordx4 v[2:5], v[14:15] offset:16
	s_waitcnt vmcnt(0) lgkmcnt(0)
	v_cmp_gt_i16_sdwa s[6:7], v6, s4 src0_sel:BYTE_0 src1_sel:DWORD
	s_mov_b64 s[4:5], 0
	s_and_saveexec_b64 s[8:9], s[6:7]
	s_xor_b64 s[6:7], exec, s[8:9]
	s_cbranch_execz .LBB2_3201
; %bb.39041:
	s_getpc_b64 s[14:15]
.Lpost_getpc23104:
	s_add_u32 s14, s14, (.LBB2_17537-.Lpost_getpc23104)&4294967295
	s_addc_u32 s15, s15, (.LBB2_17537-.Lpost_getpc23104)>>32
	s_setpc_b64 s[14:15]
.LBB2_3201:
	s_or_saveexec_b64 s[6:7], s[6:7]
	v_mov_b32_e32 v12, s10
	s_xor_b64 exec, exec, s[6:7]
	s_cbranch_execz .LBB2_3202
; %bb.39043:
	s_getpc_b64 s[14:15]
.Lpost_getpc23105:
	s_add_u32 s14, s14, (.LBB2_17540-.Lpost_getpc23105)&4294967295
	s_addc_u32 s15, s15, (.LBB2_17540-.Lpost_getpc23105)>>32
	s_setpc_b64 s[14:15]
.LBB2_3202:
	s_or_b64 exec, exec, s[6:7]
	s_and_saveexec_b64 s[6:7], s[4:5]
	s_cbranch_execz .LBB2_3204
.LBB2_3203:
	v_and_b32_e32 v12, 7, v6
	v_ffbh_u32_e32 v14, v12
	v_min_u32_e32 v14, 32, v14
	v_lshrrev_b16_e32 v13, 3, v6
	v_subrev_u32_e32 v15, 28, v14
	v_and_b32_e32 v13, 15, v13
	v_lshlrev_b32_e32 v15, v15, v6
	v_sub_u32_e32 v14, 29, v14
	v_and_b32_e32 v15, 7, v15
	v_cmp_eq_u16_e32 vcc, 0, v13
	v_cndmask_b32_e32 v12, v12, v15, vcc
	v_cndmask_b32_e32 v13, v13, v14, vcc
	v_lshlrev_b32_e32 v14, 24, v6
	v_mov_b32_e32 v15, 0x3b800000
	v_lshlrev_b32_e32 v12, 20, v12
	v_and_b32_e32 v14, 0x80000000, v14
	v_lshl_add_u32 v13, v13, 23, v15
	v_or3_b32 v12, v14, v13, v12
.LBB2_3204:
	s_or_b64 exec, exec, s[6:7]
	s_movk_i32 s4, 0x7f
	v_cmp_gt_i16_sdwa s[6:7], v2, s4 src0_sel:BYTE_0 src1_sel:DWORD
	s_mov_b64 s[4:5], 0
                                        ; implicit-def: $sgpr10
	s_and_saveexec_b64 s[8:9], s[6:7]
	s_xor_b64 s[6:7], exec, s[8:9]
	s_cbranch_execz .LBB2_3205
; %bb.39045:
	s_getpc_b64 s[14:15]
.Lpost_getpc23106:
	s_add_u32 s14, s14, (.LBB2_17541-.Lpost_getpc23106)&4294967295
	s_addc_u32 s15, s15, (.LBB2_17541-.Lpost_getpc23106)>>32
	s_setpc_b64 s[14:15]
.LBB2_3205:
	s_or_saveexec_b64 s[6:7], s[6:7]
	v_mov_b32_e32 v13, s10
	s_xor_b64 exec, exec, s[6:7]
	s_cbranch_execz .LBB2_3206
; %bb.39047:
	s_getpc_b64 s[14:15]
.Lpost_getpc23107:
	s_add_u32 s14, s14, (.LBB2_17544-.Lpost_getpc23107)&4294967295
	s_addc_u32 s15, s15, (.LBB2_17544-.Lpost_getpc23107)>>32
	s_setpc_b64 s[14:15]
.LBB2_3206:
	s_or_b64 exec, exec, s[6:7]
	s_and_saveexec_b64 s[6:7], s[4:5]
	s_cbranch_execz .LBB2_3208
.LBB2_3207:
	v_and_b32_e32 v13, 7, v2
	v_ffbh_u32_e32 v15, v13
	v_min_u32_e32 v15, 32, v15
	v_lshrrev_b16_e32 v14, 3, v2
	v_subrev_u32_e32 v16, 28, v15
	v_and_b32_e32 v14, 15, v14
	v_lshlrev_b32_e32 v16, v16, v2
	v_sub_u32_e32 v15, 29, v15
	v_and_b32_e32 v16, 7, v16
	v_cmp_eq_u16_e32 vcc, 0, v14
	v_cndmask_b32_e32 v13, v13, v16, vcc
	v_cndmask_b32_e32 v14, v14, v15, vcc
	v_lshlrev_b32_e32 v15, 24, v2
	v_mov_b32_e32 v16, 0x3b800000
	v_lshlrev_b32_e32 v13, 20, v13
	v_and_b32_e32 v15, 0x80000000, v15
	v_lshl_add_u32 v14, v14, 23, v16
	v_or3_b32 v13, v15, v14, v13
.LBB2_3208:
	s_or_b64 exec, exec, s[6:7]
	flat_load_dwordx4 a[0:3], v[10:11] offset:400
	s_movk_i32 s4, 0x7f
                                        ; implicit-def: $sgpr10
	s_waitcnt vmcnt(0) lgkmcnt(0)
	v_mfma_f32_16x16x4f32 a[0:3], v12, v13, a[0:3]
	v_lshrrev_b32_e32 v13, 8, v6
	v_cmp_gt_i16_sdwa s[6:7], v13, s4 src0_sel:BYTE_0 src1_sel:DWORD
	s_mov_b64 s[4:5], 0
	s_and_saveexec_b64 s[8:9], s[6:7]
	s_xor_b64 s[6:7], exec, s[8:9]
	s_cbranch_execz .LBB2_3209
; %bb.39049:
	s_getpc_b64 s[14:15]
.Lpost_getpc23108:
	s_add_u32 s14, s14, (.LBB2_17545-.Lpost_getpc23108)&4294967295
	s_addc_u32 s15, s15, (.LBB2_17545-.Lpost_getpc23108)>>32
	s_setpc_b64 s[14:15]
.LBB2_3209:
	s_or_saveexec_b64 s[6:7], s[6:7]
	v_mov_b32_e32 v12, s10
	s_xor_b64 exec, exec, s[6:7]
	s_cbranch_execz .LBB2_3210
; %bb.39051:
	s_getpc_b64 s[14:15]
.Lpost_getpc23109:
	s_add_u32 s14, s14, (.LBB2_17548-.Lpost_getpc23109)&4294967295
	s_addc_u32 s15, s15, (.LBB2_17548-.Lpost_getpc23109)>>32
	s_setpc_b64 s[14:15]
.LBB2_3210:
	s_or_b64 exec, exec, s[6:7]
	s_and_saveexec_b64 s[6:7], s[4:5]
	s_cbranch_execz .LBB2_3212
.LBB2_3211:
	v_bfe_u32 v12, v6, 8, 3
	v_ffbh_u32_e32 v15, v12
	v_min_u32_e32 v15, 32, v15
	v_lshrrev_b16_e32 v14, 3, v13
	v_subrev_u32_e32 v16, 28, v15
	v_and_b32_e32 v14, 15, v14
	v_lshlrev_b32_e32 v13, v16, v13
	v_sub_u32_e32 v15, 29, v15
	v_and_b32_e32 v13, 7, v13
	v_cmp_eq_u16_e32 vcc, 0, v14
	v_cndmask_b32_e32 v12, v12, v13, vcc
	v_cndmask_b32_e32 v13, v14, v15, vcc
	v_lshlrev_b32_e32 v14, 16, v6
	v_mov_b32_e32 v15, 0x3b800000
	v_lshlrev_b32_e32 v12, 20, v12
	v_and_b32_e32 v14, 0x80000000, v14
	v_lshl_add_u32 v13, v13, 23, v15
	v_or3_b32 v12, v14, v13, v12
.LBB2_3212:
	s_or_b64 exec, exec, s[6:7]
	v_lshrrev_b32_e32 v13, 8, v2
	s_movk_i32 s4, 0x7f
	v_cmp_gt_i16_sdwa s[6:7], v13, s4 src0_sel:BYTE_0 src1_sel:DWORD
	s_mov_b64 s[4:5], 0
                                        ; implicit-def: $sgpr10
	s_and_saveexec_b64 s[8:9], s[6:7]
	s_xor_b64 s[6:7], exec, s[8:9]
	s_cbranch_execz .LBB2_3213
; %bb.39053:
	s_getpc_b64 s[14:15]
.Lpost_getpc23110:
	s_add_u32 s14, s14, (.LBB2_17549-.Lpost_getpc23110)&4294967295
	s_addc_u32 s15, s15, (.LBB2_17549-.Lpost_getpc23110)>>32
	s_setpc_b64 s[14:15]
.LBB2_3213:
	s_or_saveexec_b64 s[6:7], s[6:7]
	v_mov_b32_e32 v14, s10
	s_xor_b64 exec, exec, s[6:7]
	s_cbranch_execz .LBB2_3214
; %bb.39055:
	s_getpc_b64 s[14:15]
.Lpost_getpc23111:
	s_add_u32 s14, s14, (.LBB2_17552-.Lpost_getpc23111)&4294967295
	s_addc_u32 s15, s15, (.LBB2_17552-.Lpost_getpc23111)>>32
	s_setpc_b64 s[14:15]
.LBB2_3214:
	s_or_b64 exec, exec, s[6:7]
	s_and_saveexec_b64 s[6:7], s[4:5]
	s_cbranch_execz .LBB2_3216
.LBB2_3215:
	v_bfe_u32 v14, v2, 8, 3
	v_ffbh_u32_e32 v16, v14
	v_min_u32_e32 v16, 32, v16
	v_lshrrev_b16_e32 v15, 3, v13
	v_subrev_u32_e32 v17, 28, v16
	v_and_b32_e32 v15, 15, v15
	v_lshlrev_b32_e32 v13, v17, v13
	v_sub_u32_e32 v16, 29, v16
	v_and_b32_e32 v13, 7, v13
	v_cmp_eq_u16_e32 vcc, 0, v15
	v_cndmask_b32_e32 v13, v14, v13, vcc
	v_cndmask_b32_e32 v14, v15, v16, vcc
	v_lshlrev_b32_e32 v15, 16, v2
	v_mov_b32_e32 v16, 0x3b800000
	v_lshlrev_b32_e32 v13, 20, v13
	v_and_b32_e32 v15, 0x80000000, v15
	v_lshl_add_u32 v14, v14, 23, v16
	v_or3_b32 v14, v15, v14, v13
.LBB2_3216:
	s_or_b64 exec, exec, s[6:7]
	s_nop 0
	v_mfma_f32_16x16x4f32 a[0:3], v12, v14, a[0:3]
	s_movk_i32 s4, 0xff
	v_and_b32_sdwa v13, v6, s4 dst_sel:DWORD dst_unused:UNUSED_PAD src0_sel:WORD_1 src1_sel:DWORD
	s_movk_i32 s4, 0x7f
	v_cmp_lt_i16_e32 vcc, s4, v13
	s_mov_b64 s[4:5], 0
                                        ; implicit-def: $sgpr10
	s_and_saveexec_b64 s[6:7], vcc
	s_xor_b64 s[6:7], exec, s[6:7]
	s_cbranch_execz .LBB2_3217
; %bb.39057:
	s_getpc_b64 s[14:15]
.Lpost_getpc23112:
	s_add_u32 s14, s14, (.LBB2_17553-.Lpost_getpc23112)&4294967295
	s_addc_u32 s15, s15, (.LBB2_17553-.Lpost_getpc23112)>>32
	s_setpc_b64 s[14:15]
.LBB2_3217:
	s_or_saveexec_b64 s[6:7], s[6:7]
	v_mov_b32_e32 v12, s10
	s_xor_b64 exec, exec, s[6:7]
	s_cbranch_execz .LBB2_3218
; %bb.39059:
	s_getpc_b64 s[14:15]
.Lpost_getpc23113:
	s_add_u32 s14, s14, (.LBB2_17556-.Lpost_getpc23113)&4294967295
	s_addc_u32 s15, s15, (.LBB2_17556-.Lpost_getpc23113)>>32
	s_setpc_b64 s[14:15]
.LBB2_3218:
	s_or_b64 exec, exec, s[6:7]
	s_and_saveexec_b64 s[6:7], s[4:5]
	s_cbranch_execz .LBB2_3220
.LBB2_3219:
	v_bfe_u32 v12, v6, 16, 3
	v_ffbh_u32_e32 v15, v12
	v_min_u32_e32 v15, 32, v15
	v_lshrrev_b32_e32 v13, 19, v6
	v_subrev_u32_e32 v16, 28, v15
	v_and_b32_e32 v13, 15, v13
	v_lshlrev_b32_sdwa v16, v16, v6 dst_sel:DWORD dst_unused:UNUSED_PAD src0_sel:DWORD src1_sel:WORD_1
	v_bfe_u32 v14, v6, 19, 4
	v_sub_u32_e32 v15, 29, v15
	v_and_b32_e32 v16, 7, v16
	v_cmp_eq_u16_e32 vcc, 0, v13
	v_cndmask_b32_e32 v12, v12, v16, vcc
	v_cndmask_b32_e32 v13, v14, v15, vcc
	v_lshlrev_b32_e32 v14, 8, v6
	v_mov_b32_e32 v15, 0x3b800000
	v_lshlrev_b32_e32 v12, 20, v12
	v_and_b32_e32 v14, 0x80000000, v14
	v_lshl_add_u32 v13, v13, 23, v15
	v_or3_b32 v12, v14, v13, v12
.LBB2_3220:
	s_or_b64 exec, exec, s[6:7]
	s_movk_i32 s4, 0xff
	v_and_b32_sdwa v13, v2, s4 dst_sel:DWORD dst_unused:UNUSED_PAD src0_sel:WORD_1 src1_sel:DWORD
	s_movk_i32 s4, 0x7f
	v_cmp_lt_i16_e32 vcc, s4, v13
	s_mov_b64 s[4:5], 0
                                        ; implicit-def: $sgpr10
	s_and_saveexec_b64 s[6:7], vcc
	s_xor_b64 s[6:7], exec, s[6:7]
	s_cbranch_execz .LBB2_3221
; %bb.39061:
	s_getpc_b64 s[14:15]
.Lpost_getpc23114:
	s_add_u32 s14, s14, (.LBB2_17557-.Lpost_getpc23114)&4294967295
	s_addc_u32 s15, s15, (.LBB2_17557-.Lpost_getpc23114)>>32
	s_setpc_b64 s[14:15]
.LBB2_3221:
	s_or_saveexec_b64 s[6:7], s[6:7]
	v_mov_b32_e32 v14, s10
	s_xor_b64 exec, exec, s[6:7]
	s_cbranch_execz .LBB2_3222
; %bb.39063:
	s_getpc_b64 s[14:15]
.Lpost_getpc23115:
	s_add_u32 s14, s14, (.LBB2_17560-.Lpost_getpc23115)&4294967295
	s_addc_u32 s15, s15, (.LBB2_17560-.Lpost_getpc23115)>>32
	s_setpc_b64 s[14:15]
.LBB2_3222:
	s_or_b64 exec, exec, s[6:7]
	s_and_saveexec_b64 s[6:7], s[4:5]
	s_cbranch_execz .LBB2_3224
.LBB2_3223:
	v_bfe_u32 v13, v2, 16, 3
	v_ffbh_u32_e32 v16, v13
	v_min_u32_e32 v16, 32, v16
	v_lshrrev_b32_e32 v14, 19, v2
	v_subrev_u32_e32 v17, 28, v16
	v_and_b32_e32 v14, 15, v14
	v_lshlrev_b32_sdwa v17, v17, v2 dst_sel:DWORD dst_unused:UNUSED_PAD src0_sel:DWORD src1_sel:WORD_1
	v_bfe_u32 v15, v2, 19, 4
	v_sub_u32_e32 v16, 29, v16
	v_and_b32_e32 v17, 7, v17
	v_cmp_eq_u16_e32 vcc, 0, v14
	v_cndmask_b32_e32 v13, v13, v17, vcc
	v_cndmask_b32_e32 v14, v15, v16, vcc
	v_lshlrev_b32_e32 v15, 8, v2
	v_mov_b32_e32 v16, 0x3b800000
	v_lshlrev_b32_e32 v13, 20, v13
	v_and_b32_e32 v15, 0x80000000, v15
	v_lshl_add_u32 v14, v14, 23, v16
	v_or3_b32 v14, v15, v14, v13
.LBB2_3224:
	s_or_b64 exec, exec, s[6:7]
	s_nop 0
	v_mfma_f32_16x16x4f32 a[0:3], v12, v14, a[0:3]
	s_movk_i32 s4, 0x7f
	v_cmp_gt_i16_sdwa s[6:7], v6, s4 src0_sel:BYTE_3 src1_sel:DWORD
	s_mov_b64 s[4:5], 0
                                        ; implicit-def: $sgpr10
	s_and_saveexec_b64 s[8:9], s[6:7]
	s_xor_b64 s[6:7], exec, s[8:9]
	s_cbranch_execz .LBB2_3225
; %bb.39065:
	s_getpc_b64 s[14:15]
.Lpost_getpc23116:
	s_add_u32 s14, s14, (.LBB2_17561-.Lpost_getpc23116)&4294967295
	s_addc_u32 s15, s15, (.LBB2_17561-.Lpost_getpc23116)>>32
	s_setpc_b64 s[14:15]
.LBB2_3225:
	s_or_saveexec_b64 s[6:7], s[6:7]
	v_mov_b32_e32 v12, s10
	s_xor_b64 exec, exec, s[6:7]
	s_cbranch_execz .LBB2_3226
; %bb.39067:
	s_getpc_b64 s[14:15]
.Lpost_getpc23117:
	s_add_u32 s14, s14, (.LBB2_17564-.Lpost_getpc23117)&4294967295
	s_addc_u32 s15, s15, (.LBB2_17564-.Lpost_getpc23117)>>32
	s_setpc_b64 s[14:15]
.LBB2_3226:
	s_or_b64 exec, exec, s[6:7]
	s_and_saveexec_b64 s[6:7], s[4:5]
	s_cbranch_execz .LBB2_3228
.LBB2_3227:
	v_bfe_u32 v12, v6, 24, 3
	v_ffbh_u32_e32 v16, v12
	v_min_u32_e32 v16, 32, v16
	v_lshrrev_b32_e32 v14, 27, v6
	v_subrev_u32_e32 v17, 28, v16
	v_and_b32_e32 v13, 0x80000000, v6
	v_and_b32_e32 v14, 15, v14
	v_bfe_u32 v15, v6, 27, 4
	v_lshlrev_b32_sdwa v6, v17, v6 dst_sel:DWORD dst_unused:UNUSED_PAD src0_sel:DWORD src1_sel:BYTE_3
	v_sub_u32_e32 v16, 29, v16
	v_and_b32_e32 v6, 7, v6
	v_cmp_eq_u16_e32 vcc, 0, v14
	v_cndmask_b32_e32 v6, v12, v6, vcc
	v_cndmask_b32_e32 v12, v15, v16, vcc
	v_mov_b32_e32 v14, 0x3b800000
	v_lshlrev_b32_e32 v6, 20, v6
	v_lshl_add_u32 v12, v12, 23, v14
	v_or3_b32 v12, v13, v12, v6
.LBB2_3228:
	s_or_b64 exec, exec, s[6:7]
	s_movk_i32 s4, 0x7f
	v_cmp_gt_i16_sdwa s[6:7], v2, s4 src0_sel:BYTE_3 src1_sel:DWORD
	s_mov_b64 s[4:5], 0
                                        ; implicit-def: $sgpr10
	s_and_saveexec_b64 s[8:9], s[6:7]
	s_xor_b64 s[6:7], exec, s[8:9]
	s_cbranch_execz .LBB2_3229
; %bb.39069:
	s_getpc_b64 s[14:15]
.Lpost_getpc23118:
	s_add_u32 s14, s14, (.LBB2_17565-.Lpost_getpc23118)&4294967295
	s_addc_u32 s15, s15, (.LBB2_17565-.Lpost_getpc23118)>>32
	s_setpc_b64 s[14:15]
.LBB2_3229:
	s_or_saveexec_b64 s[6:7], s[6:7]
	v_mov_b32_e32 v6, s10
	s_xor_b64 exec, exec, s[6:7]
	s_cbranch_execz .LBB2_3230
; %bb.39071:
	s_getpc_b64 s[14:15]
.Lpost_getpc23119:
	s_add_u32 s14, s14, (.LBB2_17568-.Lpost_getpc23119)&4294967295
	s_addc_u32 s15, s15, (.LBB2_17568-.Lpost_getpc23119)>>32
	s_setpc_b64 s[14:15]
.LBB2_3230:
	s_or_b64 exec, exec, s[6:7]
	s_and_saveexec_b64 s[6:7], s[4:5]
	s_cbranch_execz .LBB2_3232
.LBB2_3231:
	v_bfe_u32 v6, v2, 24, 3
	v_ffbh_u32_e32 v16, v6
	v_min_u32_e32 v16, 32, v16
	v_lshrrev_b32_e32 v14, 27, v2
	v_subrev_u32_e32 v17, 28, v16
	v_and_b32_e32 v13, 0x80000000, v2
	v_and_b32_e32 v14, 15, v14
	v_bfe_u32 v15, v2, 27, 4
	v_lshlrev_b32_sdwa v2, v17, v2 dst_sel:DWORD dst_unused:UNUSED_PAD src0_sel:DWORD src1_sel:BYTE_3
	v_sub_u32_e32 v16, 29, v16
	v_and_b32_e32 v2, 7, v2
	v_cmp_eq_u16_e32 vcc, 0, v14
	v_cndmask_b32_e32 v2, v6, v2, vcc
	v_cndmask_b32_e32 v6, v15, v16, vcc
	v_mov_b32_e32 v14, 0x3b800000
	v_lshlrev_b32_e32 v2, 20, v2
	v_lshl_add_u32 v6, v6, 23, v14
	v_or3_b32 v6, v13, v6, v2
.LBB2_3232:
	s_or_b64 exec, exec, s[6:7]
	s_nop 0
	v_mfma_f32_16x16x4f32 a[0:3], v12, v6, a[0:3]
	s_movk_i32 s4, 0x7f
	v_cmp_gt_i16_sdwa s[6:7], v7, s4 src0_sel:BYTE_0 src1_sel:DWORD
	s_mov_b64 s[4:5], 0
                                        ; implicit-def: $sgpr10
	s_and_saveexec_b64 s[8:9], s[6:7]
	s_xor_b64 s[6:7], exec, s[8:9]
	s_cbranch_execz .LBB2_3233
; %bb.39073:
	s_getpc_b64 s[14:15]
.Lpost_getpc23120:
	s_add_u32 s14, s14, (.LBB2_17569-.Lpost_getpc23120)&4294967295
	s_addc_u32 s15, s15, (.LBB2_17569-.Lpost_getpc23120)>>32
	s_setpc_b64 s[14:15]
.LBB2_3233:
	s_or_saveexec_b64 s[6:7], s[6:7]
	v_mov_b32_e32 v2, s10
	s_xor_b64 exec, exec, s[6:7]
	s_cbranch_execz .LBB2_3234
; %bb.39075:
	s_getpc_b64 s[14:15]
.Lpost_getpc23121:
	s_add_u32 s14, s14, (.LBB2_17572-.Lpost_getpc23121)&4294967295
	s_addc_u32 s15, s15, (.LBB2_17572-.Lpost_getpc23121)>>32
	s_setpc_b64 s[14:15]
.LBB2_3234:
	s_or_b64 exec, exec, s[6:7]
	s_and_saveexec_b64 s[6:7], s[4:5]
	s_cbranch_execz .LBB2_3236
.LBB2_3235:
	v_and_b32_e32 v2, 7, v7
	v_ffbh_u32_e32 v12, v2
	v_min_u32_e32 v12, 32, v12
	v_lshrrev_b16_e32 v6, 3, v7
	v_subrev_u32_e32 v13, 28, v12
	v_and_b32_e32 v6, 15, v6
	v_lshlrev_b32_e32 v13, v13, v7
	v_sub_u32_e32 v12, 29, v12
	v_and_b32_e32 v13, 7, v13
	v_cmp_eq_u16_e32 vcc, 0, v6
	v_cndmask_b32_e32 v2, v2, v13, vcc
	v_cndmask_b32_e32 v6, v6, v12, vcc
	v_lshlrev_b32_e32 v12, 24, v7
	v_mov_b32_e32 v13, 0x3b800000
	v_lshlrev_b32_e32 v2, 20, v2
	v_and_b32_e32 v12, 0x80000000, v12
	v_lshl_add_u32 v6, v6, 23, v13
	v_or3_b32 v2, v12, v6, v2
.LBB2_3236:
	s_or_b64 exec, exec, s[6:7]
	s_movk_i32 s4, 0x7f
	v_cmp_gt_i16_sdwa s[6:7], v3, s4 src0_sel:BYTE_0 src1_sel:DWORD
	s_mov_b64 s[4:5], 0
                                        ; implicit-def: $sgpr10
	s_and_saveexec_b64 s[8:9], s[6:7]
	s_xor_b64 s[6:7], exec, s[8:9]
	s_cbranch_execz .LBB2_3237
; %bb.39077:
	s_getpc_b64 s[14:15]
.Lpost_getpc23122:
	s_add_u32 s14, s14, (.LBB2_17573-.Lpost_getpc23122)&4294967295
	s_addc_u32 s15, s15, (.LBB2_17573-.Lpost_getpc23122)>>32
	s_setpc_b64 s[14:15]
.LBB2_3237:
	s_or_saveexec_b64 s[6:7], s[6:7]
	v_mov_b32_e32 v6, s10
	s_xor_b64 exec, exec, s[6:7]
	s_cbranch_execz .LBB2_3238
; %bb.39079:
	s_getpc_b64 s[14:15]
.Lpost_getpc23123:
	s_add_u32 s14, s14, (.LBB2_17576-.Lpost_getpc23123)&4294967295
	s_addc_u32 s15, s15, (.LBB2_17576-.Lpost_getpc23123)>>32
	s_setpc_b64 s[14:15]
.LBB2_3238:
	s_or_b64 exec, exec, s[6:7]
	s_and_saveexec_b64 s[6:7], s[4:5]
	s_cbranch_execz .LBB2_3240
.LBB2_3239:
	v_and_b32_e32 v6, 7, v3
	v_ffbh_u32_e32 v13, v6
	v_min_u32_e32 v13, 32, v13
	v_lshrrev_b16_e32 v12, 3, v3
	v_subrev_u32_e32 v14, 28, v13
	v_and_b32_e32 v12, 15, v12
	v_lshlrev_b32_e32 v14, v14, v3
	v_sub_u32_e32 v13, 29, v13
	v_and_b32_e32 v14, 7, v14
	v_cmp_eq_u16_e32 vcc, 0, v12
	v_cndmask_b32_e32 v6, v6, v14, vcc
	v_cndmask_b32_e32 v12, v12, v13, vcc
	v_lshlrev_b32_e32 v13, 24, v3
	v_mov_b32_e32 v14, 0x3b800000
	v_lshlrev_b32_e32 v6, 20, v6
	v_and_b32_e32 v13, 0x80000000, v13
	v_lshl_add_u32 v12, v12, 23, v14
	v_or3_b32 v6, v13, v12, v6
.LBB2_3240:
	s_or_b64 exec, exec, s[6:7]
	s_nop 0
	v_mfma_f32_16x16x4f32 a[0:3], v2, v6, a[0:3]
	v_lshrrev_b32_e32 v6, 8, v7
	s_movk_i32 s4, 0x7f
	v_cmp_gt_i16_sdwa s[6:7], v6, s4 src0_sel:BYTE_0 src1_sel:DWORD
	s_mov_b64 s[4:5], 0
                                        ; implicit-def: $sgpr10
	s_and_saveexec_b64 s[8:9], s[6:7]
	s_xor_b64 s[6:7], exec, s[8:9]
	s_cbranch_execz .LBB2_3241
; %bb.39081:
	s_getpc_b64 s[14:15]
.Lpost_getpc23124:
	s_add_u32 s14, s14, (.LBB2_17577-.Lpost_getpc23124)&4294967295
	s_addc_u32 s15, s15, (.LBB2_17577-.Lpost_getpc23124)>>32
	s_setpc_b64 s[14:15]
.LBB2_3241:
	s_or_saveexec_b64 s[6:7], s[6:7]
	v_mov_b32_e32 v2, s10
	s_xor_b64 exec, exec, s[6:7]
	s_cbranch_execz .LBB2_3242
; %bb.39083:
	s_getpc_b64 s[14:15]
.Lpost_getpc23125:
	s_add_u32 s14, s14, (.LBB2_17580-.Lpost_getpc23125)&4294967295
	s_addc_u32 s15, s15, (.LBB2_17580-.Lpost_getpc23125)>>32
	s_setpc_b64 s[14:15]
.LBB2_3242:
	s_or_b64 exec, exec, s[6:7]
	s_and_saveexec_b64 s[6:7], s[4:5]
	s_cbranch_execz .LBB2_3244
.LBB2_3243:
	v_bfe_u32 v2, v7, 8, 3
	v_ffbh_u32_e32 v13, v2
	v_min_u32_e32 v13, 32, v13
	v_lshrrev_b16_e32 v12, 3, v6
	v_subrev_u32_e32 v14, 28, v13
	v_and_b32_e32 v12, 15, v12
	v_lshlrev_b32_e32 v6, v14, v6
	v_sub_u32_e32 v13, 29, v13
	v_and_b32_e32 v6, 7, v6
	v_cmp_eq_u16_e32 vcc, 0, v12
	v_cndmask_b32_e32 v2, v2, v6, vcc
	v_cndmask_b32_e32 v6, v12, v13, vcc
	v_lshlrev_b32_e32 v12, 16, v7
	v_mov_b32_e32 v13, 0x3b800000
	v_lshlrev_b32_e32 v2, 20, v2
	v_and_b32_e32 v12, 0x80000000, v12
	v_lshl_add_u32 v6, v6, 23, v13
	v_or3_b32 v2, v12, v6, v2
.LBB2_3244:
	s_or_b64 exec, exec, s[6:7]
	v_lshrrev_b32_e32 v6, 8, v3
	s_movk_i32 s4, 0x7f
	v_cmp_gt_i16_sdwa s[6:7], v6, s4 src0_sel:BYTE_0 src1_sel:DWORD
	s_mov_b64 s[4:5], 0
                                        ; implicit-def: $sgpr10
	s_and_saveexec_b64 s[8:9], s[6:7]
	s_xor_b64 s[6:7], exec, s[8:9]
	s_cbranch_execz .LBB2_3245
; %bb.39085:
	s_getpc_b64 s[14:15]
.Lpost_getpc23126:
	s_add_u32 s14, s14, (.LBB2_17581-.Lpost_getpc23126)&4294967295
	s_addc_u32 s15, s15, (.LBB2_17581-.Lpost_getpc23126)>>32
	s_setpc_b64 s[14:15]
.LBB2_3245:
	s_or_saveexec_b64 s[6:7], s[6:7]
	v_mov_b32_e32 v12, s10
	s_xor_b64 exec, exec, s[6:7]
	s_cbranch_execz .LBB2_3246
; %bb.39087:
	s_getpc_b64 s[14:15]
.Lpost_getpc23127:
	s_add_u32 s14, s14, (.LBB2_17584-.Lpost_getpc23127)&4294967295
	s_addc_u32 s15, s15, (.LBB2_17584-.Lpost_getpc23127)>>32
	s_setpc_b64 s[14:15]
.LBB2_3246:
	s_or_b64 exec, exec, s[6:7]
	s_and_saveexec_b64 s[6:7], s[4:5]
	s_cbranch_execz .LBB2_3248
.LBB2_3247:
	v_bfe_u32 v12, v3, 8, 3
	v_ffbh_u32_e32 v14, v12
	v_min_u32_e32 v14, 32, v14
	v_lshrrev_b16_e32 v13, 3, v6
	v_subrev_u32_e32 v15, 28, v14
	v_and_b32_e32 v13, 15, v13
	v_lshlrev_b32_e32 v6, v15, v6
	v_sub_u32_e32 v14, 29, v14
	v_and_b32_e32 v6, 7, v6
	v_cmp_eq_u16_e32 vcc, 0, v13
	v_cndmask_b32_e32 v6, v12, v6, vcc
	v_cndmask_b32_e32 v12, v13, v14, vcc
	v_lshlrev_b32_e32 v13, 16, v3
	v_mov_b32_e32 v14, 0x3b800000
	v_lshlrev_b32_e32 v6, 20, v6
	v_and_b32_e32 v13, 0x80000000, v13
	v_lshl_add_u32 v12, v12, 23, v14
	v_or3_b32 v12, v13, v12, v6
.LBB2_3248:
	s_or_b64 exec, exec, s[6:7]
	s_nop 0
	v_mfma_f32_16x16x4f32 a[0:3], v2, v12, a[0:3]
	s_movk_i32 s4, 0xff
	v_and_b32_sdwa v6, v7, s4 dst_sel:DWORD dst_unused:UNUSED_PAD src0_sel:WORD_1 src1_sel:DWORD
	s_movk_i32 s4, 0x7f
	v_cmp_lt_i16_e32 vcc, s4, v6
	s_mov_b64 s[4:5], 0
                                        ; implicit-def: $sgpr10
	s_and_saveexec_b64 s[6:7], vcc
	s_xor_b64 s[6:7], exec, s[6:7]
	s_cbranch_execz .LBB2_3249
; %bb.39089:
	s_getpc_b64 s[14:15]
.Lpost_getpc23128:
	s_add_u32 s14, s14, (.LBB2_17585-.Lpost_getpc23128)&4294967295
	s_addc_u32 s15, s15, (.LBB2_17585-.Lpost_getpc23128)>>32
	s_setpc_b64 s[14:15]
.LBB2_3249:
	s_or_saveexec_b64 s[6:7], s[6:7]
	v_mov_b32_e32 v2, s10
	s_xor_b64 exec, exec, s[6:7]
	s_cbranch_execz .LBB2_3250
; %bb.39091:
	s_getpc_b64 s[14:15]
.Lpost_getpc23129:
	s_add_u32 s14, s14, (.LBB2_17588-.Lpost_getpc23129)&4294967295
	s_addc_u32 s15, s15, (.LBB2_17588-.Lpost_getpc23129)>>32
	s_setpc_b64 s[14:15]
.LBB2_3250:
	s_or_b64 exec, exec, s[6:7]
	s_and_saveexec_b64 s[6:7], s[4:5]
	s_cbranch_execz .LBB2_3252
.LBB2_3251:
	v_bfe_u32 v2, v7, 16, 3
	v_ffbh_u32_e32 v13, v2
	v_min_u32_e32 v13, 32, v13
	v_lshrrev_b32_e32 v6, 19, v7
	v_subrev_u32_e32 v14, 28, v13
	v_and_b32_e32 v6, 15, v6
	v_lshlrev_b32_sdwa v14, v14, v7 dst_sel:DWORD dst_unused:UNUSED_PAD src0_sel:DWORD src1_sel:WORD_1
	v_bfe_u32 v12, v7, 19, 4
	v_sub_u32_e32 v13, 29, v13
	v_and_b32_e32 v14, 7, v14
	v_cmp_eq_u16_e32 vcc, 0, v6
	v_cndmask_b32_e32 v2, v2, v14, vcc
	v_cndmask_b32_e32 v6, v12, v13, vcc
	v_lshlrev_b32_e32 v12, 8, v7
	v_mov_b32_e32 v13, 0x3b800000
	v_lshlrev_b32_e32 v2, 20, v2
	v_and_b32_e32 v12, 0x80000000, v12
	v_lshl_add_u32 v6, v6, 23, v13
	v_or3_b32 v2, v12, v6, v2
.LBB2_3252:
	s_or_b64 exec, exec, s[6:7]
	s_movk_i32 s4, 0xff
	v_and_b32_sdwa v6, v3, s4 dst_sel:DWORD dst_unused:UNUSED_PAD src0_sel:WORD_1 src1_sel:DWORD
	s_movk_i32 s4, 0x7f
	v_cmp_lt_i16_e32 vcc, s4, v6
	s_mov_b64 s[4:5], 0
                                        ; implicit-def: $sgpr10
	s_and_saveexec_b64 s[6:7], vcc
	s_xor_b64 s[6:7], exec, s[6:7]
	s_cbranch_execz .LBB2_3253
; %bb.39093:
	s_getpc_b64 s[14:15]
.Lpost_getpc23130:
	s_add_u32 s14, s14, (.LBB2_17589-.Lpost_getpc23130)&4294967295
	s_addc_u32 s15, s15, (.LBB2_17589-.Lpost_getpc23130)>>32
	s_setpc_b64 s[14:15]
.LBB2_3253:
	s_or_saveexec_b64 s[6:7], s[6:7]
	v_mov_b32_e32 v12, s10
	s_xor_b64 exec, exec, s[6:7]
	s_cbranch_execz .LBB2_3254
; %bb.39095:
	s_getpc_b64 s[14:15]
.Lpost_getpc23131:
	s_add_u32 s14, s14, (.LBB2_17592-.Lpost_getpc23131)&4294967295
	s_addc_u32 s15, s15, (.LBB2_17592-.Lpost_getpc23131)>>32
	s_setpc_b64 s[14:15]
.LBB2_3254:
	s_or_b64 exec, exec, s[6:7]
	s_and_saveexec_b64 s[6:7], s[4:5]
	s_cbranch_execz .LBB2_3256
.LBB2_3255:
	v_bfe_u32 v6, v3, 16, 3
	v_ffbh_u32_e32 v14, v6
	v_min_u32_e32 v14, 32, v14
	v_lshrrev_b32_e32 v12, 19, v3
	v_subrev_u32_e32 v15, 28, v14
	v_and_b32_e32 v12, 15, v12
	v_lshlrev_b32_sdwa v15, v15, v3 dst_sel:DWORD dst_unused:UNUSED_PAD src0_sel:DWORD src1_sel:WORD_1
	v_bfe_u32 v13, v3, 19, 4
	v_sub_u32_e32 v14, 29, v14
	v_and_b32_e32 v15, 7, v15
	v_cmp_eq_u16_e32 vcc, 0, v12
	v_cndmask_b32_e32 v6, v6, v15, vcc
	v_cndmask_b32_e32 v12, v13, v14, vcc
	v_lshlrev_b32_e32 v13, 8, v3
	v_mov_b32_e32 v14, 0x3b800000
	v_lshlrev_b32_e32 v6, 20, v6
	v_and_b32_e32 v13, 0x80000000, v13
	v_lshl_add_u32 v12, v12, 23, v14
	v_or3_b32 v12, v13, v12, v6
.LBB2_3256:
	s_or_b64 exec, exec, s[6:7]
	s_nop 0
	v_mfma_f32_16x16x4f32 a[0:3], v2, v12, a[0:3]
	s_movk_i32 s4, 0x7f
	v_cmp_gt_i16_sdwa s[6:7], v7, s4 src0_sel:BYTE_3 src1_sel:DWORD
	s_mov_b64 s[4:5], 0
                                        ; implicit-def: $sgpr10
	s_and_saveexec_b64 s[8:9], s[6:7]
	s_xor_b64 s[6:7], exec, s[8:9]
	s_cbranch_execz .LBB2_3257
; %bb.39097:
	s_getpc_b64 s[14:15]
.Lpost_getpc23132:
	s_add_u32 s14, s14, (.LBB2_17593-.Lpost_getpc23132)&4294967295
	s_addc_u32 s15, s15, (.LBB2_17593-.Lpost_getpc23132)>>32
	s_setpc_b64 s[14:15]
.LBB2_3257:
	s_or_saveexec_b64 s[6:7], s[6:7]
	v_mov_b32_e32 v2, s10
	s_xor_b64 exec, exec, s[6:7]
	s_cbranch_execz .LBB2_3258
; %bb.39099:
	s_getpc_b64 s[14:15]
.Lpost_getpc23133:
	s_add_u32 s14, s14, (.LBB2_17596-.Lpost_getpc23133)&4294967295
	s_addc_u32 s15, s15, (.LBB2_17596-.Lpost_getpc23133)>>32
	s_setpc_b64 s[14:15]
.LBB2_3258:
	s_or_b64 exec, exec, s[6:7]
	s_and_saveexec_b64 s[6:7], s[4:5]
	s_cbranch_execz .LBB2_3260
.LBB2_3259:
	v_bfe_u32 v2, v7, 24, 3
	v_ffbh_u32_e32 v14, v2
	v_min_u32_e32 v14, 32, v14
	v_lshrrev_b32_e32 v12, 27, v7
	v_subrev_u32_e32 v15, 28, v14
	v_and_b32_e32 v6, 0x80000000, v7
	v_and_b32_e32 v12, 15, v12
	v_bfe_u32 v13, v7, 27, 4
	v_lshlrev_b32_sdwa v7, v15, v7 dst_sel:DWORD dst_unused:UNUSED_PAD src0_sel:DWORD src1_sel:BYTE_3
	v_sub_u32_e32 v14, 29, v14
	v_and_b32_e32 v7, 7, v7
	v_cmp_eq_u16_e32 vcc, 0, v12
	v_cndmask_b32_e32 v2, v2, v7, vcc
	v_cndmask_b32_e32 v7, v13, v14, vcc
	v_mov_b32_e32 v12, 0x3b800000
	v_lshlrev_b32_e32 v2, 20, v2
	v_lshl_add_u32 v7, v7, 23, v12
	v_or3_b32 v2, v6, v7, v2
.LBB2_3260:
	s_or_b64 exec, exec, s[6:7]
	s_movk_i32 s4, 0x7f
	v_cmp_gt_i16_sdwa s[6:7], v3, s4 src0_sel:BYTE_3 src1_sel:DWORD
	s_mov_b64 s[4:5], 0
                                        ; implicit-def: $sgpr10
	s_and_saveexec_b64 s[8:9], s[6:7]
	s_xor_b64 s[6:7], exec, s[8:9]
	s_cbranch_execz .LBB2_3261
; %bb.39101:
	s_getpc_b64 s[14:15]
.Lpost_getpc23134:
	s_add_u32 s14, s14, (.LBB2_17597-.Lpost_getpc23134)&4294967295
	s_addc_u32 s15, s15, (.LBB2_17597-.Lpost_getpc23134)>>32
	s_setpc_b64 s[14:15]
.LBB2_3261:
	s_or_saveexec_b64 s[6:7], s[6:7]
	v_mov_b32_e32 v6, s10
	s_xor_b64 exec, exec, s[6:7]
	s_cbranch_execz .LBB2_3262
; %bb.39103:
	s_getpc_b64 s[14:15]
.Lpost_getpc23135:
	s_add_u32 s14, s14, (.LBB2_17600-.Lpost_getpc23135)&4294967295
	s_addc_u32 s15, s15, (.LBB2_17600-.Lpost_getpc23135)>>32
	s_setpc_b64 s[14:15]
.LBB2_3262:
	s_or_b64 exec, exec, s[6:7]
	s_and_saveexec_b64 s[6:7], s[4:5]
	s_cbranch_execz .LBB2_3264
.LBB2_3263:
	v_bfe_u32 v6, v3, 24, 3
	v_ffbh_u32_e32 v14, v6
	v_min_u32_e32 v14, 32, v14
	v_lshrrev_b32_e32 v12, 27, v3
	v_subrev_u32_e32 v15, 28, v14
	v_and_b32_e32 v7, 0x80000000, v3
	v_and_b32_e32 v12, 15, v12
	v_bfe_u32 v13, v3, 27, 4
	v_lshlrev_b32_sdwa v3, v15, v3 dst_sel:DWORD dst_unused:UNUSED_PAD src0_sel:DWORD src1_sel:BYTE_3
	v_sub_u32_e32 v14, 29, v14
	v_and_b32_e32 v3, 7, v3
	v_cmp_eq_u16_e32 vcc, 0, v12
	v_cndmask_b32_e32 v3, v6, v3, vcc
	v_cndmask_b32_e32 v6, v13, v14, vcc
	v_mov_b32_e32 v12, 0x3b800000
	v_lshlrev_b32_e32 v3, 20, v3
	v_lshl_add_u32 v6, v6, 23, v12
	v_or3_b32 v6, v7, v6, v3
.LBB2_3264:
	s_or_b64 exec, exec, s[6:7]
	s_nop 0
	v_mfma_f32_16x16x4f32 a[0:3], v2, v6, a[0:3]
	s_movk_i32 s4, 0x7f
	v_cmp_gt_i16_sdwa s[6:7], v8, s4 src0_sel:BYTE_0 src1_sel:DWORD
	s_mov_b64 s[4:5], 0
                                        ; implicit-def: $sgpr10
	s_and_saveexec_b64 s[8:9], s[6:7]
	s_xor_b64 s[6:7], exec, s[8:9]
	s_cbranch_execz .LBB2_3265
; %bb.39105:
	s_getpc_b64 s[14:15]
.Lpost_getpc23136:
	s_add_u32 s14, s14, (.LBB2_17601-.Lpost_getpc23136)&4294967295
	s_addc_u32 s15, s15, (.LBB2_17601-.Lpost_getpc23136)>>32
	s_setpc_b64 s[14:15]
.LBB2_3265:
	s_or_saveexec_b64 s[6:7], s[6:7]
	v_mov_b32_e32 v2, s10
	s_xor_b64 exec, exec, s[6:7]
	s_cbranch_execz .LBB2_3266
; %bb.39107:
	s_getpc_b64 s[14:15]
.Lpost_getpc23137:
	s_add_u32 s14, s14, (.LBB2_17604-.Lpost_getpc23137)&4294967295
	s_addc_u32 s15, s15, (.LBB2_17604-.Lpost_getpc23137)>>32
	s_setpc_b64 s[14:15]
.LBB2_3266:
	s_or_b64 exec, exec, s[6:7]
	s_and_saveexec_b64 s[6:7], s[4:5]
	s_cbranch_execz .LBB2_3268
.LBB2_3267:
	v_and_b32_e32 v2, 7, v8
	v_ffbh_u32_e32 v6, v2
	v_min_u32_e32 v6, 32, v6
	v_lshrrev_b16_e32 v3, 3, v8
	v_subrev_u32_e32 v7, 28, v6
	v_and_b32_e32 v3, 15, v3
	v_lshlrev_b32_e32 v7, v7, v8
	v_sub_u32_e32 v6, 29, v6
	v_and_b32_e32 v7, 7, v7
	v_cmp_eq_u16_e32 vcc, 0, v3
	v_cndmask_b32_e32 v2, v2, v7, vcc
	v_cndmask_b32_e32 v3, v3, v6, vcc
	v_lshlrev_b32_e32 v6, 24, v8
	v_mov_b32_e32 v7, 0x3b800000
	v_lshlrev_b32_e32 v2, 20, v2
	v_and_b32_e32 v6, 0x80000000, v6
	v_lshl_add_u32 v3, v3, 23, v7
	v_or3_b32 v2, v6, v3, v2
.LBB2_3268:
	s_or_b64 exec, exec, s[6:7]
	s_movk_i32 s4, 0x7f
	v_cmp_gt_i16_sdwa s[6:7], v4, s4 src0_sel:BYTE_0 src1_sel:DWORD
	s_mov_b64 s[4:5], 0
                                        ; implicit-def: $sgpr10
	s_and_saveexec_b64 s[8:9], s[6:7]
	s_xor_b64 s[6:7], exec, s[8:9]
	s_cbranch_execz .LBB2_3269
; %bb.39109:
	s_getpc_b64 s[14:15]
.Lpost_getpc23138:
	s_add_u32 s14, s14, (.LBB2_17605-.Lpost_getpc23138)&4294967295
	s_addc_u32 s15, s15, (.LBB2_17605-.Lpost_getpc23138)>>32
	s_setpc_b64 s[14:15]
.LBB2_3269:
	s_or_saveexec_b64 s[6:7], s[6:7]
	v_mov_b32_e32 v3, s10
	s_xor_b64 exec, exec, s[6:7]
	s_cbranch_execz .LBB2_3270
; %bb.39111:
	s_getpc_b64 s[14:15]
.Lpost_getpc23139:
	s_add_u32 s14, s14, (.LBB2_17608-.Lpost_getpc23139)&4294967295
	s_addc_u32 s15, s15, (.LBB2_17608-.Lpost_getpc23139)>>32
	s_setpc_b64 s[14:15]
.LBB2_3270:
	s_or_b64 exec, exec, s[6:7]
	s_and_saveexec_b64 s[6:7], s[4:5]
	s_cbranch_execz .LBB2_3272
.LBB2_3271:
	v_and_b32_e32 v3, 7, v4
	v_ffbh_u32_e32 v7, v3
	v_min_u32_e32 v7, 32, v7
	v_lshrrev_b16_e32 v6, 3, v4
	v_subrev_u32_e32 v12, 28, v7
	v_and_b32_e32 v6, 15, v6
	v_lshlrev_b32_e32 v12, v12, v4
	v_sub_u32_e32 v7, 29, v7
	v_and_b32_e32 v12, 7, v12
	v_cmp_eq_u16_e32 vcc, 0, v6
	v_cndmask_b32_e32 v3, v3, v12, vcc
	v_cndmask_b32_e32 v6, v6, v7, vcc
	v_lshlrev_b32_e32 v7, 24, v4
	v_mov_b32_e32 v12, 0x3b800000
	v_lshlrev_b32_e32 v3, 20, v3
	v_and_b32_e32 v7, 0x80000000, v7
	v_lshl_add_u32 v6, v6, 23, v12
	v_or3_b32 v3, v7, v6, v3
.LBB2_3272:
	s_or_b64 exec, exec, s[6:7]
	s_nop 0
	v_mfma_f32_16x16x4f32 a[0:3], v2, v3, a[0:3]
	v_lshrrev_b32_e32 v3, 8, v8
	s_movk_i32 s4, 0x7f
	v_cmp_gt_i16_sdwa s[6:7], v3, s4 src0_sel:BYTE_0 src1_sel:DWORD
	s_mov_b64 s[4:5], 0
                                        ; implicit-def: $sgpr10
	s_and_saveexec_b64 s[8:9], s[6:7]
	s_xor_b64 s[6:7], exec, s[8:9]
	s_cbranch_execz .LBB2_3273
; %bb.39113:
	s_getpc_b64 s[14:15]
.Lpost_getpc23140:
	s_add_u32 s14, s14, (.LBB2_17609-.Lpost_getpc23140)&4294967295
	s_addc_u32 s15, s15, (.LBB2_17609-.Lpost_getpc23140)>>32
	s_setpc_b64 s[14:15]
.LBB2_3273:
	s_or_saveexec_b64 s[6:7], s[6:7]
	v_mov_b32_e32 v2, s10
	s_xor_b64 exec, exec, s[6:7]
	s_cbranch_execz .LBB2_3274
; %bb.39115:
	s_getpc_b64 s[14:15]
.Lpost_getpc23141:
	s_add_u32 s14, s14, (.LBB2_17612-.Lpost_getpc23141)&4294967295
	s_addc_u32 s15, s15, (.LBB2_17612-.Lpost_getpc23141)>>32
	s_setpc_b64 s[14:15]
.LBB2_3274:
	s_or_b64 exec, exec, s[6:7]
	s_and_saveexec_b64 s[6:7], s[4:5]
	s_cbranch_execz .LBB2_3276
.LBB2_3275:
	v_bfe_u32 v2, v8, 8, 3
	v_ffbh_u32_e32 v7, v2
	v_min_u32_e32 v7, 32, v7
	v_lshrrev_b16_e32 v6, 3, v3
	v_subrev_u32_e32 v12, 28, v7
	v_and_b32_e32 v6, 15, v6
	v_lshlrev_b32_e32 v3, v12, v3
	v_sub_u32_e32 v7, 29, v7
	v_and_b32_e32 v3, 7, v3
	v_cmp_eq_u16_e32 vcc, 0, v6
	v_cndmask_b32_e32 v2, v2, v3, vcc
	v_cndmask_b32_e32 v3, v6, v7, vcc
	v_lshlrev_b32_e32 v6, 16, v8
	v_mov_b32_e32 v7, 0x3b800000
	v_lshlrev_b32_e32 v2, 20, v2
	v_and_b32_e32 v6, 0x80000000, v6
	v_lshl_add_u32 v3, v3, 23, v7
	v_or3_b32 v2, v6, v3, v2
.LBB2_3276:
	s_or_b64 exec, exec, s[6:7]
	v_lshrrev_b32_e32 v3, 8, v4
	s_movk_i32 s4, 0x7f
	v_cmp_gt_i16_sdwa s[6:7], v3, s4 src0_sel:BYTE_0 src1_sel:DWORD
	s_mov_b64 s[4:5], 0
                                        ; implicit-def: $sgpr10
	s_and_saveexec_b64 s[8:9], s[6:7]
	s_xor_b64 s[6:7], exec, s[8:9]
	s_cbranch_execz .LBB2_3277
; %bb.39117:
	s_getpc_b64 s[14:15]
.Lpost_getpc23142:
	s_add_u32 s14, s14, (.LBB2_17613-.Lpost_getpc23142)&4294967295
	s_addc_u32 s15, s15, (.LBB2_17613-.Lpost_getpc23142)>>32
	s_setpc_b64 s[14:15]
.LBB2_3277:
	s_or_saveexec_b64 s[6:7], s[6:7]
	v_mov_b32_e32 v6, s10
	s_xor_b64 exec, exec, s[6:7]
	s_cbranch_execz .LBB2_3278
; %bb.39119:
	s_getpc_b64 s[14:15]
.Lpost_getpc23143:
	s_add_u32 s14, s14, (.LBB2_17616-.Lpost_getpc23143)&4294967295
	s_addc_u32 s15, s15, (.LBB2_17616-.Lpost_getpc23143)>>32
	s_setpc_b64 s[14:15]
.LBB2_3278:
	s_or_b64 exec, exec, s[6:7]
	s_and_saveexec_b64 s[6:7], s[4:5]
	s_cbranch_execz .LBB2_3280
.LBB2_3279:
	v_bfe_u32 v6, v4, 8, 3
	v_ffbh_u32_e32 v12, v6
	v_min_u32_e32 v12, 32, v12
	v_lshrrev_b16_e32 v7, 3, v3
	v_subrev_u32_e32 v13, 28, v12
	v_and_b32_e32 v7, 15, v7
	v_lshlrev_b32_e32 v3, v13, v3
	v_sub_u32_e32 v12, 29, v12
	v_and_b32_e32 v3, 7, v3
	v_cmp_eq_u16_e32 vcc, 0, v7
	v_cndmask_b32_e32 v3, v6, v3, vcc
	v_cndmask_b32_e32 v6, v7, v12, vcc
	v_lshlrev_b32_e32 v7, 16, v4
	v_mov_b32_e32 v12, 0x3b800000
	v_lshlrev_b32_e32 v3, 20, v3
	v_and_b32_e32 v7, 0x80000000, v7
	v_lshl_add_u32 v6, v6, 23, v12
	v_or3_b32 v6, v7, v6, v3
.LBB2_3280:
	s_or_b64 exec, exec, s[6:7]
	s_nop 0
	v_mfma_f32_16x16x4f32 a[0:3], v2, v6, a[0:3]
	s_movk_i32 s4, 0xff
	v_and_b32_sdwa v3, v8, s4 dst_sel:DWORD dst_unused:UNUSED_PAD src0_sel:WORD_1 src1_sel:DWORD
	s_movk_i32 s4, 0x7f
	v_cmp_lt_i16_e32 vcc, s4, v3
	s_mov_b64 s[4:5], 0
                                        ; implicit-def: $sgpr10
	s_and_saveexec_b64 s[6:7], vcc
	s_xor_b64 s[6:7], exec, s[6:7]
	s_cbranch_execz .LBB2_3281
; %bb.39121:
	s_getpc_b64 s[14:15]
.Lpost_getpc23144:
	s_add_u32 s14, s14, (.LBB2_17617-.Lpost_getpc23144)&4294967295
	s_addc_u32 s15, s15, (.LBB2_17617-.Lpost_getpc23144)>>32
	s_setpc_b64 s[14:15]
.LBB2_3281:
	s_or_saveexec_b64 s[6:7], s[6:7]
	v_mov_b32_e32 v2, s10
	s_xor_b64 exec, exec, s[6:7]
	s_cbranch_execz .LBB2_3282
; %bb.39123:
	s_getpc_b64 s[14:15]
.Lpost_getpc23145:
	s_add_u32 s14, s14, (.LBB2_17620-.Lpost_getpc23145)&4294967295
	s_addc_u32 s15, s15, (.LBB2_17620-.Lpost_getpc23145)>>32
	s_setpc_b64 s[14:15]
.LBB2_3282:
	s_or_b64 exec, exec, s[6:7]
	s_and_saveexec_b64 s[6:7], s[4:5]
	s_cbranch_execz .LBB2_3284
.LBB2_3283:
	v_bfe_u32 v2, v8, 16, 3
	v_ffbh_u32_e32 v7, v2
	v_min_u32_e32 v7, 32, v7
	v_lshrrev_b32_e32 v3, 19, v8
	v_subrev_u32_e32 v12, 28, v7
	v_and_b32_e32 v3, 15, v3
	v_lshlrev_b32_sdwa v12, v12, v8 dst_sel:DWORD dst_unused:UNUSED_PAD src0_sel:DWORD src1_sel:WORD_1
	v_bfe_u32 v6, v8, 19, 4
	v_sub_u32_e32 v7, 29, v7
	v_and_b32_e32 v12, 7, v12
	v_cmp_eq_u16_e32 vcc, 0, v3
	v_cndmask_b32_e32 v2, v2, v12, vcc
	v_cndmask_b32_e32 v3, v6, v7, vcc
	v_lshlrev_b32_e32 v6, 8, v8
	v_mov_b32_e32 v7, 0x3b800000
	v_lshlrev_b32_e32 v2, 20, v2
	v_and_b32_e32 v6, 0x80000000, v6
	v_lshl_add_u32 v3, v3, 23, v7
	v_or3_b32 v2, v6, v3, v2
.LBB2_3284:
	s_or_b64 exec, exec, s[6:7]
	s_movk_i32 s4, 0xff
	v_and_b32_sdwa v3, v4, s4 dst_sel:DWORD dst_unused:UNUSED_PAD src0_sel:WORD_1 src1_sel:DWORD
	s_movk_i32 s4, 0x7f
	v_cmp_lt_i16_e32 vcc, s4, v3
	s_mov_b64 s[4:5], 0
                                        ; implicit-def: $sgpr10
	s_and_saveexec_b64 s[6:7], vcc
	s_xor_b64 s[6:7], exec, s[6:7]
	s_cbranch_execz .LBB2_3285
; %bb.39125:
	s_getpc_b64 s[14:15]
.Lpost_getpc23146:
	s_add_u32 s14, s14, (.LBB2_17621-.Lpost_getpc23146)&4294967295
	s_addc_u32 s15, s15, (.LBB2_17621-.Lpost_getpc23146)>>32
	s_setpc_b64 s[14:15]
.LBB2_3285:
	s_or_saveexec_b64 s[6:7], s[6:7]
	v_mov_b32_e32 v6, s10
	s_xor_b64 exec, exec, s[6:7]
	s_cbranch_execz .LBB2_3286
; %bb.39127:
	s_getpc_b64 s[14:15]
.Lpost_getpc23147:
	s_add_u32 s14, s14, (.LBB2_17624-.Lpost_getpc23147)&4294967295
	s_addc_u32 s15, s15, (.LBB2_17624-.Lpost_getpc23147)>>32
	s_setpc_b64 s[14:15]
.LBB2_3286:
	s_or_b64 exec, exec, s[6:7]
	s_and_saveexec_b64 s[6:7], s[4:5]
	s_cbranch_execz .LBB2_3288
.LBB2_3287:
	v_bfe_u32 v3, v4, 16, 3
	v_ffbh_u32_e32 v12, v3
	v_min_u32_e32 v12, 32, v12
	v_lshrrev_b32_e32 v6, 19, v4
	v_subrev_u32_e32 v13, 28, v12
	v_and_b32_e32 v6, 15, v6
	v_lshlrev_b32_sdwa v13, v13, v4 dst_sel:DWORD dst_unused:UNUSED_PAD src0_sel:DWORD src1_sel:WORD_1
	v_bfe_u32 v7, v4, 19, 4
	v_sub_u32_e32 v12, 29, v12
	v_and_b32_e32 v13, 7, v13
	v_cmp_eq_u16_e32 vcc, 0, v6
	v_cndmask_b32_e32 v3, v3, v13, vcc
	v_cndmask_b32_e32 v6, v7, v12, vcc
	v_lshlrev_b32_e32 v7, 8, v4
	v_mov_b32_e32 v12, 0x3b800000
	v_lshlrev_b32_e32 v3, 20, v3
	v_and_b32_e32 v7, 0x80000000, v7
	v_lshl_add_u32 v6, v6, 23, v12
	v_or3_b32 v6, v7, v6, v3
.LBB2_3288:
	s_or_b64 exec, exec, s[6:7]
	s_nop 0
	v_mfma_f32_16x16x4f32 a[0:3], v2, v6, a[0:3]
	s_movk_i32 s4, 0x7f
	v_cmp_gt_i16_sdwa s[6:7], v8, s4 src0_sel:BYTE_3 src1_sel:DWORD
	s_mov_b64 s[4:5], 0
                                        ; implicit-def: $sgpr10
	s_and_saveexec_b64 s[8:9], s[6:7]
	s_xor_b64 s[6:7], exec, s[8:9]
	s_cbranch_execz .LBB2_3289
; %bb.39129:
	s_getpc_b64 s[14:15]
.Lpost_getpc23148:
	s_add_u32 s14, s14, (.LBB2_17625-.Lpost_getpc23148)&4294967295
	s_addc_u32 s15, s15, (.LBB2_17625-.Lpost_getpc23148)>>32
	s_setpc_b64 s[14:15]
.LBB2_3289:
	s_or_saveexec_b64 s[6:7], s[6:7]
	v_mov_b32_e32 v2, s10
	s_xor_b64 exec, exec, s[6:7]
	s_cbranch_execz .LBB2_3290
; %bb.39131:
	s_getpc_b64 s[14:15]
.Lpost_getpc23149:
	s_add_u32 s14, s14, (.LBB2_17628-.Lpost_getpc23149)&4294967295
	s_addc_u32 s15, s15, (.LBB2_17628-.Lpost_getpc23149)>>32
	s_setpc_b64 s[14:15]
.LBB2_3290:
	s_or_b64 exec, exec, s[6:7]
	s_and_saveexec_b64 s[6:7], s[4:5]
	s_cbranch_execz .LBB2_3292
.LBB2_3291:
	v_bfe_u32 v2, v8, 24, 3
	v_ffbh_u32_e32 v12, v2
	v_min_u32_e32 v12, 32, v12
	v_lshrrev_b32_e32 v6, 27, v8
	v_subrev_u32_e32 v13, 28, v12
	v_and_b32_e32 v3, 0x80000000, v8
	v_and_b32_e32 v6, 15, v6
	v_bfe_u32 v7, v8, 27, 4
	v_lshlrev_b32_sdwa v8, v13, v8 dst_sel:DWORD dst_unused:UNUSED_PAD src0_sel:DWORD src1_sel:BYTE_3
	v_sub_u32_e32 v12, 29, v12
	v_and_b32_e32 v8, 7, v8
	v_cmp_eq_u16_e32 vcc, 0, v6
	v_cndmask_b32_e32 v2, v2, v8, vcc
	v_cndmask_b32_e32 v6, v7, v12, vcc
	v_mov_b32_e32 v7, 0x3b800000
	v_lshlrev_b32_e32 v2, 20, v2
	v_lshl_add_u32 v6, v6, 23, v7
	v_or3_b32 v2, v3, v6, v2
.LBB2_3292:
	s_or_b64 exec, exec, s[6:7]
	s_movk_i32 s4, 0x7f
	v_cmp_gt_i16_sdwa s[6:7], v4, s4 src0_sel:BYTE_3 src1_sel:DWORD
	s_mov_b64 s[4:5], 0
                                        ; implicit-def: $sgpr10
	s_and_saveexec_b64 s[8:9], s[6:7]
	s_xor_b64 s[6:7], exec, s[8:9]
	s_cbranch_execz .LBB2_3293
; %bb.39133:
	s_getpc_b64 s[14:15]
.Lpost_getpc23150:
	s_add_u32 s14, s14, (.LBB2_17629-.Lpost_getpc23150)&4294967295
	s_addc_u32 s15, s15, (.LBB2_17629-.Lpost_getpc23150)>>32
	s_setpc_b64 s[14:15]
.LBB2_3293:
	s_or_saveexec_b64 s[6:7], s[6:7]
	v_mov_b32_e32 v3, s10
	s_xor_b64 exec, exec, s[6:7]
	s_cbranch_execz .LBB2_3294
; %bb.39135:
	s_getpc_b64 s[14:15]
.Lpost_getpc23151:
	s_add_u32 s14, s14, (.LBB2_17632-.Lpost_getpc23151)&4294967295
	s_addc_u32 s15, s15, (.LBB2_17632-.Lpost_getpc23151)>>32
	s_setpc_b64 s[14:15]
.LBB2_3294:
	s_or_b64 exec, exec, s[6:7]
	s_and_saveexec_b64 s[6:7], s[4:5]
	s_cbranch_execz .LBB2_3296
.LBB2_3295:
	v_bfe_u32 v3, v4, 24, 3
	v_ffbh_u32_e32 v12, v3
	v_min_u32_e32 v12, 32, v12
	v_lshrrev_b32_e32 v7, 27, v4
	v_subrev_u32_e32 v13, 28, v12
	v_and_b32_e32 v6, 0x80000000, v4
	v_and_b32_e32 v7, 15, v7
	v_bfe_u32 v8, v4, 27, 4
	v_lshlrev_b32_sdwa v4, v13, v4 dst_sel:DWORD dst_unused:UNUSED_PAD src0_sel:DWORD src1_sel:BYTE_3
	v_sub_u32_e32 v12, 29, v12
	v_and_b32_e32 v4, 7, v4
	v_cmp_eq_u16_e32 vcc, 0, v7
	v_cndmask_b32_e32 v3, v3, v4, vcc
	v_cndmask_b32_e32 v4, v8, v12, vcc
	v_mov_b32_e32 v7, 0x3b800000
	v_lshlrev_b32_e32 v3, 20, v3
	v_lshl_add_u32 v4, v4, 23, v7
	v_or3_b32 v3, v6, v4, v3
.LBB2_3296:
	s_or_b64 exec, exec, s[6:7]
	s_nop 0
	v_mfma_f32_16x16x4f32 a[0:3], v2, v3, a[0:3]
	s_movk_i32 s4, 0x7f
	v_cmp_gt_i16_sdwa s[6:7], v9, s4 src0_sel:BYTE_0 src1_sel:DWORD
	s_mov_b64 s[4:5], 0
                                        ; implicit-def: $sgpr10
	s_and_saveexec_b64 s[8:9], s[6:7]
	s_xor_b64 s[6:7], exec, s[8:9]
	s_cbranch_execz .LBB2_3297
; %bb.39137:
	s_getpc_b64 s[14:15]
.Lpost_getpc23152:
	s_add_u32 s14, s14, (.LBB2_17633-.Lpost_getpc23152)&4294967295
	s_addc_u32 s15, s15, (.LBB2_17633-.Lpost_getpc23152)>>32
	s_setpc_b64 s[14:15]
.LBB2_3297:
	s_or_saveexec_b64 s[6:7], s[6:7]
	v_mov_b32_e32 v2, s10
	s_xor_b64 exec, exec, s[6:7]
	s_cbranch_execz .LBB2_3298
; %bb.39139:
	s_getpc_b64 s[14:15]
.Lpost_getpc23153:
	s_add_u32 s14, s14, (.LBB2_17636-.Lpost_getpc23153)&4294967295
	s_addc_u32 s15, s15, (.LBB2_17636-.Lpost_getpc23153)>>32
	s_setpc_b64 s[14:15]
.LBB2_3298:
	s_or_b64 exec, exec, s[6:7]
	s_and_saveexec_b64 s[6:7], s[4:5]
	s_cbranch_execz .LBB2_3300
.LBB2_3299:
	v_mov_b32_e32 v2, 8
	v_and_b32_e32 v3, 7, v9
	v_lshrrev_b32_sdwa v2, v2, v9 dst_sel:BYTE_1 dst_unused:UNUSED_PAD src0_sel:DWORD src1_sel:DWORD
	v_ffbh_u32_e32 v4, v3
	v_or_b32_sdwa v2, v9, v2 dst_sel:DWORD dst_unused:UNUSED_PAD src0_sel:BYTE_0 src1_sel:DWORD
	v_min_u32_e32 v4, 32, v4
	v_lshrrev_b16_e32 v2, 3, v2
	v_subrev_u32_e32 v6, 28, v4
	v_and_b32_e32 v2, 15, v2
	v_lshlrev_b32_e32 v6, v6, v9
	v_sub_u32_e32 v4, 29, v4
	v_and_b32_e32 v6, 7, v6
	v_cmp_eq_u16_e32 vcc, 0, v2
	v_cndmask_b32_e32 v3, v3, v6, vcc
	v_cndmask_b32_e32 v2, v2, v4, vcc
	v_lshlrev_b32_e32 v4, 24, v9
	v_mov_b32_e32 v6, 0x3b800000
	v_lshlrev_b32_e32 v3, 20, v3
	v_and_b32_e32 v4, 0x80000000, v4
	v_lshl_add_u32 v2, v2, 23, v6
	v_or3_b32 v2, v4, v2, v3
.LBB2_3300:
	s_or_b64 exec, exec, s[6:7]
	s_movk_i32 s4, 0x7f
	v_cmp_gt_i16_sdwa s[6:7], v5, s4 src0_sel:BYTE_0 src1_sel:DWORD
	s_mov_b64 s[4:5], 0
                                        ; implicit-def: $sgpr10
	s_and_saveexec_b64 s[8:9], s[6:7]
	s_xor_b64 s[6:7], exec, s[8:9]
	s_cbranch_execz .LBB2_3301
; %bb.39141:
	s_getpc_b64 s[14:15]
.Lpost_getpc23154:
	s_add_u32 s14, s14, (.LBB2_17637-.Lpost_getpc23154)&4294967295
	s_addc_u32 s15, s15, (.LBB2_17637-.Lpost_getpc23154)>>32
	s_setpc_b64 s[14:15]
.LBB2_3301:
	s_or_saveexec_b64 s[6:7], s[6:7]
	v_mov_b32_e32 v3, s10
	s_xor_b64 exec, exec, s[6:7]
	s_cbranch_execz .LBB2_3302
; %bb.39143:
	s_getpc_b64 s[14:15]
.Lpost_getpc23155:
	s_add_u32 s14, s14, (.LBB2_17640-.Lpost_getpc23155)&4294967295
	s_addc_u32 s15, s15, (.LBB2_17640-.Lpost_getpc23155)>>32
	s_setpc_b64 s[14:15]
.LBB2_3302:
	s_or_b64 exec, exec, s[6:7]
	s_and_saveexec_b64 s[6:7], s[4:5]
	s_cbranch_execz .LBB2_3304
.LBB2_3303:
	v_mov_b32_e32 v3, 8
	v_and_b32_e32 v4, 7, v5
	v_lshrrev_b32_sdwa v3, v3, v5 dst_sel:BYTE_1 dst_unused:UNUSED_PAD src0_sel:DWORD src1_sel:DWORD
	v_ffbh_u32_e32 v6, v4
	v_or_b32_sdwa v3, v5, v3 dst_sel:DWORD dst_unused:UNUSED_PAD src0_sel:BYTE_0 src1_sel:DWORD
	v_min_u32_e32 v6, 32, v6
	v_lshrrev_b16_e32 v3, 3, v3
	v_subrev_u32_e32 v7, 28, v6
	v_and_b32_e32 v3, 15, v3
	v_lshlrev_b32_e32 v7, v7, v5
	v_sub_u32_e32 v6, 29, v6
	v_and_b32_e32 v7, 7, v7
	v_cmp_eq_u16_e32 vcc, 0, v3
	v_cndmask_b32_e32 v4, v4, v7, vcc
	v_cndmask_b32_e32 v3, v3, v6, vcc
	v_lshlrev_b32_e32 v6, 24, v5
	v_mov_b32_e32 v7, 0x3b800000
	v_lshlrev_b32_e32 v4, 20, v4
	v_and_b32_e32 v6, 0x80000000, v6
	v_lshl_add_u32 v3, v3, 23, v7
	v_or3_b32 v3, v6, v3, v4
.LBB2_3304:
	s_or_b64 exec, exec, s[6:7]
	s_nop 0
	v_mfma_f32_16x16x4f32 a[0:3], v2, v3, a[0:3]
	v_lshrrev_b32_e32 v3, 8, v9
	s_movk_i32 s4, 0x7f
	v_cmp_gt_i16_sdwa s[6:7], v3, s4 src0_sel:BYTE_0 src1_sel:DWORD
	s_mov_b64 s[4:5], 0
                                        ; implicit-def: $sgpr10
	s_and_saveexec_b64 s[8:9], s[6:7]
	s_xor_b64 s[6:7], exec, s[8:9]
	s_cbranch_execz .LBB2_3305
; %bb.39145:
	s_getpc_b64 s[14:15]
.Lpost_getpc23156:
	s_add_u32 s14, s14, (.LBB2_17641-.Lpost_getpc23156)&4294967295
	s_addc_u32 s15, s15, (.LBB2_17641-.Lpost_getpc23156)>>32
	s_setpc_b64 s[14:15]
.LBB2_3305:
	s_or_saveexec_b64 s[6:7], s[6:7]
	v_mov_b32_e32 v2, s10
	s_xor_b64 exec, exec, s[6:7]
	s_cbranch_execz .LBB2_3306
; %bb.39147:
	s_getpc_b64 s[14:15]
.Lpost_getpc23157:
	s_add_u32 s14, s14, (.LBB2_17644-.Lpost_getpc23157)&4294967295
	s_addc_u32 s15, s15, (.LBB2_17644-.Lpost_getpc23157)>>32
	s_setpc_b64 s[14:15]
.LBB2_3306:
	s_or_b64 exec, exec, s[6:7]
	s_and_saveexec_b64 s[6:7], s[4:5]
	s_cbranch_execz .LBB2_3308
.LBB2_3307:
	v_bfe_u32 v2, v9, 8, 3
	v_ffbh_u32_e32 v6, v2
	v_min_u32_e32 v6, 32, v6
	v_lshrrev_b16_e32 v4, 3, v3
	v_subrev_u32_e32 v7, 28, v6
	v_and_b32_e32 v4, 15, v4
	v_lshlrev_b32_e32 v3, v7, v3
	v_sub_u32_e32 v6, 29, v6
	v_and_b32_e32 v3, 7, v3
	v_cmp_eq_u16_e32 vcc, 0, v4
	v_cndmask_b32_e32 v2, v2, v3, vcc
	v_cndmask_b32_e32 v3, v4, v6, vcc
	v_lshlrev_b32_e32 v4, 16, v9
	v_mov_b32_e32 v6, 0x3b800000
	v_lshlrev_b32_e32 v2, 20, v2
	v_and_b32_e32 v4, 0x80000000, v4
	v_lshl_add_u32 v3, v3, 23, v6
	v_or3_b32 v2, v4, v3, v2
.LBB2_3308:
	s_or_b64 exec, exec, s[6:7]
	v_lshrrev_b32_e32 v3, 8, v5
	s_movk_i32 s4, 0x7f
	v_cmp_gt_i16_sdwa s[6:7], v3, s4 src0_sel:BYTE_0 src1_sel:DWORD
	s_mov_b64 s[4:5], 0
                                        ; implicit-def: $sgpr10
	s_and_saveexec_b64 s[8:9], s[6:7]
	s_xor_b64 s[6:7], exec, s[8:9]
	s_cbranch_execz .LBB2_3309
; %bb.39149:
	s_getpc_b64 s[14:15]
.Lpost_getpc23158:
	s_add_u32 s14, s14, (.LBB2_17645-.Lpost_getpc23158)&4294967295
	s_addc_u32 s15, s15, (.LBB2_17645-.Lpost_getpc23158)>>32
	s_setpc_b64 s[14:15]
.LBB2_3309:
	s_or_saveexec_b64 s[6:7], s[6:7]
	v_mov_b32_e32 v4, s10
	s_xor_b64 exec, exec, s[6:7]
	s_cbranch_execz .LBB2_3310
; %bb.39151:
	s_getpc_b64 s[14:15]
.Lpost_getpc23159:
	s_add_u32 s14, s14, (.LBB2_17648-.Lpost_getpc23159)&4294967295
	s_addc_u32 s15, s15, (.LBB2_17648-.Lpost_getpc23159)>>32
	s_setpc_b64 s[14:15]
.LBB2_3310:
	s_or_b64 exec, exec, s[6:7]
	s_and_saveexec_b64 s[6:7], s[4:5]
	s_cbranch_execz .LBB2_3312
.LBB2_3311:
	v_bfe_u32 v4, v5, 8, 3
	v_ffbh_u32_e32 v7, v4
	v_min_u32_e32 v7, 32, v7
	v_lshrrev_b16_e32 v6, 3, v3
	v_subrev_u32_e32 v8, 28, v7
	v_and_b32_e32 v6, 15, v6
	v_lshlrev_b32_e32 v3, v8, v3
	v_sub_u32_e32 v7, 29, v7
	v_and_b32_e32 v3, 7, v3
	v_cmp_eq_u16_e32 vcc, 0, v6
	v_cndmask_b32_e32 v3, v4, v3, vcc
	v_cndmask_b32_e32 v4, v6, v7, vcc
	v_lshlrev_b32_e32 v6, 16, v5
	v_mov_b32_e32 v7, 0x3b800000
	v_lshlrev_b32_e32 v3, 20, v3
	v_and_b32_e32 v6, 0x80000000, v6
	v_lshl_add_u32 v4, v4, 23, v7
	v_or3_b32 v4, v6, v4, v3
.LBB2_3312:
	s_or_b64 exec, exec, s[6:7]
	s_nop 0
	v_mfma_f32_16x16x4f32 a[0:3], v2, v4, a[0:3]
	s_movk_i32 s4, 0xff
	v_and_b32_sdwa v3, v9, s4 dst_sel:DWORD dst_unused:UNUSED_PAD src0_sel:WORD_1 src1_sel:DWORD
	s_movk_i32 s4, 0x7f
	v_cmp_lt_i16_e32 vcc, s4, v3
	s_mov_b64 s[4:5], 0
                                        ; implicit-def: $sgpr10
	s_and_saveexec_b64 s[6:7], vcc
	s_xor_b64 s[6:7], exec, s[6:7]
	s_cbranch_execz .LBB2_3313
; %bb.39153:
	s_getpc_b64 s[14:15]
.Lpost_getpc23160:
	s_add_u32 s14, s14, (.LBB2_17649-.Lpost_getpc23160)&4294967295
	s_addc_u32 s15, s15, (.LBB2_17649-.Lpost_getpc23160)>>32
	s_setpc_b64 s[14:15]
.LBB2_3313:
	s_or_saveexec_b64 s[6:7], s[6:7]
	v_mov_b32_e32 v2, s10
	s_xor_b64 exec, exec, s[6:7]
	s_cbranch_execz .LBB2_3314
; %bb.39155:
	s_getpc_b64 s[14:15]
.Lpost_getpc23161:
	s_add_u32 s14, s14, (.LBB2_17652-.Lpost_getpc23161)&4294967295
	s_addc_u32 s15, s15, (.LBB2_17652-.Lpost_getpc23161)>>32
	s_setpc_b64 s[14:15]
.LBB2_3314:
	s_or_b64 exec, exec, s[6:7]
	s_and_saveexec_b64 s[6:7], s[4:5]
	s_cbranch_execz .LBB2_3316
.LBB2_3315:
	v_bfe_u32 v2, v9, 16, 3
	v_ffbh_u32_e32 v6, v2
	v_min_u32_e32 v6, 32, v6
	v_lshrrev_b32_e32 v3, 19, v9
	v_subrev_u32_e32 v7, 28, v6
	v_and_b32_e32 v3, 15, v3
	v_lshlrev_b32_sdwa v7, v7, v9 dst_sel:DWORD dst_unused:UNUSED_PAD src0_sel:DWORD src1_sel:WORD_1
	v_bfe_u32 v4, v9, 19, 4
	v_sub_u32_e32 v6, 29, v6
	v_and_b32_e32 v7, 7, v7
	v_cmp_eq_u16_e32 vcc, 0, v3
	v_cndmask_b32_e32 v2, v2, v7, vcc
	v_cndmask_b32_e32 v3, v4, v6, vcc
	v_lshlrev_b32_e32 v4, 8, v9
	v_mov_b32_e32 v6, 0x3b800000
	v_lshlrev_b32_e32 v2, 20, v2
	v_and_b32_e32 v4, 0x80000000, v4
	v_lshl_add_u32 v3, v3, 23, v6
	v_or3_b32 v2, v4, v3, v2
.LBB2_3316:
	s_or_b64 exec, exec, s[6:7]
	s_movk_i32 s4, 0xff
	v_and_b32_sdwa v3, v5, s4 dst_sel:DWORD dst_unused:UNUSED_PAD src0_sel:WORD_1 src1_sel:DWORD
	s_movk_i32 s4, 0x7f
	v_cmp_lt_i16_e32 vcc, s4, v3
	s_mov_b64 s[4:5], 0
                                        ; implicit-def: $sgpr10
	s_and_saveexec_b64 s[6:7], vcc
	s_xor_b64 s[6:7], exec, s[6:7]
	s_cbranch_execz .LBB2_3317
; %bb.39157:
	s_getpc_b64 s[14:15]
.Lpost_getpc23162:
	s_add_u32 s14, s14, (.LBB2_17653-.Lpost_getpc23162)&4294967295
	s_addc_u32 s15, s15, (.LBB2_17653-.Lpost_getpc23162)>>32
	s_setpc_b64 s[14:15]
.LBB2_3317:
	s_or_saveexec_b64 s[6:7], s[6:7]
	v_mov_b32_e32 v4, s10
	s_xor_b64 exec, exec, s[6:7]
	s_cbranch_execz .LBB2_3318
; %bb.39159:
	s_getpc_b64 s[14:15]
.Lpost_getpc23163:
	s_add_u32 s14, s14, (.LBB2_17656-.Lpost_getpc23163)&4294967295
	s_addc_u32 s15, s15, (.LBB2_17656-.Lpost_getpc23163)>>32
	s_setpc_b64 s[14:15]
.LBB2_3318:
	s_or_b64 exec, exec, s[6:7]
	s_and_saveexec_b64 s[6:7], s[4:5]
	s_cbranch_execz .LBB2_3320
.LBB2_3319:
	v_bfe_u32 v3, v5, 16, 3
	v_ffbh_u32_e32 v7, v3
	v_min_u32_e32 v7, 32, v7
	v_lshrrev_b32_e32 v4, 19, v5
	v_subrev_u32_e32 v8, 28, v7
	v_and_b32_e32 v4, 15, v4
	v_lshlrev_b32_sdwa v8, v8, v5 dst_sel:DWORD dst_unused:UNUSED_PAD src0_sel:DWORD src1_sel:WORD_1
	v_bfe_u32 v6, v5, 19, 4
	v_sub_u32_e32 v7, 29, v7
	v_and_b32_e32 v8, 7, v8
	v_cmp_eq_u16_e32 vcc, 0, v4
	v_cndmask_b32_e32 v3, v3, v8, vcc
	v_cndmask_b32_e32 v4, v6, v7, vcc
	v_lshlrev_b32_e32 v6, 8, v5
	v_mov_b32_e32 v7, 0x3b800000
	v_lshlrev_b32_e32 v3, 20, v3
	v_and_b32_e32 v6, 0x80000000, v6
	v_lshl_add_u32 v4, v4, 23, v7
	v_or3_b32 v4, v6, v4, v3
.LBB2_3320:
	s_or_b64 exec, exec, s[6:7]
	s_nop 0
	v_mfma_f32_16x16x4f32 a[0:3], v2, v4, a[0:3]
	s_movk_i32 s4, 0x7f
	v_cmp_gt_i16_sdwa s[6:7], v9, s4 src0_sel:BYTE_3 src1_sel:DWORD
	s_mov_b64 s[4:5], 0
                                        ; implicit-def: $sgpr10
	s_and_saveexec_b64 s[8:9], s[6:7]
	s_xor_b64 s[6:7], exec, s[8:9]
	s_cbranch_execz .LBB2_3321
; %bb.39161:
	s_getpc_b64 s[14:15]
.Lpost_getpc23164:
	s_add_u32 s14, s14, (.LBB2_17657-.Lpost_getpc23164)&4294967295
	s_addc_u32 s15, s15, (.LBB2_17657-.Lpost_getpc23164)>>32
	s_setpc_b64 s[14:15]
.LBB2_3321:
	s_or_saveexec_b64 s[6:7], s[6:7]
	v_mov_b32_e32 v2, s10
	s_xor_b64 exec, exec, s[6:7]
	s_cbranch_execz .LBB2_3322
; %bb.39163:
	s_getpc_b64 s[14:15]
.Lpost_getpc23165:
	s_add_u32 s14, s14, (.LBB2_17660-.Lpost_getpc23165)&4294967295
	s_addc_u32 s15, s15, (.LBB2_17660-.Lpost_getpc23165)>>32
	s_setpc_b64 s[14:15]
.LBB2_3322:
	s_or_b64 exec, exec, s[6:7]
	s_and_saveexec_b64 s[6:7], s[4:5]
	s_cbranch_execz .LBB2_3324
.LBB2_3323:
	v_bfe_u32 v2, v9, 24, 3
	v_ffbh_u32_e32 v7, v2
	v_min_u32_e32 v7, 32, v7
	v_lshrrev_b32_e32 v4, 27, v9
	v_subrev_u32_e32 v8, 28, v7
	v_and_b32_e32 v4, 15, v4
	v_lshlrev_b32_sdwa v8, v8, v9 dst_sel:DWORD dst_unused:UNUSED_PAD src0_sel:DWORD src1_sel:BYTE_3
	v_bfe_u32 v6, v9, 27, 4
	v_sub_u32_e32 v7, 29, v7
	v_and_b32_e32 v8, 7, v8
	v_cmp_eq_u16_e32 vcc, 0, v4
	v_cndmask_b32_e32 v2, v2, v8, vcc
	v_cndmask_b32_e32 v4, v6, v7, vcc
	v_mov_b32_e32 v6, 0x3b800000
	v_and_b32_e32 v3, 0x80000000, v9
	v_lshlrev_b32_e32 v2, 20, v2
	v_lshl_add_u32 v4, v4, 23, v6
	v_or3_b32 v2, v3, v4, v2
.LBB2_3324:
	s_or_b64 exec, exec, s[6:7]
	s_movk_i32 s4, 0x7f
	v_cmp_gt_i16_sdwa s[6:7], v5, s4 src0_sel:BYTE_3 src1_sel:DWORD
	s_mov_b64 s[4:5], 0
                                        ; implicit-def: $sgpr10
	s_and_saveexec_b64 s[8:9], s[6:7]
	s_xor_b64 s[6:7], exec, s[8:9]
	s_cbranch_execz .LBB2_3325
; %bb.39165:
	s_getpc_b64 s[14:15]
.Lpost_getpc23166:
	s_add_u32 s14, s14, (.LBB2_17661-.Lpost_getpc23166)&4294967295
	s_addc_u32 s15, s15, (.LBB2_17661-.Lpost_getpc23166)>>32
	s_setpc_b64 s[14:15]
.LBB2_3325:
	s_or_saveexec_b64 s[6:7], s[6:7]
	v_mov_b32_e32 v3, s10
	s_xor_b64 exec, exec, s[6:7]
	s_cbranch_execz .LBB2_3326
; %bb.39167:
	s_getpc_b64 s[14:15]
.Lpost_getpc23167:
	s_add_u32 s14, s14, (.LBB2_17664-.Lpost_getpc23167)&4294967295
	s_addc_u32 s15, s15, (.LBB2_17664-.Lpost_getpc23167)>>32
	s_setpc_b64 s[14:15]
.LBB2_3326:
	s_or_b64 exec, exec, s[6:7]
	s_and_saveexec_b64 s[6:7], s[4:5]
	s_cbranch_execz .LBB2_3328
.LBB2_3327:
	v_bfe_u32 v3, v5, 24, 3
	v_ffbh_u32_e32 v8, v3
	v_min_u32_e32 v8, 32, v8
	v_lshrrev_b32_e32 v6, 27, v5
	v_subrev_u32_e32 v9, 28, v8
	v_and_b32_e32 v4, 0x80000000, v5
	v_and_b32_e32 v6, 15, v6
	v_bfe_u32 v7, v5, 27, 4
	v_lshlrev_b32_sdwa v5, v9, v5 dst_sel:DWORD dst_unused:UNUSED_PAD src0_sel:DWORD src1_sel:BYTE_3
	v_sub_u32_e32 v8, 29, v8
	v_and_b32_e32 v5, 7, v5
	v_cmp_eq_u16_e32 vcc, 0, v6
	v_cndmask_b32_e32 v3, v3, v5, vcc
	v_cndmask_b32_e32 v5, v7, v8, vcc
	v_mov_b32_e32 v6, 0x3b800000
	v_lshlrev_b32_e32 v3, 20, v3
	v_lshl_add_u32 v5, v5, 23, v6
	v_or3_b32 v3, v4, v5, v3
.LBB2_3328:
	s_or_b64 exec, exec, s[6:7]
	s_nop 0
	v_mfma_f32_16x16x4f32 a[0:3], v2, v3, a[0:3]
	s_movk_i32 s4, 0x7f
                                        ; implicit-def: $sgpr10
	s_nop 7
	s_nop 1
	flat_store_dwordx4 v[10:11], a[0:3] offset:400
	flat_load_dwordx4 v[12:15], v[0:1]
	s_nop 0
	flat_load_dwordx2 v[10:11], v[0:1] offset:16
	s_waitcnt vmcnt(0) lgkmcnt(0)
	flat_load_dwordx4 v[6:9], v[12:13] offset:48
	flat_load_dwordx4 v[2:5], v[14:15] offset:32
	s_waitcnt vmcnt(0) lgkmcnt(0)
	v_cmp_gt_i16_sdwa s[6:7], v6, s4 src0_sel:BYTE_0 src1_sel:DWORD
	s_mov_b64 s[4:5], 0
	s_and_saveexec_b64 s[8:9], s[6:7]
	s_xor_b64 s[6:7], exec, s[8:9]
	s_cbranch_execz .LBB2_3329
; %bb.39169:
	s_getpc_b64 s[14:15]
.Lpost_getpc23168:
	s_add_u32 s14, s14, (.LBB2_17665-.Lpost_getpc23168)&4294967295
	s_addc_u32 s15, s15, (.LBB2_17665-.Lpost_getpc23168)>>32
	s_setpc_b64 s[14:15]
.LBB2_3329:
	s_or_saveexec_b64 s[6:7], s[6:7]
	v_mov_b32_e32 v12, s10
	s_xor_b64 exec, exec, s[6:7]
	s_cbranch_execz .LBB2_3330
; %bb.39171:
	s_getpc_b64 s[14:15]
.Lpost_getpc23169:
	s_add_u32 s14, s14, (.LBB2_17668-.Lpost_getpc23169)&4294967295
	s_addc_u32 s15, s15, (.LBB2_17668-.Lpost_getpc23169)>>32
	s_setpc_b64 s[14:15]
.LBB2_3330:
	s_or_b64 exec, exec, s[6:7]
	s_and_saveexec_b64 s[6:7], s[4:5]
	s_cbranch_execz .LBB2_3332
.LBB2_3331:
	v_and_b32_e32 v12, 7, v6
	v_ffbh_u32_e32 v14, v12
	v_min_u32_e32 v14, 32, v14
	v_lshrrev_b16_e32 v13, 3, v6
	v_subrev_u32_e32 v15, 28, v14
	v_and_b32_e32 v13, 15, v13
	v_lshlrev_b32_e32 v15, v15, v6
	v_sub_u32_e32 v14, 29, v14
	v_and_b32_e32 v15, 7, v15
	v_cmp_eq_u16_e32 vcc, 0, v13
	v_cndmask_b32_e32 v12, v12, v15, vcc
	v_cndmask_b32_e32 v13, v13, v14, vcc
	v_lshlrev_b32_e32 v14, 24, v6
	v_mov_b32_e32 v15, 0x3b800000
	v_lshlrev_b32_e32 v12, 20, v12
	v_and_b32_e32 v14, 0x80000000, v14
	v_lshl_add_u32 v13, v13, 23, v15
	v_or3_b32 v12, v14, v13, v12
.LBB2_3332:
	s_or_b64 exec, exec, s[6:7]
	s_movk_i32 s4, 0x7f
	v_cmp_gt_i16_sdwa s[6:7], v2, s4 src0_sel:BYTE_0 src1_sel:DWORD
	s_mov_b64 s[4:5], 0
                                        ; implicit-def: $sgpr10
	s_and_saveexec_b64 s[8:9], s[6:7]
	s_xor_b64 s[6:7], exec, s[8:9]
	s_cbranch_execz .LBB2_3333
; %bb.39173:
	s_getpc_b64 s[14:15]
.Lpost_getpc23170:
	s_add_u32 s14, s14, (.LBB2_17669-.Lpost_getpc23170)&4294967295
	s_addc_u32 s15, s15, (.LBB2_17669-.Lpost_getpc23170)>>32
	s_setpc_b64 s[14:15]
.LBB2_3333:
	s_or_saveexec_b64 s[6:7], s[6:7]
	v_mov_b32_e32 v13, s10
	s_xor_b64 exec, exec, s[6:7]
	s_cbranch_execz .LBB2_3334
; %bb.39175:
	s_getpc_b64 s[14:15]
.Lpost_getpc23171:
	s_add_u32 s14, s14, (.LBB2_17672-.Lpost_getpc23171)&4294967295
	s_addc_u32 s15, s15, (.LBB2_17672-.Lpost_getpc23171)>>32
	s_setpc_b64 s[14:15]
.LBB2_3334:
	s_or_b64 exec, exec, s[6:7]
	s_and_saveexec_b64 s[6:7], s[4:5]
	s_cbranch_execz .LBB2_3336
.LBB2_3335:
	v_and_b32_e32 v13, 7, v2
	v_ffbh_u32_e32 v15, v13
	v_min_u32_e32 v15, 32, v15
	v_lshrrev_b16_e32 v14, 3, v2
	v_subrev_u32_e32 v16, 28, v15
	v_and_b32_e32 v14, 15, v14
	v_lshlrev_b32_e32 v16, v16, v2
	v_sub_u32_e32 v15, 29, v15
	v_and_b32_e32 v16, 7, v16
	v_cmp_eq_u16_e32 vcc, 0, v14
	v_cndmask_b32_e32 v13, v13, v16, vcc
	v_cndmask_b32_e32 v14, v14, v15, vcc
	v_lshlrev_b32_e32 v15, 24, v2
	v_mov_b32_e32 v16, 0x3b800000
	v_lshlrev_b32_e32 v13, 20, v13
	v_and_b32_e32 v15, 0x80000000, v15
	v_lshl_add_u32 v14, v14, 23, v16
	v_or3_b32 v13, v15, v14, v13
.LBB2_3336:
	s_or_b64 exec, exec, s[6:7]
	flat_load_dwordx4 a[0:3], v[10:11] offset:416
	s_movk_i32 s4, 0x7f
                                        ; implicit-def: $sgpr10
	s_waitcnt vmcnt(0) lgkmcnt(0)
	v_mfma_f32_16x16x4f32 a[0:3], v12, v13, a[0:3]
	v_lshrrev_b32_e32 v13, 8, v6
	v_cmp_gt_i16_sdwa s[6:7], v13, s4 src0_sel:BYTE_0 src1_sel:DWORD
	s_mov_b64 s[4:5], 0
	s_and_saveexec_b64 s[8:9], s[6:7]
	s_xor_b64 s[6:7], exec, s[8:9]
	s_cbranch_execz .LBB2_3337
; %bb.39177:
	s_getpc_b64 s[14:15]
.Lpost_getpc23172:
	s_add_u32 s14, s14, (.LBB2_17673-.Lpost_getpc23172)&4294967295
	s_addc_u32 s15, s15, (.LBB2_17673-.Lpost_getpc23172)>>32
	s_setpc_b64 s[14:15]
.LBB2_3337:
	s_or_saveexec_b64 s[6:7], s[6:7]
	v_mov_b32_e32 v12, s10
	s_xor_b64 exec, exec, s[6:7]
	s_cbranch_execz .LBB2_3338
; %bb.39179:
	s_getpc_b64 s[14:15]
.Lpost_getpc23173:
	s_add_u32 s14, s14, (.LBB2_17676-.Lpost_getpc23173)&4294967295
	s_addc_u32 s15, s15, (.LBB2_17676-.Lpost_getpc23173)>>32
	s_setpc_b64 s[14:15]
.LBB2_3338:
	s_or_b64 exec, exec, s[6:7]
	s_and_saveexec_b64 s[6:7], s[4:5]
	s_cbranch_execz .LBB2_3340
.LBB2_3339:
	v_bfe_u32 v12, v6, 8, 3
	v_ffbh_u32_e32 v15, v12
	v_min_u32_e32 v15, 32, v15
	v_lshrrev_b16_e32 v14, 3, v13
	v_subrev_u32_e32 v16, 28, v15
	v_and_b32_e32 v14, 15, v14
	v_lshlrev_b32_e32 v13, v16, v13
	v_sub_u32_e32 v15, 29, v15
	v_and_b32_e32 v13, 7, v13
	v_cmp_eq_u16_e32 vcc, 0, v14
	v_cndmask_b32_e32 v12, v12, v13, vcc
	v_cndmask_b32_e32 v13, v14, v15, vcc
	v_lshlrev_b32_e32 v14, 16, v6
	v_mov_b32_e32 v15, 0x3b800000
	v_lshlrev_b32_e32 v12, 20, v12
	v_and_b32_e32 v14, 0x80000000, v14
	v_lshl_add_u32 v13, v13, 23, v15
	v_or3_b32 v12, v14, v13, v12
.LBB2_3340:
	s_or_b64 exec, exec, s[6:7]
	v_lshrrev_b32_e32 v13, 8, v2
	s_movk_i32 s4, 0x7f
	v_cmp_gt_i16_sdwa s[6:7], v13, s4 src0_sel:BYTE_0 src1_sel:DWORD
	s_mov_b64 s[4:5], 0
                                        ; implicit-def: $sgpr10
	s_and_saveexec_b64 s[8:9], s[6:7]
	s_xor_b64 s[6:7], exec, s[8:9]
	s_cbranch_execz .LBB2_3341
; %bb.39181:
	s_getpc_b64 s[14:15]
.Lpost_getpc23174:
	s_add_u32 s14, s14, (.LBB2_17677-.Lpost_getpc23174)&4294967295
	s_addc_u32 s15, s15, (.LBB2_17677-.Lpost_getpc23174)>>32
	s_setpc_b64 s[14:15]
.LBB2_3341:
	s_or_saveexec_b64 s[6:7], s[6:7]
	v_mov_b32_e32 v14, s10
	s_xor_b64 exec, exec, s[6:7]
	s_cbranch_execz .LBB2_3342
; %bb.39183:
	s_getpc_b64 s[14:15]
.Lpost_getpc23175:
	s_add_u32 s14, s14, (.LBB2_17680-.Lpost_getpc23175)&4294967295
	s_addc_u32 s15, s15, (.LBB2_17680-.Lpost_getpc23175)>>32
	s_setpc_b64 s[14:15]
.LBB2_3342:
	s_or_b64 exec, exec, s[6:7]
	s_and_saveexec_b64 s[6:7], s[4:5]
	s_cbranch_execz .LBB2_3344
.LBB2_3343:
	v_bfe_u32 v14, v2, 8, 3
	v_ffbh_u32_e32 v16, v14
	v_min_u32_e32 v16, 32, v16
	v_lshrrev_b16_e32 v15, 3, v13
	v_subrev_u32_e32 v17, 28, v16
	v_and_b32_e32 v15, 15, v15
	v_lshlrev_b32_e32 v13, v17, v13
	v_sub_u32_e32 v16, 29, v16
	v_and_b32_e32 v13, 7, v13
	v_cmp_eq_u16_e32 vcc, 0, v15
	v_cndmask_b32_e32 v13, v14, v13, vcc
	v_cndmask_b32_e32 v14, v15, v16, vcc
	v_lshlrev_b32_e32 v15, 16, v2
	v_mov_b32_e32 v16, 0x3b800000
	v_lshlrev_b32_e32 v13, 20, v13
	v_and_b32_e32 v15, 0x80000000, v15
	v_lshl_add_u32 v14, v14, 23, v16
	v_or3_b32 v14, v15, v14, v13
.LBB2_3344:
	s_or_b64 exec, exec, s[6:7]
	s_nop 0
	v_mfma_f32_16x16x4f32 a[0:3], v12, v14, a[0:3]
	s_movk_i32 s4, 0xff
	v_and_b32_sdwa v13, v6, s4 dst_sel:DWORD dst_unused:UNUSED_PAD src0_sel:WORD_1 src1_sel:DWORD
	s_movk_i32 s4, 0x7f
	v_cmp_lt_i16_e32 vcc, s4, v13
	s_mov_b64 s[4:5], 0
                                        ; implicit-def: $sgpr10
	s_and_saveexec_b64 s[6:7], vcc
	s_xor_b64 s[6:7], exec, s[6:7]
	s_cbranch_execz .LBB2_3345
; %bb.39185:
	s_getpc_b64 s[14:15]
.Lpost_getpc23176:
	s_add_u32 s14, s14, (.LBB2_17681-.Lpost_getpc23176)&4294967295
	s_addc_u32 s15, s15, (.LBB2_17681-.Lpost_getpc23176)>>32
	s_setpc_b64 s[14:15]
.LBB2_3345:
	s_or_saveexec_b64 s[6:7], s[6:7]
	v_mov_b32_e32 v12, s10
	s_xor_b64 exec, exec, s[6:7]
	s_cbranch_execz .LBB2_3346
; %bb.39187:
	s_getpc_b64 s[14:15]
.Lpost_getpc23177:
	s_add_u32 s14, s14, (.LBB2_17684-.Lpost_getpc23177)&4294967295
	s_addc_u32 s15, s15, (.LBB2_17684-.Lpost_getpc23177)>>32
	s_setpc_b64 s[14:15]
.LBB2_3346:
	s_or_b64 exec, exec, s[6:7]
	s_and_saveexec_b64 s[6:7], s[4:5]
	s_cbranch_execz .LBB2_3348
.LBB2_3347:
	v_bfe_u32 v12, v6, 16, 3
	v_ffbh_u32_e32 v15, v12
	v_min_u32_e32 v15, 32, v15
	v_lshrrev_b32_e32 v13, 19, v6
	v_subrev_u32_e32 v16, 28, v15
	v_and_b32_e32 v13, 15, v13
	v_lshlrev_b32_sdwa v16, v16, v6 dst_sel:DWORD dst_unused:UNUSED_PAD src0_sel:DWORD src1_sel:WORD_1
	v_bfe_u32 v14, v6, 19, 4
	v_sub_u32_e32 v15, 29, v15
	v_and_b32_e32 v16, 7, v16
	v_cmp_eq_u16_e32 vcc, 0, v13
	v_cndmask_b32_e32 v12, v12, v16, vcc
	v_cndmask_b32_e32 v13, v14, v15, vcc
	v_lshlrev_b32_e32 v14, 8, v6
	v_mov_b32_e32 v15, 0x3b800000
	v_lshlrev_b32_e32 v12, 20, v12
	v_and_b32_e32 v14, 0x80000000, v14
	v_lshl_add_u32 v13, v13, 23, v15
	v_or3_b32 v12, v14, v13, v12
.LBB2_3348:
	s_or_b64 exec, exec, s[6:7]
	s_movk_i32 s4, 0xff
	v_and_b32_sdwa v13, v2, s4 dst_sel:DWORD dst_unused:UNUSED_PAD src0_sel:WORD_1 src1_sel:DWORD
	s_movk_i32 s4, 0x7f
	v_cmp_lt_i16_e32 vcc, s4, v13
	s_mov_b64 s[4:5], 0
                                        ; implicit-def: $sgpr10
	s_and_saveexec_b64 s[6:7], vcc
	s_xor_b64 s[6:7], exec, s[6:7]
	s_cbranch_execz .LBB2_3349
; %bb.39189:
	s_getpc_b64 s[14:15]
.Lpost_getpc23178:
	s_add_u32 s14, s14, (.LBB2_17685-.Lpost_getpc23178)&4294967295
	s_addc_u32 s15, s15, (.LBB2_17685-.Lpost_getpc23178)>>32
	s_setpc_b64 s[14:15]
.LBB2_3349:
	s_or_saveexec_b64 s[6:7], s[6:7]
	v_mov_b32_e32 v14, s10
	s_xor_b64 exec, exec, s[6:7]
	s_cbranch_execz .LBB2_3350
; %bb.39191:
	s_getpc_b64 s[14:15]
.Lpost_getpc23179:
	s_add_u32 s14, s14, (.LBB2_17688-.Lpost_getpc23179)&4294967295
	s_addc_u32 s15, s15, (.LBB2_17688-.Lpost_getpc23179)>>32
	s_setpc_b64 s[14:15]
.LBB2_3350:
	s_or_b64 exec, exec, s[6:7]
	s_and_saveexec_b64 s[6:7], s[4:5]
	s_cbranch_execz .LBB2_3352
.LBB2_3351:
	v_bfe_u32 v13, v2, 16, 3
	v_ffbh_u32_e32 v16, v13
	v_min_u32_e32 v16, 32, v16
	v_lshrrev_b32_e32 v14, 19, v2
	v_subrev_u32_e32 v17, 28, v16
	v_and_b32_e32 v14, 15, v14
	v_lshlrev_b32_sdwa v17, v17, v2 dst_sel:DWORD dst_unused:UNUSED_PAD src0_sel:DWORD src1_sel:WORD_1
	v_bfe_u32 v15, v2, 19, 4
	v_sub_u32_e32 v16, 29, v16
	v_and_b32_e32 v17, 7, v17
	v_cmp_eq_u16_e32 vcc, 0, v14
	v_cndmask_b32_e32 v13, v13, v17, vcc
	v_cndmask_b32_e32 v14, v15, v16, vcc
	v_lshlrev_b32_e32 v15, 8, v2
	v_mov_b32_e32 v16, 0x3b800000
	v_lshlrev_b32_e32 v13, 20, v13
	v_and_b32_e32 v15, 0x80000000, v15
	v_lshl_add_u32 v14, v14, 23, v16
	v_or3_b32 v14, v15, v14, v13
.LBB2_3352:
	s_or_b64 exec, exec, s[6:7]
	s_nop 0
	v_mfma_f32_16x16x4f32 a[0:3], v12, v14, a[0:3]
	s_movk_i32 s4, 0x7f
	v_cmp_gt_i16_sdwa s[6:7], v6, s4 src0_sel:BYTE_3 src1_sel:DWORD
	s_mov_b64 s[4:5], 0
                                        ; implicit-def: $sgpr10
	s_and_saveexec_b64 s[8:9], s[6:7]
	s_xor_b64 s[6:7], exec, s[8:9]
	s_cbranch_execz .LBB2_3353
; %bb.39193:
	s_getpc_b64 s[14:15]
.Lpost_getpc23180:
	s_add_u32 s14, s14, (.LBB2_17689-.Lpost_getpc23180)&4294967295
	s_addc_u32 s15, s15, (.LBB2_17689-.Lpost_getpc23180)>>32
	s_setpc_b64 s[14:15]
.LBB2_3353:
	s_or_saveexec_b64 s[6:7], s[6:7]
	v_mov_b32_e32 v12, s10
	s_xor_b64 exec, exec, s[6:7]
	s_cbranch_execz .LBB2_3354
; %bb.39195:
	s_getpc_b64 s[14:15]
.Lpost_getpc23181:
	s_add_u32 s14, s14, (.LBB2_17692-.Lpost_getpc23181)&4294967295
	s_addc_u32 s15, s15, (.LBB2_17692-.Lpost_getpc23181)>>32
	s_setpc_b64 s[14:15]
.LBB2_3354:
	s_or_b64 exec, exec, s[6:7]
	s_and_saveexec_b64 s[6:7], s[4:5]
	s_cbranch_execz .LBB2_3356
.LBB2_3355:
	v_bfe_u32 v12, v6, 24, 3
	v_ffbh_u32_e32 v16, v12
	v_min_u32_e32 v16, 32, v16
	v_lshrrev_b32_e32 v14, 27, v6
	v_subrev_u32_e32 v17, 28, v16
	v_and_b32_e32 v13, 0x80000000, v6
	v_and_b32_e32 v14, 15, v14
	v_bfe_u32 v15, v6, 27, 4
	v_lshlrev_b32_sdwa v6, v17, v6 dst_sel:DWORD dst_unused:UNUSED_PAD src0_sel:DWORD src1_sel:BYTE_3
	v_sub_u32_e32 v16, 29, v16
	v_and_b32_e32 v6, 7, v6
	v_cmp_eq_u16_e32 vcc, 0, v14
	v_cndmask_b32_e32 v6, v12, v6, vcc
	v_cndmask_b32_e32 v12, v15, v16, vcc
	v_mov_b32_e32 v14, 0x3b800000
	v_lshlrev_b32_e32 v6, 20, v6
	v_lshl_add_u32 v12, v12, 23, v14
	v_or3_b32 v12, v13, v12, v6
.LBB2_3356:
	s_or_b64 exec, exec, s[6:7]
	s_movk_i32 s4, 0x7f
	v_cmp_gt_i16_sdwa s[6:7], v2, s4 src0_sel:BYTE_3 src1_sel:DWORD
	s_mov_b64 s[4:5], 0
                                        ; implicit-def: $sgpr10
	s_and_saveexec_b64 s[8:9], s[6:7]
	s_xor_b64 s[6:7], exec, s[8:9]
	s_cbranch_execz .LBB2_3357
; %bb.39197:
	s_getpc_b64 s[14:15]
.Lpost_getpc23182:
	s_add_u32 s14, s14, (.LBB2_17693-.Lpost_getpc23182)&4294967295
	s_addc_u32 s15, s15, (.LBB2_17693-.Lpost_getpc23182)>>32
	s_setpc_b64 s[14:15]
.LBB2_3357:
	s_or_saveexec_b64 s[6:7], s[6:7]
	v_mov_b32_e32 v6, s10
	s_xor_b64 exec, exec, s[6:7]
	s_cbranch_execz .LBB2_3358
; %bb.39199:
	s_getpc_b64 s[14:15]
.Lpost_getpc23183:
	s_add_u32 s14, s14, (.LBB2_17696-.Lpost_getpc23183)&4294967295
	s_addc_u32 s15, s15, (.LBB2_17696-.Lpost_getpc23183)>>32
	s_setpc_b64 s[14:15]
.LBB2_3358:
	s_or_b64 exec, exec, s[6:7]
	s_and_saveexec_b64 s[6:7], s[4:5]
	s_cbranch_execz .LBB2_3360
.LBB2_3359:
	v_bfe_u32 v6, v2, 24, 3
	v_ffbh_u32_e32 v16, v6
	v_min_u32_e32 v16, 32, v16
	v_lshrrev_b32_e32 v14, 27, v2
	v_subrev_u32_e32 v17, 28, v16
	v_and_b32_e32 v13, 0x80000000, v2
	v_and_b32_e32 v14, 15, v14
	v_bfe_u32 v15, v2, 27, 4
	v_lshlrev_b32_sdwa v2, v17, v2 dst_sel:DWORD dst_unused:UNUSED_PAD src0_sel:DWORD src1_sel:BYTE_3
	v_sub_u32_e32 v16, 29, v16
	v_and_b32_e32 v2, 7, v2
	v_cmp_eq_u16_e32 vcc, 0, v14
	v_cndmask_b32_e32 v2, v6, v2, vcc
	v_cndmask_b32_e32 v6, v15, v16, vcc
	v_mov_b32_e32 v14, 0x3b800000
	v_lshlrev_b32_e32 v2, 20, v2
	v_lshl_add_u32 v6, v6, 23, v14
	v_or3_b32 v6, v13, v6, v2
.LBB2_3360:
	s_or_b64 exec, exec, s[6:7]
	s_nop 0
	v_mfma_f32_16x16x4f32 a[0:3], v12, v6, a[0:3]
	s_movk_i32 s4, 0x7f
	v_cmp_gt_i16_sdwa s[6:7], v7, s4 src0_sel:BYTE_0 src1_sel:DWORD
	s_mov_b64 s[4:5], 0
                                        ; implicit-def: $sgpr10
	s_and_saveexec_b64 s[8:9], s[6:7]
	s_xor_b64 s[6:7], exec, s[8:9]
	s_cbranch_execz .LBB2_3361
; %bb.39201:
	s_getpc_b64 s[14:15]
.Lpost_getpc23184:
	s_add_u32 s14, s14, (.LBB2_17697-.Lpost_getpc23184)&4294967295
	s_addc_u32 s15, s15, (.LBB2_17697-.Lpost_getpc23184)>>32
	s_setpc_b64 s[14:15]
.LBB2_3361:
	s_or_saveexec_b64 s[6:7], s[6:7]
	v_mov_b32_e32 v2, s10
	s_xor_b64 exec, exec, s[6:7]
	s_cbranch_execz .LBB2_3362
; %bb.39203:
	s_getpc_b64 s[14:15]
.Lpost_getpc23185:
	s_add_u32 s14, s14, (.LBB2_17700-.Lpost_getpc23185)&4294967295
	s_addc_u32 s15, s15, (.LBB2_17700-.Lpost_getpc23185)>>32
	s_setpc_b64 s[14:15]
.LBB2_3362:
	s_or_b64 exec, exec, s[6:7]
	s_and_saveexec_b64 s[6:7], s[4:5]
	s_cbranch_execz .LBB2_3364
.LBB2_3363:
	v_and_b32_e32 v2, 7, v7
	v_ffbh_u32_e32 v12, v2
	v_min_u32_e32 v12, 32, v12
	v_lshrrev_b16_e32 v6, 3, v7
	v_subrev_u32_e32 v13, 28, v12
	v_and_b32_e32 v6, 15, v6
	v_lshlrev_b32_e32 v13, v13, v7
	v_sub_u32_e32 v12, 29, v12
	v_and_b32_e32 v13, 7, v13
	v_cmp_eq_u16_e32 vcc, 0, v6
	v_cndmask_b32_e32 v2, v2, v13, vcc
	v_cndmask_b32_e32 v6, v6, v12, vcc
	v_lshlrev_b32_e32 v12, 24, v7
	v_mov_b32_e32 v13, 0x3b800000
	v_lshlrev_b32_e32 v2, 20, v2
	v_and_b32_e32 v12, 0x80000000, v12
	v_lshl_add_u32 v6, v6, 23, v13
	v_or3_b32 v2, v12, v6, v2
.LBB2_3364:
	s_or_b64 exec, exec, s[6:7]
	s_movk_i32 s4, 0x7f
	v_cmp_gt_i16_sdwa s[6:7], v3, s4 src0_sel:BYTE_0 src1_sel:DWORD
	s_mov_b64 s[4:5], 0
                                        ; implicit-def: $sgpr10
	s_and_saveexec_b64 s[8:9], s[6:7]
	s_xor_b64 s[6:7], exec, s[8:9]
	s_cbranch_execz .LBB2_3365
; %bb.39205:
	s_getpc_b64 s[14:15]
.Lpost_getpc23186:
	s_add_u32 s14, s14, (.LBB2_17701-.Lpost_getpc23186)&4294967295
	s_addc_u32 s15, s15, (.LBB2_17701-.Lpost_getpc23186)>>32
	s_setpc_b64 s[14:15]
.LBB2_3365:
	s_or_saveexec_b64 s[6:7], s[6:7]
	v_mov_b32_e32 v6, s10
	s_xor_b64 exec, exec, s[6:7]
	s_cbranch_execz .LBB2_3366
; %bb.39207:
	s_getpc_b64 s[14:15]
.Lpost_getpc23187:
	s_add_u32 s14, s14, (.LBB2_17704-.Lpost_getpc23187)&4294967295
	s_addc_u32 s15, s15, (.LBB2_17704-.Lpost_getpc23187)>>32
	s_setpc_b64 s[14:15]
.LBB2_3366:
	s_or_b64 exec, exec, s[6:7]
	s_and_saveexec_b64 s[6:7], s[4:5]
	s_cbranch_execz .LBB2_3368
.LBB2_3367:
	v_and_b32_e32 v6, 7, v3
	v_ffbh_u32_e32 v13, v6
	v_min_u32_e32 v13, 32, v13
	v_lshrrev_b16_e32 v12, 3, v3
	v_subrev_u32_e32 v14, 28, v13
	v_and_b32_e32 v12, 15, v12
	v_lshlrev_b32_e32 v14, v14, v3
	v_sub_u32_e32 v13, 29, v13
	v_and_b32_e32 v14, 7, v14
	v_cmp_eq_u16_e32 vcc, 0, v12
	v_cndmask_b32_e32 v6, v6, v14, vcc
	v_cndmask_b32_e32 v12, v12, v13, vcc
	v_lshlrev_b32_e32 v13, 24, v3
	v_mov_b32_e32 v14, 0x3b800000
	v_lshlrev_b32_e32 v6, 20, v6
	v_and_b32_e32 v13, 0x80000000, v13
	v_lshl_add_u32 v12, v12, 23, v14
	v_or3_b32 v6, v13, v12, v6
.LBB2_3368:
	s_or_b64 exec, exec, s[6:7]
	s_nop 0
	v_mfma_f32_16x16x4f32 a[0:3], v2, v6, a[0:3]
	v_lshrrev_b32_e32 v6, 8, v7
	s_movk_i32 s4, 0x7f
	v_cmp_gt_i16_sdwa s[6:7], v6, s4 src0_sel:BYTE_0 src1_sel:DWORD
	s_mov_b64 s[4:5], 0
                                        ; implicit-def: $sgpr10
	s_and_saveexec_b64 s[8:9], s[6:7]
	s_xor_b64 s[6:7], exec, s[8:9]
	s_cbranch_execz .LBB2_3369
; %bb.39209:
	s_getpc_b64 s[14:15]
.Lpost_getpc23188:
	s_add_u32 s14, s14, (.LBB2_17705-.Lpost_getpc23188)&4294967295
	s_addc_u32 s15, s15, (.LBB2_17705-.Lpost_getpc23188)>>32
	s_setpc_b64 s[14:15]
.LBB2_3369:
	s_or_saveexec_b64 s[6:7], s[6:7]
	v_mov_b32_e32 v2, s10
	s_xor_b64 exec, exec, s[6:7]
	s_cbranch_execz .LBB2_3370
; %bb.39211:
	s_getpc_b64 s[14:15]
.Lpost_getpc23189:
	s_add_u32 s14, s14, (.LBB2_17708-.Lpost_getpc23189)&4294967295
	s_addc_u32 s15, s15, (.LBB2_17708-.Lpost_getpc23189)>>32
	s_setpc_b64 s[14:15]
.LBB2_3370:
	s_or_b64 exec, exec, s[6:7]
	s_and_saveexec_b64 s[6:7], s[4:5]
	s_cbranch_execz .LBB2_3372
.LBB2_3371:
	v_bfe_u32 v2, v7, 8, 3
	v_ffbh_u32_e32 v13, v2
	v_min_u32_e32 v13, 32, v13
	v_lshrrev_b16_e32 v12, 3, v6
	v_subrev_u32_e32 v14, 28, v13
	v_and_b32_e32 v12, 15, v12
	v_lshlrev_b32_e32 v6, v14, v6
	v_sub_u32_e32 v13, 29, v13
	v_and_b32_e32 v6, 7, v6
	v_cmp_eq_u16_e32 vcc, 0, v12
	v_cndmask_b32_e32 v2, v2, v6, vcc
	v_cndmask_b32_e32 v6, v12, v13, vcc
	v_lshlrev_b32_e32 v12, 16, v7
	v_mov_b32_e32 v13, 0x3b800000
	v_lshlrev_b32_e32 v2, 20, v2
	v_and_b32_e32 v12, 0x80000000, v12
	v_lshl_add_u32 v6, v6, 23, v13
	v_or3_b32 v2, v12, v6, v2
.LBB2_3372:
	s_or_b64 exec, exec, s[6:7]
	v_lshrrev_b32_e32 v6, 8, v3
	s_movk_i32 s4, 0x7f
	v_cmp_gt_i16_sdwa s[6:7], v6, s4 src0_sel:BYTE_0 src1_sel:DWORD
	s_mov_b64 s[4:5], 0
                                        ; implicit-def: $sgpr10
	s_and_saveexec_b64 s[8:9], s[6:7]
	s_xor_b64 s[6:7], exec, s[8:9]
	s_cbranch_execz .LBB2_3373
; %bb.39213:
	s_getpc_b64 s[14:15]
.Lpost_getpc23190:
	s_add_u32 s14, s14, (.LBB2_17709-.Lpost_getpc23190)&4294967295
	s_addc_u32 s15, s15, (.LBB2_17709-.Lpost_getpc23190)>>32
	s_setpc_b64 s[14:15]
.LBB2_3373:
	s_or_saveexec_b64 s[6:7], s[6:7]
	v_mov_b32_e32 v12, s10
	s_xor_b64 exec, exec, s[6:7]
	s_cbranch_execz .LBB2_3374
; %bb.39215:
	s_getpc_b64 s[14:15]
.Lpost_getpc23191:
	s_add_u32 s14, s14, (.LBB2_17712-.Lpost_getpc23191)&4294967295
	s_addc_u32 s15, s15, (.LBB2_17712-.Lpost_getpc23191)>>32
	s_setpc_b64 s[14:15]
.LBB2_3374:
	s_or_b64 exec, exec, s[6:7]
	s_and_saveexec_b64 s[6:7], s[4:5]
	s_cbranch_execz .LBB2_3376
.LBB2_3375:
	v_bfe_u32 v12, v3, 8, 3
	v_ffbh_u32_e32 v14, v12
	v_min_u32_e32 v14, 32, v14
	v_lshrrev_b16_e32 v13, 3, v6
	v_subrev_u32_e32 v15, 28, v14
	v_and_b32_e32 v13, 15, v13
	v_lshlrev_b32_e32 v6, v15, v6
	v_sub_u32_e32 v14, 29, v14
	v_and_b32_e32 v6, 7, v6
	v_cmp_eq_u16_e32 vcc, 0, v13
	v_cndmask_b32_e32 v6, v12, v6, vcc
	v_cndmask_b32_e32 v12, v13, v14, vcc
	v_lshlrev_b32_e32 v13, 16, v3
	v_mov_b32_e32 v14, 0x3b800000
	v_lshlrev_b32_e32 v6, 20, v6
	v_and_b32_e32 v13, 0x80000000, v13
	v_lshl_add_u32 v12, v12, 23, v14
	v_or3_b32 v12, v13, v12, v6
.LBB2_3376:
	s_or_b64 exec, exec, s[6:7]
	s_nop 0
	v_mfma_f32_16x16x4f32 a[0:3], v2, v12, a[0:3]
	s_movk_i32 s4, 0xff
	v_and_b32_sdwa v6, v7, s4 dst_sel:DWORD dst_unused:UNUSED_PAD src0_sel:WORD_1 src1_sel:DWORD
	s_movk_i32 s4, 0x7f
	v_cmp_lt_i16_e32 vcc, s4, v6
	s_mov_b64 s[4:5], 0
                                        ; implicit-def: $sgpr10
	s_and_saveexec_b64 s[6:7], vcc
	s_xor_b64 s[6:7], exec, s[6:7]
	s_cbranch_execz .LBB2_3377
; %bb.39217:
	s_getpc_b64 s[14:15]
.Lpost_getpc23192:
	s_add_u32 s14, s14, (.LBB2_17713-.Lpost_getpc23192)&4294967295
	s_addc_u32 s15, s15, (.LBB2_17713-.Lpost_getpc23192)>>32
	s_setpc_b64 s[14:15]
.LBB2_3377:
	s_or_saveexec_b64 s[6:7], s[6:7]
	v_mov_b32_e32 v2, s10
	s_xor_b64 exec, exec, s[6:7]
	s_cbranch_execz .LBB2_3378
; %bb.39219:
	s_getpc_b64 s[14:15]
.Lpost_getpc23193:
	s_add_u32 s14, s14, (.LBB2_17716-.Lpost_getpc23193)&4294967295
	s_addc_u32 s15, s15, (.LBB2_17716-.Lpost_getpc23193)>>32
	s_setpc_b64 s[14:15]
.LBB2_3378:
	s_or_b64 exec, exec, s[6:7]
	s_and_saveexec_b64 s[6:7], s[4:5]
	s_cbranch_execz .LBB2_3380
.LBB2_3379:
	v_bfe_u32 v2, v7, 16, 3
	v_ffbh_u32_e32 v13, v2
	v_min_u32_e32 v13, 32, v13
	v_lshrrev_b32_e32 v6, 19, v7
	v_subrev_u32_e32 v14, 28, v13
	v_and_b32_e32 v6, 15, v6
	v_lshlrev_b32_sdwa v14, v14, v7 dst_sel:DWORD dst_unused:UNUSED_PAD src0_sel:DWORD src1_sel:WORD_1
	v_bfe_u32 v12, v7, 19, 4
	v_sub_u32_e32 v13, 29, v13
	v_and_b32_e32 v14, 7, v14
	v_cmp_eq_u16_e32 vcc, 0, v6
	v_cndmask_b32_e32 v2, v2, v14, vcc
	v_cndmask_b32_e32 v6, v12, v13, vcc
	v_lshlrev_b32_e32 v12, 8, v7
	v_mov_b32_e32 v13, 0x3b800000
	v_lshlrev_b32_e32 v2, 20, v2
	v_and_b32_e32 v12, 0x80000000, v12
	v_lshl_add_u32 v6, v6, 23, v13
	v_or3_b32 v2, v12, v6, v2
.LBB2_3380:
	s_or_b64 exec, exec, s[6:7]
	s_movk_i32 s4, 0xff
	v_and_b32_sdwa v6, v3, s4 dst_sel:DWORD dst_unused:UNUSED_PAD src0_sel:WORD_1 src1_sel:DWORD
	s_movk_i32 s4, 0x7f
	v_cmp_lt_i16_e32 vcc, s4, v6
	s_mov_b64 s[4:5], 0
                                        ; implicit-def: $sgpr10
	s_and_saveexec_b64 s[6:7], vcc
	s_xor_b64 s[6:7], exec, s[6:7]
	s_cbranch_execz .LBB2_3381
; %bb.39221:
	s_getpc_b64 s[14:15]
.Lpost_getpc23194:
	s_add_u32 s14, s14, (.LBB2_17717-.Lpost_getpc23194)&4294967295
	s_addc_u32 s15, s15, (.LBB2_17717-.Lpost_getpc23194)>>32
	s_setpc_b64 s[14:15]
.LBB2_3381:
	s_or_saveexec_b64 s[6:7], s[6:7]
	v_mov_b32_e32 v12, s10
	s_xor_b64 exec, exec, s[6:7]
	s_cbranch_execz .LBB2_3382
; %bb.39223:
	s_getpc_b64 s[14:15]
.Lpost_getpc23195:
	s_add_u32 s14, s14, (.LBB2_17720-.Lpost_getpc23195)&4294967295
	s_addc_u32 s15, s15, (.LBB2_17720-.Lpost_getpc23195)>>32
	s_setpc_b64 s[14:15]
.LBB2_3382:
	s_or_b64 exec, exec, s[6:7]
	s_and_saveexec_b64 s[6:7], s[4:5]
	s_cbranch_execz .LBB2_3384
.LBB2_3383:
	v_bfe_u32 v6, v3, 16, 3
	v_ffbh_u32_e32 v14, v6
	v_min_u32_e32 v14, 32, v14
	v_lshrrev_b32_e32 v12, 19, v3
	v_subrev_u32_e32 v15, 28, v14
	v_and_b32_e32 v12, 15, v12
	v_lshlrev_b32_sdwa v15, v15, v3 dst_sel:DWORD dst_unused:UNUSED_PAD src0_sel:DWORD src1_sel:WORD_1
	v_bfe_u32 v13, v3, 19, 4
	v_sub_u32_e32 v14, 29, v14
	v_and_b32_e32 v15, 7, v15
	v_cmp_eq_u16_e32 vcc, 0, v12
	v_cndmask_b32_e32 v6, v6, v15, vcc
	v_cndmask_b32_e32 v12, v13, v14, vcc
	v_lshlrev_b32_e32 v13, 8, v3
	v_mov_b32_e32 v14, 0x3b800000
	v_lshlrev_b32_e32 v6, 20, v6
	v_and_b32_e32 v13, 0x80000000, v13
	v_lshl_add_u32 v12, v12, 23, v14
	v_or3_b32 v12, v13, v12, v6
.LBB2_3384:
	s_or_b64 exec, exec, s[6:7]
	s_nop 0
	v_mfma_f32_16x16x4f32 a[0:3], v2, v12, a[0:3]
	s_movk_i32 s4, 0x7f
	v_cmp_gt_i16_sdwa s[6:7], v7, s4 src0_sel:BYTE_3 src1_sel:DWORD
	s_mov_b64 s[4:5], 0
                                        ; implicit-def: $sgpr10
	s_and_saveexec_b64 s[8:9], s[6:7]
	s_xor_b64 s[6:7], exec, s[8:9]
	s_cbranch_execz .LBB2_3385
; %bb.39225:
	s_getpc_b64 s[14:15]
.Lpost_getpc23196:
	s_add_u32 s14, s14, (.LBB2_17721-.Lpost_getpc23196)&4294967295
	s_addc_u32 s15, s15, (.LBB2_17721-.Lpost_getpc23196)>>32
	s_setpc_b64 s[14:15]
.LBB2_3385:
	s_or_saveexec_b64 s[6:7], s[6:7]
	v_mov_b32_e32 v2, s10
	s_xor_b64 exec, exec, s[6:7]
	s_cbranch_execz .LBB2_3386
; %bb.39227:
	s_getpc_b64 s[14:15]
.Lpost_getpc23197:
	s_add_u32 s14, s14, (.LBB2_17724-.Lpost_getpc23197)&4294967295
	s_addc_u32 s15, s15, (.LBB2_17724-.Lpost_getpc23197)>>32
	s_setpc_b64 s[14:15]
.LBB2_3386:
	s_or_b64 exec, exec, s[6:7]
	s_and_saveexec_b64 s[6:7], s[4:5]
	s_cbranch_execz .LBB2_3388
.LBB2_3387:
	v_bfe_u32 v2, v7, 24, 3
	v_ffbh_u32_e32 v14, v2
	v_min_u32_e32 v14, 32, v14
	v_lshrrev_b32_e32 v12, 27, v7
	v_subrev_u32_e32 v15, 28, v14
	v_and_b32_e32 v6, 0x80000000, v7
	v_and_b32_e32 v12, 15, v12
	v_bfe_u32 v13, v7, 27, 4
	v_lshlrev_b32_sdwa v7, v15, v7 dst_sel:DWORD dst_unused:UNUSED_PAD src0_sel:DWORD src1_sel:BYTE_3
	v_sub_u32_e32 v14, 29, v14
	v_and_b32_e32 v7, 7, v7
	v_cmp_eq_u16_e32 vcc, 0, v12
	v_cndmask_b32_e32 v2, v2, v7, vcc
	v_cndmask_b32_e32 v7, v13, v14, vcc
	v_mov_b32_e32 v12, 0x3b800000
	v_lshlrev_b32_e32 v2, 20, v2
	v_lshl_add_u32 v7, v7, 23, v12
	v_or3_b32 v2, v6, v7, v2
.LBB2_3388:
	s_or_b64 exec, exec, s[6:7]
	s_movk_i32 s4, 0x7f
	v_cmp_gt_i16_sdwa s[6:7], v3, s4 src0_sel:BYTE_3 src1_sel:DWORD
	s_mov_b64 s[4:5], 0
                                        ; implicit-def: $sgpr10
	s_and_saveexec_b64 s[8:9], s[6:7]
	s_xor_b64 s[6:7], exec, s[8:9]
	s_cbranch_execz .LBB2_3389
; %bb.39229:
	s_getpc_b64 s[14:15]
.Lpost_getpc23198:
	s_add_u32 s14, s14, (.LBB2_17725-.Lpost_getpc23198)&4294967295
	s_addc_u32 s15, s15, (.LBB2_17725-.Lpost_getpc23198)>>32
	s_setpc_b64 s[14:15]
.LBB2_3389:
	s_or_saveexec_b64 s[6:7], s[6:7]
	v_mov_b32_e32 v6, s10
	s_xor_b64 exec, exec, s[6:7]
	s_cbranch_execz .LBB2_3390
; %bb.39231:
	s_getpc_b64 s[14:15]
.Lpost_getpc23199:
	s_add_u32 s14, s14, (.LBB2_17728-.Lpost_getpc23199)&4294967295
	s_addc_u32 s15, s15, (.LBB2_17728-.Lpost_getpc23199)>>32
	s_setpc_b64 s[14:15]
.LBB2_3390:
	s_or_b64 exec, exec, s[6:7]
	s_and_saveexec_b64 s[6:7], s[4:5]
	s_cbranch_execz .LBB2_3392
.LBB2_3391:
	v_bfe_u32 v6, v3, 24, 3
	v_ffbh_u32_e32 v14, v6
	v_min_u32_e32 v14, 32, v14
	v_lshrrev_b32_e32 v12, 27, v3
	v_subrev_u32_e32 v15, 28, v14
	v_and_b32_e32 v7, 0x80000000, v3
	v_and_b32_e32 v12, 15, v12
	v_bfe_u32 v13, v3, 27, 4
	v_lshlrev_b32_sdwa v3, v15, v3 dst_sel:DWORD dst_unused:UNUSED_PAD src0_sel:DWORD src1_sel:BYTE_3
	v_sub_u32_e32 v14, 29, v14
	v_and_b32_e32 v3, 7, v3
	v_cmp_eq_u16_e32 vcc, 0, v12
	v_cndmask_b32_e32 v3, v6, v3, vcc
	v_cndmask_b32_e32 v6, v13, v14, vcc
	v_mov_b32_e32 v12, 0x3b800000
	v_lshlrev_b32_e32 v3, 20, v3
	v_lshl_add_u32 v6, v6, 23, v12
	v_or3_b32 v6, v7, v6, v3
.LBB2_3392:
	s_or_b64 exec, exec, s[6:7]
	s_nop 0
	v_mfma_f32_16x16x4f32 a[0:3], v2, v6, a[0:3]
	s_movk_i32 s4, 0x7f
	v_cmp_gt_i16_sdwa s[6:7], v8, s4 src0_sel:BYTE_0 src1_sel:DWORD
	s_mov_b64 s[4:5], 0
                                        ; implicit-def: $sgpr10
	s_and_saveexec_b64 s[8:9], s[6:7]
	s_xor_b64 s[6:7], exec, s[8:9]
	s_cbranch_execz .LBB2_3393
; %bb.39233:
	s_getpc_b64 s[14:15]
.Lpost_getpc23200:
	s_add_u32 s14, s14, (.LBB2_17729-.Lpost_getpc23200)&4294967295
	s_addc_u32 s15, s15, (.LBB2_17729-.Lpost_getpc23200)>>32
	s_setpc_b64 s[14:15]
.LBB2_3393:
	s_or_saveexec_b64 s[6:7], s[6:7]
	v_mov_b32_e32 v2, s10
	s_xor_b64 exec, exec, s[6:7]
	s_cbranch_execz .LBB2_3394
; %bb.39235:
	s_getpc_b64 s[14:15]
.Lpost_getpc23201:
	s_add_u32 s14, s14, (.LBB2_17732-.Lpost_getpc23201)&4294967295
	s_addc_u32 s15, s15, (.LBB2_17732-.Lpost_getpc23201)>>32
	s_setpc_b64 s[14:15]
.LBB2_3394:
	s_or_b64 exec, exec, s[6:7]
	s_and_saveexec_b64 s[6:7], s[4:5]
	s_cbranch_execz .LBB2_3396
.LBB2_3395:
	v_and_b32_e32 v2, 7, v8
	v_ffbh_u32_e32 v6, v2
	v_min_u32_e32 v6, 32, v6
	v_lshrrev_b16_e32 v3, 3, v8
	v_subrev_u32_e32 v7, 28, v6
	v_and_b32_e32 v3, 15, v3
	v_lshlrev_b32_e32 v7, v7, v8
	v_sub_u32_e32 v6, 29, v6
	v_and_b32_e32 v7, 7, v7
	v_cmp_eq_u16_e32 vcc, 0, v3
	v_cndmask_b32_e32 v2, v2, v7, vcc
	v_cndmask_b32_e32 v3, v3, v6, vcc
	v_lshlrev_b32_e32 v6, 24, v8
	v_mov_b32_e32 v7, 0x3b800000
	v_lshlrev_b32_e32 v2, 20, v2
	v_and_b32_e32 v6, 0x80000000, v6
	v_lshl_add_u32 v3, v3, 23, v7
	v_or3_b32 v2, v6, v3, v2
.LBB2_3396:
	s_or_b64 exec, exec, s[6:7]
	s_movk_i32 s4, 0x7f
	v_cmp_gt_i16_sdwa s[6:7], v4, s4 src0_sel:BYTE_0 src1_sel:DWORD
	s_mov_b64 s[4:5], 0
                                        ; implicit-def: $sgpr10
	s_and_saveexec_b64 s[8:9], s[6:7]
	s_xor_b64 s[6:7], exec, s[8:9]
	s_cbranch_execz .LBB2_3397
; %bb.39237:
	s_getpc_b64 s[14:15]
.Lpost_getpc23202:
	s_add_u32 s14, s14, (.LBB2_17733-.Lpost_getpc23202)&4294967295
	s_addc_u32 s15, s15, (.LBB2_17733-.Lpost_getpc23202)>>32
	s_setpc_b64 s[14:15]
.LBB2_3397:
	s_or_saveexec_b64 s[6:7], s[6:7]
	v_mov_b32_e32 v3, s10
	s_xor_b64 exec, exec, s[6:7]
	s_cbranch_execz .LBB2_3398
; %bb.39239:
	s_getpc_b64 s[14:15]
.Lpost_getpc23203:
	s_add_u32 s14, s14, (.LBB2_17736-.Lpost_getpc23203)&4294967295
	s_addc_u32 s15, s15, (.LBB2_17736-.Lpost_getpc23203)>>32
	s_setpc_b64 s[14:15]
.LBB2_3398:
	s_or_b64 exec, exec, s[6:7]
	s_and_saveexec_b64 s[6:7], s[4:5]
	s_cbranch_execz .LBB2_3400
.LBB2_3399:
	v_and_b32_e32 v3, 7, v4
	v_ffbh_u32_e32 v7, v3
	v_min_u32_e32 v7, 32, v7
	v_lshrrev_b16_e32 v6, 3, v4
	v_subrev_u32_e32 v12, 28, v7
	v_and_b32_e32 v6, 15, v6
	v_lshlrev_b32_e32 v12, v12, v4
	v_sub_u32_e32 v7, 29, v7
	v_and_b32_e32 v12, 7, v12
	v_cmp_eq_u16_e32 vcc, 0, v6
	v_cndmask_b32_e32 v3, v3, v12, vcc
	v_cndmask_b32_e32 v6, v6, v7, vcc
	v_lshlrev_b32_e32 v7, 24, v4
	v_mov_b32_e32 v12, 0x3b800000
	v_lshlrev_b32_e32 v3, 20, v3
	v_and_b32_e32 v7, 0x80000000, v7
	v_lshl_add_u32 v6, v6, 23, v12
	v_or3_b32 v3, v7, v6, v3
.LBB2_3400:
	s_or_b64 exec, exec, s[6:7]
	s_nop 0
	v_mfma_f32_16x16x4f32 a[0:3], v2, v3, a[0:3]
	v_lshrrev_b32_e32 v3, 8, v8
	s_movk_i32 s4, 0x7f
	v_cmp_gt_i16_sdwa s[6:7], v3, s4 src0_sel:BYTE_0 src1_sel:DWORD
	s_mov_b64 s[4:5], 0
                                        ; implicit-def: $sgpr10
	s_and_saveexec_b64 s[8:9], s[6:7]
	s_xor_b64 s[6:7], exec, s[8:9]
	s_cbranch_execz .LBB2_3401
; %bb.39241:
	s_getpc_b64 s[14:15]
.Lpost_getpc23204:
	s_add_u32 s14, s14, (.LBB2_17737-.Lpost_getpc23204)&4294967295
	s_addc_u32 s15, s15, (.LBB2_17737-.Lpost_getpc23204)>>32
	s_setpc_b64 s[14:15]
.LBB2_3401:
	s_or_saveexec_b64 s[6:7], s[6:7]
	v_mov_b32_e32 v2, s10
	s_xor_b64 exec, exec, s[6:7]
	s_cbranch_execz .LBB2_3402
; %bb.39243:
	s_getpc_b64 s[14:15]
.Lpost_getpc23205:
	s_add_u32 s14, s14, (.LBB2_17740-.Lpost_getpc23205)&4294967295
	s_addc_u32 s15, s15, (.LBB2_17740-.Lpost_getpc23205)>>32
	s_setpc_b64 s[14:15]
.LBB2_3402:
	s_or_b64 exec, exec, s[6:7]
	s_and_saveexec_b64 s[6:7], s[4:5]
	s_cbranch_execz .LBB2_3404
.LBB2_3403:
	v_bfe_u32 v2, v8, 8, 3
	v_ffbh_u32_e32 v7, v2
	v_min_u32_e32 v7, 32, v7
	v_lshrrev_b16_e32 v6, 3, v3
	v_subrev_u32_e32 v12, 28, v7
	v_and_b32_e32 v6, 15, v6
	v_lshlrev_b32_e32 v3, v12, v3
	v_sub_u32_e32 v7, 29, v7
	v_and_b32_e32 v3, 7, v3
	v_cmp_eq_u16_e32 vcc, 0, v6
	v_cndmask_b32_e32 v2, v2, v3, vcc
	v_cndmask_b32_e32 v3, v6, v7, vcc
	v_lshlrev_b32_e32 v6, 16, v8
	v_mov_b32_e32 v7, 0x3b800000
	v_lshlrev_b32_e32 v2, 20, v2
	v_and_b32_e32 v6, 0x80000000, v6
	v_lshl_add_u32 v3, v3, 23, v7
	v_or3_b32 v2, v6, v3, v2
.LBB2_3404:
	s_or_b64 exec, exec, s[6:7]
	v_lshrrev_b32_e32 v3, 8, v4
	s_movk_i32 s4, 0x7f
	v_cmp_gt_i16_sdwa s[6:7], v3, s4 src0_sel:BYTE_0 src1_sel:DWORD
	s_mov_b64 s[4:5], 0
                                        ; implicit-def: $sgpr10
	s_and_saveexec_b64 s[8:9], s[6:7]
	s_xor_b64 s[6:7], exec, s[8:9]
	s_cbranch_execz .LBB2_3405
; %bb.39245:
	s_getpc_b64 s[14:15]
.Lpost_getpc23206:
	s_add_u32 s14, s14, (.LBB2_17741-.Lpost_getpc23206)&4294967295
	s_addc_u32 s15, s15, (.LBB2_17741-.Lpost_getpc23206)>>32
	s_setpc_b64 s[14:15]
.LBB2_3405:
	s_or_saveexec_b64 s[6:7], s[6:7]
	v_mov_b32_e32 v6, s10
	s_xor_b64 exec, exec, s[6:7]
	s_cbranch_execz .LBB2_3406
; %bb.39247:
	s_getpc_b64 s[14:15]
.Lpost_getpc23207:
	s_add_u32 s14, s14, (.LBB2_17744-.Lpost_getpc23207)&4294967295
	s_addc_u32 s15, s15, (.LBB2_17744-.Lpost_getpc23207)>>32
	s_setpc_b64 s[14:15]
.LBB2_3406:
	s_or_b64 exec, exec, s[6:7]
	s_and_saveexec_b64 s[6:7], s[4:5]
	s_cbranch_execz .LBB2_3408
.LBB2_3407:
	v_bfe_u32 v6, v4, 8, 3
	v_ffbh_u32_e32 v12, v6
	v_min_u32_e32 v12, 32, v12
	v_lshrrev_b16_e32 v7, 3, v3
	v_subrev_u32_e32 v13, 28, v12
	v_and_b32_e32 v7, 15, v7
	v_lshlrev_b32_e32 v3, v13, v3
	v_sub_u32_e32 v12, 29, v12
	v_and_b32_e32 v3, 7, v3
	v_cmp_eq_u16_e32 vcc, 0, v7
	v_cndmask_b32_e32 v3, v6, v3, vcc
	v_cndmask_b32_e32 v6, v7, v12, vcc
	v_lshlrev_b32_e32 v7, 16, v4
	v_mov_b32_e32 v12, 0x3b800000
	v_lshlrev_b32_e32 v3, 20, v3
	v_and_b32_e32 v7, 0x80000000, v7
	v_lshl_add_u32 v6, v6, 23, v12
	v_or3_b32 v6, v7, v6, v3
.LBB2_3408:
	s_or_b64 exec, exec, s[6:7]
	s_nop 0
	v_mfma_f32_16x16x4f32 a[0:3], v2, v6, a[0:3]
	s_movk_i32 s4, 0xff
	v_and_b32_sdwa v3, v8, s4 dst_sel:DWORD dst_unused:UNUSED_PAD src0_sel:WORD_1 src1_sel:DWORD
	s_movk_i32 s4, 0x7f
	v_cmp_lt_i16_e32 vcc, s4, v3
	s_mov_b64 s[4:5], 0
                                        ; implicit-def: $sgpr10
	s_and_saveexec_b64 s[6:7], vcc
	s_xor_b64 s[6:7], exec, s[6:7]
	s_cbranch_execz .LBB2_3409
; %bb.39249:
	s_getpc_b64 s[14:15]
.Lpost_getpc23208:
	s_add_u32 s14, s14, (.LBB2_17745-.Lpost_getpc23208)&4294967295
	s_addc_u32 s15, s15, (.LBB2_17745-.Lpost_getpc23208)>>32
	s_setpc_b64 s[14:15]
.LBB2_3409:
	s_or_saveexec_b64 s[6:7], s[6:7]
	v_mov_b32_e32 v2, s10
	s_xor_b64 exec, exec, s[6:7]
	s_cbranch_execz .LBB2_3410
; %bb.39251:
	s_getpc_b64 s[14:15]
.Lpost_getpc23209:
	s_add_u32 s14, s14, (.LBB2_17748-.Lpost_getpc23209)&4294967295
	s_addc_u32 s15, s15, (.LBB2_17748-.Lpost_getpc23209)>>32
	s_setpc_b64 s[14:15]
.LBB2_3410:
	s_or_b64 exec, exec, s[6:7]
	s_and_saveexec_b64 s[6:7], s[4:5]
	s_cbranch_execz .LBB2_3412
.LBB2_3411:
	v_bfe_u32 v2, v8, 16, 3
	v_ffbh_u32_e32 v7, v2
	v_min_u32_e32 v7, 32, v7
	v_lshrrev_b32_e32 v3, 19, v8
	v_subrev_u32_e32 v12, 28, v7
	v_and_b32_e32 v3, 15, v3
	v_lshlrev_b32_sdwa v12, v12, v8 dst_sel:DWORD dst_unused:UNUSED_PAD src0_sel:DWORD src1_sel:WORD_1
	v_bfe_u32 v6, v8, 19, 4
	v_sub_u32_e32 v7, 29, v7
	v_and_b32_e32 v12, 7, v12
	v_cmp_eq_u16_e32 vcc, 0, v3
	v_cndmask_b32_e32 v2, v2, v12, vcc
	v_cndmask_b32_e32 v3, v6, v7, vcc
	v_lshlrev_b32_e32 v6, 8, v8
	v_mov_b32_e32 v7, 0x3b800000
	v_lshlrev_b32_e32 v2, 20, v2
	v_and_b32_e32 v6, 0x80000000, v6
	v_lshl_add_u32 v3, v3, 23, v7
	v_or3_b32 v2, v6, v3, v2
.LBB2_3412:
	s_or_b64 exec, exec, s[6:7]
	s_movk_i32 s4, 0xff
	v_and_b32_sdwa v3, v4, s4 dst_sel:DWORD dst_unused:UNUSED_PAD src0_sel:WORD_1 src1_sel:DWORD
	s_movk_i32 s4, 0x7f
	v_cmp_lt_i16_e32 vcc, s4, v3
	s_mov_b64 s[4:5], 0
                                        ; implicit-def: $sgpr10
	s_and_saveexec_b64 s[6:7], vcc
	s_xor_b64 s[6:7], exec, s[6:7]
	s_cbranch_execz .LBB2_3413
; %bb.39253:
	s_getpc_b64 s[14:15]
.Lpost_getpc23210:
	s_add_u32 s14, s14, (.LBB2_17749-.Lpost_getpc23210)&4294967295
	s_addc_u32 s15, s15, (.LBB2_17749-.Lpost_getpc23210)>>32
	s_setpc_b64 s[14:15]
.LBB2_3413:
	s_or_saveexec_b64 s[6:7], s[6:7]
	v_mov_b32_e32 v6, s10
	s_xor_b64 exec, exec, s[6:7]
	s_cbranch_execz .LBB2_3414
; %bb.39255:
	s_getpc_b64 s[14:15]
.Lpost_getpc23211:
	s_add_u32 s14, s14, (.LBB2_17752-.Lpost_getpc23211)&4294967295
	s_addc_u32 s15, s15, (.LBB2_17752-.Lpost_getpc23211)>>32
	s_setpc_b64 s[14:15]
.LBB2_3414:
	s_or_b64 exec, exec, s[6:7]
	s_and_saveexec_b64 s[6:7], s[4:5]
	s_cbranch_execz .LBB2_3416
.LBB2_3415:
	v_bfe_u32 v3, v4, 16, 3
	v_ffbh_u32_e32 v12, v3
	v_min_u32_e32 v12, 32, v12
	v_lshrrev_b32_e32 v6, 19, v4
	v_subrev_u32_e32 v13, 28, v12
	v_and_b32_e32 v6, 15, v6
	v_lshlrev_b32_sdwa v13, v13, v4 dst_sel:DWORD dst_unused:UNUSED_PAD src0_sel:DWORD src1_sel:WORD_1
	v_bfe_u32 v7, v4, 19, 4
	v_sub_u32_e32 v12, 29, v12
	v_and_b32_e32 v13, 7, v13
	v_cmp_eq_u16_e32 vcc, 0, v6
	v_cndmask_b32_e32 v3, v3, v13, vcc
	v_cndmask_b32_e32 v6, v7, v12, vcc
	v_lshlrev_b32_e32 v7, 8, v4
	v_mov_b32_e32 v12, 0x3b800000
	v_lshlrev_b32_e32 v3, 20, v3
	v_and_b32_e32 v7, 0x80000000, v7
	v_lshl_add_u32 v6, v6, 23, v12
	v_or3_b32 v6, v7, v6, v3
.LBB2_3416:
	s_or_b64 exec, exec, s[6:7]
	s_nop 0
	v_mfma_f32_16x16x4f32 a[0:3], v2, v6, a[0:3]
	s_movk_i32 s4, 0x7f
	v_cmp_gt_i16_sdwa s[6:7], v8, s4 src0_sel:BYTE_3 src1_sel:DWORD
	s_mov_b64 s[4:5], 0
                                        ; implicit-def: $sgpr10
	s_and_saveexec_b64 s[8:9], s[6:7]
	s_xor_b64 s[6:7], exec, s[8:9]
	s_cbranch_execz .LBB2_3417
; %bb.39257:
	s_getpc_b64 s[14:15]
.Lpost_getpc23212:
	s_add_u32 s14, s14, (.LBB2_17753-.Lpost_getpc23212)&4294967295
	s_addc_u32 s15, s15, (.LBB2_17753-.Lpost_getpc23212)>>32
	s_setpc_b64 s[14:15]
.LBB2_3417:
	s_or_saveexec_b64 s[6:7], s[6:7]
	v_mov_b32_e32 v2, s10
	s_xor_b64 exec, exec, s[6:7]
	s_cbranch_execz .LBB2_3418
; %bb.39259:
	s_getpc_b64 s[14:15]
.Lpost_getpc23213:
	s_add_u32 s14, s14, (.LBB2_17756-.Lpost_getpc23213)&4294967295
	s_addc_u32 s15, s15, (.LBB2_17756-.Lpost_getpc23213)>>32
	s_setpc_b64 s[14:15]
.LBB2_3418:
	s_or_b64 exec, exec, s[6:7]
	s_and_saveexec_b64 s[6:7], s[4:5]
	s_cbranch_execz .LBB2_3420
.LBB2_3419:
	v_bfe_u32 v2, v8, 24, 3
	v_ffbh_u32_e32 v12, v2
	v_min_u32_e32 v12, 32, v12
	v_lshrrev_b32_e32 v6, 27, v8
	v_subrev_u32_e32 v13, 28, v12
	v_and_b32_e32 v3, 0x80000000, v8
	v_and_b32_e32 v6, 15, v6
	v_bfe_u32 v7, v8, 27, 4
	v_lshlrev_b32_sdwa v8, v13, v8 dst_sel:DWORD dst_unused:UNUSED_PAD src0_sel:DWORD src1_sel:BYTE_3
	v_sub_u32_e32 v12, 29, v12
	v_and_b32_e32 v8, 7, v8
	v_cmp_eq_u16_e32 vcc, 0, v6
	v_cndmask_b32_e32 v2, v2, v8, vcc
	v_cndmask_b32_e32 v6, v7, v12, vcc
	v_mov_b32_e32 v7, 0x3b800000
	v_lshlrev_b32_e32 v2, 20, v2
	v_lshl_add_u32 v6, v6, 23, v7
	v_or3_b32 v2, v3, v6, v2
.LBB2_3420:
	s_or_b64 exec, exec, s[6:7]
	s_movk_i32 s4, 0x7f
	v_cmp_gt_i16_sdwa s[6:7], v4, s4 src0_sel:BYTE_3 src1_sel:DWORD
	s_mov_b64 s[4:5], 0
                                        ; implicit-def: $sgpr10
	s_and_saveexec_b64 s[8:9], s[6:7]
	s_xor_b64 s[6:7], exec, s[8:9]
	s_cbranch_execz .LBB2_3421
; %bb.39261:
	s_getpc_b64 s[14:15]
.Lpost_getpc23214:
	s_add_u32 s14, s14, (.LBB2_17757-.Lpost_getpc23214)&4294967295
	s_addc_u32 s15, s15, (.LBB2_17757-.Lpost_getpc23214)>>32
	s_setpc_b64 s[14:15]
.LBB2_3421:
	s_or_saveexec_b64 s[6:7], s[6:7]
	v_mov_b32_e32 v3, s10
	s_xor_b64 exec, exec, s[6:7]
	s_cbranch_execz .LBB2_3422
; %bb.39263:
	s_getpc_b64 s[14:15]
.Lpost_getpc23215:
	s_add_u32 s14, s14, (.LBB2_17760-.Lpost_getpc23215)&4294967295
	s_addc_u32 s15, s15, (.LBB2_17760-.Lpost_getpc23215)>>32
	s_setpc_b64 s[14:15]
.LBB2_3422:
	s_or_b64 exec, exec, s[6:7]
	s_and_saveexec_b64 s[6:7], s[4:5]
	s_cbranch_execz .LBB2_3424
.LBB2_3423:
	v_bfe_u32 v3, v4, 24, 3
	v_ffbh_u32_e32 v12, v3
	v_min_u32_e32 v12, 32, v12
	v_lshrrev_b32_e32 v7, 27, v4
	v_subrev_u32_e32 v13, 28, v12
	v_and_b32_e32 v6, 0x80000000, v4
	v_and_b32_e32 v7, 15, v7
	v_bfe_u32 v8, v4, 27, 4
	v_lshlrev_b32_sdwa v4, v13, v4 dst_sel:DWORD dst_unused:UNUSED_PAD src0_sel:DWORD src1_sel:BYTE_3
	v_sub_u32_e32 v12, 29, v12
	v_and_b32_e32 v4, 7, v4
	v_cmp_eq_u16_e32 vcc, 0, v7
	v_cndmask_b32_e32 v3, v3, v4, vcc
	v_cndmask_b32_e32 v4, v8, v12, vcc
	v_mov_b32_e32 v7, 0x3b800000
	v_lshlrev_b32_e32 v3, 20, v3
	v_lshl_add_u32 v4, v4, 23, v7
	v_or3_b32 v3, v6, v4, v3
.LBB2_3424:
	s_or_b64 exec, exec, s[6:7]
	s_nop 0
	v_mfma_f32_16x16x4f32 a[0:3], v2, v3, a[0:3]
	s_movk_i32 s4, 0x7f
	v_cmp_gt_i16_sdwa s[6:7], v9, s4 src0_sel:BYTE_0 src1_sel:DWORD
	s_mov_b64 s[4:5], 0
                                        ; implicit-def: $sgpr10
	s_and_saveexec_b64 s[8:9], s[6:7]
	s_xor_b64 s[6:7], exec, s[8:9]
	s_cbranch_execz .LBB2_3425
; %bb.39265:
	s_getpc_b64 s[14:15]
.Lpost_getpc23216:
	s_add_u32 s14, s14, (.LBB2_17761-.Lpost_getpc23216)&4294967295
	s_addc_u32 s15, s15, (.LBB2_17761-.Lpost_getpc23216)>>32
	s_setpc_b64 s[14:15]
.LBB2_3425:
	s_or_saveexec_b64 s[6:7], s[6:7]
	v_mov_b32_e32 v2, s10
	s_xor_b64 exec, exec, s[6:7]
	s_cbranch_execz .LBB2_3426
; %bb.39267:
	s_getpc_b64 s[14:15]
.Lpost_getpc23217:
	s_add_u32 s14, s14, (.LBB2_17764-.Lpost_getpc23217)&4294967295
	s_addc_u32 s15, s15, (.LBB2_17764-.Lpost_getpc23217)>>32
	s_setpc_b64 s[14:15]
.LBB2_3426:
	s_or_b64 exec, exec, s[6:7]
	s_and_saveexec_b64 s[6:7], s[4:5]
	s_cbranch_execz .LBB2_3428
.LBB2_3427:
	v_mov_b32_e32 v2, 8
	v_and_b32_e32 v3, 7, v9
	v_lshrrev_b32_sdwa v2, v2, v9 dst_sel:BYTE_1 dst_unused:UNUSED_PAD src0_sel:DWORD src1_sel:DWORD
	v_ffbh_u32_e32 v4, v3
	v_or_b32_sdwa v2, v9, v2 dst_sel:DWORD dst_unused:UNUSED_PAD src0_sel:BYTE_0 src1_sel:DWORD
	v_min_u32_e32 v4, 32, v4
	v_lshrrev_b16_e32 v2, 3, v2
	v_subrev_u32_e32 v6, 28, v4
	v_and_b32_e32 v2, 15, v2
	v_lshlrev_b32_e32 v6, v6, v9
	v_sub_u32_e32 v4, 29, v4
	v_and_b32_e32 v6, 7, v6
	v_cmp_eq_u16_e32 vcc, 0, v2
	v_cndmask_b32_e32 v3, v3, v6, vcc
	v_cndmask_b32_e32 v2, v2, v4, vcc
	v_lshlrev_b32_e32 v4, 24, v9
	v_mov_b32_e32 v6, 0x3b800000
	v_lshlrev_b32_e32 v3, 20, v3
	v_and_b32_e32 v4, 0x80000000, v4
	v_lshl_add_u32 v2, v2, 23, v6
	v_or3_b32 v2, v4, v2, v3
.LBB2_3428:
	s_or_b64 exec, exec, s[6:7]
	s_movk_i32 s4, 0x7f
	v_cmp_gt_i16_sdwa s[6:7], v5, s4 src0_sel:BYTE_0 src1_sel:DWORD
	s_mov_b64 s[4:5], 0
                                        ; implicit-def: $sgpr10
	s_and_saveexec_b64 s[8:9], s[6:7]
	s_xor_b64 s[6:7], exec, s[8:9]
	s_cbranch_execz .LBB2_3429
; %bb.39269:
	s_getpc_b64 s[14:15]
.Lpost_getpc23218:
	s_add_u32 s14, s14, (.LBB2_17765-.Lpost_getpc23218)&4294967295
	s_addc_u32 s15, s15, (.LBB2_17765-.Lpost_getpc23218)>>32
	s_setpc_b64 s[14:15]
.LBB2_3429:
	s_or_saveexec_b64 s[6:7], s[6:7]
	v_mov_b32_e32 v3, s10
	s_xor_b64 exec, exec, s[6:7]
	s_cbranch_execz .LBB2_3430
; %bb.39271:
	s_getpc_b64 s[14:15]
.Lpost_getpc23219:
	s_add_u32 s14, s14, (.LBB2_17768-.Lpost_getpc23219)&4294967295
	s_addc_u32 s15, s15, (.LBB2_17768-.Lpost_getpc23219)>>32
	s_setpc_b64 s[14:15]
.LBB2_3430:
	s_or_b64 exec, exec, s[6:7]
	s_and_saveexec_b64 s[6:7], s[4:5]
	s_cbranch_execz .LBB2_3432
.LBB2_3431:
	v_mov_b32_e32 v3, 8
	v_and_b32_e32 v4, 7, v5
	v_lshrrev_b32_sdwa v3, v3, v5 dst_sel:BYTE_1 dst_unused:UNUSED_PAD src0_sel:DWORD src1_sel:DWORD
	v_ffbh_u32_e32 v6, v4
	v_or_b32_sdwa v3, v5, v3 dst_sel:DWORD dst_unused:UNUSED_PAD src0_sel:BYTE_0 src1_sel:DWORD
	v_min_u32_e32 v6, 32, v6
	v_lshrrev_b16_e32 v3, 3, v3
	v_subrev_u32_e32 v7, 28, v6
	v_and_b32_e32 v3, 15, v3
	v_lshlrev_b32_e32 v7, v7, v5
	v_sub_u32_e32 v6, 29, v6
	v_and_b32_e32 v7, 7, v7
	v_cmp_eq_u16_e32 vcc, 0, v3
	v_cndmask_b32_e32 v4, v4, v7, vcc
	v_cndmask_b32_e32 v3, v3, v6, vcc
	v_lshlrev_b32_e32 v6, 24, v5
	v_mov_b32_e32 v7, 0x3b800000
	v_lshlrev_b32_e32 v4, 20, v4
	v_and_b32_e32 v6, 0x80000000, v6
	v_lshl_add_u32 v3, v3, 23, v7
	v_or3_b32 v3, v6, v3, v4
.LBB2_3432:
	s_or_b64 exec, exec, s[6:7]
	s_nop 0
	v_mfma_f32_16x16x4f32 a[0:3], v2, v3, a[0:3]
	v_lshrrev_b32_e32 v3, 8, v9
	s_movk_i32 s4, 0x7f
	v_cmp_gt_i16_sdwa s[6:7], v3, s4 src0_sel:BYTE_0 src1_sel:DWORD
	s_mov_b64 s[4:5], 0
                                        ; implicit-def: $sgpr10
	s_and_saveexec_b64 s[8:9], s[6:7]
	s_xor_b64 s[6:7], exec, s[8:9]
	s_cbranch_execz .LBB2_3433
; %bb.39273:
	s_getpc_b64 s[14:15]
.Lpost_getpc23220:
	s_add_u32 s14, s14, (.LBB2_17769-.Lpost_getpc23220)&4294967295
	s_addc_u32 s15, s15, (.LBB2_17769-.Lpost_getpc23220)>>32
	s_setpc_b64 s[14:15]
.LBB2_3433:
	s_or_saveexec_b64 s[6:7], s[6:7]
	v_mov_b32_e32 v2, s10
	s_xor_b64 exec, exec, s[6:7]
	s_cbranch_execz .LBB2_3434
; %bb.39275:
	s_getpc_b64 s[14:15]
.Lpost_getpc23221:
	s_add_u32 s14, s14, (.LBB2_17772-.Lpost_getpc23221)&4294967295
	s_addc_u32 s15, s15, (.LBB2_17772-.Lpost_getpc23221)>>32
	s_setpc_b64 s[14:15]
.LBB2_3434:
	s_or_b64 exec, exec, s[6:7]
	s_and_saveexec_b64 s[6:7], s[4:5]
	s_cbranch_execz .LBB2_3436
.LBB2_3435:
	v_bfe_u32 v2, v9, 8, 3
	v_ffbh_u32_e32 v6, v2
	v_min_u32_e32 v6, 32, v6
	v_lshrrev_b16_e32 v4, 3, v3
	v_subrev_u32_e32 v7, 28, v6
	v_and_b32_e32 v4, 15, v4
	v_lshlrev_b32_e32 v3, v7, v3
	v_sub_u32_e32 v6, 29, v6
	v_and_b32_e32 v3, 7, v3
	v_cmp_eq_u16_e32 vcc, 0, v4
	v_cndmask_b32_e32 v2, v2, v3, vcc
	v_cndmask_b32_e32 v3, v4, v6, vcc
	v_lshlrev_b32_e32 v4, 16, v9
	v_mov_b32_e32 v6, 0x3b800000
	v_lshlrev_b32_e32 v2, 20, v2
	v_and_b32_e32 v4, 0x80000000, v4
	v_lshl_add_u32 v3, v3, 23, v6
	v_or3_b32 v2, v4, v3, v2
.LBB2_3436:
	s_or_b64 exec, exec, s[6:7]
	v_lshrrev_b32_e32 v3, 8, v5
	s_movk_i32 s4, 0x7f
	v_cmp_gt_i16_sdwa s[6:7], v3, s4 src0_sel:BYTE_0 src1_sel:DWORD
	s_mov_b64 s[4:5], 0
                                        ; implicit-def: $sgpr10
	s_and_saveexec_b64 s[8:9], s[6:7]
	s_xor_b64 s[6:7], exec, s[8:9]
	s_cbranch_execz .LBB2_3437
; %bb.39277:
	s_getpc_b64 s[14:15]
.Lpost_getpc23222:
	s_add_u32 s14, s14, (.LBB2_17773-.Lpost_getpc23222)&4294967295
	s_addc_u32 s15, s15, (.LBB2_17773-.Lpost_getpc23222)>>32
	s_setpc_b64 s[14:15]
.LBB2_3437:
	s_or_saveexec_b64 s[6:7], s[6:7]
	v_mov_b32_e32 v4, s10
	s_xor_b64 exec, exec, s[6:7]
	s_cbranch_execz .LBB2_3438
; %bb.39279:
	s_getpc_b64 s[14:15]
.Lpost_getpc23223:
	s_add_u32 s14, s14, (.LBB2_17776-.Lpost_getpc23223)&4294967295
	s_addc_u32 s15, s15, (.LBB2_17776-.Lpost_getpc23223)>>32
	s_setpc_b64 s[14:15]
.LBB2_3438:
	s_or_b64 exec, exec, s[6:7]
	s_and_saveexec_b64 s[6:7], s[4:5]
	s_cbranch_execz .LBB2_3440
.LBB2_3439:
	v_bfe_u32 v4, v5, 8, 3
	v_ffbh_u32_e32 v7, v4
	v_min_u32_e32 v7, 32, v7
	v_lshrrev_b16_e32 v6, 3, v3
	v_subrev_u32_e32 v8, 28, v7
	v_and_b32_e32 v6, 15, v6
	v_lshlrev_b32_e32 v3, v8, v3
	v_sub_u32_e32 v7, 29, v7
	v_and_b32_e32 v3, 7, v3
	v_cmp_eq_u16_e32 vcc, 0, v6
	v_cndmask_b32_e32 v3, v4, v3, vcc
	v_cndmask_b32_e32 v4, v6, v7, vcc
	v_lshlrev_b32_e32 v6, 16, v5
	v_mov_b32_e32 v7, 0x3b800000
	v_lshlrev_b32_e32 v3, 20, v3
	v_and_b32_e32 v6, 0x80000000, v6
	v_lshl_add_u32 v4, v4, 23, v7
	v_or3_b32 v4, v6, v4, v3
.LBB2_3440:
	s_or_b64 exec, exec, s[6:7]
	s_nop 0
	v_mfma_f32_16x16x4f32 a[0:3], v2, v4, a[0:3]
	s_movk_i32 s4, 0xff
	v_and_b32_sdwa v3, v9, s4 dst_sel:DWORD dst_unused:UNUSED_PAD src0_sel:WORD_1 src1_sel:DWORD
	s_movk_i32 s4, 0x7f
	v_cmp_lt_i16_e32 vcc, s4, v3
	s_mov_b64 s[4:5], 0
                                        ; implicit-def: $sgpr10
	s_and_saveexec_b64 s[6:7], vcc
	s_xor_b64 s[6:7], exec, s[6:7]
	s_cbranch_execz .LBB2_3441
; %bb.39281:
	s_getpc_b64 s[14:15]
.Lpost_getpc23224:
	s_add_u32 s14, s14, (.LBB2_17777-.Lpost_getpc23224)&4294967295
	s_addc_u32 s15, s15, (.LBB2_17777-.Lpost_getpc23224)>>32
	s_setpc_b64 s[14:15]
.LBB2_3441:
	s_or_saveexec_b64 s[6:7], s[6:7]
	v_mov_b32_e32 v2, s10
	s_xor_b64 exec, exec, s[6:7]
	s_cbranch_execz .LBB2_3442
; %bb.39283:
	s_getpc_b64 s[14:15]
.Lpost_getpc23225:
	s_add_u32 s14, s14, (.LBB2_17780-.Lpost_getpc23225)&4294967295
	s_addc_u32 s15, s15, (.LBB2_17780-.Lpost_getpc23225)>>32
	s_setpc_b64 s[14:15]
.LBB2_3442:
	s_or_b64 exec, exec, s[6:7]
	s_and_saveexec_b64 s[6:7], s[4:5]
	s_cbranch_execz .LBB2_3444
.LBB2_3443:
	v_bfe_u32 v2, v9, 16, 3
	v_ffbh_u32_e32 v6, v2
	v_min_u32_e32 v6, 32, v6
	v_lshrrev_b32_e32 v3, 19, v9
	v_subrev_u32_e32 v7, 28, v6
	v_and_b32_e32 v3, 15, v3
	v_lshlrev_b32_sdwa v7, v7, v9 dst_sel:DWORD dst_unused:UNUSED_PAD src0_sel:DWORD src1_sel:WORD_1
	v_bfe_u32 v4, v9, 19, 4
	v_sub_u32_e32 v6, 29, v6
	v_and_b32_e32 v7, 7, v7
	v_cmp_eq_u16_e32 vcc, 0, v3
	v_cndmask_b32_e32 v2, v2, v7, vcc
	v_cndmask_b32_e32 v3, v4, v6, vcc
	v_lshlrev_b32_e32 v4, 8, v9
	v_mov_b32_e32 v6, 0x3b800000
	v_lshlrev_b32_e32 v2, 20, v2
	v_and_b32_e32 v4, 0x80000000, v4
	v_lshl_add_u32 v3, v3, 23, v6
	v_or3_b32 v2, v4, v3, v2
.LBB2_3444:
	s_or_b64 exec, exec, s[6:7]
	s_movk_i32 s4, 0xff
	v_and_b32_sdwa v3, v5, s4 dst_sel:DWORD dst_unused:UNUSED_PAD src0_sel:WORD_1 src1_sel:DWORD
	s_movk_i32 s4, 0x7f
	v_cmp_lt_i16_e32 vcc, s4, v3
	s_mov_b64 s[4:5], 0
                                        ; implicit-def: $sgpr10
	s_and_saveexec_b64 s[6:7], vcc
	s_xor_b64 s[6:7], exec, s[6:7]
	s_cbranch_execz .LBB2_3445
; %bb.39285:
	s_getpc_b64 s[14:15]
.Lpost_getpc23226:
	s_add_u32 s14, s14, (.LBB2_17781-.Lpost_getpc23226)&4294967295
	s_addc_u32 s15, s15, (.LBB2_17781-.Lpost_getpc23226)>>32
	s_setpc_b64 s[14:15]
.LBB2_3445:
	s_or_saveexec_b64 s[6:7], s[6:7]
	v_mov_b32_e32 v4, s10
	s_xor_b64 exec, exec, s[6:7]
	s_cbranch_execz .LBB2_3446
; %bb.39287:
	s_getpc_b64 s[14:15]
.Lpost_getpc23227:
	s_add_u32 s14, s14, (.LBB2_17784-.Lpost_getpc23227)&4294967295
	s_addc_u32 s15, s15, (.LBB2_17784-.Lpost_getpc23227)>>32
	s_setpc_b64 s[14:15]
.LBB2_3446:
	s_or_b64 exec, exec, s[6:7]
	s_and_saveexec_b64 s[6:7], s[4:5]
	s_cbranch_execz .LBB2_3448
.LBB2_3447:
	v_bfe_u32 v3, v5, 16, 3
	v_ffbh_u32_e32 v7, v3
	v_min_u32_e32 v7, 32, v7
	v_lshrrev_b32_e32 v4, 19, v5
	v_subrev_u32_e32 v8, 28, v7
	v_and_b32_e32 v4, 15, v4
	v_lshlrev_b32_sdwa v8, v8, v5 dst_sel:DWORD dst_unused:UNUSED_PAD src0_sel:DWORD src1_sel:WORD_1
	v_bfe_u32 v6, v5, 19, 4
	v_sub_u32_e32 v7, 29, v7
	v_and_b32_e32 v8, 7, v8
	v_cmp_eq_u16_e32 vcc, 0, v4
	v_cndmask_b32_e32 v3, v3, v8, vcc
	v_cndmask_b32_e32 v4, v6, v7, vcc
	v_lshlrev_b32_e32 v6, 8, v5
	v_mov_b32_e32 v7, 0x3b800000
	v_lshlrev_b32_e32 v3, 20, v3
	v_and_b32_e32 v6, 0x80000000, v6
	v_lshl_add_u32 v4, v4, 23, v7
	v_or3_b32 v4, v6, v4, v3
.LBB2_3448:
	s_or_b64 exec, exec, s[6:7]
	s_nop 0
	v_mfma_f32_16x16x4f32 a[0:3], v2, v4, a[0:3]
	s_movk_i32 s4, 0x7f
	v_cmp_gt_i16_sdwa s[6:7], v9, s4 src0_sel:BYTE_3 src1_sel:DWORD
	s_mov_b64 s[4:5], 0
                                        ; implicit-def: $sgpr10
	s_and_saveexec_b64 s[8:9], s[6:7]
	s_xor_b64 s[6:7], exec, s[8:9]
	s_cbranch_execz .LBB2_3449
; %bb.39289:
	s_getpc_b64 s[14:15]
.Lpost_getpc23228:
	s_add_u32 s14, s14, (.LBB2_17785-.Lpost_getpc23228)&4294967295
	s_addc_u32 s15, s15, (.LBB2_17785-.Lpost_getpc23228)>>32
	s_setpc_b64 s[14:15]
.LBB2_3449:
	s_or_saveexec_b64 s[6:7], s[6:7]
	v_mov_b32_e32 v2, s10
	s_xor_b64 exec, exec, s[6:7]
	s_cbranch_execz .LBB2_3450
; %bb.39291:
	s_getpc_b64 s[14:15]
.Lpost_getpc23229:
	s_add_u32 s14, s14, (.LBB2_17788-.Lpost_getpc23229)&4294967295
	s_addc_u32 s15, s15, (.LBB2_17788-.Lpost_getpc23229)>>32
	s_setpc_b64 s[14:15]
.LBB2_3450:
	s_or_b64 exec, exec, s[6:7]
	s_and_saveexec_b64 s[6:7], s[4:5]
	s_cbranch_execz .LBB2_3452
.LBB2_3451:
	v_bfe_u32 v2, v9, 24, 3
	v_ffbh_u32_e32 v7, v2
	v_min_u32_e32 v7, 32, v7
	v_lshrrev_b32_e32 v4, 27, v9
	v_subrev_u32_e32 v8, 28, v7
	v_and_b32_e32 v4, 15, v4
	v_lshlrev_b32_sdwa v8, v8, v9 dst_sel:DWORD dst_unused:UNUSED_PAD src0_sel:DWORD src1_sel:BYTE_3
	v_bfe_u32 v6, v9, 27, 4
	v_sub_u32_e32 v7, 29, v7
	v_and_b32_e32 v8, 7, v8
	v_cmp_eq_u16_e32 vcc, 0, v4
	v_cndmask_b32_e32 v2, v2, v8, vcc
	v_cndmask_b32_e32 v4, v6, v7, vcc
	v_mov_b32_e32 v6, 0x3b800000
	v_and_b32_e32 v3, 0x80000000, v9
	v_lshlrev_b32_e32 v2, 20, v2
	v_lshl_add_u32 v4, v4, 23, v6
	v_or3_b32 v2, v3, v4, v2
.LBB2_3452:
	s_or_b64 exec, exec, s[6:7]
	s_movk_i32 s4, 0x7f
	v_cmp_gt_i16_sdwa s[6:7], v5, s4 src0_sel:BYTE_3 src1_sel:DWORD
	s_mov_b64 s[4:5], 0
                                        ; implicit-def: $sgpr10
	s_and_saveexec_b64 s[8:9], s[6:7]
	s_xor_b64 s[6:7], exec, s[8:9]
	s_cbranch_execz .LBB2_3453
; %bb.39293:
	s_getpc_b64 s[14:15]
.Lpost_getpc23230:
	s_add_u32 s14, s14, (.LBB2_17789-.Lpost_getpc23230)&4294967295
	s_addc_u32 s15, s15, (.LBB2_17789-.Lpost_getpc23230)>>32
	s_setpc_b64 s[14:15]
.LBB2_3453:
	s_or_saveexec_b64 s[6:7], s[6:7]
	v_mov_b32_e32 v3, s10
	s_xor_b64 exec, exec, s[6:7]
	s_cbranch_execz .LBB2_3454
; %bb.39295:
	s_getpc_b64 s[14:15]
.Lpost_getpc23231:
	s_add_u32 s14, s14, (.LBB2_17792-.Lpost_getpc23231)&4294967295
	s_addc_u32 s15, s15, (.LBB2_17792-.Lpost_getpc23231)>>32
	s_setpc_b64 s[14:15]
.LBB2_3454:
	s_or_b64 exec, exec, s[6:7]
	s_and_saveexec_b64 s[6:7], s[4:5]
	s_cbranch_execz .LBB2_3456
.LBB2_3455:
	v_bfe_u32 v3, v5, 24, 3
	v_ffbh_u32_e32 v8, v3
	v_min_u32_e32 v8, 32, v8
	v_lshrrev_b32_e32 v6, 27, v5
	v_subrev_u32_e32 v9, 28, v8
	v_and_b32_e32 v4, 0x80000000, v5
	v_and_b32_e32 v6, 15, v6
	v_bfe_u32 v7, v5, 27, 4
	v_lshlrev_b32_sdwa v5, v9, v5 dst_sel:DWORD dst_unused:UNUSED_PAD src0_sel:DWORD src1_sel:BYTE_3
	v_sub_u32_e32 v8, 29, v8
	v_and_b32_e32 v5, 7, v5
	v_cmp_eq_u16_e32 vcc, 0, v6
	v_cndmask_b32_e32 v3, v3, v5, vcc
	v_cndmask_b32_e32 v5, v7, v8, vcc
	v_mov_b32_e32 v6, 0x3b800000
	v_lshlrev_b32_e32 v3, 20, v3
	v_lshl_add_u32 v5, v5, 23, v6
	v_or3_b32 v3, v4, v5, v3
.LBB2_3456:
	s_or_b64 exec, exec, s[6:7]
	s_nop 0
	v_mfma_f32_16x16x4f32 a[0:3], v2, v3, a[0:3]
	s_movk_i32 s4, 0x7f
                                        ; implicit-def: $sgpr10
	s_nop 7
	s_nop 1
	flat_store_dwordx4 v[10:11], a[0:3] offset:416
	flat_load_dwordx4 v[12:15], v[0:1]
	s_nop 0
	flat_load_dwordx2 v[10:11], v[0:1] offset:16
	s_waitcnt vmcnt(0) lgkmcnt(0)
	flat_load_dwordx4 v[6:9], v[12:13] offset:48
	flat_load_dwordx4 v[2:5], v[14:15] offset:48
	s_waitcnt vmcnt(0) lgkmcnt(0)
	v_cmp_gt_i16_sdwa s[6:7], v6, s4 src0_sel:BYTE_0 src1_sel:DWORD
	s_mov_b64 s[4:5], 0
	s_and_saveexec_b64 s[8:9], s[6:7]
	s_xor_b64 s[6:7], exec, s[8:9]
	s_cbranch_execz .LBB2_3457
; %bb.39297:
	s_getpc_b64 s[14:15]
.Lpost_getpc23232:
	s_add_u32 s14, s14, (.LBB2_17793-.Lpost_getpc23232)&4294967295
	s_addc_u32 s15, s15, (.LBB2_17793-.Lpost_getpc23232)>>32
	s_setpc_b64 s[14:15]
.LBB2_3457:
	s_or_saveexec_b64 s[6:7], s[6:7]
	v_mov_b32_e32 v12, s10
	s_xor_b64 exec, exec, s[6:7]
	s_cbranch_execz .LBB2_3458
; %bb.39299:
	s_getpc_b64 s[14:15]
.Lpost_getpc23233:
	s_add_u32 s14, s14, (.LBB2_17796-.Lpost_getpc23233)&4294967295
	s_addc_u32 s15, s15, (.LBB2_17796-.Lpost_getpc23233)>>32
	s_setpc_b64 s[14:15]
.LBB2_3458:
	s_or_b64 exec, exec, s[6:7]
	s_and_saveexec_b64 s[6:7], s[4:5]
	s_cbranch_execz .LBB2_3460
.LBB2_3459:
	v_and_b32_e32 v12, 7, v6
	v_ffbh_u32_e32 v14, v12
	v_min_u32_e32 v14, 32, v14
	v_lshrrev_b16_e32 v13, 3, v6
	v_subrev_u32_e32 v15, 28, v14
	v_and_b32_e32 v13, 15, v13
	v_lshlrev_b32_e32 v15, v15, v6
	v_sub_u32_e32 v14, 29, v14
	v_and_b32_e32 v15, 7, v15
	v_cmp_eq_u16_e32 vcc, 0, v13
	v_cndmask_b32_e32 v12, v12, v15, vcc
	v_cndmask_b32_e32 v13, v13, v14, vcc
	v_lshlrev_b32_e32 v14, 24, v6
	v_mov_b32_e32 v15, 0x3b800000
	v_lshlrev_b32_e32 v12, 20, v12
	v_and_b32_e32 v14, 0x80000000, v14
	v_lshl_add_u32 v13, v13, 23, v15
	v_or3_b32 v12, v14, v13, v12
.LBB2_3460:
	s_or_b64 exec, exec, s[6:7]
	s_movk_i32 s4, 0x7f
	v_cmp_gt_i16_sdwa s[6:7], v2, s4 src0_sel:BYTE_0 src1_sel:DWORD
	s_mov_b64 s[4:5], 0
                                        ; implicit-def: $sgpr10
	s_and_saveexec_b64 s[8:9], s[6:7]
	s_xor_b64 s[6:7], exec, s[8:9]
	s_cbranch_execz .LBB2_3461
; %bb.39301:
	s_getpc_b64 s[14:15]
.Lpost_getpc23234:
	s_add_u32 s14, s14, (.LBB2_17797-.Lpost_getpc23234)&4294967295
	s_addc_u32 s15, s15, (.LBB2_17797-.Lpost_getpc23234)>>32
	s_setpc_b64 s[14:15]
.LBB2_3461:
	s_or_saveexec_b64 s[6:7], s[6:7]
	v_mov_b32_e32 v13, s10
	s_xor_b64 exec, exec, s[6:7]
	s_cbranch_execz .LBB2_3462
; %bb.39303:
	s_getpc_b64 s[14:15]
.Lpost_getpc23235:
	s_add_u32 s14, s14, (.LBB2_17800-.Lpost_getpc23235)&4294967295
	s_addc_u32 s15, s15, (.LBB2_17800-.Lpost_getpc23235)>>32
	s_setpc_b64 s[14:15]
.LBB2_3462:
	s_or_b64 exec, exec, s[6:7]
	s_and_saveexec_b64 s[6:7], s[4:5]
	s_cbranch_execz .LBB2_3464
.LBB2_3463:
	v_and_b32_e32 v13, 7, v2
	v_ffbh_u32_e32 v15, v13
	v_min_u32_e32 v15, 32, v15
	v_lshrrev_b16_e32 v14, 3, v2
	v_subrev_u32_e32 v16, 28, v15
	v_and_b32_e32 v14, 15, v14
	v_lshlrev_b32_e32 v16, v16, v2
	v_sub_u32_e32 v15, 29, v15
	v_and_b32_e32 v16, 7, v16
	v_cmp_eq_u16_e32 vcc, 0, v14
	v_cndmask_b32_e32 v13, v13, v16, vcc
	v_cndmask_b32_e32 v14, v14, v15, vcc
	v_lshlrev_b32_e32 v15, 24, v2
	v_mov_b32_e32 v16, 0x3b800000
	v_lshlrev_b32_e32 v13, 20, v13
	v_and_b32_e32 v15, 0x80000000, v15
	v_lshl_add_u32 v14, v14, 23, v16
	v_or3_b32 v13, v15, v14, v13
.LBB2_3464:
	s_or_b64 exec, exec, s[6:7]
	flat_load_dwordx4 a[0:3], v[10:11] offset:432
	s_movk_i32 s4, 0x7f
                                        ; implicit-def: $sgpr10
	s_waitcnt vmcnt(0) lgkmcnt(0)
	v_mfma_f32_16x16x4f32 a[0:3], v12, v13, a[0:3]
	v_lshrrev_b32_e32 v13, 8, v6
	v_cmp_gt_i16_sdwa s[6:7], v13, s4 src0_sel:BYTE_0 src1_sel:DWORD
	s_mov_b64 s[4:5], 0
	s_and_saveexec_b64 s[8:9], s[6:7]
	s_xor_b64 s[6:7], exec, s[8:9]
	s_cbranch_execz .LBB2_3465
; %bb.39305:
	s_getpc_b64 s[14:15]
.Lpost_getpc23236:
	s_add_u32 s14, s14, (.LBB2_17801-.Lpost_getpc23236)&4294967295
	s_addc_u32 s15, s15, (.LBB2_17801-.Lpost_getpc23236)>>32
	s_setpc_b64 s[14:15]
.LBB2_3465:
	s_or_saveexec_b64 s[6:7], s[6:7]
	v_mov_b32_e32 v12, s10
	s_xor_b64 exec, exec, s[6:7]
	s_cbranch_execz .LBB2_3466
; %bb.39307:
	s_getpc_b64 s[14:15]
.Lpost_getpc23237:
	s_add_u32 s14, s14, (.LBB2_17804-.Lpost_getpc23237)&4294967295
	s_addc_u32 s15, s15, (.LBB2_17804-.Lpost_getpc23237)>>32
	s_setpc_b64 s[14:15]
.LBB2_3466:
	s_or_b64 exec, exec, s[6:7]
	s_and_saveexec_b64 s[6:7], s[4:5]
	s_cbranch_execz .LBB2_3468
.LBB2_3467:
	v_bfe_u32 v12, v6, 8, 3
	v_ffbh_u32_e32 v15, v12
	v_min_u32_e32 v15, 32, v15
	v_lshrrev_b16_e32 v14, 3, v13
	v_subrev_u32_e32 v16, 28, v15
	v_and_b32_e32 v14, 15, v14
	v_lshlrev_b32_e32 v13, v16, v13
	v_sub_u32_e32 v15, 29, v15
	v_and_b32_e32 v13, 7, v13
	v_cmp_eq_u16_e32 vcc, 0, v14
	v_cndmask_b32_e32 v12, v12, v13, vcc
	v_cndmask_b32_e32 v13, v14, v15, vcc
	v_lshlrev_b32_e32 v14, 16, v6
	v_mov_b32_e32 v15, 0x3b800000
	v_lshlrev_b32_e32 v12, 20, v12
	v_and_b32_e32 v14, 0x80000000, v14
	v_lshl_add_u32 v13, v13, 23, v15
	v_or3_b32 v12, v14, v13, v12
.LBB2_3468:
	s_or_b64 exec, exec, s[6:7]
	v_lshrrev_b32_e32 v13, 8, v2
	s_movk_i32 s4, 0x7f
	v_cmp_gt_i16_sdwa s[6:7], v13, s4 src0_sel:BYTE_0 src1_sel:DWORD
	s_mov_b64 s[4:5], 0
                                        ; implicit-def: $sgpr10
	s_and_saveexec_b64 s[8:9], s[6:7]
	s_xor_b64 s[6:7], exec, s[8:9]
	s_cbranch_execz .LBB2_3469
; %bb.39309:
	s_getpc_b64 s[14:15]
.Lpost_getpc23238:
	s_add_u32 s14, s14, (.LBB2_17805-.Lpost_getpc23238)&4294967295
	s_addc_u32 s15, s15, (.LBB2_17805-.Lpost_getpc23238)>>32
	s_setpc_b64 s[14:15]
.LBB2_3469:
	s_or_saveexec_b64 s[6:7], s[6:7]
	v_mov_b32_e32 v14, s10
	s_xor_b64 exec, exec, s[6:7]
	s_cbranch_execz .LBB2_3470
; %bb.39311:
	s_getpc_b64 s[14:15]
.Lpost_getpc23239:
	s_add_u32 s14, s14, (.LBB2_17808-.Lpost_getpc23239)&4294967295
	s_addc_u32 s15, s15, (.LBB2_17808-.Lpost_getpc23239)>>32
	s_setpc_b64 s[14:15]
.LBB2_3470:
	s_or_b64 exec, exec, s[6:7]
	s_and_saveexec_b64 s[6:7], s[4:5]
	s_cbranch_execz .LBB2_3472
.LBB2_3471:
	v_bfe_u32 v14, v2, 8, 3
	v_ffbh_u32_e32 v16, v14
	v_min_u32_e32 v16, 32, v16
	v_lshrrev_b16_e32 v15, 3, v13
	v_subrev_u32_e32 v17, 28, v16
	v_and_b32_e32 v15, 15, v15
	v_lshlrev_b32_e32 v13, v17, v13
	v_sub_u32_e32 v16, 29, v16
	v_and_b32_e32 v13, 7, v13
	v_cmp_eq_u16_e32 vcc, 0, v15
	v_cndmask_b32_e32 v13, v14, v13, vcc
	v_cndmask_b32_e32 v14, v15, v16, vcc
	v_lshlrev_b32_e32 v15, 16, v2
	v_mov_b32_e32 v16, 0x3b800000
	v_lshlrev_b32_e32 v13, 20, v13
	v_and_b32_e32 v15, 0x80000000, v15
	v_lshl_add_u32 v14, v14, 23, v16
	v_or3_b32 v14, v15, v14, v13
.LBB2_3472:
	s_or_b64 exec, exec, s[6:7]
	s_nop 0
	v_mfma_f32_16x16x4f32 a[0:3], v12, v14, a[0:3]
	s_movk_i32 s4, 0xff
	v_and_b32_sdwa v13, v6, s4 dst_sel:DWORD dst_unused:UNUSED_PAD src0_sel:WORD_1 src1_sel:DWORD
	s_movk_i32 s4, 0x7f
	v_cmp_lt_i16_e32 vcc, s4, v13
	s_mov_b64 s[4:5], 0
                                        ; implicit-def: $sgpr10
	s_and_saveexec_b64 s[6:7], vcc
	s_xor_b64 s[6:7], exec, s[6:7]
	s_cbranch_execz .LBB2_3473
; %bb.39313:
	s_getpc_b64 s[14:15]
.Lpost_getpc23240:
	s_add_u32 s14, s14, (.LBB2_17809-.Lpost_getpc23240)&4294967295
	s_addc_u32 s15, s15, (.LBB2_17809-.Lpost_getpc23240)>>32
	s_setpc_b64 s[14:15]
.LBB2_3473:
	s_or_saveexec_b64 s[6:7], s[6:7]
	v_mov_b32_e32 v12, s10
	s_xor_b64 exec, exec, s[6:7]
	s_cbranch_execz .LBB2_3474
; %bb.39315:
	s_getpc_b64 s[14:15]
.Lpost_getpc23241:
	s_add_u32 s14, s14, (.LBB2_17812-.Lpost_getpc23241)&4294967295
	s_addc_u32 s15, s15, (.LBB2_17812-.Lpost_getpc23241)>>32
	s_setpc_b64 s[14:15]
.LBB2_3474:
	s_or_b64 exec, exec, s[6:7]
	s_and_saveexec_b64 s[6:7], s[4:5]
	s_cbranch_execz .LBB2_3476
.LBB2_3475:
	v_bfe_u32 v12, v6, 16, 3
	v_ffbh_u32_e32 v15, v12
	v_min_u32_e32 v15, 32, v15
	v_lshrrev_b32_e32 v13, 19, v6
	v_subrev_u32_e32 v16, 28, v15
	v_and_b32_e32 v13, 15, v13
	v_lshlrev_b32_sdwa v16, v16, v6 dst_sel:DWORD dst_unused:UNUSED_PAD src0_sel:DWORD src1_sel:WORD_1
	v_bfe_u32 v14, v6, 19, 4
	v_sub_u32_e32 v15, 29, v15
	v_and_b32_e32 v16, 7, v16
	v_cmp_eq_u16_e32 vcc, 0, v13
	v_cndmask_b32_e32 v12, v12, v16, vcc
	v_cndmask_b32_e32 v13, v14, v15, vcc
	v_lshlrev_b32_e32 v14, 8, v6
	v_mov_b32_e32 v15, 0x3b800000
	v_lshlrev_b32_e32 v12, 20, v12
	v_and_b32_e32 v14, 0x80000000, v14
	v_lshl_add_u32 v13, v13, 23, v15
	v_or3_b32 v12, v14, v13, v12
.LBB2_3476:
	s_or_b64 exec, exec, s[6:7]
	s_movk_i32 s4, 0xff
	v_and_b32_sdwa v13, v2, s4 dst_sel:DWORD dst_unused:UNUSED_PAD src0_sel:WORD_1 src1_sel:DWORD
	s_movk_i32 s4, 0x7f
	v_cmp_lt_i16_e32 vcc, s4, v13
	s_mov_b64 s[4:5], 0
                                        ; implicit-def: $sgpr10
	s_and_saveexec_b64 s[6:7], vcc
	s_xor_b64 s[6:7], exec, s[6:7]
	s_cbranch_execz .LBB2_3477
; %bb.39317:
	s_getpc_b64 s[14:15]
.Lpost_getpc23242:
	s_add_u32 s14, s14, (.LBB2_17813-.Lpost_getpc23242)&4294967295
	s_addc_u32 s15, s15, (.LBB2_17813-.Lpost_getpc23242)>>32
	s_setpc_b64 s[14:15]
.LBB2_3477:
	s_or_saveexec_b64 s[6:7], s[6:7]
	v_mov_b32_e32 v14, s10
	s_xor_b64 exec, exec, s[6:7]
	s_cbranch_execz .LBB2_3478
; %bb.39319:
	s_getpc_b64 s[14:15]
.Lpost_getpc23243:
	s_add_u32 s14, s14, (.LBB2_17816-.Lpost_getpc23243)&4294967295
	s_addc_u32 s15, s15, (.LBB2_17816-.Lpost_getpc23243)>>32
	s_setpc_b64 s[14:15]
.LBB2_3478:
	s_or_b64 exec, exec, s[6:7]
	s_and_saveexec_b64 s[6:7], s[4:5]
	s_cbranch_execz .LBB2_3480
.LBB2_3479:
	v_bfe_u32 v13, v2, 16, 3
	v_ffbh_u32_e32 v16, v13
	v_min_u32_e32 v16, 32, v16
	v_lshrrev_b32_e32 v14, 19, v2
	v_subrev_u32_e32 v17, 28, v16
	v_and_b32_e32 v14, 15, v14
	v_lshlrev_b32_sdwa v17, v17, v2 dst_sel:DWORD dst_unused:UNUSED_PAD src0_sel:DWORD src1_sel:WORD_1
	v_bfe_u32 v15, v2, 19, 4
	v_sub_u32_e32 v16, 29, v16
	v_and_b32_e32 v17, 7, v17
	v_cmp_eq_u16_e32 vcc, 0, v14
	v_cndmask_b32_e32 v13, v13, v17, vcc
	v_cndmask_b32_e32 v14, v15, v16, vcc
	v_lshlrev_b32_e32 v15, 8, v2
	v_mov_b32_e32 v16, 0x3b800000
	v_lshlrev_b32_e32 v13, 20, v13
	v_and_b32_e32 v15, 0x80000000, v15
	v_lshl_add_u32 v14, v14, 23, v16
	v_or3_b32 v14, v15, v14, v13
.LBB2_3480:
	s_or_b64 exec, exec, s[6:7]
	s_nop 0
	v_mfma_f32_16x16x4f32 a[0:3], v12, v14, a[0:3]
	s_movk_i32 s4, 0x7f
	v_cmp_gt_i16_sdwa s[6:7], v6, s4 src0_sel:BYTE_3 src1_sel:DWORD
	s_mov_b64 s[4:5], 0
                                        ; implicit-def: $sgpr10
	s_and_saveexec_b64 s[8:9], s[6:7]
	s_xor_b64 s[6:7], exec, s[8:9]
	s_cbranch_execz .LBB2_3481
; %bb.39321:
	s_getpc_b64 s[14:15]
.Lpost_getpc23244:
	s_add_u32 s14, s14, (.LBB2_17817-.Lpost_getpc23244)&4294967295
	s_addc_u32 s15, s15, (.LBB2_17817-.Lpost_getpc23244)>>32
	s_setpc_b64 s[14:15]
.LBB2_3481:
	s_or_saveexec_b64 s[6:7], s[6:7]
	v_mov_b32_e32 v12, s10
	s_xor_b64 exec, exec, s[6:7]
	s_cbranch_execz .LBB2_3482
; %bb.39323:
	s_getpc_b64 s[14:15]
.Lpost_getpc23245:
	s_add_u32 s14, s14, (.LBB2_17820-.Lpost_getpc23245)&4294967295
	s_addc_u32 s15, s15, (.LBB2_17820-.Lpost_getpc23245)>>32
	s_setpc_b64 s[14:15]
.LBB2_3482:
	s_or_b64 exec, exec, s[6:7]
	s_and_saveexec_b64 s[6:7], s[4:5]
	s_cbranch_execz .LBB2_3484
.LBB2_3483:
	v_bfe_u32 v12, v6, 24, 3
	v_ffbh_u32_e32 v16, v12
	v_min_u32_e32 v16, 32, v16
	v_lshrrev_b32_e32 v14, 27, v6
	v_subrev_u32_e32 v17, 28, v16
	v_and_b32_e32 v13, 0x80000000, v6
	v_and_b32_e32 v14, 15, v14
	v_bfe_u32 v15, v6, 27, 4
	v_lshlrev_b32_sdwa v6, v17, v6 dst_sel:DWORD dst_unused:UNUSED_PAD src0_sel:DWORD src1_sel:BYTE_3
	v_sub_u32_e32 v16, 29, v16
	v_and_b32_e32 v6, 7, v6
	v_cmp_eq_u16_e32 vcc, 0, v14
	v_cndmask_b32_e32 v6, v12, v6, vcc
	v_cndmask_b32_e32 v12, v15, v16, vcc
	v_mov_b32_e32 v14, 0x3b800000
	v_lshlrev_b32_e32 v6, 20, v6
	v_lshl_add_u32 v12, v12, 23, v14
	v_or3_b32 v12, v13, v12, v6
.LBB2_3484:
	s_or_b64 exec, exec, s[6:7]
	s_movk_i32 s4, 0x7f
	v_cmp_gt_i16_sdwa s[6:7], v2, s4 src0_sel:BYTE_3 src1_sel:DWORD
	s_mov_b64 s[4:5], 0
                                        ; implicit-def: $sgpr10
	s_and_saveexec_b64 s[8:9], s[6:7]
	s_xor_b64 s[6:7], exec, s[8:9]
	s_cbranch_execz .LBB2_3485
; %bb.39325:
	s_getpc_b64 s[14:15]
.Lpost_getpc23246:
	s_add_u32 s14, s14, (.LBB2_17821-.Lpost_getpc23246)&4294967295
	s_addc_u32 s15, s15, (.LBB2_17821-.Lpost_getpc23246)>>32
	s_setpc_b64 s[14:15]
.LBB2_3485:
	s_or_saveexec_b64 s[6:7], s[6:7]
	v_mov_b32_e32 v6, s10
	s_xor_b64 exec, exec, s[6:7]
	s_cbranch_execz .LBB2_3486
; %bb.39327:
	s_getpc_b64 s[14:15]
.Lpost_getpc23247:
	s_add_u32 s14, s14, (.LBB2_17824-.Lpost_getpc23247)&4294967295
	s_addc_u32 s15, s15, (.LBB2_17824-.Lpost_getpc23247)>>32
	s_setpc_b64 s[14:15]
.LBB2_3486:
	s_or_b64 exec, exec, s[6:7]
	s_and_saveexec_b64 s[6:7], s[4:5]
	s_cbranch_execz .LBB2_3488
.LBB2_3487:
	v_bfe_u32 v6, v2, 24, 3
	v_ffbh_u32_e32 v16, v6
	v_min_u32_e32 v16, 32, v16
	v_lshrrev_b32_e32 v14, 27, v2
	v_subrev_u32_e32 v17, 28, v16
	v_and_b32_e32 v13, 0x80000000, v2
	v_and_b32_e32 v14, 15, v14
	v_bfe_u32 v15, v2, 27, 4
	v_lshlrev_b32_sdwa v2, v17, v2 dst_sel:DWORD dst_unused:UNUSED_PAD src0_sel:DWORD src1_sel:BYTE_3
	v_sub_u32_e32 v16, 29, v16
	v_and_b32_e32 v2, 7, v2
	v_cmp_eq_u16_e32 vcc, 0, v14
	v_cndmask_b32_e32 v2, v6, v2, vcc
	v_cndmask_b32_e32 v6, v15, v16, vcc
	v_mov_b32_e32 v14, 0x3b800000
	v_lshlrev_b32_e32 v2, 20, v2
	v_lshl_add_u32 v6, v6, 23, v14
	v_or3_b32 v6, v13, v6, v2
.LBB2_3488:
	s_or_b64 exec, exec, s[6:7]
	s_nop 0
	v_mfma_f32_16x16x4f32 a[0:3], v12, v6, a[0:3]
	s_movk_i32 s4, 0x7f
	v_cmp_gt_i16_sdwa s[6:7], v7, s4 src0_sel:BYTE_0 src1_sel:DWORD
	s_mov_b64 s[4:5], 0
                                        ; implicit-def: $sgpr10
	s_and_saveexec_b64 s[8:9], s[6:7]
	s_xor_b64 s[6:7], exec, s[8:9]
	s_cbranch_execz .LBB2_3489
; %bb.39329:
	s_getpc_b64 s[14:15]
.Lpost_getpc23248:
	s_add_u32 s14, s14, (.LBB2_17825-.Lpost_getpc23248)&4294967295
	s_addc_u32 s15, s15, (.LBB2_17825-.Lpost_getpc23248)>>32
	s_setpc_b64 s[14:15]
.LBB2_3489:
	s_or_saveexec_b64 s[6:7], s[6:7]
	v_mov_b32_e32 v2, s10
	s_xor_b64 exec, exec, s[6:7]
	s_cbranch_execz .LBB2_3490
; %bb.39331:
	s_getpc_b64 s[14:15]
.Lpost_getpc23249:
	s_add_u32 s14, s14, (.LBB2_17828-.Lpost_getpc23249)&4294967295
	s_addc_u32 s15, s15, (.LBB2_17828-.Lpost_getpc23249)>>32
	s_setpc_b64 s[14:15]
.LBB2_3490:
	s_or_b64 exec, exec, s[6:7]
	s_and_saveexec_b64 s[6:7], s[4:5]
	s_cbranch_execz .LBB2_3492
.LBB2_3491:
	v_and_b32_e32 v2, 7, v7
	v_ffbh_u32_e32 v12, v2
	v_min_u32_e32 v12, 32, v12
	v_lshrrev_b16_e32 v6, 3, v7
	v_subrev_u32_e32 v13, 28, v12
	v_and_b32_e32 v6, 15, v6
	v_lshlrev_b32_e32 v13, v13, v7
	v_sub_u32_e32 v12, 29, v12
	v_and_b32_e32 v13, 7, v13
	v_cmp_eq_u16_e32 vcc, 0, v6
	v_cndmask_b32_e32 v2, v2, v13, vcc
	v_cndmask_b32_e32 v6, v6, v12, vcc
	v_lshlrev_b32_e32 v12, 24, v7
	v_mov_b32_e32 v13, 0x3b800000
	v_lshlrev_b32_e32 v2, 20, v2
	v_and_b32_e32 v12, 0x80000000, v12
	v_lshl_add_u32 v6, v6, 23, v13
	v_or3_b32 v2, v12, v6, v2
.LBB2_3492:
	s_or_b64 exec, exec, s[6:7]
	s_movk_i32 s4, 0x7f
	v_cmp_gt_i16_sdwa s[6:7], v3, s4 src0_sel:BYTE_0 src1_sel:DWORD
	s_mov_b64 s[4:5], 0
                                        ; implicit-def: $sgpr10
	s_and_saveexec_b64 s[8:9], s[6:7]
	s_xor_b64 s[6:7], exec, s[8:9]
	s_cbranch_execz .LBB2_3493
; %bb.39333:
	s_getpc_b64 s[14:15]
.Lpost_getpc23250:
	s_add_u32 s14, s14, (.LBB2_17829-.Lpost_getpc23250)&4294967295
	s_addc_u32 s15, s15, (.LBB2_17829-.Lpost_getpc23250)>>32
	s_setpc_b64 s[14:15]
.LBB2_3493:
	s_or_saveexec_b64 s[6:7], s[6:7]
	v_mov_b32_e32 v6, s10
	s_xor_b64 exec, exec, s[6:7]
	s_cbranch_execz .LBB2_3494
; %bb.39335:
	s_getpc_b64 s[14:15]
.Lpost_getpc23251:
	s_add_u32 s14, s14, (.LBB2_17832-.Lpost_getpc23251)&4294967295
	s_addc_u32 s15, s15, (.LBB2_17832-.Lpost_getpc23251)>>32
	s_setpc_b64 s[14:15]
.LBB2_3494:
	s_or_b64 exec, exec, s[6:7]
	s_and_saveexec_b64 s[6:7], s[4:5]
	s_cbranch_execz .LBB2_3496
.LBB2_3495:
	v_and_b32_e32 v6, 7, v3
	v_ffbh_u32_e32 v13, v6
	v_min_u32_e32 v13, 32, v13
	v_lshrrev_b16_e32 v12, 3, v3
	v_subrev_u32_e32 v14, 28, v13
	v_and_b32_e32 v12, 15, v12
	v_lshlrev_b32_e32 v14, v14, v3
	v_sub_u32_e32 v13, 29, v13
	v_and_b32_e32 v14, 7, v14
	v_cmp_eq_u16_e32 vcc, 0, v12
	v_cndmask_b32_e32 v6, v6, v14, vcc
	v_cndmask_b32_e32 v12, v12, v13, vcc
	v_lshlrev_b32_e32 v13, 24, v3
	v_mov_b32_e32 v14, 0x3b800000
	v_lshlrev_b32_e32 v6, 20, v6
	v_and_b32_e32 v13, 0x80000000, v13
	v_lshl_add_u32 v12, v12, 23, v14
	v_or3_b32 v6, v13, v12, v6
.LBB2_3496:
	s_or_b64 exec, exec, s[6:7]
	s_nop 0
	v_mfma_f32_16x16x4f32 a[0:3], v2, v6, a[0:3]
	v_lshrrev_b32_e32 v6, 8, v7
	s_movk_i32 s4, 0x7f
	v_cmp_gt_i16_sdwa s[6:7], v6, s4 src0_sel:BYTE_0 src1_sel:DWORD
	s_mov_b64 s[4:5], 0
                                        ; implicit-def: $sgpr10
	s_and_saveexec_b64 s[8:9], s[6:7]
	s_xor_b64 s[6:7], exec, s[8:9]
	s_cbranch_execz .LBB2_3497
; %bb.39337:
	s_getpc_b64 s[14:15]
.Lpost_getpc23252:
	s_add_u32 s14, s14, (.LBB2_17833-.Lpost_getpc23252)&4294967295
	s_addc_u32 s15, s15, (.LBB2_17833-.Lpost_getpc23252)>>32
	s_setpc_b64 s[14:15]
.LBB2_3497:
	s_or_saveexec_b64 s[6:7], s[6:7]
	v_mov_b32_e32 v2, s10
	s_xor_b64 exec, exec, s[6:7]
	s_cbranch_execz .LBB2_3498
; %bb.39339:
	s_getpc_b64 s[14:15]
.Lpost_getpc23253:
	s_add_u32 s14, s14, (.LBB2_17836-.Lpost_getpc23253)&4294967295
	s_addc_u32 s15, s15, (.LBB2_17836-.Lpost_getpc23253)>>32
	s_setpc_b64 s[14:15]
.LBB2_3498:
	s_or_b64 exec, exec, s[6:7]
	s_and_saveexec_b64 s[6:7], s[4:5]
	s_cbranch_execz .LBB2_3500
.LBB2_3499:
	v_bfe_u32 v2, v7, 8, 3
	v_ffbh_u32_e32 v13, v2
	v_min_u32_e32 v13, 32, v13
	v_lshrrev_b16_e32 v12, 3, v6
	v_subrev_u32_e32 v14, 28, v13
	v_and_b32_e32 v12, 15, v12
	v_lshlrev_b32_e32 v6, v14, v6
	v_sub_u32_e32 v13, 29, v13
	v_and_b32_e32 v6, 7, v6
	v_cmp_eq_u16_e32 vcc, 0, v12
	v_cndmask_b32_e32 v2, v2, v6, vcc
	v_cndmask_b32_e32 v6, v12, v13, vcc
	v_lshlrev_b32_e32 v12, 16, v7
	v_mov_b32_e32 v13, 0x3b800000
	v_lshlrev_b32_e32 v2, 20, v2
	v_and_b32_e32 v12, 0x80000000, v12
	v_lshl_add_u32 v6, v6, 23, v13
	v_or3_b32 v2, v12, v6, v2
.LBB2_3500:
	s_or_b64 exec, exec, s[6:7]
	v_lshrrev_b32_e32 v6, 8, v3
	s_movk_i32 s4, 0x7f
	v_cmp_gt_i16_sdwa s[6:7], v6, s4 src0_sel:BYTE_0 src1_sel:DWORD
	s_mov_b64 s[4:5], 0
                                        ; implicit-def: $sgpr10
	s_and_saveexec_b64 s[8:9], s[6:7]
	s_xor_b64 s[6:7], exec, s[8:9]
	s_cbranch_execz .LBB2_3501
; %bb.39341:
	s_getpc_b64 s[14:15]
.Lpost_getpc23254:
	s_add_u32 s14, s14, (.LBB2_17837-.Lpost_getpc23254)&4294967295
	s_addc_u32 s15, s15, (.LBB2_17837-.Lpost_getpc23254)>>32
	s_setpc_b64 s[14:15]
.LBB2_3501:
	s_or_saveexec_b64 s[6:7], s[6:7]
	v_mov_b32_e32 v12, s10
	s_xor_b64 exec, exec, s[6:7]
	s_cbranch_execz .LBB2_3502
; %bb.39343:
	s_getpc_b64 s[14:15]
.Lpost_getpc23255:
	s_add_u32 s14, s14, (.LBB2_17840-.Lpost_getpc23255)&4294967295
	s_addc_u32 s15, s15, (.LBB2_17840-.Lpost_getpc23255)>>32
	s_setpc_b64 s[14:15]
.LBB2_3502:
	s_or_b64 exec, exec, s[6:7]
	s_and_saveexec_b64 s[6:7], s[4:5]
	s_cbranch_execz .LBB2_3504
.LBB2_3503:
	v_bfe_u32 v12, v3, 8, 3
	v_ffbh_u32_e32 v14, v12
	v_min_u32_e32 v14, 32, v14
	v_lshrrev_b16_e32 v13, 3, v6
	v_subrev_u32_e32 v15, 28, v14
	v_and_b32_e32 v13, 15, v13
	v_lshlrev_b32_e32 v6, v15, v6
	v_sub_u32_e32 v14, 29, v14
	v_and_b32_e32 v6, 7, v6
	v_cmp_eq_u16_e32 vcc, 0, v13
	v_cndmask_b32_e32 v6, v12, v6, vcc
	v_cndmask_b32_e32 v12, v13, v14, vcc
	v_lshlrev_b32_e32 v13, 16, v3
	v_mov_b32_e32 v14, 0x3b800000
	v_lshlrev_b32_e32 v6, 20, v6
	v_and_b32_e32 v13, 0x80000000, v13
	v_lshl_add_u32 v12, v12, 23, v14
	v_or3_b32 v12, v13, v12, v6
.LBB2_3504:
	s_or_b64 exec, exec, s[6:7]
	s_nop 0
	v_mfma_f32_16x16x4f32 a[0:3], v2, v12, a[0:3]
	s_movk_i32 s4, 0xff
	v_and_b32_sdwa v6, v7, s4 dst_sel:DWORD dst_unused:UNUSED_PAD src0_sel:WORD_1 src1_sel:DWORD
	s_movk_i32 s4, 0x7f
	v_cmp_lt_i16_e32 vcc, s4, v6
	s_mov_b64 s[4:5], 0
                                        ; implicit-def: $sgpr10
	s_and_saveexec_b64 s[6:7], vcc
	s_xor_b64 s[6:7], exec, s[6:7]
	s_cbranch_execz .LBB2_3505
; %bb.39345:
	s_getpc_b64 s[14:15]
.Lpost_getpc23256:
	s_add_u32 s14, s14, (.LBB2_17841-.Lpost_getpc23256)&4294967295
	s_addc_u32 s15, s15, (.LBB2_17841-.Lpost_getpc23256)>>32
	s_setpc_b64 s[14:15]
.LBB2_3505:
	s_or_saveexec_b64 s[6:7], s[6:7]
	v_mov_b32_e32 v2, s10
	s_xor_b64 exec, exec, s[6:7]
	s_cbranch_execz .LBB2_3506
; %bb.39347:
	s_getpc_b64 s[14:15]
.Lpost_getpc23257:
	s_add_u32 s14, s14, (.LBB2_17844-.Lpost_getpc23257)&4294967295
	s_addc_u32 s15, s15, (.LBB2_17844-.Lpost_getpc23257)>>32
	s_setpc_b64 s[14:15]
.LBB2_3506:
	s_or_b64 exec, exec, s[6:7]
	s_and_saveexec_b64 s[6:7], s[4:5]
	s_cbranch_execz .LBB2_3508
.LBB2_3507:
	v_bfe_u32 v2, v7, 16, 3
	v_ffbh_u32_e32 v13, v2
	v_min_u32_e32 v13, 32, v13
	v_lshrrev_b32_e32 v6, 19, v7
	v_subrev_u32_e32 v14, 28, v13
	v_and_b32_e32 v6, 15, v6
	v_lshlrev_b32_sdwa v14, v14, v7 dst_sel:DWORD dst_unused:UNUSED_PAD src0_sel:DWORD src1_sel:WORD_1
	v_bfe_u32 v12, v7, 19, 4
	v_sub_u32_e32 v13, 29, v13
	v_and_b32_e32 v14, 7, v14
	v_cmp_eq_u16_e32 vcc, 0, v6
	v_cndmask_b32_e32 v2, v2, v14, vcc
	v_cndmask_b32_e32 v6, v12, v13, vcc
	v_lshlrev_b32_e32 v12, 8, v7
	v_mov_b32_e32 v13, 0x3b800000
	v_lshlrev_b32_e32 v2, 20, v2
	v_and_b32_e32 v12, 0x80000000, v12
	v_lshl_add_u32 v6, v6, 23, v13
	v_or3_b32 v2, v12, v6, v2
.LBB2_3508:
	s_or_b64 exec, exec, s[6:7]
	s_movk_i32 s4, 0xff
	v_and_b32_sdwa v6, v3, s4 dst_sel:DWORD dst_unused:UNUSED_PAD src0_sel:WORD_1 src1_sel:DWORD
	s_movk_i32 s4, 0x7f
	v_cmp_lt_i16_e32 vcc, s4, v6
	s_mov_b64 s[4:5], 0
                                        ; implicit-def: $sgpr10
	s_and_saveexec_b64 s[6:7], vcc
	s_xor_b64 s[6:7], exec, s[6:7]
	s_cbranch_execz .LBB2_3509
; %bb.39349:
	s_getpc_b64 s[14:15]
.Lpost_getpc23258:
	s_add_u32 s14, s14, (.LBB2_17845-.Lpost_getpc23258)&4294967295
	s_addc_u32 s15, s15, (.LBB2_17845-.Lpost_getpc23258)>>32
	s_setpc_b64 s[14:15]
.LBB2_3509:
	s_or_saveexec_b64 s[6:7], s[6:7]
	v_mov_b32_e32 v12, s10
	s_xor_b64 exec, exec, s[6:7]
	s_cbranch_execz .LBB2_3510
; %bb.39351:
	s_getpc_b64 s[14:15]
.Lpost_getpc23259:
	s_add_u32 s14, s14, (.LBB2_17848-.Lpost_getpc23259)&4294967295
	s_addc_u32 s15, s15, (.LBB2_17848-.Lpost_getpc23259)>>32
	s_setpc_b64 s[14:15]
.LBB2_3510:
	s_or_b64 exec, exec, s[6:7]
	s_and_saveexec_b64 s[6:7], s[4:5]
	s_cbranch_execz .LBB2_3512
.LBB2_3511:
	v_bfe_u32 v6, v3, 16, 3
	v_ffbh_u32_e32 v14, v6
	v_min_u32_e32 v14, 32, v14
	v_lshrrev_b32_e32 v12, 19, v3
	v_subrev_u32_e32 v15, 28, v14
	v_and_b32_e32 v12, 15, v12
	v_lshlrev_b32_sdwa v15, v15, v3 dst_sel:DWORD dst_unused:UNUSED_PAD src0_sel:DWORD src1_sel:WORD_1
	v_bfe_u32 v13, v3, 19, 4
	v_sub_u32_e32 v14, 29, v14
	v_and_b32_e32 v15, 7, v15
	v_cmp_eq_u16_e32 vcc, 0, v12
	v_cndmask_b32_e32 v6, v6, v15, vcc
	v_cndmask_b32_e32 v12, v13, v14, vcc
	v_lshlrev_b32_e32 v13, 8, v3
	v_mov_b32_e32 v14, 0x3b800000
	v_lshlrev_b32_e32 v6, 20, v6
	v_and_b32_e32 v13, 0x80000000, v13
	v_lshl_add_u32 v12, v12, 23, v14
	v_or3_b32 v12, v13, v12, v6
.LBB2_3512:
	s_or_b64 exec, exec, s[6:7]
	s_nop 0
	v_mfma_f32_16x16x4f32 a[0:3], v2, v12, a[0:3]
	s_movk_i32 s4, 0x7f
	v_cmp_gt_i16_sdwa s[6:7], v7, s4 src0_sel:BYTE_3 src1_sel:DWORD
	s_mov_b64 s[4:5], 0
                                        ; implicit-def: $sgpr10
	s_and_saveexec_b64 s[8:9], s[6:7]
	s_xor_b64 s[6:7], exec, s[8:9]
	s_cbranch_execz .LBB2_3513
; %bb.39353:
	s_getpc_b64 s[14:15]
.Lpost_getpc23260:
	s_add_u32 s14, s14, (.LBB2_17849-.Lpost_getpc23260)&4294967295
	s_addc_u32 s15, s15, (.LBB2_17849-.Lpost_getpc23260)>>32
	s_setpc_b64 s[14:15]
.LBB2_3513:
	s_or_saveexec_b64 s[6:7], s[6:7]
	v_mov_b32_e32 v2, s10
	s_xor_b64 exec, exec, s[6:7]
	s_cbranch_execz .LBB2_3514
; %bb.39355:
	s_getpc_b64 s[14:15]
.Lpost_getpc23261:
	s_add_u32 s14, s14, (.LBB2_17852-.Lpost_getpc23261)&4294967295
	s_addc_u32 s15, s15, (.LBB2_17852-.Lpost_getpc23261)>>32
	s_setpc_b64 s[14:15]
.LBB2_3514:
	s_or_b64 exec, exec, s[6:7]
	s_and_saveexec_b64 s[6:7], s[4:5]
	s_cbranch_execz .LBB2_3516
.LBB2_3515:
	v_bfe_u32 v2, v7, 24, 3
	v_ffbh_u32_e32 v14, v2
	v_min_u32_e32 v14, 32, v14
	v_lshrrev_b32_e32 v12, 27, v7
	v_subrev_u32_e32 v15, 28, v14
	v_and_b32_e32 v6, 0x80000000, v7
	v_and_b32_e32 v12, 15, v12
	v_bfe_u32 v13, v7, 27, 4
	v_lshlrev_b32_sdwa v7, v15, v7 dst_sel:DWORD dst_unused:UNUSED_PAD src0_sel:DWORD src1_sel:BYTE_3
	v_sub_u32_e32 v14, 29, v14
	v_and_b32_e32 v7, 7, v7
	v_cmp_eq_u16_e32 vcc, 0, v12
	v_cndmask_b32_e32 v2, v2, v7, vcc
	v_cndmask_b32_e32 v7, v13, v14, vcc
	v_mov_b32_e32 v12, 0x3b800000
	v_lshlrev_b32_e32 v2, 20, v2
	v_lshl_add_u32 v7, v7, 23, v12
	v_or3_b32 v2, v6, v7, v2
.LBB2_3516:
	s_or_b64 exec, exec, s[6:7]
	s_movk_i32 s4, 0x7f
	v_cmp_gt_i16_sdwa s[6:7], v3, s4 src0_sel:BYTE_3 src1_sel:DWORD
	s_mov_b64 s[4:5], 0
                                        ; implicit-def: $sgpr10
	s_and_saveexec_b64 s[8:9], s[6:7]
	s_xor_b64 s[6:7], exec, s[8:9]
	s_cbranch_execz .LBB2_3517
; %bb.39357:
	s_getpc_b64 s[14:15]
.Lpost_getpc23262:
	s_add_u32 s14, s14, (.LBB2_17853-.Lpost_getpc23262)&4294967295
	s_addc_u32 s15, s15, (.LBB2_17853-.Lpost_getpc23262)>>32
	s_setpc_b64 s[14:15]
.LBB2_3517:
	s_or_saveexec_b64 s[6:7], s[6:7]
	v_mov_b32_e32 v6, s10
	s_xor_b64 exec, exec, s[6:7]
	s_cbranch_execz .LBB2_3518
; %bb.39359:
	s_getpc_b64 s[14:15]
.Lpost_getpc23263:
	s_add_u32 s14, s14, (.LBB2_17856-.Lpost_getpc23263)&4294967295
	s_addc_u32 s15, s15, (.LBB2_17856-.Lpost_getpc23263)>>32
	s_setpc_b64 s[14:15]
.LBB2_3518:
	s_or_b64 exec, exec, s[6:7]
	s_and_saveexec_b64 s[6:7], s[4:5]
	s_cbranch_execz .LBB2_3520
.LBB2_3519:
	v_bfe_u32 v6, v3, 24, 3
	v_ffbh_u32_e32 v14, v6
	v_min_u32_e32 v14, 32, v14
	v_lshrrev_b32_e32 v12, 27, v3
	v_subrev_u32_e32 v15, 28, v14
	v_and_b32_e32 v7, 0x80000000, v3
	v_and_b32_e32 v12, 15, v12
	v_bfe_u32 v13, v3, 27, 4
	v_lshlrev_b32_sdwa v3, v15, v3 dst_sel:DWORD dst_unused:UNUSED_PAD src0_sel:DWORD src1_sel:BYTE_3
	v_sub_u32_e32 v14, 29, v14
	v_and_b32_e32 v3, 7, v3
	v_cmp_eq_u16_e32 vcc, 0, v12
	v_cndmask_b32_e32 v3, v6, v3, vcc
	v_cndmask_b32_e32 v6, v13, v14, vcc
	v_mov_b32_e32 v12, 0x3b800000
	v_lshlrev_b32_e32 v3, 20, v3
	v_lshl_add_u32 v6, v6, 23, v12
	v_or3_b32 v6, v7, v6, v3
.LBB2_3520:
	s_or_b64 exec, exec, s[6:7]
	s_nop 0
	v_mfma_f32_16x16x4f32 a[0:3], v2, v6, a[0:3]
	s_movk_i32 s4, 0x7f
	v_cmp_gt_i16_sdwa s[6:7], v8, s4 src0_sel:BYTE_0 src1_sel:DWORD
	s_mov_b64 s[4:5], 0
                                        ; implicit-def: $sgpr10
	s_and_saveexec_b64 s[8:9], s[6:7]
	s_xor_b64 s[6:7], exec, s[8:9]
	s_cbranch_execz .LBB2_3521
; %bb.39361:
	s_getpc_b64 s[14:15]
.Lpost_getpc23264:
	s_add_u32 s14, s14, (.LBB2_17857-.Lpost_getpc23264)&4294967295
	s_addc_u32 s15, s15, (.LBB2_17857-.Lpost_getpc23264)>>32
	s_setpc_b64 s[14:15]
.LBB2_3521:
	s_or_saveexec_b64 s[6:7], s[6:7]
	v_mov_b32_e32 v2, s10
	s_xor_b64 exec, exec, s[6:7]
	s_cbranch_execz .LBB2_3522
; %bb.39363:
	s_getpc_b64 s[14:15]
.Lpost_getpc23265:
	s_add_u32 s14, s14, (.LBB2_17860-.Lpost_getpc23265)&4294967295
	s_addc_u32 s15, s15, (.LBB2_17860-.Lpost_getpc23265)>>32
	s_setpc_b64 s[14:15]
.LBB2_3522:
	s_or_b64 exec, exec, s[6:7]
	s_and_saveexec_b64 s[6:7], s[4:5]
	s_cbranch_execz .LBB2_3524
.LBB2_3523:
	v_and_b32_e32 v2, 7, v8
	v_ffbh_u32_e32 v6, v2
	v_min_u32_e32 v6, 32, v6
	v_lshrrev_b16_e32 v3, 3, v8
	v_subrev_u32_e32 v7, 28, v6
	v_and_b32_e32 v3, 15, v3
	v_lshlrev_b32_e32 v7, v7, v8
	v_sub_u32_e32 v6, 29, v6
	v_and_b32_e32 v7, 7, v7
	v_cmp_eq_u16_e32 vcc, 0, v3
	v_cndmask_b32_e32 v2, v2, v7, vcc
	v_cndmask_b32_e32 v3, v3, v6, vcc
	v_lshlrev_b32_e32 v6, 24, v8
	v_mov_b32_e32 v7, 0x3b800000
	v_lshlrev_b32_e32 v2, 20, v2
	v_and_b32_e32 v6, 0x80000000, v6
	v_lshl_add_u32 v3, v3, 23, v7
	v_or3_b32 v2, v6, v3, v2
.LBB2_3524:
	s_or_b64 exec, exec, s[6:7]
	s_movk_i32 s4, 0x7f
	v_cmp_gt_i16_sdwa s[6:7], v4, s4 src0_sel:BYTE_0 src1_sel:DWORD
	s_mov_b64 s[4:5], 0
                                        ; implicit-def: $sgpr10
	s_and_saveexec_b64 s[8:9], s[6:7]
	s_xor_b64 s[6:7], exec, s[8:9]
	s_cbranch_execz .LBB2_3525
; %bb.39365:
	s_getpc_b64 s[14:15]
.Lpost_getpc23266:
	s_add_u32 s14, s14, (.LBB2_17861-.Lpost_getpc23266)&4294967295
	s_addc_u32 s15, s15, (.LBB2_17861-.Lpost_getpc23266)>>32
	s_setpc_b64 s[14:15]
.LBB2_3525:
	s_or_saveexec_b64 s[6:7], s[6:7]
	v_mov_b32_e32 v3, s10
	s_xor_b64 exec, exec, s[6:7]
	s_cbranch_execz .LBB2_3526
; %bb.39367:
	s_getpc_b64 s[14:15]
.Lpost_getpc23267:
	s_add_u32 s14, s14, (.LBB2_17864-.Lpost_getpc23267)&4294967295
	s_addc_u32 s15, s15, (.LBB2_17864-.Lpost_getpc23267)>>32
	s_setpc_b64 s[14:15]
.LBB2_3526:
	s_or_b64 exec, exec, s[6:7]
	s_and_saveexec_b64 s[6:7], s[4:5]
	s_cbranch_execz .LBB2_3528
.LBB2_3527:
	v_and_b32_e32 v3, 7, v4
	v_ffbh_u32_e32 v7, v3
	v_min_u32_e32 v7, 32, v7
	v_lshrrev_b16_e32 v6, 3, v4
	v_subrev_u32_e32 v12, 28, v7
	v_and_b32_e32 v6, 15, v6
	v_lshlrev_b32_e32 v12, v12, v4
	v_sub_u32_e32 v7, 29, v7
	v_and_b32_e32 v12, 7, v12
	v_cmp_eq_u16_e32 vcc, 0, v6
	v_cndmask_b32_e32 v3, v3, v12, vcc
	v_cndmask_b32_e32 v6, v6, v7, vcc
	v_lshlrev_b32_e32 v7, 24, v4
	v_mov_b32_e32 v12, 0x3b800000
	v_lshlrev_b32_e32 v3, 20, v3
	v_and_b32_e32 v7, 0x80000000, v7
	v_lshl_add_u32 v6, v6, 23, v12
	v_or3_b32 v3, v7, v6, v3
.LBB2_3528:
	s_or_b64 exec, exec, s[6:7]
	s_nop 0
	v_mfma_f32_16x16x4f32 a[0:3], v2, v3, a[0:3]
	v_lshrrev_b32_e32 v3, 8, v8
	s_movk_i32 s4, 0x7f
	v_cmp_gt_i16_sdwa s[6:7], v3, s4 src0_sel:BYTE_0 src1_sel:DWORD
	s_mov_b64 s[4:5], 0
                                        ; implicit-def: $sgpr10
	s_and_saveexec_b64 s[8:9], s[6:7]
	s_xor_b64 s[6:7], exec, s[8:9]
	s_cbranch_execz .LBB2_3529
; %bb.39369:
	s_getpc_b64 s[14:15]
.Lpost_getpc23268:
	s_add_u32 s14, s14, (.LBB2_17865-.Lpost_getpc23268)&4294967295
	s_addc_u32 s15, s15, (.LBB2_17865-.Lpost_getpc23268)>>32
	s_setpc_b64 s[14:15]
.LBB2_3529:
	s_or_saveexec_b64 s[6:7], s[6:7]
	v_mov_b32_e32 v2, s10
	s_xor_b64 exec, exec, s[6:7]
	s_cbranch_execz .LBB2_3530
; %bb.39371:
	s_getpc_b64 s[14:15]
.Lpost_getpc23269:
	s_add_u32 s14, s14, (.LBB2_17868-.Lpost_getpc23269)&4294967295
	s_addc_u32 s15, s15, (.LBB2_17868-.Lpost_getpc23269)>>32
	s_setpc_b64 s[14:15]
.LBB2_3530:
	s_or_b64 exec, exec, s[6:7]
	s_and_saveexec_b64 s[6:7], s[4:5]
	s_cbranch_execz .LBB2_3532
.LBB2_3531:
	v_bfe_u32 v2, v8, 8, 3
	v_ffbh_u32_e32 v7, v2
	v_min_u32_e32 v7, 32, v7
	v_lshrrev_b16_e32 v6, 3, v3
	v_subrev_u32_e32 v12, 28, v7
	v_and_b32_e32 v6, 15, v6
	v_lshlrev_b32_e32 v3, v12, v3
	v_sub_u32_e32 v7, 29, v7
	v_and_b32_e32 v3, 7, v3
	v_cmp_eq_u16_e32 vcc, 0, v6
	v_cndmask_b32_e32 v2, v2, v3, vcc
	v_cndmask_b32_e32 v3, v6, v7, vcc
	v_lshlrev_b32_e32 v6, 16, v8
	v_mov_b32_e32 v7, 0x3b800000
	v_lshlrev_b32_e32 v2, 20, v2
	v_and_b32_e32 v6, 0x80000000, v6
	v_lshl_add_u32 v3, v3, 23, v7
	v_or3_b32 v2, v6, v3, v2
.LBB2_3532:
	s_or_b64 exec, exec, s[6:7]
	v_lshrrev_b32_e32 v3, 8, v4
	s_movk_i32 s4, 0x7f
	v_cmp_gt_i16_sdwa s[6:7], v3, s4 src0_sel:BYTE_0 src1_sel:DWORD
	s_mov_b64 s[4:5], 0
                                        ; implicit-def: $sgpr10
	s_and_saveexec_b64 s[8:9], s[6:7]
	s_xor_b64 s[6:7], exec, s[8:9]
	s_cbranch_execz .LBB2_3533
; %bb.39373:
	s_getpc_b64 s[14:15]
.Lpost_getpc23270:
	s_add_u32 s14, s14, (.LBB2_17869-.Lpost_getpc23270)&4294967295
	s_addc_u32 s15, s15, (.LBB2_17869-.Lpost_getpc23270)>>32
	s_setpc_b64 s[14:15]
.LBB2_3533:
	s_or_saveexec_b64 s[6:7], s[6:7]
	v_mov_b32_e32 v6, s10
	s_xor_b64 exec, exec, s[6:7]
	s_cbranch_execz .LBB2_3534
; %bb.39375:
	s_getpc_b64 s[14:15]
.Lpost_getpc23271:
	s_add_u32 s14, s14, (.LBB2_17872-.Lpost_getpc23271)&4294967295
	s_addc_u32 s15, s15, (.LBB2_17872-.Lpost_getpc23271)>>32
	s_setpc_b64 s[14:15]
.LBB2_3534:
	s_or_b64 exec, exec, s[6:7]
	s_and_saveexec_b64 s[6:7], s[4:5]
	s_cbranch_execz .LBB2_3536
.LBB2_3535:
	v_bfe_u32 v6, v4, 8, 3
	v_ffbh_u32_e32 v12, v6
	v_min_u32_e32 v12, 32, v12
	v_lshrrev_b16_e32 v7, 3, v3
	v_subrev_u32_e32 v13, 28, v12
	v_and_b32_e32 v7, 15, v7
	v_lshlrev_b32_e32 v3, v13, v3
	v_sub_u32_e32 v12, 29, v12
	v_and_b32_e32 v3, 7, v3
	v_cmp_eq_u16_e32 vcc, 0, v7
	v_cndmask_b32_e32 v3, v6, v3, vcc
	v_cndmask_b32_e32 v6, v7, v12, vcc
	v_lshlrev_b32_e32 v7, 16, v4
	v_mov_b32_e32 v12, 0x3b800000
	v_lshlrev_b32_e32 v3, 20, v3
	v_and_b32_e32 v7, 0x80000000, v7
	v_lshl_add_u32 v6, v6, 23, v12
	v_or3_b32 v6, v7, v6, v3
.LBB2_3536:
	s_or_b64 exec, exec, s[6:7]
	s_nop 0
	v_mfma_f32_16x16x4f32 a[0:3], v2, v6, a[0:3]
	s_movk_i32 s4, 0xff
	v_and_b32_sdwa v3, v8, s4 dst_sel:DWORD dst_unused:UNUSED_PAD src0_sel:WORD_1 src1_sel:DWORD
	s_movk_i32 s4, 0x7f
	v_cmp_lt_i16_e32 vcc, s4, v3
	s_mov_b64 s[4:5], 0
                                        ; implicit-def: $sgpr10
	s_and_saveexec_b64 s[6:7], vcc
	s_xor_b64 s[6:7], exec, s[6:7]
	s_cbranch_execz .LBB2_3537
; %bb.39377:
	s_getpc_b64 s[14:15]
.Lpost_getpc23272:
	s_add_u32 s14, s14, (.LBB2_17873-.Lpost_getpc23272)&4294967295
	s_addc_u32 s15, s15, (.LBB2_17873-.Lpost_getpc23272)>>32
	s_setpc_b64 s[14:15]
.LBB2_3537:
	s_or_saveexec_b64 s[6:7], s[6:7]
	v_mov_b32_e32 v2, s10
	s_xor_b64 exec, exec, s[6:7]
	s_cbranch_execz .LBB2_3538
; %bb.39379:
	s_getpc_b64 s[14:15]
.Lpost_getpc23273:
	s_add_u32 s14, s14, (.LBB2_17876-.Lpost_getpc23273)&4294967295
	s_addc_u32 s15, s15, (.LBB2_17876-.Lpost_getpc23273)>>32
	s_setpc_b64 s[14:15]
.LBB2_3538:
	s_or_b64 exec, exec, s[6:7]
	s_and_saveexec_b64 s[6:7], s[4:5]
	s_cbranch_execz .LBB2_3540
.LBB2_3539:
	v_bfe_u32 v2, v8, 16, 3
	v_ffbh_u32_e32 v7, v2
	v_min_u32_e32 v7, 32, v7
	v_lshrrev_b32_e32 v3, 19, v8
	v_subrev_u32_e32 v12, 28, v7
	v_and_b32_e32 v3, 15, v3
	v_lshlrev_b32_sdwa v12, v12, v8 dst_sel:DWORD dst_unused:UNUSED_PAD src0_sel:DWORD src1_sel:WORD_1
	v_bfe_u32 v6, v8, 19, 4
	v_sub_u32_e32 v7, 29, v7
	v_and_b32_e32 v12, 7, v12
	v_cmp_eq_u16_e32 vcc, 0, v3
	v_cndmask_b32_e32 v2, v2, v12, vcc
	v_cndmask_b32_e32 v3, v6, v7, vcc
	v_lshlrev_b32_e32 v6, 8, v8
	v_mov_b32_e32 v7, 0x3b800000
	v_lshlrev_b32_e32 v2, 20, v2
	v_and_b32_e32 v6, 0x80000000, v6
	v_lshl_add_u32 v3, v3, 23, v7
	v_or3_b32 v2, v6, v3, v2
.LBB2_3540:
	s_or_b64 exec, exec, s[6:7]
	s_movk_i32 s4, 0xff
	v_and_b32_sdwa v3, v4, s4 dst_sel:DWORD dst_unused:UNUSED_PAD src0_sel:WORD_1 src1_sel:DWORD
	s_movk_i32 s4, 0x7f
	v_cmp_lt_i16_e32 vcc, s4, v3
	s_mov_b64 s[4:5], 0
                                        ; implicit-def: $sgpr10
	s_and_saveexec_b64 s[6:7], vcc
	s_xor_b64 s[6:7], exec, s[6:7]
	s_cbranch_execz .LBB2_3541
; %bb.39381:
	s_getpc_b64 s[14:15]
.Lpost_getpc23274:
	s_add_u32 s14, s14, (.LBB2_17877-.Lpost_getpc23274)&4294967295
	s_addc_u32 s15, s15, (.LBB2_17877-.Lpost_getpc23274)>>32
	s_setpc_b64 s[14:15]
.LBB2_3541:
	s_or_saveexec_b64 s[6:7], s[6:7]
	v_mov_b32_e32 v6, s10
	s_xor_b64 exec, exec, s[6:7]
	s_cbranch_execz .LBB2_3542
; %bb.39383:
	s_getpc_b64 s[14:15]
.Lpost_getpc23275:
	s_add_u32 s14, s14, (.LBB2_17880-.Lpost_getpc23275)&4294967295
	s_addc_u32 s15, s15, (.LBB2_17880-.Lpost_getpc23275)>>32
	s_setpc_b64 s[14:15]
.LBB2_3542:
	s_or_b64 exec, exec, s[6:7]
	s_and_saveexec_b64 s[6:7], s[4:5]
	s_cbranch_execz .LBB2_3544
.LBB2_3543:
	v_bfe_u32 v3, v4, 16, 3
	v_ffbh_u32_e32 v12, v3
	v_min_u32_e32 v12, 32, v12
	v_lshrrev_b32_e32 v6, 19, v4
	v_subrev_u32_e32 v13, 28, v12
	v_and_b32_e32 v6, 15, v6
	v_lshlrev_b32_sdwa v13, v13, v4 dst_sel:DWORD dst_unused:UNUSED_PAD src0_sel:DWORD src1_sel:WORD_1
	v_bfe_u32 v7, v4, 19, 4
	v_sub_u32_e32 v12, 29, v12
	v_and_b32_e32 v13, 7, v13
	v_cmp_eq_u16_e32 vcc, 0, v6
	v_cndmask_b32_e32 v3, v3, v13, vcc
	v_cndmask_b32_e32 v6, v7, v12, vcc
	v_lshlrev_b32_e32 v7, 8, v4
	v_mov_b32_e32 v12, 0x3b800000
	v_lshlrev_b32_e32 v3, 20, v3
	v_and_b32_e32 v7, 0x80000000, v7
	v_lshl_add_u32 v6, v6, 23, v12
	v_or3_b32 v6, v7, v6, v3
.LBB2_3544:
	s_or_b64 exec, exec, s[6:7]
	s_nop 0
	v_mfma_f32_16x16x4f32 a[0:3], v2, v6, a[0:3]
	s_movk_i32 s4, 0x7f
	v_cmp_gt_i16_sdwa s[6:7], v8, s4 src0_sel:BYTE_3 src1_sel:DWORD
	s_mov_b64 s[4:5], 0
                                        ; implicit-def: $sgpr10
	s_and_saveexec_b64 s[8:9], s[6:7]
	s_xor_b64 s[6:7], exec, s[8:9]
	s_cbranch_execz .LBB2_3545
; %bb.39385:
	s_getpc_b64 s[14:15]
.Lpost_getpc23276:
	s_add_u32 s14, s14, (.LBB2_17881-.Lpost_getpc23276)&4294967295
	s_addc_u32 s15, s15, (.LBB2_17881-.Lpost_getpc23276)>>32
	s_setpc_b64 s[14:15]
.LBB2_3545:
	s_or_saveexec_b64 s[6:7], s[6:7]
	v_mov_b32_e32 v2, s10
	s_xor_b64 exec, exec, s[6:7]
	s_cbranch_execz .LBB2_3546
; %bb.39387:
	s_getpc_b64 s[14:15]
.Lpost_getpc23277:
	s_add_u32 s14, s14, (.LBB2_17884-.Lpost_getpc23277)&4294967295
	s_addc_u32 s15, s15, (.LBB2_17884-.Lpost_getpc23277)>>32
	s_setpc_b64 s[14:15]
.LBB2_3546:
	s_or_b64 exec, exec, s[6:7]
	s_and_saveexec_b64 s[6:7], s[4:5]
	s_cbranch_execz .LBB2_3548
.LBB2_3547:
	v_bfe_u32 v2, v8, 24, 3
	v_ffbh_u32_e32 v12, v2
	v_min_u32_e32 v12, 32, v12
	v_lshrrev_b32_e32 v6, 27, v8
	v_subrev_u32_e32 v13, 28, v12
	v_and_b32_e32 v3, 0x80000000, v8
	v_and_b32_e32 v6, 15, v6
	v_bfe_u32 v7, v8, 27, 4
	v_lshlrev_b32_sdwa v8, v13, v8 dst_sel:DWORD dst_unused:UNUSED_PAD src0_sel:DWORD src1_sel:BYTE_3
	v_sub_u32_e32 v12, 29, v12
	v_and_b32_e32 v8, 7, v8
	v_cmp_eq_u16_e32 vcc, 0, v6
	v_cndmask_b32_e32 v2, v2, v8, vcc
	v_cndmask_b32_e32 v6, v7, v12, vcc
	v_mov_b32_e32 v7, 0x3b800000
	v_lshlrev_b32_e32 v2, 20, v2
	v_lshl_add_u32 v6, v6, 23, v7
	v_or3_b32 v2, v3, v6, v2
.LBB2_3548:
	s_or_b64 exec, exec, s[6:7]
	s_movk_i32 s4, 0x7f
	v_cmp_gt_i16_sdwa s[6:7], v4, s4 src0_sel:BYTE_3 src1_sel:DWORD
	s_mov_b64 s[4:5], 0
                                        ; implicit-def: $sgpr10
	s_and_saveexec_b64 s[8:9], s[6:7]
	s_xor_b64 s[6:7], exec, s[8:9]
	s_cbranch_execz .LBB2_3549
; %bb.39389:
	s_getpc_b64 s[14:15]
.Lpost_getpc23278:
	s_add_u32 s14, s14, (.LBB2_17885-.Lpost_getpc23278)&4294967295
	s_addc_u32 s15, s15, (.LBB2_17885-.Lpost_getpc23278)>>32
	s_setpc_b64 s[14:15]
.LBB2_3549:
	s_or_saveexec_b64 s[6:7], s[6:7]
	v_mov_b32_e32 v3, s10
	s_xor_b64 exec, exec, s[6:7]
	s_cbranch_execz .LBB2_3550
; %bb.39391:
	s_getpc_b64 s[14:15]
.Lpost_getpc23279:
	s_add_u32 s14, s14, (.LBB2_17888-.Lpost_getpc23279)&4294967295
	s_addc_u32 s15, s15, (.LBB2_17888-.Lpost_getpc23279)>>32
	s_setpc_b64 s[14:15]
.LBB2_3550:
	s_or_b64 exec, exec, s[6:7]
	s_and_saveexec_b64 s[6:7], s[4:5]
	s_cbranch_execz .LBB2_3552
.LBB2_3551:
	v_bfe_u32 v3, v4, 24, 3
	v_ffbh_u32_e32 v12, v3
	v_min_u32_e32 v12, 32, v12
	v_lshrrev_b32_e32 v7, 27, v4
	v_subrev_u32_e32 v13, 28, v12
	v_and_b32_e32 v6, 0x80000000, v4
	v_and_b32_e32 v7, 15, v7
	v_bfe_u32 v8, v4, 27, 4
	v_lshlrev_b32_sdwa v4, v13, v4 dst_sel:DWORD dst_unused:UNUSED_PAD src0_sel:DWORD src1_sel:BYTE_3
	v_sub_u32_e32 v12, 29, v12
	v_and_b32_e32 v4, 7, v4
	v_cmp_eq_u16_e32 vcc, 0, v7
	v_cndmask_b32_e32 v3, v3, v4, vcc
	v_cndmask_b32_e32 v4, v8, v12, vcc
	v_mov_b32_e32 v7, 0x3b800000
	v_lshlrev_b32_e32 v3, 20, v3
	v_lshl_add_u32 v4, v4, 23, v7
	v_or3_b32 v3, v6, v4, v3
.LBB2_3552:
	s_or_b64 exec, exec, s[6:7]
	s_nop 0
	v_mfma_f32_16x16x4f32 a[0:3], v2, v3, a[0:3]
	s_movk_i32 s4, 0x7f
	v_cmp_gt_i16_sdwa s[6:7], v9, s4 src0_sel:BYTE_0 src1_sel:DWORD
	s_mov_b64 s[4:5], 0
                                        ; implicit-def: $sgpr10
	s_and_saveexec_b64 s[8:9], s[6:7]
	s_xor_b64 s[6:7], exec, s[8:9]
	s_cbranch_execz .LBB2_3553
; %bb.39393:
	s_getpc_b64 s[14:15]
.Lpost_getpc23280:
	s_add_u32 s14, s14, (.LBB2_17889-.Lpost_getpc23280)&4294967295
	s_addc_u32 s15, s15, (.LBB2_17889-.Lpost_getpc23280)>>32
	s_setpc_b64 s[14:15]
.LBB2_3553:
	s_or_saveexec_b64 s[6:7], s[6:7]
	v_mov_b32_e32 v2, s10
	s_xor_b64 exec, exec, s[6:7]
	s_cbranch_execz .LBB2_3554
; %bb.39395:
	s_getpc_b64 s[14:15]
.Lpost_getpc23281:
	s_add_u32 s14, s14, (.LBB2_17892-.Lpost_getpc23281)&4294967295
	s_addc_u32 s15, s15, (.LBB2_17892-.Lpost_getpc23281)>>32
	s_setpc_b64 s[14:15]
.LBB2_3554:
	s_or_b64 exec, exec, s[6:7]
	s_and_saveexec_b64 s[6:7], s[4:5]
	s_cbranch_execz .LBB2_3556
.LBB2_3555:
	v_mov_b32_e32 v2, 8
	v_and_b32_e32 v3, 7, v9
	v_lshrrev_b32_sdwa v2, v2, v9 dst_sel:BYTE_1 dst_unused:UNUSED_PAD src0_sel:DWORD src1_sel:DWORD
	v_ffbh_u32_e32 v4, v3
	v_or_b32_sdwa v2, v9, v2 dst_sel:DWORD dst_unused:UNUSED_PAD src0_sel:BYTE_0 src1_sel:DWORD
	v_min_u32_e32 v4, 32, v4
	v_lshrrev_b16_e32 v2, 3, v2
	v_subrev_u32_e32 v6, 28, v4
	v_and_b32_e32 v2, 15, v2
	v_lshlrev_b32_e32 v6, v6, v9
	v_sub_u32_e32 v4, 29, v4
	v_and_b32_e32 v6, 7, v6
	v_cmp_eq_u16_e32 vcc, 0, v2
	v_cndmask_b32_e32 v3, v3, v6, vcc
	v_cndmask_b32_e32 v2, v2, v4, vcc
	v_lshlrev_b32_e32 v4, 24, v9
	v_mov_b32_e32 v6, 0x3b800000
	v_lshlrev_b32_e32 v3, 20, v3
	v_and_b32_e32 v4, 0x80000000, v4
	v_lshl_add_u32 v2, v2, 23, v6
	v_or3_b32 v2, v4, v2, v3
.LBB2_3556:
	s_or_b64 exec, exec, s[6:7]
	s_movk_i32 s4, 0x7f
	v_cmp_gt_i16_sdwa s[6:7], v5, s4 src0_sel:BYTE_0 src1_sel:DWORD
	s_mov_b64 s[4:5], 0
                                        ; implicit-def: $sgpr10
	s_and_saveexec_b64 s[8:9], s[6:7]
	s_xor_b64 s[6:7], exec, s[8:9]
	s_cbranch_execz .LBB2_3557
; %bb.39397:
	s_getpc_b64 s[14:15]
.Lpost_getpc23282:
	s_add_u32 s14, s14, (.LBB2_17893-.Lpost_getpc23282)&4294967295
	s_addc_u32 s15, s15, (.LBB2_17893-.Lpost_getpc23282)>>32
	s_setpc_b64 s[14:15]
.LBB2_3557:
	s_or_saveexec_b64 s[6:7], s[6:7]
	v_mov_b32_e32 v3, s10
	s_xor_b64 exec, exec, s[6:7]
	s_cbranch_execz .LBB2_3558
; %bb.39399:
	s_getpc_b64 s[14:15]
.Lpost_getpc23283:
	s_add_u32 s14, s14, (.LBB2_17896-.Lpost_getpc23283)&4294967295
	s_addc_u32 s15, s15, (.LBB2_17896-.Lpost_getpc23283)>>32
	s_setpc_b64 s[14:15]
.LBB2_3558:
	s_or_b64 exec, exec, s[6:7]
	s_and_saveexec_b64 s[6:7], s[4:5]
	s_cbranch_execz .LBB2_3560
.LBB2_3559:
	v_mov_b32_e32 v3, 8
	v_and_b32_e32 v4, 7, v5
	v_lshrrev_b32_sdwa v3, v3, v5 dst_sel:BYTE_1 dst_unused:UNUSED_PAD src0_sel:DWORD src1_sel:DWORD
	v_ffbh_u32_e32 v6, v4
	v_or_b32_sdwa v3, v5, v3 dst_sel:DWORD dst_unused:UNUSED_PAD src0_sel:BYTE_0 src1_sel:DWORD
	v_min_u32_e32 v6, 32, v6
	v_lshrrev_b16_e32 v3, 3, v3
	v_subrev_u32_e32 v7, 28, v6
	v_and_b32_e32 v3, 15, v3
	v_lshlrev_b32_e32 v7, v7, v5
	v_sub_u32_e32 v6, 29, v6
	v_and_b32_e32 v7, 7, v7
	v_cmp_eq_u16_e32 vcc, 0, v3
	v_cndmask_b32_e32 v4, v4, v7, vcc
	v_cndmask_b32_e32 v3, v3, v6, vcc
	v_lshlrev_b32_e32 v6, 24, v5
	v_mov_b32_e32 v7, 0x3b800000
	v_lshlrev_b32_e32 v4, 20, v4
	v_and_b32_e32 v6, 0x80000000, v6
	v_lshl_add_u32 v3, v3, 23, v7
	v_or3_b32 v3, v6, v3, v4
.LBB2_3560:
	s_or_b64 exec, exec, s[6:7]
	s_nop 0
	v_mfma_f32_16x16x4f32 a[0:3], v2, v3, a[0:3]
	v_lshrrev_b32_e32 v3, 8, v9
	s_movk_i32 s4, 0x7f
	v_cmp_gt_i16_sdwa s[6:7], v3, s4 src0_sel:BYTE_0 src1_sel:DWORD
	s_mov_b64 s[4:5], 0
                                        ; implicit-def: $sgpr10
	s_and_saveexec_b64 s[8:9], s[6:7]
	s_xor_b64 s[6:7], exec, s[8:9]
	s_cbranch_execz .LBB2_3561
; %bb.39401:
	s_getpc_b64 s[14:15]
.Lpost_getpc23284:
	s_add_u32 s14, s14, (.LBB2_17897-.Lpost_getpc23284)&4294967295
	s_addc_u32 s15, s15, (.LBB2_17897-.Lpost_getpc23284)>>32
	s_setpc_b64 s[14:15]
.LBB2_3561:
	s_or_saveexec_b64 s[6:7], s[6:7]
	v_mov_b32_e32 v2, s10
	s_xor_b64 exec, exec, s[6:7]
	s_cbranch_execz .LBB2_3562
; %bb.39403:
	s_getpc_b64 s[14:15]
.Lpost_getpc23285:
	s_add_u32 s14, s14, (.LBB2_17900-.Lpost_getpc23285)&4294967295
	s_addc_u32 s15, s15, (.LBB2_17900-.Lpost_getpc23285)>>32
	s_setpc_b64 s[14:15]
.LBB2_3562:
	s_or_b64 exec, exec, s[6:7]
	s_and_saveexec_b64 s[6:7], s[4:5]
	s_cbranch_execz .LBB2_3564
.LBB2_3563:
	v_bfe_u32 v2, v9, 8, 3
	v_ffbh_u32_e32 v6, v2
	v_min_u32_e32 v6, 32, v6
	v_lshrrev_b16_e32 v4, 3, v3
	v_subrev_u32_e32 v7, 28, v6
	v_and_b32_e32 v4, 15, v4
	v_lshlrev_b32_e32 v3, v7, v3
	v_sub_u32_e32 v6, 29, v6
	v_and_b32_e32 v3, 7, v3
	v_cmp_eq_u16_e32 vcc, 0, v4
	v_cndmask_b32_e32 v2, v2, v3, vcc
	v_cndmask_b32_e32 v3, v4, v6, vcc
	v_lshlrev_b32_e32 v4, 16, v9
	v_mov_b32_e32 v6, 0x3b800000
	v_lshlrev_b32_e32 v2, 20, v2
	v_and_b32_e32 v4, 0x80000000, v4
	v_lshl_add_u32 v3, v3, 23, v6
	v_or3_b32 v2, v4, v3, v2
.LBB2_3564:
	s_or_b64 exec, exec, s[6:7]
	v_lshrrev_b32_e32 v3, 8, v5
	s_movk_i32 s4, 0x7f
	v_cmp_gt_i16_sdwa s[6:7], v3, s4 src0_sel:BYTE_0 src1_sel:DWORD
	s_mov_b64 s[4:5], 0
                                        ; implicit-def: $sgpr10
	s_and_saveexec_b64 s[8:9], s[6:7]
	s_xor_b64 s[6:7], exec, s[8:9]
	s_cbranch_execz .LBB2_3565
; %bb.39405:
	s_getpc_b64 s[14:15]
.Lpost_getpc23286:
	s_add_u32 s14, s14, (.LBB2_17901-.Lpost_getpc23286)&4294967295
	s_addc_u32 s15, s15, (.LBB2_17901-.Lpost_getpc23286)>>32
	s_setpc_b64 s[14:15]
.LBB2_3565:
	s_or_saveexec_b64 s[6:7], s[6:7]
	v_mov_b32_e32 v4, s10
	s_xor_b64 exec, exec, s[6:7]
	s_cbranch_execz .LBB2_3566
; %bb.39407:
	s_getpc_b64 s[14:15]
.Lpost_getpc23287:
	s_add_u32 s14, s14, (.LBB2_17904-.Lpost_getpc23287)&4294967295
	s_addc_u32 s15, s15, (.LBB2_17904-.Lpost_getpc23287)>>32
	s_setpc_b64 s[14:15]
.LBB2_3566:
	s_or_b64 exec, exec, s[6:7]
	s_and_saveexec_b64 s[6:7], s[4:5]
	s_cbranch_execz .LBB2_3568
.LBB2_3567:
	v_bfe_u32 v4, v5, 8, 3
	v_ffbh_u32_e32 v7, v4
	v_min_u32_e32 v7, 32, v7
	v_lshrrev_b16_e32 v6, 3, v3
	v_subrev_u32_e32 v8, 28, v7
	v_and_b32_e32 v6, 15, v6
	v_lshlrev_b32_e32 v3, v8, v3
	v_sub_u32_e32 v7, 29, v7
	v_and_b32_e32 v3, 7, v3
	v_cmp_eq_u16_e32 vcc, 0, v6
	v_cndmask_b32_e32 v3, v4, v3, vcc
	v_cndmask_b32_e32 v4, v6, v7, vcc
	v_lshlrev_b32_e32 v6, 16, v5
	v_mov_b32_e32 v7, 0x3b800000
	v_lshlrev_b32_e32 v3, 20, v3
	v_and_b32_e32 v6, 0x80000000, v6
	v_lshl_add_u32 v4, v4, 23, v7
	v_or3_b32 v4, v6, v4, v3
.LBB2_3568:
	s_or_b64 exec, exec, s[6:7]
	s_nop 0
	v_mfma_f32_16x16x4f32 a[0:3], v2, v4, a[0:3]
	s_movk_i32 s4, 0xff
	v_and_b32_sdwa v3, v9, s4 dst_sel:DWORD dst_unused:UNUSED_PAD src0_sel:WORD_1 src1_sel:DWORD
	s_movk_i32 s4, 0x7f
	v_cmp_lt_i16_e32 vcc, s4, v3
	s_mov_b64 s[4:5], 0
                                        ; implicit-def: $sgpr10
	s_and_saveexec_b64 s[6:7], vcc
	s_xor_b64 s[6:7], exec, s[6:7]
	s_cbranch_execz .LBB2_3569
; %bb.39409:
	s_getpc_b64 s[14:15]
.Lpost_getpc23288:
	s_add_u32 s14, s14, (.LBB2_17905-.Lpost_getpc23288)&4294967295
	s_addc_u32 s15, s15, (.LBB2_17905-.Lpost_getpc23288)>>32
	s_setpc_b64 s[14:15]
.LBB2_3569:
	s_or_saveexec_b64 s[6:7], s[6:7]
	v_mov_b32_e32 v2, s10
	s_xor_b64 exec, exec, s[6:7]
	s_cbranch_execz .LBB2_3570
; %bb.39411:
	s_getpc_b64 s[14:15]
.Lpost_getpc23289:
	s_add_u32 s14, s14, (.LBB2_17908-.Lpost_getpc23289)&4294967295
	s_addc_u32 s15, s15, (.LBB2_17908-.Lpost_getpc23289)>>32
	s_setpc_b64 s[14:15]
.LBB2_3570:
	s_or_b64 exec, exec, s[6:7]
	s_and_saveexec_b64 s[6:7], s[4:5]
	s_cbranch_execz .LBB2_3572
.LBB2_3571:
	v_bfe_u32 v2, v9, 16, 3
	v_ffbh_u32_e32 v6, v2
	v_min_u32_e32 v6, 32, v6
	v_lshrrev_b32_e32 v3, 19, v9
	v_subrev_u32_e32 v7, 28, v6
	v_and_b32_e32 v3, 15, v3
	v_lshlrev_b32_sdwa v7, v7, v9 dst_sel:DWORD dst_unused:UNUSED_PAD src0_sel:DWORD src1_sel:WORD_1
	v_bfe_u32 v4, v9, 19, 4
	v_sub_u32_e32 v6, 29, v6
	v_and_b32_e32 v7, 7, v7
	v_cmp_eq_u16_e32 vcc, 0, v3
	v_cndmask_b32_e32 v2, v2, v7, vcc
	v_cndmask_b32_e32 v3, v4, v6, vcc
	v_lshlrev_b32_e32 v4, 8, v9
	v_mov_b32_e32 v6, 0x3b800000
	v_lshlrev_b32_e32 v2, 20, v2
	v_and_b32_e32 v4, 0x80000000, v4
	v_lshl_add_u32 v3, v3, 23, v6
	v_or3_b32 v2, v4, v3, v2
.LBB2_3572:
	s_or_b64 exec, exec, s[6:7]
	s_movk_i32 s4, 0xff
	v_and_b32_sdwa v3, v5, s4 dst_sel:DWORD dst_unused:UNUSED_PAD src0_sel:WORD_1 src1_sel:DWORD
	s_movk_i32 s4, 0x7f
	v_cmp_lt_i16_e32 vcc, s4, v3
	s_mov_b64 s[4:5], 0
                                        ; implicit-def: $sgpr10
	s_and_saveexec_b64 s[6:7], vcc
	s_xor_b64 s[6:7], exec, s[6:7]
	s_cbranch_execz .LBB2_3573
; %bb.39413:
	s_getpc_b64 s[14:15]
.Lpost_getpc23290:
	s_add_u32 s14, s14, (.LBB2_17909-.Lpost_getpc23290)&4294967295
	s_addc_u32 s15, s15, (.LBB2_17909-.Lpost_getpc23290)>>32
	s_setpc_b64 s[14:15]
.LBB2_3573:
	s_or_saveexec_b64 s[6:7], s[6:7]
	v_mov_b32_e32 v4, s10
	s_xor_b64 exec, exec, s[6:7]
	s_cbranch_execz .LBB2_3574
; %bb.39415:
	s_getpc_b64 s[14:15]
.Lpost_getpc23291:
	s_add_u32 s14, s14, (.LBB2_17912-.Lpost_getpc23291)&4294967295
	s_addc_u32 s15, s15, (.LBB2_17912-.Lpost_getpc23291)>>32
	s_setpc_b64 s[14:15]
.LBB2_3574:
	s_or_b64 exec, exec, s[6:7]
	s_and_saveexec_b64 s[6:7], s[4:5]
	s_cbranch_execz .LBB2_3576
.LBB2_3575:
	v_bfe_u32 v3, v5, 16, 3
	v_ffbh_u32_e32 v7, v3
	v_min_u32_e32 v7, 32, v7
	v_lshrrev_b32_e32 v4, 19, v5
	v_subrev_u32_e32 v8, 28, v7
	v_and_b32_e32 v4, 15, v4
	v_lshlrev_b32_sdwa v8, v8, v5 dst_sel:DWORD dst_unused:UNUSED_PAD src0_sel:DWORD src1_sel:WORD_1
	v_bfe_u32 v6, v5, 19, 4
	v_sub_u32_e32 v7, 29, v7
	v_and_b32_e32 v8, 7, v8
	v_cmp_eq_u16_e32 vcc, 0, v4
	v_cndmask_b32_e32 v3, v3, v8, vcc
	v_cndmask_b32_e32 v4, v6, v7, vcc
	v_lshlrev_b32_e32 v6, 8, v5
	v_mov_b32_e32 v7, 0x3b800000
	v_lshlrev_b32_e32 v3, 20, v3
	v_and_b32_e32 v6, 0x80000000, v6
	v_lshl_add_u32 v4, v4, 23, v7
	v_or3_b32 v4, v6, v4, v3
.LBB2_3576:
	s_or_b64 exec, exec, s[6:7]
	s_nop 0
	v_mfma_f32_16x16x4f32 a[0:3], v2, v4, a[0:3]
	s_movk_i32 s4, 0x7f
	v_cmp_gt_i16_sdwa s[6:7], v9, s4 src0_sel:BYTE_3 src1_sel:DWORD
	s_mov_b64 s[4:5], 0
                                        ; implicit-def: $sgpr10
	s_and_saveexec_b64 s[8:9], s[6:7]
	s_xor_b64 s[6:7], exec, s[8:9]
	s_cbranch_execz .LBB2_3577
; %bb.39417:
	s_getpc_b64 s[14:15]
.Lpost_getpc23292:
	s_add_u32 s14, s14, (.LBB2_17913-.Lpost_getpc23292)&4294967295
	s_addc_u32 s15, s15, (.LBB2_17913-.Lpost_getpc23292)>>32
	s_setpc_b64 s[14:15]
.LBB2_3577:
	s_or_saveexec_b64 s[6:7], s[6:7]
	v_mov_b32_e32 v2, s10
	s_xor_b64 exec, exec, s[6:7]
	s_cbranch_execz .LBB2_3578
; %bb.39419:
	s_getpc_b64 s[14:15]
.Lpost_getpc23293:
	s_add_u32 s14, s14, (.LBB2_17916-.Lpost_getpc23293)&4294967295
	s_addc_u32 s15, s15, (.LBB2_17916-.Lpost_getpc23293)>>32
	s_setpc_b64 s[14:15]
.LBB2_3578:
	s_or_b64 exec, exec, s[6:7]
	s_and_saveexec_b64 s[6:7], s[4:5]
	s_cbranch_execz .LBB2_3580
.LBB2_3579:
	v_bfe_u32 v2, v9, 24, 3
	v_ffbh_u32_e32 v7, v2
	v_min_u32_e32 v7, 32, v7
	v_lshrrev_b32_e32 v4, 27, v9
	v_subrev_u32_e32 v8, 28, v7
	v_and_b32_e32 v4, 15, v4
	v_lshlrev_b32_sdwa v8, v8, v9 dst_sel:DWORD dst_unused:UNUSED_PAD src0_sel:DWORD src1_sel:BYTE_3
	v_bfe_u32 v6, v9, 27, 4
	v_sub_u32_e32 v7, 29, v7
	v_and_b32_e32 v8, 7, v8
	v_cmp_eq_u16_e32 vcc, 0, v4
	v_cndmask_b32_e32 v2, v2, v8, vcc
	v_cndmask_b32_e32 v4, v6, v7, vcc
	v_mov_b32_e32 v6, 0x3b800000
	v_and_b32_e32 v3, 0x80000000, v9
	v_lshlrev_b32_e32 v2, 20, v2
	v_lshl_add_u32 v4, v4, 23, v6
	v_or3_b32 v2, v3, v4, v2
.LBB2_3580:
	s_or_b64 exec, exec, s[6:7]
	s_movk_i32 s4, 0x7f
	v_cmp_gt_i16_sdwa s[6:7], v5, s4 src0_sel:BYTE_3 src1_sel:DWORD
	s_mov_b64 s[4:5], 0
                                        ; implicit-def: $sgpr10
	s_and_saveexec_b64 s[8:9], s[6:7]
	s_xor_b64 s[6:7], exec, s[8:9]
	s_cbranch_execz .LBB2_3581
; %bb.39421:
	s_getpc_b64 s[14:15]
.Lpost_getpc23294:
	s_add_u32 s14, s14, (.LBB2_17917-.Lpost_getpc23294)&4294967295
	s_addc_u32 s15, s15, (.LBB2_17917-.Lpost_getpc23294)>>32
	s_setpc_b64 s[14:15]
.LBB2_3581:
	s_or_saveexec_b64 s[6:7], s[6:7]
	v_mov_b32_e32 v3, s10
	s_xor_b64 exec, exec, s[6:7]
	s_cbranch_execz .LBB2_3582
; %bb.39423:
	s_getpc_b64 s[14:15]
.Lpost_getpc23295:
	s_add_u32 s14, s14, (.LBB2_17920-.Lpost_getpc23295)&4294967295
	s_addc_u32 s15, s15, (.LBB2_17920-.Lpost_getpc23295)>>32
	s_setpc_b64 s[14:15]
.LBB2_3582:
	s_or_b64 exec, exec, s[6:7]
	s_and_saveexec_b64 s[6:7], s[4:5]
	s_cbranch_execz .LBB2_3584
.LBB2_3583:
	v_bfe_u32 v3, v5, 24, 3
	v_ffbh_u32_e32 v8, v3
	v_min_u32_e32 v8, 32, v8
	v_lshrrev_b32_e32 v6, 27, v5
	v_subrev_u32_e32 v9, 28, v8
	v_and_b32_e32 v4, 0x80000000, v5
	v_and_b32_e32 v6, 15, v6
	v_bfe_u32 v7, v5, 27, 4
	v_lshlrev_b32_sdwa v5, v9, v5 dst_sel:DWORD dst_unused:UNUSED_PAD src0_sel:DWORD src1_sel:BYTE_3
	v_sub_u32_e32 v8, 29, v8
	v_and_b32_e32 v5, 7, v5
	v_cmp_eq_u16_e32 vcc, 0, v6
	v_cndmask_b32_e32 v3, v3, v5, vcc
	v_cndmask_b32_e32 v5, v7, v8, vcc
	v_mov_b32_e32 v6, 0x3b800000
	v_lshlrev_b32_e32 v3, 20, v3
	v_lshl_add_u32 v5, v5, 23, v6
	v_or3_b32 v3, v4, v5, v3
.LBB2_3584:
	s_or_b64 exec, exec, s[6:7]
	s_nop 0
	v_mfma_f32_16x16x4f32 a[0:3], v2, v3, a[0:3]
	s_movk_i32 s4, 0x7f
                                        ; implicit-def: $sgpr10
	s_nop 7
	s_nop 1
	flat_store_dwordx4 v[10:11], a[0:3] offset:432
	flat_load_dwordx4 v[12:15], v[0:1]
	s_nop 0
	flat_load_dwordx2 v[10:11], v[0:1] offset:16
	s_waitcnt vmcnt(0) lgkmcnt(0)
	flat_load_dwordx4 v[6:9], v[12:13] offset:48
	flat_load_dwordx4 v[2:5], v[14:15] offset:64
	s_waitcnt vmcnt(0) lgkmcnt(0)
	v_cmp_gt_i16_sdwa s[6:7], v6, s4 src0_sel:BYTE_0 src1_sel:DWORD
	s_mov_b64 s[4:5], 0
	s_and_saveexec_b64 s[8:9], s[6:7]
	s_xor_b64 s[6:7], exec, s[8:9]
	s_cbranch_execz .LBB2_3585
; %bb.39425:
	s_getpc_b64 s[14:15]
.Lpost_getpc23296:
	s_add_u32 s14, s14, (.LBB2_17921-.Lpost_getpc23296)&4294967295
	s_addc_u32 s15, s15, (.LBB2_17921-.Lpost_getpc23296)>>32
	s_setpc_b64 s[14:15]
.LBB2_3585:
	s_or_saveexec_b64 s[6:7], s[6:7]
	v_mov_b32_e32 v12, s10
	s_xor_b64 exec, exec, s[6:7]
	s_cbranch_execz .LBB2_3586
; %bb.39427:
	s_getpc_b64 s[14:15]
.Lpost_getpc23297:
	s_add_u32 s14, s14, (.LBB2_17924-.Lpost_getpc23297)&4294967295
	s_addc_u32 s15, s15, (.LBB2_17924-.Lpost_getpc23297)>>32
	s_setpc_b64 s[14:15]
.LBB2_3586:
	s_or_b64 exec, exec, s[6:7]
	s_and_saveexec_b64 s[6:7], s[4:5]
	s_cbranch_execz .LBB2_3588
.LBB2_3587:
	v_and_b32_e32 v12, 7, v6
	v_ffbh_u32_e32 v14, v12
	v_min_u32_e32 v14, 32, v14
	v_lshrrev_b16_e32 v13, 3, v6
	v_subrev_u32_e32 v15, 28, v14
	v_and_b32_e32 v13, 15, v13
	v_lshlrev_b32_e32 v15, v15, v6
	v_sub_u32_e32 v14, 29, v14
	v_and_b32_e32 v15, 7, v15
	v_cmp_eq_u16_e32 vcc, 0, v13
	v_cndmask_b32_e32 v12, v12, v15, vcc
	v_cndmask_b32_e32 v13, v13, v14, vcc
	v_lshlrev_b32_e32 v14, 24, v6
	v_mov_b32_e32 v15, 0x3b800000
	v_lshlrev_b32_e32 v12, 20, v12
	v_and_b32_e32 v14, 0x80000000, v14
	v_lshl_add_u32 v13, v13, 23, v15
	v_or3_b32 v12, v14, v13, v12
.LBB2_3588:
	s_or_b64 exec, exec, s[6:7]
	s_movk_i32 s4, 0x7f
	v_cmp_gt_i16_sdwa s[6:7], v2, s4 src0_sel:BYTE_0 src1_sel:DWORD
	s_mov_b64 s[4:5], 0
                                        ; implicit-def: $sgpr10
	s_and_saveexec_b64 s[8:9], s[6:7]
	s_xor_b64 s[6:7], exec, s[8:9]
	s_cbranch_execz .LBB2_3589
; %bb.39429:
	s_getpc_b64 s[14:15]
.Lpost_getpc23298:
	s_add_u32 s14, s14, (.LBB2_17925-.Lpost_getpc23298)&4294967295
	s_addc_u32 s15, s15, (.LBB2_17925-.Lpost_getpc23298)>>32
	s_setpc_b64 s[14:15]
.LBB2_3589:
	s_or_saveexec_b64 s[6:7], s[6:7]
	v_mov_b32_e32 v13, s10
	s_xor_b64 exec, exec, s[6:7]
	s_cbranch_execz .LBB2_3590
; %bb.39431:
	s_getpc_b64 s[14:15]
.Lpost_getpc23299:
	s_add_u32 s14, s14, (.LBB2_17928-.Lpost_getpc23299)&4294967295
	s_addc_u32 s15, s15, (.LBB2_17928-.Lpost_getpc23299)>>32
	s_setpc_b64 s[14:15]
.LBB2_3590:
	s_or_b64 exec, exec, s[6:7]
	s_and_saveexec_b64 s[6:7], s[4:5]
	s_cbranch_execz .LBB2_3592
.LBB2_3591:
	v_and_b32_e32 v13, 7, v2
	v_ffbh_u32_e32 v15, v13
	v_min_u32_e32 v15, 32, v15
	v_lshrrev_b16_e32 v14, 3, v2
	v_subrev_u32_e32 v16, 28, v15
	v_and_b32_e32 v14, 15, v14
	v_lshlrev_b32_e32 v16, v16, v2
	v_sub_u32_e32 v15, 29, v15
	v_and_b32_e32 v16, 7, v16
	v_cmp_eq_u16_e32 vcc, 0, v14
	v_cndmask_b32_e32 v13, v13, v16, vcc
	v_cndmask_b32_e32 v14, v14, v15, vcc
	v_lshlrev_b32_e32 v15, 24, v2
	v_mov_b32_e32 v16, 0x3b800000
	v_lshlrev_b32_e32 v13, 20, v13
	v_and_b32_e32 v15, 0x80000000, v15
	v_lshl_add_u32 v14, v14, 23, v16
	v_or3_b32 v13, v15, v14, v13
.LBB2_3592:
	s_or_b64 exec, exec, s[6:7]
	flat_load_dwordx4 a[0:3], v[10:11] offset:448
	s_movk_i32 s4, 0x7f
                                        ; implicit-def: $sgpr10
	s_waitcnt vmcnt(0) lgkmcnt(0)
	v_mfma_f32_16x16x4f32 a[0:3], v12, v13, a[0:3]
	v_lshrrev_b32_e32 v13, 8, v6
	v_cmp_gt_i16_sdwa s[6:7], v13, s4 src0_sel:BYTE_0 src1_sel:DWORD
	s_mov_b64 s[4:5], 0
	s_and_saveexec_b64 s[8:9], s[6:7]
	s_xor_b64 s[6:7], exec, s[8:9]
	s_cbranch_execz .LBB2_3593
; %bb.39433:
	s_getpc_b64 s[14:15]
.Lpost_getpc23300:
	s_add_u32 s14, s14, (.LBB2_17929-.Lpost_getpc23300)&4294967295
	s_addc_u32 s15, s15, (.LBB2_17929-.Lpost_getpc23300)>>32
	s_setpc_b64 s[14:15]
.LBB2_3593:
	s_or_saveexec_b64 s[6:7], s[6:7]
	v_mov_b32_e32 v12, s10
	s_xor_b64 exec, exec, s[6:7]
	s_cbranch_execz .LBB2_3594
; %bb.39435:
	s_getpc_b64 s[14:15]
.Lpost_getpc23301:
	s_add_u32 s14, s14, (.LBB2_17932-.Lpost_getpc23301)&4294967295
	s_addc_u32 s15, s15, (.LBB2_17932-.Lpost_getpc23301)>>32
	s_setpc_b64 s[14:15]
.LBB2_3594:
	s_or_b64 exec, exec, s[6:7]
	s_and_saveexec_b64 s[6:7], s[4:5]
	s_cbranch_execz .LBB2_3596
.LBB2_3595:
	v_bfe_u32 v12, v6, 8, 3
	v_ffbh_u32_e32 v15, v12
	v_min_u32_e32 v15, 32, v15
	v_lshrrev_b16_e32 v14, 3, v13
	v_subrev_u32_e32 v16, 28, v15
	v_and_b32_e32 v14, 15, v14
	v_lshlrev_b32_e32 v13, v16, v13
	v_sub_u32_e32 v15, 29, v15
	v_and_b32_e32 v13, 7, v13
	v_cmp_eq_u16_e32 vcc, 0, v14
	v_cndmask_b32_e32 v12, v12, v13, vcc
	v_cndmask_b32_e32 v13, v14, v15, vcc
	v_lshlrev_b32_e32 v14, 16, v6
	v_mov_b32_e32 v15, 0x3b800000
	v_lshlrev_b32_e32 v12, 20, v12
	v_and_b32_e32 v14, 0x80000000, v14
	v_lshl_add_u32 v13, v13, 23, v15
	v_or3_b32 v12, v14, v13, v12
.LBB2_3596:
	s_or_b64 exec, exec, s[6:7]
	v_lshrrev_b32_e32 v13, 8, v2
	s_movk_i32 s4, 0x7f
	v_cmp_gt_i16_sdwa s[6:7], v13, s4 src0_sel:BYTE_0 src1_sel:DWORD
	s_mov_b64 s[4:5], 0
                                        ; implicit-def: $sgpr10
	s_and_saveexec_b64 s[8:9], s[6:7]
	s_xor_b64 s[6:7], exec, s[8:9]
	s_cbranch_execz .LBB2_3597
; %bb.39437:
	s_getpc_b64 s[14:15]
.Lpost_getpc23302:
	s_add_u32 s14, s14, (.LBB2_17933-.Lpost_getpc23302)&4294967295
	s_addc_u32 s15, s15, (.LBB2_17933-.Lpost_getpc23302)>>32
	s_setpc_b64 s[14:15]
.LBB2_3597:
	s_or_saveexec_b64 s[6:7], s[6:7]
	v_mov_b32_e32 v14, s10
	s_xor_b64 exec, exec, s[6:7]
	s_cbranch_execz .LBB2_3598
; %bb.39439:
	s_getpc_b64 s[14:15]
.Lpost_getpc23303:
	s_add_u32 s14, s14, (.LBB2_17936-.Lpost_getpc23303)&4294967295
	s_addc_u32 s15, s15, (.LBB2_17936-.Lpost_getpc23303)>>32
	s_setpc_b64 s[14:15]
.LBB2_3598:
	s_or_b64 exec, exec, s[6:7]
	s_and_saveexec_b64 s[6:7], s[4:5]
	s_cbranch_execz .LBB2_3600
.LBB2_3599:
	v_bfe_u32 v14, v2, 8, 3
	v_ffbh_u32_e32 v16, v14
	v_min_u32_e32 v16, 32, v16
	v_lshrrev_b16_e32 v15, 3, v13
	v_subrev_u32_e32 v17, 28, v16
	v_and_b32_e32 v15, 15, v15
	v_lshlrev_b32_e32 v13, v17, v13
	v_sub_u32_e32 v16, 29, v16
	v_and_b32_e32 v13, 7, v13
	v_cmp_eq_u16_e32 vcc, 0, v15
	v_cndmask_b32_e32 v13, v14, v13, vcc
	v_cndmask_b32_e32 v14, v15, v16, vcc
	v_lshlrev_b32_e32 v15, 16, v2
	v_mov_b32_e32 v16, 0x3b800000
	v_lshlrev_b32_e32 v13, 20, v13
	v_and_b32_e32 v15, 0x80000000, v15
	v_lshl_add_u32 v14, v14, 23, v16
	v_or3_b32 v14, v15, v14, v13
.LBB2_3600:
	s_or_b64 exec, exec, s[6:7]
	s_nop 0
	v_mfma_f32_16x16x4f32 a[0:3], v12, v14, a[0:3]
	s_movk_i32 s4, 0xff
	v_and_b32_sdwa v13, v6, s4 dst_sel:DWORD dst_unused:UNUSED_PAD src0_sel:WORD_1 src1_sel:DWORD
	s_movk_i32 s4, 0x7f
	v_cmp_lt_i16_e32 vcc, s4, v13
	s_mov_b64 s[4:5], 0
                                        ; implicit-def: $sgpr10
	s_and_saveexec_b64 s[6:7], vcc
	s_xor_b64 s[6:7], exec, s[6:7]
	s_cbranch_execz .LBB2_3601
; %bb.39441:
	s_getpc_b64 s[14:15]
.Lpost_getpc23304:
	s_add_u32 s14, s14, (.LBB2_17937-.Lpost_getpc23304)&4294967295
	s_addc_u32 s15, s15, (.LBB2_17937-.Lpost_getpc23304)>>32
	s_setpc_b64 s[14:15]
.LBB2_3601:
	s_or_saveexec_b64 s[6:7], s[6:7]
	v_mov_b32_e32 v12, s10
	s_xor_b64 exec, exec, s[6:7]
	s_cbranch_execz .LBB2_3602
; %bb.39443:
	s_getpc_b64 s[14:15]
.Lpost_getpc23305:
	s_add_u32 s14, s14, (.LBB2_17940-.Lpost_getpc23305)&4294967295
	s_addc_u32 s15, s15, (.LBB2_17940-.Lpost_getpc23305)>>32
	s_setpc_b64 s[14:15]
.LBB2_3602:
	s_or_b64 exec, exec, s[6:7]
	s_and_saveexec_b64 s[6:7], s[4:5]
	s_cbranch_execz .LBB2_3604
.LBB2_3603:
	v_bfe_u32 v12, v6, 16, 3
	v_ffbh_u32_e32 v15, v12
	v_min_u32_e32 v15, 32, v15
	v_lshrrev_b32_e32 v13, 19, v6
	v_subrev_u32_e32 v16, 28, v15
	v_and_b32_e32 v13, 15, v13
	v_lshlrev_b32_sdwa v16, v16, v6 dst_sel:DWORD dst_unused:UNUSED_PAD src0_sel:DWORD src1_sel:WORD_1
	v_bfe_u32 v14, v6, 19, 4
	v_sub_u32_e32 v15, 29, v15
	v_and_b32_e32 v16, 7, v16
	v_cmp_eq_u16_e32 vcc, 0, v13
	v_cndmask_b32_e32 v12, v12, v16, vcc
	v_cndmask_b32_e32 v13, v14, v15, vcc
	v_lshlrev_b32_e32 v14, 8, v6
	v_mov_b32_e32 v15, 0x3b800000
	v_lshlrev_b32_e32 v12, 20, v12
	v_and_b32_e32 v14, 0x80000000, v14
	v_lshl_add_u32 v13, v13, 23, v15
	v_or3_b32 v12, v14, v13, v12
.LBB2_3604:
	s_or_b64 exec, exec, s[6:7]
	s_movk_i32 s4, 0xff
	v_and_b32_sdwa v13, v2, s4 dst_sel:DWORD dst_unused:UNUSED_PAD src0_sel:WORD_1 src1_sel:DWORD
	s_movk_i32 s4, 0x7f
	v_cmp_lt_i16_e32 vcc, s4, v13
	s_mov_b64 s[4:5], 0
                                        ; implicit-def: $sgpr10
	s_and_saveexec_b64 s[6:7], vcc
	s_xor_b64 s[6:7], exec, s[6:7]
	s_cbranch_execz .LBB2_3605
; %bb.39445:
	s_getpc_b64 s[14:15]
.Lpost_getpc23306:
	s_add_u32 s14, s14, (.LBB2_17941-.Lpost_getpc23306)&4294967295
	s_addc_u32 s15, s15, (.LBB2_17941-.Lpost_getpc23306)>>32
	s_setpc_b64 s[14:15]
.LBB2_3605:
	s_or_saveexec_b64 s[6:7], s[6:7]
	v_mov_b32_e32 v14, s10
	s_xor_b64 exec, exec, s[6:7]
	s_cbranch_execz .LBB2_3606
; %bb.39447:
	s_getpc_b64 s[14:15]
.Lpost_getpc23307:
	s_add_u32 s14, s14, (.LBB2_17944-.Lpost_getpc23307)&4294967295
	s_addc_u32 s15, s15, (.LBB2_17944-.Lpost_getpc23307)>>32
	s_setpc_b64 s[14:15]
.LBB2_3606:
	s_or_b64 exec, exec, s[6:7]
	s_and_saveexec_b64 s[6:7], s[4:5]
	s_cbranch_execz .LBB2_3608
.LBB2_3607:
	v_bfe_u32 v13, v2, 16, 3
	v_ffbh_u32_e32 v16, v13
	v_min_u32_e32 v16, 32, v16
	v_lshrrev_b32_e32 v14, 19, v2
	v_subrev_u32_e32 v17, 28, v16
	v_and_b32_e32 v14, 15, v14
	v_lshlrev_b32_sdwa v17, v17, v2 dst_sel:DWORD dst_unused:UNUSED_PAD src0_sel:DWORD src1_sel:WORD_1
	v_bfe_u32 v15, v2, 19, 4
	v_sub_u32_e32 v16, 29, v16
	v_and_b32_e32 v17, 7, v17
	v_cmp_eq_u16_e32 vcc, 0, v14
	v_cndmask_b32_e32 v13, v13, v17, vcc
	v_cndmask_b32_e32 v14, v15, v16, vcc
	v_lshlrev_b32_e32 v15, 8, v2
	v_mov_b32_e32 v16, 0x3b800000
	v_lshlrev_b32_e32 v13, 20, v13
	v_and_b32_e32 v15, 0x80000000, v15
	v_lshl_add_u32 v14, v14, 23, v16
	v_or3_b32 v14, v15, v14, v13
.LBB2_3608:
	s_or_b64 exec, exec, s[6:7]
	s_nop 0
	v_mfma_f32_16x16x4f32 a[0:3], v12, v14, a[0:3]
	s_movk_i32 s4, 0x7f
	v_cmp_gt_i16_sdwa s[6:7], v6, s4 src0_sel:BYTE_3 src1_sel:DWORD
	s_mov_b64 s[4:5], 0
                                        ; implicit-def: $sgpr10
	s_and_saveexec_b64 s[8:9], s[6:7]
	s_xor_b64 s[6:7], exec, s[8:9]
	s_cbranch_execz .LBB2_3609
; %bb.39449:
	s_getpc_b64 s[14:15]
.Lpost_getpc23308:
	s_add_u32 s14, s14, (.LBB2_17945-.Lpost_getpc23308)&4294967295
	s_addc_u32 s15, s15, (.LBB2_17945-.Lpost_getpc23308)>>32
	s_setpc_b64 s[14:15]
.LBB2_3609:
	s_or_saveexec_b64 s[6:7], s[6:7]
	v_mov_b32_e32 v12, s10
	s_xor_b64 exec, exec, s[6:7]
	s_cbranch_execz .LBB2_3610
; %bb.39451:
	s_getpc_b64 s[14:15]
.Lpost_getpc23309:
	s_add_u32 s14, s14, (.LBB2_17948-.Lpost_getpc23309)&4294967295
	s_addc_u32 s15, s15, (.LBB2_17948-.Lpost_getpc23309)>>32
	s_setpc_b64 s[14:15]
.LBB2_3610:
	s_or_b64 exec, exec, s[6:7]
	s_and_saveexec_b64 s[6:7], s[4:5]
	s_cbranch_execz .LBB2_3612
.LBB2_3611:
	v_bfe_u32 v12, v6, 24, 3
	v_ffbh_u32_e32 v16, v12
	v_min_u32_e32 v16, 32, v16
	v_lshrrev_b32_e32 v14, 27, v6
	v_subrev_u32_e32 v17, 28, v16
	v_and_b32_e32 v13, 0x80000000, v6
	v_and_b32_e32 v14, 15, v14
	v_bfe_u32 v15, v6, 27, 4
	v_lshlrev_b32_sdwa v6, v17, v6 dst_sel:DWORD dst_unused:UNUSED_PAD src0_sel:DWORD src1_sel:BYTE_3
	v_sub_u32_e32 v16, 29, v16
	v_and_b32_e32 v6, 7, v6
	v_cmp_eq_u16_e32 vcc, 0, v14
	v_cndmask_b32_e32 v6, v12, v6, vcc
	v_cndmask_b32_e32 v12, v15, v16, vcc
	v_mov_b32_e32 v14, 0x3b800000
	v_lshlrev_b32_e32 v6, 20, v6
	v_lshl_add_u32 v12, v12, 23, v14
	v_or3_b32 v12, v13, v12, v6
.LBB2_3612:
	s_or_b64 exec, exec, s[6:7]
	s_movk_i32 s4, 0x7f
	v_cmp_gt_i16_sdwa s[6:7], v2, s4 src0_sel:BYTE_3 src1_sel:DWORD
	s_mov_b64 s[4:5], 0
                                        ; implicit-def: $sgpr10
	s_and_saveexec_b64 s[8:9], s[6:7]
	s_xor_b64 s[6:7], exec, s[8:9]
	s_cbranch_execz .LBB2_3613
; %bb.39453:
	s_getpc_b64 s[14:15]
.Lpost_getpc23310:
	s_add_u32 s14, s14, (.LBB2_17949-.Lpost_getpc23310)&4294967295
	s_addc_u32 s15, s15, (.LBB2_17949-.Lpost_getpc23310)>>32
	s_setpc_b64 s[14:15]
.LBB2_3613:
	s_or_saveexec_b64 s[6:7], s[6:7]
	v_mov_b32_e32 v6, s10
	s_xor_b64 exec, exec, s[6:7]
	s_cbranch_execz .LBB2_3614
; %bb.39455:
	s_getpc_b64 s[14:15]
.Lpost_getpc23311:
	s_add_u32 s14, s14, (.LBB2_17952-.Lpost_getpc23311)&4294967295
	s_addc_u32 s15, s15, (.LBB2_17952-.Lpost_getpc23311)>>32
	s_setpc_b64 s[14:15]
.LBB2_3614:
	s_or_b64 exec, exec, s[6:7]
	s_and_saveexec_b64 s[6:7], s[4:5]
	s_cbranch_execz .LBB2_3616
.LBB2_3615:
	v_bfe_u32 v6, v2, 24, 3
	v_ffbh_u32_e32 v16, v6
	v_min_u32_e32 v16, 32, v16
	v_lshrrev_b32_e32 v14, 27, v2
	v_subrev_u32_e32 v17, 28, v16
	v_and_b32_e32 v13, 0x80000000, v2
	v_and_b32_e32 v14, 15, v14
	v_bfe_u32 v15, v2, 27, 4
	v_lshlrev_b32_sdwa v2, v17, v2 dst_sel:DWORD dst_unused:UNUSED_PAD src0_sel:DWORD src1_sel:BYTE_3
	v_sub_u32_e32 v16, 29, v16
	v_and_b32_e32 v2, 7, v2
	v_cmp_eq_u16_e32 vcc, 0, v14
	v_cndmask_b32_e32 v2, v6, v2, vcc
	v_cndmask_b32_e32 v6, v15, v16, vcc
	v_mov_b32_e32 v14, 0x3b800000
	v_lshlrev_b32_e32 v2, 20, v2
	v_lshl_add_u32 v6, v6, 23, v14
	v_or3_b32 v6, v13, v6, v2
.LBB2_3616:
	s_or_b64 exec, exec, s[6:7]
	s_nop 0
	v_mfma_f32_16x16x4f32 a[0:3], v12, v6, a[0:3]
	s_movk_i32 s4, 0x7f
	v_cmp_gt_i16_sdwa s[6:7], v7, s4 src0_sel:BYTE_0 src1_sel:DWORD
	s_mov_b64 s[4:5], 0
                                        ; implicit-def: $sgpr10
	s_and_saveexec_b64 s[8:9], s[6:7]
	s_xor_b64 s[6:7], exec, s[8:9]
	s_cbranch_execz .LBB2_3617
; %bb.39457:
	s_getpc_b64 s[14:15]
.Lpost_getpc23312:
	s_add_u32 s14, s14, (.LBB2_17953-.Lpost_getpc23312)&4294967295
	s_addc_u32 s15, s15, (.LBB2_17953-.Lpost_getpc23312)>>32
	s_setpc_b64 s[14:15]
.LBB2_3617:
	s_or_saveexec_b64 s[6:7], s[6:7]
	v_mov_b32_e32 v2, s10
	s_xor_b64 exec, exec, s[6:7]
	s_cbranch_execz .LBB2_3618
; %bb.39459:
	s_getpc_b64 s[14:15]
.Lpost_getpc23313:
	s_add_u32 s14, s14, (.LBB2_17956-.Lpost_getpc23313)&4294967295
	s_addc_u32 s15, s15, (.LBB2_17956-.Lpost_getpc23313)>>32
	s_setpc_b64 s[14:15]
.LBB2_3618:
	s_or_b64 exec, exec, s[6:7]
	s_and_saveexec_b64 s[6:7], s[4:5]
	s_cbranch_execz .LBB2_3620
.LBB2_3619:
	v_and_b32_e32 v2, 7, v7
	v_ffbh_u32_e32 v12, v2
	v_min_u32_e32 v12, 32, v12
	v_lshrrev_b16_e32 v6, 3, v7
	v_subrev_u32_e32 v13, 28, v12
	v_and_b32_e32 v6, 15, v6
	v_lshlrev_b32_e32 v13, v13, v7
	v_sub_u32_e32 v12, 29, v12
	v_and_b32_e32 v13, 7, v13
	v_cmp_eq_u16_e32 vcc, 0, v6
	v_cndmask_b32_e32 v2, v2, v13, vcc
	v_cndmask_b32_e32 v6, v6, v12, vcc
	v_lshlrev_b32_e32 v12, 24, v7
	v_mov_b32_e32 v13, 0x3b800000
	v_lshlrev_b32_e32 v2, 20, v2
	v_and_b32_e32 v12, 0x80000000, v12
	v_lshl_add_u32 v6, v6, 23, v13
	v_or3_b32 v2, v12, v6, v2
.LBB2_3620:
	s_or_b64 exec, exec, s[6:7]
	s_movk_i32 s4, 0x7f
	v_cmp_gt_i16_sdwa s[6:7], v3, s4 src0_sel:BYTE_0 src1_sel:DWORD
	s_mov_b64 s[4:5], 0
                                        ; implicit-def: $sgpr10
	s_and_saveexec_b64 s[8:9], s[6:7]
	s_xor_b64 s[6:7], exec, s[8:9]
	s_cbranch_execz .LBB2_3621
; %bb.39461:
	s_getpc_b64 s[14:15]
.Lpost_getpc23314:
	s_add_u32 s14, s14, (.LBB2_17957-.Lpost_getpc23314)&4294967295
	s_addc_u32 s15, s15, (.LBB2_17957-.Lpost_getpc23314)>>32
	s_setpc_b64 s[14:15]
.LBB2_3621:
	s_or_saveexec_b64 s[6:7], s[6:7]
	v_mov_b32_e32 v6, s10
	s_xor_b64 exec, exec, s[6:7]
	s_cbranch_execz .LBB2_3622
; %bb.39463:
	s_getpc_b64 s[14:15]
.Lpost_getpc23315:
	s_add_u32 s14, s14, (.LBB2_17960-.Lpost_getpc23315)&4294967295
	s_addc_u32 s15, s15, (.LBB2_17960-.Lpost_getpc23315)>>32
	s_setpc_b64 s[14:15]
.LBB2_3622:
	s_or_b64 exec, exec, s[6:7]
	s_and_saveexec_b64 s[6:7], s[4:5]
	s_cbranch_execz .LBB2_3624
.LBB2_3623:
	v_and_b32_e32 v6, 7, v3
	v_ffbh_u32_e32 v13, v6
	v_min_u32_e32 v13, 32, v13
	v_lshrrev_b16_e32 v12, 3, v3
	v_subrev_u32_e32 v14, 28, v13
	v_and_b32_e32 v12, 15, v12
	v_lshlrev_b32_e32 v14, v14, v3
	v_sub_u32_e32 v13, 29, v13
	v_and_b32_e32 v14, 7, v14
	v_cmp_eq_u16_e32 vcc, 0, v12
	v_cndmask_b32_e32 v6, v6, v14, vcc
	v_cndmask_b32_e32 v12, v12, v13, vcc
	v_lshlrev_b32_e32 v13, 24, v3
	v_mov_b32_e32 v14, 0x3b800000
	v_lshlrev_b32_e32 v6, 20, v6
	v_and_b32_e32 v13, 0x80000000, v13
	v_lshl_add_u32 v12, v12, 23, v14
	v_or3_b32 v6, v13, v12, v6
.LBB2_3624:
	s_or_b64 exec, exec, s[6:7]
	s_nop 0
	v_mfma_f32_16x16x4f32 a[0:3], v2, v6, a[0:3]
	v_lshrrev_b32_e32 v6, 8, v7
	s_movk_i32 s4, 0x7f
	v_cmp_gt_i16_sdwa s[6:7], v6, s4 src0_sel:BYTE_0 src1_sel:DWORD
	s_mov_b64 s[4:5], 0
                                        ; implicit-def: $sgpr10
	s_and_saveexec_b64 s[8:9], s[6:7]
	s_xor_b64 s[6:7], exec, s[8:9]
	s_cbranch_execz .LBB2_3625
; %bb.39465:
	s_getpc_b64 s[14:15]
.Lpost_getpc23316:
	s_add_u32 s14, s14, (.LBB2_17961-.Lpost_getpc23316)&4294967295
	s_addc_u32 s15, s15, (.LBB2_17961-.Lpost_getpc23316)>>32
	s_setpc_b64 s[14:15]
.LBB2_3625:
	s_or_saveexec_b64 s[6:7], s[6:7]
	v_mov_b32_e32 v2, s10
	s_xor_b64 exec, exec, s[6:7]
	s_cbranch_execz .LBB2_3626
; %bb.39467:
	s_getpc_b64 s[14:15]
.Lpost_getpc23317:
	s_add_u32 s14, s14, (.LBB2_17964-.Lpost_getpc23317)&4294967295
	s_addc_u32 s15, s15, (.LBB2_17964-.Lpost_getpc23317)>>32
	s_setpc_b64 s[14:15]
.LBB2_3626:
	s_or_b64 exec, exec, s[6:7]
	s_and_saveexec_b64 s[6:7], s[4:5]
	s_cbranch_execz .LBB2_3628
.LBB2_3627:
	v_bfe_u32 v2, v7, 8, 3
	v_ffbh_u32_e32 v13, v2
	v_min_u32_e32 v13, 32, v13
	v_lshrrev_b16_e32 v12, 3, v6
	v_subrev_u32_e32 v14, 28, v13
	v_and_b32_e32 v12, 15, v12
	v_lshlrev_b32_e32 v6, v14, v6
	v_sub_u32_e32 v13, 29, v13
	v_and_b32_e32 v6, 7, v6
	v_cmp_eq_u16_e32 vcc, 0, v12
	v_cndmask_b32_e32 v2, v2, v6, vcc
	v_cndmask_b32_e32 v6, v12, v13, vcc
	v_lshlrev_b32_e32 v12, 16, v7
	v_mov_b32_e32 v13, 0x3b800000
	v_lshlrev_b32_e32 v2, 20, v2
	v_and_b32_e32 v12, 0x80000000, v12
	v_lshl_add_u32 v6, v6, 23, v13
	v_or3_b32 v2, v12, v6, v2
.LBB2_3628:
	s_or_b64 exec, exec, s[6:7]
	v_lshrrev_b32_e32 v6, 8, v3
	s_movk_i32 s4, 0x7f
	v_cmp_gt_i16_sdwa s[6:7], v6, s4 src0_sel:BYTE_0 src1_sel:DWORD
	s_mov_b64 s[4:5], 0
                                        ; implicit-def: $sgpr10
	s_and_saveexec_b64 s[8:9], s[6:7]
	s_xor_b64 s[6:7], exec, s[8:9]
	s_cbranch_execz .LBB2_3629
; %bb.39469:
	s_getpc_b64 s[14:15]
.Lpost_getpc23318:
	s_add_u32 s14, s14, (.LBB2_17965-.Lpost_getpc23318)&4294967295
	s_addc_u32 s15, s15, (.LBB2_17965-.Lpost_getpc23318)>>32
	s_setpc_b64 s[14:15]
.LBB2_3629:
	s_or_saveexec_b64 s[6:7], s[6:7]
	v_mov_b32_e32 v12, s10
	s_xor_b64 exec, exec, s[6:7]
	s_cbranch_execz .LBB2_3630
; %bb.39471:
	s_getpc_b64 s[14:15]
.Lpost_getpc23319:
	s_add_u32 s14, s14, (.LBB2_17968-.Lpost_getpc23319)&4294967295
	s_addc_u32 s15, s15, (.LBB2_17968-.Lpost_getpc23319)>>32
	s_setpc_b64 s[14:15]
.LBB2_3630:
	s_or_b64 exec, exec, s[6:7]
	s_and_saveexec_b64 s[6:7], s[4:5]
	s_cbranch_execz .LBB2_3632
.LBB2_3631:
	v_bfe_u32 v12, v3, 8, 3
	v_ffbh_u32_e32 v14, v12
	v_min_u32_e32 v14, 32, v14
	v_lshrrev_b16_e32 v13, 3, v6
	v_subrev_u32_e32 v15, 28, v14
	v_and_b32_e32 v13, 15, v13
	v_lshlrev_b32_e32 v6, v15, v6
	v_sub_u32_e32 v14, 29, v14
	v_and_b32_e32 v6, 7, v6
	v_cmp_eq_u16_e32 vcc, 0, v13
	v_cndmask_b32_e32 v6, v12, v6, vcc
	v_cndmask_b32_e32 v12, v13, v14, vcc
	v_lshlrev_b32_e32 v13, 16, v3
	v_mov_b32_e32 v14, 0x3b800000
	v_lshlrev_b32_e32 v6, 20, v6
	v_and_b32_e32 v13, 0x80000000, v13
	v_lshl_add_u32 v12, v12, 23, v14
	v_or3_b32 v12, v13, v12, v6
.LBB2_3632:
	s_or_b64 exec, exec, s[6:7]
	s_nop 0
	v_mfma_f32_16x16x4f32 a[0:3], v2, v12, a[0:3]
	s_movk_i32 s4, 0xff
	v_and_b32_sdwa v6, v7, s4 dst_sel:DWORD dst_unused:UNUSED_PAD src0_sel:WORD_1 src1_sel:DWORD
	s_movk_i32 s4, 0x7f
	v_cmp_lt_i16_e32 vcc, s4, v6
	s_mov_b64 s[4:5], 0
                                        ; implicit-def: $sgpr10
	s_and_saveexec_b64 s[6:7], vcc
	s_xor_b64 s[6:7], exec, s[6:7]
	s_cbranch_execz .LBB2_3633
; %bb.39473:
	s_getpc_b64 s[14:15]
.Lpost_getpc23320:
	s_add_u32 s14, s14, (.LBB2_17969-.Lpost_getpc23320)&4294967295
	s_addc_u32 s15, s15, (.LBB2_17969-.Lpost_getpc23320)>>32
	s_setpc_b64 s[14:15]
.LBB2_3633:
	s_or_saveexec_b64 s[6:7], s[6:7]
	v_mov_b32_e32 v2, s10
	s_xor_b64 exec, exec, s[6:7]
	s_cbranch_execz .LBB2_3634
; %bb.39475:
	s_getpc_b64 s[14:15]
.Lpost_getpc23321:
	s_add_u32 s14, s14, (.LBB2_17972-.Lpost_getpc23321)&4294967295
	s_addc_u32 s15, s15, (.LBB2_17972-.Lpost_getpc23321)>>32
	s_setpc_b64 s[14:15]
.LBB2_3634:
	s_or_b64 exec, exec, s[6:7]
	s_and_saveexec_b64 s[6:7], s[4:5]
	s_cbranch_execz .LBB2_3636
.LBB2_3635:
	v_bfe_u32 v2, v7, 16, 3
	v_ffbh_u32_e32 v13, v2
	v_min_u32_e32 v13, 32, v13
	v_lshrrev_b32_e32 v6, 19, v7
	v_subrev_u32_e32 v14, 28, v13
	v_and_b32_e32 v6, 15, v6
	v_lshlrev_b32_sdwa v14, v14, v7 dst_sel:DWORD dst_unused:UNUSED_PAD src0_sel:DWORD src1_sel:WORD_1
	v_bfe_u32 v12, v7, 19, 4
	v_sub_u32_e32 v13, 29, v13
	v_and_b32_e32 v14, 7, v14
	v_cmp_eq_u16_e32 vcc, 0, v6
	v_cndmask_b32_e32 v2, v2, v14, vcc
	v_cndmask_b32_e32 v6, v12, v13, vcc
	v_lshlrev_b32_e32 v12, 8, v7
	v_mov_b32_e32 v13, 0x3b800000
	v_lshlrev_b32_e32 v2, 20, v2
	v_and_b32_e32 v12, 0x80000000, v12
	v_lshl_add_u32 v6, v6, 23, v13
	v_or3_b32 v2, v12, v6, v2
.LBB2_3636:
	s_or_b64 exec, exec, s[6:7]
	s_movk_i32 s4, 0xff
	v_and_b32_sdwa v6, v3, s4 dst_sel:DWORD dst_unused:UNUSED_PAD src0_sel:WORD_1 src1_sel:DWORD
	s_movk_i32 s4, 0x7f
	v_cmp_lt_i16_e32 vcc, s4, v6
	s_mov_b64 s[4:5], 0
                                        ; implicit-def: $sgpr10
	s_and_saveexec_b64 s[6:7], vcc
	s_xor_b64 s[6:7], exec, s[6:7]
	s_cbranch_execz .LBB2_3637
; %bb.39477:
	s_getpc_b64 s[14:15]
.Lpost_getpc23322:
	s_add_u32 s14, s14, (.LBB2_17973-.Lpost_getpc23322)&4294967295
	s_addc_u32 s15, s15, (.LBB2_17973-.Lpost_getpc23322)>>32
	s_setpc_b64 s[14:15]
.LBB2_3637:
	s_or_saveexec_b64 s[6:7], s[6:7]
	v_mov_b32_e32 v12, s10
	s_xor_b64 exec, exec, s[6:7]
	s_cbranch_execz .LBB2_3638
; %bb.39479:
	s_getpc_b64 s[14:15]
.Lpost_getpc23323:
	s_add_u32 s14, s14, (.LBB2_17976-.Lpost_getpc23323)&4294967295
	s_addc_u32 s15, s15, (.LBB2_17976-.Lpost_getpc23323)>>32
	s_setpc_b64 s[14:15]
.LBB2_3638:
	s_or_b64 exec, exec, s[6:7]
	s_and_saveexec_b64 s[6:7], s[4:5]
	s_cbranch_execz .LBB2_3640
.LBB2_3639:
	v_bfe_u32 v6, v3, 16, 3
	v_ffbh_u32_e32 v14, v6
	v_min_u32_e32 v14, 32, v14
	v_lshrrev_b32_e32 v12, 19, v3
	v_subrev_u32_e32 v15, 28, v14
	v_and_b32_e32 v12, 15, v12
	v_lshlrev_b32_sdwa v15, v15, v3 dst_sel:DWORD dst_unused:UNUSED_PAD src0_sel:DWORD src1_sel:WORD_1
	v_bfe_u32 v13, v3, 19, 4
	v_sub_u32_e32 v14, 29, v14
	v_and_b32_e32 v15, 7, v15
	v_cmp_eq_u16_e32 vcc, 0, v12
	v_cndmask_b32_e32 v6, v6, v15, vcc
	v_cndmask_b32_e32 v12, v13, v14, vcc
	v_lshlrev_b32_e32 v13, 8, v3
	v_mov_b32_e32 v14, 0x3b800000
	v_lshlrev_b32_e32 v6, 20, v6
	v_and_b32_e32 v13, 0x80000000, v13
	v_lshl_add_u32 v12, v12, 23, v14
	v_or3_b32 v12, v13, v12, v6
.LBB2_3640:
	s_or_b64 exec, exec, s[6:7]
	s_nop 0
	v_mfma_f32_16x16x4f32 a[0:3], v2, v12, a[0:3]
	s_movk_i32 s4, 0x7f
	v_cmp_gt_i16_sdwa s[6:7], v7, s4 src0_sel:BYTE_3 src1_sel:DWORD
	s_mov_b64 s[4:5], 0
                                        ; implicit-def: $sgpr10
	s_and_saveexec_b64 s[8:9], s[6:7]
	s_xor_b64 s[6:7], exec, s[8:9]
	s_cbranch_execz .LBB2_3641
; %bb.39481:
	s_getpc_b64 s[14:15]
.Lpost_getpc23324:
	s_add_u32 s14, s14, (.LBB2_17977-.Lpost_getpc23324)&4294967295
	s_addc_u32 s15, s15, (.LBB2_17977-.Lpost_getpc23324)>>32
	s_setpc_b64 s[14:15]
.LBB2_3641:
	s_or_saveexec_b64 s[6:7], s[6:7]
	v_mov_b32_e32 v2, s10
	s_xor_b64 exec, exec, s[6:7]
	s_cbranch_execz .LBB2_3642
; %bb.39483:
	s_getpc_b64 s[14:15]
.Lpost_getpc23325:
	s_add_u32 s14, s14, (.LBB2_17980-.Lpost_getpc23325)&4294967295
	s_addc_u32 s15, s15, (.LBB2_17980-.Lpost_getpc23325)>>32
	s_setpc_b64 s[14:15]
.LBB2_3642:
	s_or_b64 exec, exec, s[6:7]
	s_and_saveexec_b64 s[6:7], s[4:5]
	s_cbranch_execz .LBB2_3644
.LBB2_3643:
	v_bfe_u32 v2, v7, 24, 3
	v_ffbh_u32_e32 v14, v2
	v_min_u32_e32 v14, 32, v14
	v_lshrrev_b32_e32 v12, 27, v7
	v_subrev_u32_e32 v15, 28, v14
	v_and_b32_e32 v6, 0x80000000, v7
	v_and_b32_e32 v12, 15, v12
	v_bfe_u32 v13, v7, 27, 4
	v_lshlrev_b32_sdwa v7, v15, v7 dst_sel:DWORD dst_unused:UNUSED_PAD src0_sel:DWORD src1_sel:BYTE_3
	v_sub_u32_e32 v14, 29, v14
	v_and_b32_e32 v7, 7, v7
	v_cmp_eq_u16_e32 vcc, 0, v12
	v_cndmask_b32_e32 v2, v2, v7, vcc
	v_cndmask_b32_e32 v7, v13, v14, vcc
	v_mov_b32_e32 v12, 0x3b800000
	v_lshlrev_b32_e32 v2, 20, v2
	v_lshl_add_u32 v7, v7, 23, v12
	v_or3_b32 v2, v6, v7, v2
.LBB2_3644:
	s_or_b64 exec, exec, s[6:7]
	s_movk_i32 s4, 0x7f
	v_cmp_gt_i16_sdwa s[6:7], v3, s4 src0_sel:BYTE_3 src1_sel:DWORD
	s_mov_b64 s[4:5], 0
                                        ; implicit-def: $sgpr10
	s_and_saveexec_b64 s[8:9], s[6:7]
	s_xor_b64 s[6:7], exec, s[8:9]
	s_cbranch_execz .LBB2_3645
; %bb.39485:
	s_getpc_b64 s[14:15]
.Lpost_getpc23326:
	s_add_u32 s14, s14, (.LBB2_17981-.Lpost_getpc23326)&4294967295
	s_addc_u32 s15, s15, (.LBB2_17981-.Lpost_getpc23326)>>32
	s_setpc_b64 s[14:15]
.LBB2_3645:
	s_or_saveexec_b64 s[6:7], s[6:7]
	v_mov_b32_e32 v6, s10
	s_xor_b64 exec, exec, s[6:7]
	s_cbranch_execz .LBB2_3646
; %bb.39487:
	s_getpc_b64 s[14:15]
.Lpost_getpc23327:
	s_add_u32 s14, s14, (.LBB2_17984-.Lpost_getpc23327)&4294967295
	s_addc_u32 s15, s15, (.LBB2_17984-.Lpost_getpc23327)>>32
	s_setpc_b64 s[14:15]
.LBB2_3646:
	s_or_b64 exec, exec, s[6:7]
	s_and_saveexec_b64 s[6:7], s[4:5]
	s_cbranch_execz .LBB2_3648
.LBB2_3647:
	v_bfe_u32 v6, v3, 24, 3
	v_ffbh_u32_e32 v14, v6
	v_min_u32_e32 v14, 32, v14
	v_lshrrev_b32_e32 v12, 27, v3
	v_subrev_u32_e32 v15, 28, v14
	v_and_b32_e32 v7, 0x80000000, v3
	v_and_b32_e32 v12, 15, v12
	v_bfe_u32 v13, v3, 27, 4
	v_lshlrev_b32_sdwa v3, v15, v3 dst_sel:DWORD dst_unused:UNUSED_PAD src0_sel:DWORD src1_sel:BYTE_3
	v_sub_u32_e32 v14, 29, v14
	v_and_b32_e32 v3, 7, v3
	v_cmp_eq_u16_e32 vcc, 0, v12
	v_cndmask_b32_e32 v3, v6, v3, vcc
	v_cndmask_b32_e32 v6, v13, v14, vcc
	v_mov_b32_e32 v12, 0x3b800000
	v_lshlrev_b32_e32 v3, 20, v3
	v_lshl_add_u32 v6, v6, 23, v12
	v_or3_b32 v6, v7, v6, v3
.LBB2_3648:
	s_or_b64 exec, exec, s[6:7]
	s_nop 0
	v_mfma_f32_16x16x4f32 a[0:3], v2, v6, a[0:3]
	s_movk_i32 s4, 0x7f
	v_cmp_gt_i16_sdwa s[6:7], v8, s4 src0_sel:BYTE_0 src1_sel:DWORD
	s_mov_b64 s[4:5], 0
                                        ; implicit-def: $sgpr10
	s_and_saveexec_b64 s[8:9], s[6:7]
	s_xor_b64 s[6:7], exec, s[8:9]
	s_cbranch_execz .LBB2_3649
; %bb.39489:
	s_getpc_b64 s[14:15]
.Lpost_getpc23328:
	s_add_u32 s14, s14, (.LBB2_17985-.Lpost_getpc23328)&4294967295
	s_addc_u32 s15, s15, (.LBB2_17985-.Lpost_getpc23328)>>32
	s_setpc_b64 s[14:15]
.LBB2_3649:
	s_or_saveexec_b64 s[6:7], s[6:7]
	v_mov_b32_e32 v2, s10
	s_xor_b64 exec, exec, s[6:7]
	s_cbranch_execz .LBB2_3650
; %bb.39491:
	s_getpc_b64 s[14:15]
.Lpost_getpc23329:
	s_add_u32 s14, s14, (.LBB2_17988-.Lpost_getpc23329)&4294967295
	s_addc_u32 s15, s15, (.LBB2_17988-.Lpost_getpc23329)>>32
	s_setpc_b64 s[14:15]
.LBB2_3650:
	s_or_b64 exec, exec, s[6:7]
	s_and_saveexec_b64 s[6:7], s[4:5]
	s_cbranch_execz .LBB2_3652
.LBB2_3651:
	v_and_b32_e32 v2, 7, v8
	v_ffbh_u32_e32 v6, v2
	v_min_u32_e32 v6, 32, v6
	v_lshrrev_b16_e32 v3, 3, v8
	v_subrev_u32_e32 v7, 28, v6
	v_and_b32_e32 v3, 15, v3
	v_lshlrev_b32_e32 v7, v7, v8
	v_sub_u32_e32 v6, 29, v6
	v_and_b32_e32 v7, 7, v7
	v_cmp_eq_u16_e32 vcc, 0, v3
	v_cndmask_b32_e32 v2, v2, v7, vcc
	v_cndmask_b32_e32 v3, v3, v6, vcc
	v_lshlrev_b32_e32 v6, 24, v8
	v_mov_b32_e32 v7, 0x3b800000
	v_lshlrev_b32_e32 v2, 20, v2
	v_and_b32_e32 v6, 0x80000000, v6
	v_lshl_add_u32 v3, v3, 23, v7
	v_or3_b32 v2, v6, v3, v2
.LBB2_3652:
	s_or_b64 exec, exec, s[6:7]
	s_movk_i32 s4, 0x7f
	v_cmp_gt_i16_sdwa s[6:7], v4, s4 src0_sel:BYTE_0 src1_sel:DWORD
	s_mov_b64 s[4:5], 0
                                        ; implicit-def: $sgpr10
	s_and_saveexec_b64 s[8:9], s[6:7]
	s_xor_b64 s[6:7], exec, s[8:9]
	s_cbranch_execz .LBB2_3653
; %bb.39493:
	s_getpc_b64 s[14:15]
.Lpost_getpc23330:
	s_add_u32 s14, s14, (.LBB2_17989-.Lpost_getpc23330)&4294967295
	s_addc_u32 s15, s15, (.LBB2_17989-.Lpost_getpc23330)>>32
	s_setpc_b64 s[14:15]
.LBB2_3653:
	s_or_saveexec_b64 s[6:7], s[6:7]
	v_mov_b32_e32 v3, s10
	s_xor_b64 exec, exec, s[6:7]
	s_cbranch_execz .LBB2_3654
; %bb.39495:
	s_getpc_b64 s[14:15]
.Lpost_getpc23331:
	s_add_u32 s14, s14, (.LBB2_17992-.Lpost_getpc23331)&4294967295
	s_addc_u32 s15, s15, (.LBB2_17992-.Lpost_getpc23331)>>32
	s_setpc_b64 s[14:15]
.LBB2_3654:
	s_or_b64 exec, exec, s[6:7]
	s_and_saveexec_b64 s[6:7], s[4:5]
	s_cbranch_execz .LBB2_3656
.LBB2_3655:
	v_and_b32_e32 v3, 7, v4
	v_ffbh_u32_e32 v7, v3
	v_min_u32_e32 v7, 32, v7
	v_lshrrev_b16_e32 v6, 3, v4
	v_subrev_u32_e32 v12, 28, v7
	v_and_b32_e32 v6, 15, v6
	v_lshlrev_b32_e32 v12, v12, v4
	v_sub_u32_e32 v7, 29, v7
	v_and_b32_e32 v12, 7, v12
	v_cmp_eq_u16_e32 vcc, 0, v6
	v_cndmask_b32_e32 v3, v3, v12, vcc
	v_cndmask_b32_e32 v6, v6, v7, vcc
	v_lshlrev_b32_e32 v7, 24, v4
	v_mov_b32_e32 v12, 0x3b800000
	v_lshlrev_b32_e32 v3, 20, v3
	v_and_b32_e32 v7, 0x80000000, v7
	v_lshl_add_u32 v6, v6, 23, v12
	v_or3_b32 v3, v7, v6, v3
.LBB2_3656:
	s_or_b64 exec, exec, s[6:7]
	s_nop 0
	v_mfma_f32_16x16x4f32 a[0:3], v2, v3, a[0:3]
	v_lshrrev_b32_e32 v3, 8, v8
	s_movk_i32 s4, 0x7f
	v_cmp_gt_i16_sdwa s[6:7], v3, s4 src0_sel:BYTE_0 src1_sel:DWORD
	s_mov_b64 s[4:5], 0
                                        ; implicit-def: $sgpr10
	s_and_saveexec_b64 s[8:9], s[6:7]
	s_xor_b64 s[6:7], exec, s[8:9]
	s_cbranch_execz .LBB2_3657
; %bb.39497:
	s_getpc_b64 s[14:15]
.Lpost_getpc23332:
	s_add_u32 s14, s14, (.LBB2_17993-.Lpost_getpc23332)&4294967295
	s_addc_u32 s15, s15, (.LBB2_17993-.Lpost_getpc23332)>>32
	s_setpc_b64 s[14:15]
.LBB2_3657:
	s_or_saveexec_b64 s[6:7], s[6:7]
	v_mov_b32_e32 v2, s10
	s_xor_b64 exec, exec, s[6:7]
	s_cbranch_execz .LBB2_3658
; %bb.39499:
	s_getpc_b64 s[14:15]
.Lpost_getpc23333:
	s_add_u32 s14, s14, (.LBB2_17996-.Lpost_getpc23333)&4294967295
	s_addc_u32 s15, s15, (.LBB2_17996-.Lpost_getpc23333)>>32
	s_setpc_b64 s[14:15]
.LBB2_3658:
	s_or_b64 exec, exec, s[6:7]
	s_and_saveexec_b64 s[6:7], s[4:5]
	s_cbranch_execz .LBB2_3660
.LBB2_3659:
	v_bfe_u32 v2, v8, 8, 3
	v_ffbh_u32_e32 v7, v2
	v_min_u32_e32 v7, 32, v7
	v_lshrrev_b16_e32 v6, 3, v3
	v_subrev_u32_e32 v12, 28, v7
	v_and_b32_e32 v6, 15, v6
	v_lshlrev_b32_e32 v3, v12, v3
	v_sub_u32_e32 v7, 29, v7
	v_and_b32_e32 v3, 7, v3
	v_cmp_eq_u16_e32 vcc, 0, v6
	v_cndmask_b32_e32 v2, v2, v3, vcc
	v_cndmask_b32_e32 v3, v6, v7, vcc
	v_lshlrev_b32_e32 v6, 16, v8
	v_mov_b32_e32 v7, 0x3b800000
	v_lshlrev_b32_e32 v2, 20, v2
	v_and_b32_e32 v6, 0x80000000, v6
	v_lshl_add_u32 v3, v3, 23, v7
	v_or3_b32 v2, v6, v3, v2
.LBB2_3660:
	s_or_b64 exec, exec, s[6:7]
	v_lshrrev_b32_e32 v3, 8, v4
	s_movk_i32 s4, 0x7f
	v_cmp_gt_i16_sdwa s[6:7], v3, s4 src0_sel:BYTE_0 src1_sel:DWORD
	s_mov_b64 s[4:5], 0
                                        ; implicit-def: $sgpr10
	s_and_saveexec_b64 s[8:9], s[6:7]
	s_xor_b64 s[6:7], exec, s[8:9]
	s_cbranch_execz .LBB2_3661
; %bb.39501:
	s_getpc_b64 s[14:15]
.Lpost_getpc23334:
	s_add_u32 s14, s14, (.LBB2_17997-.Lpost_getpc23334)&4294967295
	s_addc_u32 s15, s15, (.LBB2_17997-.Lpost_getpc23334)>>32
	s_setpc_b64 s[14:15]
.LBB2_3661:
	s_or_saveexec_b64 s[6:7], s[6:7]
	v_mov_b32_e32 v6, s10
	s_xor_b64 exec, exec, s[6:7]
	s_cbranch_execz .LBB2_3662
; %bb.39503:
	s_getpc_b64 s[14:15]
.Lpost_getpc23335:
	s_add_u32 s14, s14, (.LBB2_18000-.Lpost_getpc23335)&4294967295
	s_addc_u32 s15, s15, (.LBB2_18000-.Lpost_getpc23335)>>32
	s_setpc_b64 s[14:15]
.LBB2_3662:
	s_or_b64 exec, exec, s[6:7]
	s_and_saveexec_b64 s[6:7], s[4:5]
	s_cbranch_execz .LBB2_3664
.LBB2_3663:
	v_bfe_u32 v6, v4, 8, 3
	v_ffbh_u32_e32 v12, v6
	v_min_u32_e32 v12, 32, v12
	v_lshrrev_b16_e32 v7, 3, v3
	v_subrev_u32_e32 v13, 28, v12
	v_and_b32_e32 v7, 15, v7
	v_lshlrev_b32_e32 v3, v13, v3
	v_sub_u32_e32 v12, 29, v12
	v_and_b32_e32 v3, 7, v3
	v_cmp_eq_u16_e32 vcc, 0, v7
	v_cndmask_b32_e32 v3, v6, v3, vcc
	v_cndmask_b32_e32 v6, v7, v12, vcc
	v_lshlrev_b32_e32 v7, 16, v4
	v_mov_b32_e32 v12, 0x3b800000
	v_lshlrev_b32_e32 v3, 20, v3
	v_and_b32_e32 v7, 0x80000000, v7
	v_lshl_add_u32 v6, v6, 23, v12
	v_or3_b32 v6, v7, v6, v3
.LBB2_3664:
	s_or_b64 exec, exec, s[6:7]
	s_nop 0
	v_mfma_f32_16x16x4f32 a[0:3], v2, v6, a[0:3]
	s_movk_i32 s4, 0xff
	v_and_b32_sdwa v3, v8, s4 dst_sel:DWORD dst_unused:UNUSED_PAD src0_sel:WORD_1 src1_sel:DWORD
	s_movk_i32 s4, 0x7f
	v_cmp_lt_i16_e32 vcc, s4, v3
	s_mov_b64 s[4:5], 0
                                        ; implicit-def: $sgpr10
	s_and_saveexec_b64 s[6:7], vcc
	s_xor_b64 s[6:7], exec, s[6:7]
	s_cbranch_execz .LBB2_3665
; %bb.39505:
	s_getpc_b64 s[14:15]
.Lpost_getpc23336:
	s_add_u32 s14, s14, (.LBB2_18001-.Lpost_getpc23336)&4294967295
	s_addc_u32 s15, s15, (.LBB2_18001-.Lpost_getpc23336)>>32
	s_setpc_b64 s[14:15]
.LBB2_3665:
	s_or_saveexec_b64 s[6:7], s[6:7]
	v_mov_b32_e32 v2, s10
	s_xor_b64 exec, exec, s[6:7]
	s_cbranch_execz .LBB2_3666
; %bb.39507:
	s_getpc_b64 s[14:15]
.Lpost_getpc23337:
	s_add_u32 s14, s14, (.LBB2_18004-.Lpost_getpc23337)&4294967295
	s_addc_u32 s15, s15, (.LBB2_18004-.Lpost_getpc23337)>>32
	s_setpc_b64 s[14:15]
.LBB2_3666:
	s_or_b64 exec, exec, s[6:7]
	s_and_saveexec_b64 s[6:7], s[4:5]
	s_cbranch_execz .LBB2_3668
.LBB2_3667:
	v_bfe_u32 v2, v8, 16, 3
	v_ffbh_u32_e32 v7, v2
	v_min_u32_e32 v7, 32, v7
	v_lshrrev_b32_e32 v3, 19, v8
	v_subrev_u32_e32 v12, 28, v7
	v_and_b32_e32 v3, 15, v3
	v_lshlrev_b32_sdwa v12, v12, v8 dst_sel:DWORD dst_unused:UNUSED_PAD src0_sel:DWORD src1_sel:WORD_1
	v_bfe_u32 v6, v8, 19, 4
	v_sub_u32_e32 v7, 29, v7
	v_and_b32_e32 v12, 7, v12
	v_cmp_eq_u16_e32 vcc, 0, v3
	v_cndmask_b32_e32 v2, v2, v12, vcc
	v_cndmask_b32_e32 v3, v6, v7, vcc
	v_lshlrev_b32_e32 v6, 8, v8
	v_mov_b32_e32 v7, 0x3b800000
	v_lshlrev_b32_e32 v2, 20, v2
	v_and_b32_e32 v6, 0x80000000, v6
	v_lshl_add_u32 v3, v3, 23, v7
	v_or3_b32 v2, v6, v3, v2
.LBB2_3668:
	s_or_b64 exec, exec, s[6:7]
	s_movk_i32 s4, 0xff
	v_and_b32_sdwa v3, v4, s4 dst_sel:DWORD dst_unused:UNUSED_PAD src0_sel:WORD_1 src1_sel:DWORD
	s_movk_i32 s4, 0x7f
	v_cmp_lt_i16_e32 vcc, s4, v3
	s_mov_b64 s[4:5], 0
                                        ; implicit-def: $sgpr10
	s_and_saveexec_b64 s[6:7], vcc
	s_xor_b64 s[6:7], exec, s[6:7]
	s_cbranch_execz .LBB2_3669
; %bb.39509:
	s_getpc_b64 s[14:15]
.Lpost_getpc23338:
	s_add_u32 s14, s14, (.LBB2_18005-.Lpost_getpc23338)&4294967295
	s_addc_u32 s15, s15, (.LBB2_18005-.Lpost_getpc23338)>>32
	s_setpc_b64 s[14:15]
.LBB2_3669:
	s_or_saveexec_b64 s[6:7], s[6:7]
	v_mov_b32_e32 v6, s10
	s_xor_b64 exec, exec, s[6:7]
	s_cbranch_execz .LBB2_3670
; %bb.39511:
	s_getpc_b64 s[14:15]
.Lpost_getpc23339:
	s_add_u32 s14, s14, (.LBB2_18008-.Lpost_getpc23339)&4294967295
	s_addc_u32 s15, s15, (.LBB2_18008-.Lpost_getpc23339)>>32
	s_setpc_b64 s[14:15]
.LBB2_3670:
	s_or_b64 exec, exec, s[6:7]
	s_and_saveexec_b64 s[6:7], s[4:5]
	s_cbranch_execz .LBB2_3672
.LBB2_3671:
	v_bfe_u32 v3, v4, 16, 3
	v_ffbh_u32_e32 v12, v3
	v_min_u32_e32 v12, 32, v12
	v_lshrrev_b32_e32 v6, 19, v4
	v_subrev_u32_e32 v13, 28, v12
	v_and_b32_e32 v6, 15, v6
	v_lshlrev_b32_sdwa v13, v13, v4 dst_sel:DWORD dst_unused:UNUSED_PAD src0_sel:DWORD src1_sel:WORD_1
	v_bfe_u32 v7, v4, 19, 4
	v_sub_u32_e32 v12, 29, v12
	v_and_b32_e32 v13, 7, v13
	v_cmp_eq_u16_e32 vcc, 0, v6
	v_cndmask_b32_e32 v3, v3, v13, vcc
	v_cndmask_b32_e32 v6, v7, v12, vcc
	v_lshlrev_b32_e32 v7, 8, v4
	v_mov_b32_e32 v12, 0x3b800000
	v_lshlrev_b32_e32 v3, 20, v3
	v_and_b32_e32 v7, 0x80000000, v7
	v_lshl_add_u32 v6, v6, 23, v12
	v_or3_b32 v6, v7, v6, v3
.LBB2_3672:
	s_or_b64 exec, exec, s[6:7]
	s_nop 0
	v_mfma_f32_16x16x4f32 a[0:3], v2, v6, a[0:3]
	s_movk_i32 s4, 0x7f
	v_cmp_gt_i16_sdwa s[6:7], v8, s4 src0_sel:BYTE_3 src1_sel:DWORD
	s_mov_b64 s[4:5], 0
                                        ; implicit-def: $sgpr10
	s_and_saveexec_b64 s[8:9], s[6:7]
	s_xor_b64 s[6:7], exec, s[8:9]
	s_cbranch_execz .LBB2_3673
; %bb.39513:
	s_getpc_b64 s[14:15]
.Lpost_getpc23340:
	s_add_u32 s14, s14, (.LBB2_18009-.Lpost_getpc23340)&4294967295
	s_addc_u32 s15, s15, (.LBB2_18009-.Lpost_getpc23340)>>32
	s_setpc_b64 s[14:15]
.LBB2_3673:
	s_or_saveexec_b64 s[6:7], s[6:7]
	v_mov_b32_e32 v2, s10
	s_xor_b64 exec, exec, s[6:7]
	s_cbranch_execz .LBB2_3674
; %bb.39515:
	s_getpc_b64 s[14:15]
.Lpost_getpc23341:
	s_add_u32 s14, s14, (.LBB2_18012-.Lpost_getpc23341)&4294967295
	s_addc_u32 s15, s15, (.LBB2_18012-.Lpost_getpc23341)>>32
	s_setpc_b64 s[14:15]
.LBB2_3674:
	s_or_b64 exec, exec, s[6:7]
	s_and_saveexec_b64 s[6:7], s[4:5]
	s_cbranch_execz .LBB2_3676
.LBB2_3675:
	v_bfe_u32 v2, v8, 24, 3
	v_ffbh_u32_e32 v12, v2
	v_min_u32_e32 v12, 32, v12
	v_lshrrev_b32_e32 v6, 27, v8
	v_subrev_u32_e32 v13, 28, v12
	v_and_b32_e32 v3, 0x80000000, v8
	v_and_b32_e32 v6, 15, v6
	v_bfe_u32 v7, v8, 27, 4
	v_lshlrev_b32_sdwa v8, v13, v8 dst_sel:DWORD dst_unused:UNUSED_PAD src0_sel:DWORD src1_sel:BYTE_3
	v_sub_u32_e32 v12, 29, v12
	v_and_b32_e32 v8, 7, v8
	v_cmp_eq_u16_e32 vcc, 0, v6
	v_cndmask_b32_e32 v2, v2, v8, vcc
	v_cndmask_b32_e32 v6, v7, v12, vcc
	v_mov_b32_e32 v7, 0x3b800000
	v_lshlrev_b32_e32 v2, 20, v2
	v_lshl_add_u32 v6, v6, 23, v7
	v_or3_b32 v2, v3, v6, v2
.LBB2_3676:
	s_or_b64 exec, exec, s[6:7]
	s_movk_i32 s4, 0x7f
	v_cmp_gt_i16_sdwa s[6:7], v4, s4 src0_sel:BYTE_3 src1_sel:DWORD
	s_mov_b64 s[4:5], 0
                                        ; implicit-def: $sgpr10
	s_and_saveexec_b64 s[8:9], s[6:7]
	s_xor_b64 s[6:7], exec, s[8:9]
	s_cbranch_execz .LBB2_3677
; %bb.39517:
	s_getpc_b64 s[14:15]
.Lpost_getpc23342:
	s_add_u32 s14, s14, (.LBB2_18013-.Lpost_getpc23342)&4294967295
	s_addc_u32 s15, s15, (.LBB2_18013-.Lpost_getpc23342)>>32
	s_setpc_b64 s[14:15]
.LBB2_3677:
	s_or_saveexec_b64 s[6:7], s[6:7]
	v_mov_b32_e32 v3, s10
	s_xor_b64 exec, exec, s[6:7]
	s_cbranch_execz .LBB2_3678
; %bb.39519:
	s_getpc_b64 s[14:15]
.Lpost_getpc23343:
	s_add_u32 s14, s14, (.LBB2_18016-.Lpost_getpc23343)&4294967295
	s_addc_u32 s15, s15, (.LBB2_18016-.Lpost_getpc23343)>>32
	s_setpc_b64 s[14:15]
.LBB2_3678:
	s_or_b64 exec, exec, s[6:7]
	s_and_saveexec_b64 s[6:7], s[4:5]
	s_cbranch_execz .LBB2_3680
.LBB2_3679:
	v_bfe_u32 v3, v4, 24, 3
	v_ffbh_u32_e32 v12, v3
	v_min_u32_e32 v12, 32, v12
	v_lshrrev_b32_e32 v7, 27, v4
	v_subrev_u32_e32 v13, 28, v12
	v_and_b32_e32 v6, 0x80000000, v4
	v_and_b32_e32 v7, 15, v7
	v_bfe_u32 v8, v4, 27, 4
	v_lshlrev_b32_sdwa v4, v13, v4 dst_sel:DWORD dst_unused:UNUSED_PAD src0_sel:DWORD src1_sel:BYTE_3
	v_sub_u32_e32 v12, 29, v12
	v_and_b32_e32 v4, 7, v4
	v_cmp_eq_u16_e32 vcc, 0, v7
	v_cndmask_b32_e32 v3, v3, v4, vcc
	v_cndmask_b32_e32 v4, v8, v12, vcc
	v_mov_b32_e32 v7, 0x3b800000
	v_lshlrev_b32_e32 v3, 20, v3
	v_lshl_add_u32 v4, v4, 23, v7
	v_or3_b32 v3, v6, v4, v3
.LBB2_3680:
	s_or_b64 exec, exec, s[6:7]
	s_nop 0
	v_mfma_f32_16x16x4f32 a[0:3], v2, v3, a[0:3]
	s_movk_i32 s4, 0x7f
	v_cmp_gt_i16_sdwa s[6:7], v9, s4 src0_sel:BYTE_0 src1_sel:DWORD
	s_mov_b64 s[4:5], 0
                                        ; implicit-def: $sgpr10
	s_and_saveexec_b64 s[8:9], s[6:7]
	s_xor_b64 s[6:7], exec, s[8:9]
	s_cbranch_execz .LBB2_3681
; %bb.39521:
	s_getpc_b64 s[14:15]
.Lpost_getpc23344:
	s_add_u32 s14, s14, (.LBB2_18017-.Lpost_getpc23344)&4294967295
	s_addc_u32 s15, s15, (.LBB2_18017-.Lpost_getpc23344)>>32
	s_setpc_b64 s[14:15]
.LBB2_3681:
	s_or_saveexec_b64 s[6:7], s[6:7]
	v_mov_b32_e32 v2, s10
	s_xor_b64 exec, exec, s[6:7]
	s_cbranch_execz .LBB2_3682
; %bb.39523:
	s_getpc_b64 s[14:15]
.Lpost_getpc23345:
	s_add_u32 s14, s14, (.LBB2_18020-.Lpost_getpc23345)&4294967295
	s_addc_u32 s15, s15, (.LBB2_18020-.Lpost_getpc23345)>>32
	s_setpc_b64 s[14:15]
.LBB2_3682:
	s_or_b64 exec, exec, s[6:7]
	s_and_saveexec_b64 s[6:7], s[4:5]
	s_cbranch_execz .LBB2_3684
.LBB2_3683:
	v_mov_b32_e32 v2, 8
	v_and_b32_e32 v3, 7, v9
	v_lshrrev_b32_sdwa v2, v2, v9 dst_sel:BYTE_1 dst_unused:UNUSED_PAD src0_sel:DWORD src1_sel:DWORD
	v_ffbh_u32_e32 v4, v3
	v_or_b32_sdwa v2, v9, v2 dst_sel:DWORD dst_unused:UNUSED_PAD src0_sel:BYTE_0 src1_sel:DWORD
	v_min_u32_e32 v4, 32, v4
	v_lshrrev_b16_e32 v2, 3, v2
	v_subrev_u32_e32 v6, 28, v4
	v_and_b32_e32 v2, 15, v2
	v_lshlrev_b32_e32 v6, v6, v9
	v_sub_u32_e32 v4, 29, v4
	v_and_b32_e32 v6, 7, v6
	v_cmp_eq_u16_e32 vcc, 0, v2
	v_cndmask_b32_e32 v3, v3, v6, vcc
	v_cndmask_b32_e32 v2, v2, v4, vcc
	v_lshlrev_b32_e32 v4, 24, v9
	v_mov_b32_e32 v6, 0x3b800000
	v_lshlrev_b32_e32 v3, 20, v3
	v_and_b32_e32 v4, 0x80000000, v4
	v_lshl_add_u32 v2, v2, 23, v6
	v_or3_b32 v2, v4, v2, v3
.LBB2_3684:
	s_or_b64 exec, exec, s[6:7]
	s_movk_i32 s4, 0x7f
	v_cmp_gt_i16_sdwa s[6:7], v5, s4 src0_sel:BYTE_0 src1_sel:DWORD
	s_mov_b64 s[4:5], 0
                                        ; implicit-def: $sgpr10
	s_and_saveexec_b64 s[8:9], s[6:7]
	s_xor_b64 s[6:7], exec, s[8:9]
	s_cbranch_execz .LBB2_3685
; %bb.39525:
	s_getpc_b64 s[14:15]
.Lpost_getpc23346:
	s_add_u32 s14, s14, (.LBB2_18021-.Lpost_getpc23346)&4294967295
	s_addc_u32 s15, s15, (.LBB2_18021-.Lpost_getpc23346)>>32
	s_setpc_b64 s[14:15]
.LBB2_3685:
	s_or_saveexec_b64 s[6:7], s[6:7]
	v_mov_b32_e32 v3, s10
	s_xor_b64 exec, exec, s[6:7]
	s_cbranch_execz .LBB2_3686
; %bb.39527:
	s_getpc_b64 s[14:15]
.Lpost_getpc23347:
	s_add_u32 s14, s14, (.LBB2_18024-.Lpost_getpc23347)&4294967295
	s_addc_u32 s15, s15, (.LBB2_18024-.Lpost_getpc23347)>>32
	s_setpc_b64 s[14:15]
.LBB2_3686:
	s_or_b64 exec, exec, s[6:7]
	s_and_saveexec_b64 s[6:7], s[4:5]
	s_cbranch_execz .LBB2_3688
.LBB2_3687:
	v_mov_b32_e32 v3, 8
	v_and_b32_e32 v4, 7, v5
	v_lshrrev_b32_sdwa v3, v3, v5 dst_sel:BYTE_1 dst_unused:UNUSED_PAD src0_sel:DWORD src1_sel:DWORD
	v_ffbh_u32_e32 v6, v4
	v_or_b32_sdwa v3, v5, v3 dst_sel:DWORD dst_unused:UNUSED_PAD src0_sel:BYTE_0 src1_sel:DWORD
	v_min_u32_e32 v6, 32, v6
	v_lshrrev_b16_e32 v3, 3, v3
	v_subrev_u32_e32 v7, 28, v6
	v_and_b32_e32 v3, 15, v3
	v_lshlrev_b32_e32 v7, v7, v5
	v_sub_u32_e32 v6, 29, v6
	v_and_b32_e32 v7, 7, v7
	v_cmp_eq_u16_e32 vcc, 0, v3
	v_cndmask_b32_e32 v4, v4, v7, vcc
	v_cndmask_b32_e32 v3, v3, v6, vcc
	v_lshlrev_b32_e32 v6, 24, v5
	v_mov_b32_e32 v7, 0x3b800000
	v_lshlrev_b32_e32 v4, 20, v4
	v_and_b32_e32 v6, 0x80000000, v6
	v_lshl_add_u32 v3, v3, 23, v7
	v_or3_b32 v3, v6, v3, v4
.LBB2_3688:
	s_or_b64 exec, exec, s[6:7]
	s_nop 0
	v_mfma_f32_16x16x4f32 a[0:3], v2, v3, a[0:3]
	v_lshrrev_b32_e32 v3, 8, v9
	s_movk_i32 s4, 0x7f
	v_cmp_gt_i16_sdwa s[6:7], v3, s4 src0_sel:BYTE_0 src1_sel:DWORD
	s_mov_b64 s[4:5], 0
                                        ; implicit-def: $sgpr10
	s_and_saveexec_b64 s[8:9], s[6:7]
	s_xor_b64 s[6:7], exec, s[8:9]
	s_cbranch_execz .LBB2_3689
; %bb.39529:
	s_getpc_b64 s[14:15]
.Lpost_getpc23348:
	s_add_u32 s14, s14, (.LBB2_18025-.Lpost_getpc23348)&4294967295
	s_addc_u32 s15, s15, (.LBB2_18025-.Lpost_getpc23348)>>32
	s_setpc_b64 s[14:15]
.LBB2_3689:
	s_or_saveexec_b64 s[6:7], s[6:7]
	v_mov_b32_e32 v2, s10
	s_xor_b64 exec, exec, s[6:7]
	s_cbranch_execz .LBB2_3690
; %bb.39531:
	s_getpc_b64 s[14:15]
.Lpost_getpc23349:
	s_add_u32 s14, s14, (.LBB2_18028-.Lpost_getpc23349)&4294967295
	s_addc_u32 s15, s15, (.LBB2_18028-.Lpost_getpc23349)>>32
	s_setpc_b64 s[14:15]
.LBB2_3690:
	s_or_b64 exec, exec, s[6:7]
	s_and_saveexec_b64 s[6:7], s[4:5]
	s_cbranch_execz .LBB2_3692
.LBB2_3691:
	v_bfe_u32 v2, v9, 8, 3
	v_ffbh_u32_e32 v6, v2
	v_min_u32_e32 v6, 32, v6
	v_lshrrev_b16_e32 v4, 3, v3
	v_subrev_u32_e32 v7, 28, v6
	v_and_b32_e32 v4, 15, v4
	v_lshlrev_b32_e32 v3, v7, v3
	v_sub_u32_e32 v6, 29, v6
	v_and_b32_e32 v3, 7, v3
	v_cmp_eq_u16_e32 vcc, 0, v4
	v_cndmask_b32_e32 v2, v2, v3, vcc
	v_cndmask_b32_e32 v3, v4, v6, vcc
	v_lshlrev_b32_e32 v4, 16, v9
	v_mov_b32_e32 v6, 0x3b800000
	v_lshlrev_b32_e32 v2, 20, v2
	v_and_b32_e32 v4, 0x80000000, v4
	v_lshl_add_u32 v3, v3, 23, v6
	v_or3_b32 v2, v4, v3, v2
.LBB2_3692:
	s_or_b64 exec, exec, s[6:7]
	v_lshrrev_b32_e32 v3, 8, v5
	s_movk_i32 s4, 0x7f
	v_cmp_gt_i16_sdwa s[6:7], v3, s4 src0_sel:BYTE_0 src1_sel:DWORD
	s_mov_b64 s[4:5], 0
                                        ; implicit-def: $sgpr10
	s_and_saveexec_b64 s[8:9], s[6:7]
	s_xor_b64 s[6:7], exec, s[8:9]
	s_cbranch_execz .LBB2_3693
; %bb.39533:
	s_getpc_b64 s[14:15]
.Lpost_getpc23350:
	s_add_u32 s14, s14, (.LBB2_18029-.Lpost_getpc23350)&4294967295
	s_addc_u32 s15, s15, (.LBB2_18029-.Lpost_getpc23350)>>32
	s_setpc_b64 s[14:15]
.LBB2_3693:
	s_or_saveexec_b64 s[6:7], s[6:7]
	v_mov_b32_e32 v4, s10
	s_xor_b64 exec, exec, s[6:7]
	s_cbranch_execz .LBB2_3694
; %bb.39535:
	s_getpc_b64 s[14:15]
.Lpost_getpc23351:
	s_add_u32 s14, s14, (.LBB2_18032-.Lpost_getpc23351)&4294967295
	s_addc_u32 s15, s15, (.LBB2_18032-.Lpost_getpc23351)>>32
	s_setpc_b64 s[14:15]
.LBB2_3694:
	s_or_b64 exec, exec, s[6:7]
	s_and_saveexec_b64 s[6:7], s[4:5]
	s_cbranch_execz .LBB2_3696
.LBB2_3695:
	v_bfe_u32 v4, v5, 8, 3
	v_ffbh_u32_e32 v7, v4
	v_min_u32_e32 v7, 32, v7
	v_lshrrev_b16_e32 v6, 3, v3
	v_subrev_u32_e32 v8, 28, v7
	v_and_b32_e32 v6, 15, v6
	v_lshlrev_b32_e32 v3, v8, v3
	v_sub_u32_e32 v7, 29, v7
	v_and_b32_e32 v3, 7, v3
	v_cmp_eq_u16_e32 vcc, 0, v6
	v_cndmask_b32_e32 v3, v4, v3, vcc
	v_cndmask_b32_e32 v4, v6, v7, vcc
	v_lshlrev_b32_e32 v6, 16, v5
	v_mov_b32_e32 v7, 0x3b800000
	v_lshlrev_b32_e32 v3, 20, v3
	v_and_b32_e32 v6, 0x80000000, v6
	v_lshl_add_u32 v4, v4, 23, v7
	v_or3_b32 v4, v6, v4, v3
.LBB2_3696:
	s_or_b64 exec, exec, s[6:7]
	s_nop 0
	v_mfma_f32_16x16x4f32 a[0:3], v2, v4, a[0:3]
	s_movk_i32 s4, 0xff
	v_and_b32_sdwa v3, v9, s4 dst_sel:DWORD dst_unused:UNUSED_PAD src0_sel:WORD_1 src1_sel:DWORD
	s_movk_i32 s4, 0x7f
	v_cmp_lt_i16_e32 vcc, s4, v3
	s_mov_b64 s[4:5], 0
                                        ; implicit-def: $sgpr10
	s_and_saveexec_b64 s[6:7], vcc
	s_xor_b64 s[6:7], exec, s[6:7]
	s_cbranch_execz .LBB2_3697
; %bb.39537:
	s_getpc_b64 s[14:15]
.Lpost_getpc23352:
	s_add_u32 s14, s14, (.LBB2_18033-.Lpost_getpc23352)&4294967295
	s_addc_u32 s15, s15, (.LBB2_18033-.Lpost_getpc23352)>>32
	s_setpc_b64 s[14:15]
.LBB2_3697:
	s_or_saveexec_b64 s[6:7], s[6:7]
	v_mov_b32_e32 v2, s10
	s_xor_b64 exec, exec, s[6:7]
	s_cbranch_execz .LBB2_3698
; %bb.39539:
	s_getpc_b64 s[14:15]
.Lpost_getpc23353:
	s_add_u32 s14, s14, (.LBB2_18036-.Lpost_getpc23353)&4294967295
	s_addc_u32 s15, s15, (.LBB2_18036-.Lpost_getpc23353)>>32
	s_setpc_b64 s[14:15]
.LBB2_3698:
	s_or_b64 exec, exec, s[6:7]
	s_and_saveexec_b64 s[6:7], s[4:5]
	s_cbranch_execz .LBB2_3700
.LBB2_3699:
	v_bfe_u32 v2, v9, 16, 3
	v_ffbh_u32_e32 v6, v2
	v_min_u32_e32 v6, 32, v6
	v_lshrrev_b32_e32 v3, 19, v9
	v_subrev_u32_e32 v7, 28, v6
	v_and_b32_e32 v3, 15, v3
	v_lshlrev_b32_sdwa v7, v7, v9 dst_sel:DWORD dst_unused:UNUSED_PAD src0_sel:DWORD src1_sel:WORD_1
	v_bfe_u32 v4, v9, 19, 4
	v_sub_u32_e32 v6, 29, v6
	v_and_b32_e32 v7, 7, v7
	v_cmp_eq_u16_e32 vcc, 0, v3
	v_cndmask_b32_e32 v2, v2, v7, vcc
	v_cndmask_b32_e32 v3, v4, v6, vcc
	v_lshlrev_b32_e32 v4, 8, v9
	v_mov_b32_e32 v6, 0x3b800000
	v_lshlrev_b32_e32 v2, 20, v2
	v_and_b32_e32 v4, 0x80000000, v4
	v_lshl_add_u32 v3, v3, 23, v6
	v_or3_b32 v2, v4, v3, v2
.LBB2_3700:
	s_or_b64 exec, exec, s[6:7]
	s_movk_i32 s4, 0xff
	v_and_b32_sdwa v3, v5, s4 dst_sel:DWORD dst_unused:UNUSED_PAD src0_sel:WORD_1 src1_sel:DWORD
	s_movk_i32 s4, 0x7f
	v_cmp_lt_i16_e32 vcc, s4, v3
	s_mov_b64 s[4:5], 0
                                        ; implicit-def: $sgpr10
	s_and_saveexec_b64 s[6:7], vcc
	s_xor_b64 s[6:7], exec, s[6:7]
	s_cbranch_execz .LBB2_3701
; %bb.39541:
	s_getpc_b64 s[14:15]
.Lpost_getpc23354:
	s_add_u32 s14, s14, (.LBB2_18037-.Lpost_getpc23354)&4294967295
	s_addc_u32 s15, s15, (.LBB2_18037-.Lpost_getpc23354)>>32
	s_setpc_b64 s[14:15]
.LBB2_3701:
	s_or_saveexec_b64 s[6:7], s[6:7]
	v_mov_b32_e32 v4, s10
	s_xor_b64 exec, exec, s[6:7]
	s_cbranch_execz .LBB2_3702
; %bb.39543:
	s_getpc_b64 s[14:15]
.Lpost_getpc23355:
	s_add_u32 s14, s14, (.LBB2_18040-.Lpost_getpc23355)&4294967295
	s_addc_u32 s15, s15, (.LBB2_18040-.Lpost_getpc23355)>>32
	s_setpc_b64 s[14:15]
.LBB2_3702:
	s_or_b64 exec, exec, s[6:7]
	s_and_saveexec_b64 s[6:7], s[4:5]
	s_cbranch_execz .LBB2_3704
.LBB2_3703:
	v_bfe_u32 v3, v5, 16, 3
	v_ffbh_u32_e32 v7, v3
	v_min_u32_e32 v7, 32, v7
	v_lshrrev_b32_e32 v4, 19, v5
	v_subrev_u32_e32 v8, 28, v7
	v_and_b32_e32 v4, 15, v4
	v_lshlrev_b32_sdwa v8, v8, v5 dst_sel:DWORD dst_unused:UNUSED_PAD src0_sel:DWORD src1_sel:WORD_1
	v_bfe_u32 v6, v5, 19, 4
	v_sub_u32_e32 v7, 29, v7
	v_and_b32_e32 v8, 7, v8
	v_cmp_eq_u16_e32 vcc, 0, v4
	v_cndmask_b32_e32 v3, v3, v8, vcc
	v_cndmask_b32_e32 v4, v6, v7, vcc
	v_lshlrev_b32_e32 v6, 8, v5
	v_mov_b32_e32 v7, 0x3b800000
	v_lshlrev_b32_e32 v3, 20, v3
	v_and_b32_e32 v6, 0x80000000, v6
	v_lshl_add_u32 v4, v4, 23, v7
	v_or3_b32 v4, v6, v4, v3
.LBB2_3704:
	s_or_b64 exec, exec, s[6:7]
	s_nop 0
	v_mfma_f32_16x16x4f32 a[0:3], v2, v4, a[0:3]
	s_movk_i32 s4, 0x7f
	v_cmp_gt_i16_sdwa s[6:7], v9, s4 src0_sel:BYTE_3 src1_sel:DWORD
	s_mov_b64 s[4:5], 0
                                        ; implicit-def: $sgpr10
	s_and_saveexec_b64 s[8:9], s[6:7]
	s_xor_b64 s[6:7], exec, s[8:9]
	s_cbranch_execz .LBB2_3705
; %bb.39545:
	s_getpc_b64 s[14:15]
.Lpost_getpc23356:
	s_add_u32 s14, s14, (.LBB2_18041-.Lpost_getpc23356)&4294967295
	s_addc_u32 s15, s15, (.LBB2_18041-.Lpost_getpc23356)>>32
	s_setpc_b64 s[14:15]
.LBB2_3705:
	s_or_saveexec_b64 s[6:7], s[6:7]
	v_mov_b32_e32 v2, s10
	s_xor_b64 exec, exec, s[6:7]
	s_cbranch_execz .LBB2_3706
; %bb.39547:
	s_getpc_b64 s[14:15]
.Lpost_getpc23357:
	s_add_u32 s14, s14, (.LBB2_18044-.Lpost_getpc23357)&4294967295
	s_addc_u32 s15, s15, (.LBB2_18044-.Lpost_getpc23357)>>32
	s_setpc_b64 s[14:15]
.LBB2_3706:
	s_or_b64 exec, exec, s[6:7]
	s_and_saveexec_b64 s[6:7], s[4:5]
	s_cbranch_execz .LBB2_3708
.LBB2_3707:
	v_bfe_u32 v2, v9, 24, 3
	v_ffbh_u32_e32 v7, v2
	v_min_u32_e32 v7, 32, v7
	v_lshrrev_b32_e32 v4, 27, v9
	v_subrev_u32_e32 v8, 28, v7
	v_and_b32_e32 v4, 15, v4
	v_lshlrev_b32_sdwa v8, v8, v9 dst_sel:DWORD dst_unused:UNUSED_PAD src0_sel:DWORD src1_sel:BYTE_3
	v_bfe_u32 v6, v9, 27, 4
	v_sub_u32_e32 v7, 29, v7
	v_and_b32_e32 v8, 7, v8
	v_cmp_eq_u16_e32 vcc, 0, v4
	v_cndmask_b32_e32 v2, v2, v8, vcc
	v_cndmask_b32_e32 v4, v6, v7, vcc
	v_mov_b32_e32 v6, 0x3b800000
	v_and_b32_e32 v3, 0x80000000, v9
	v_lshlrev_b32_e32 v2, 20, v2
	v_lshl_add_u32 v4, v4, 23, v6
	v_or3_b32 v2, v3, v4, v2
.LBB2_3708:
	s_or_b64 exec, exec, s[6:7]
	s_movk_i32 s4, 0x7f
	v_cmp_gt_i16_sdwa s[6:7], v5, s4 src0_sel:BYTE_3 src1_sel:DWORD
	s_mov_b64 s[4:5], 0
                                        ; implicit-def: $sgpr10
	s_and_saveexec_b64 s[8:9], s[6:7]
	s_xor_b64 s[6:7], exec, s[8:9]
	s_cbranch_execz .LBB2_3709
; %bb.39549:
	s_getpc_b64 s[14:15]
.Lpost_getpc23358:
	s_add_u32 s14, s14, (.LBB2_18045-.Lpost_getpc23358)&4294967295
	s_addc_u32 s15, s15, (.LBB2_18045-.Lpost_getpc23358)>>32
	s_setpc_b64 s[14:15]
.LBB2_3709:
	s_or_saveexec_b64 s[6:7], s[6:7]
	v_mov_b32_e32 v3, s10
	s_xor_b64 exec, exec, s[6:7]
	s_cbranch_execz .LBB2_3710
; %bb.39551:
	s_getpc_b64 s[14:15]
.Lpost_getpc23359:
	s_add_u32 s14, s14, (.LBB2_18048-.Lpost_getpc23359)&4294967295
	s_addc_u32 s15, s15, (.LBB2_18048-.Lpost_getpc23359)>>32
	s_setpc_b64 s[14:15]
.LBB2_3710:
	s_or_b64 exec, exec, s[6:7]
	s_and_saveexec_b64 s[6:7], s[4:5]
	s_cbranch_execz .LBB2_3712
.LBB2_3711:
	v_bfe_u32 v3, v5, 24, 3
	v_ffbh_u32_e32 v8, v3
	v_min_u32_e32 v8, 32, v8
	v_lshrrev_b32_e32 v6, 27, v5
	v_subrev_u32_e32 v9, 28, v8
	v_and_b32_e32 v4, 0x80000000, v5
	v_and_b32_e32 v6, 15, v6
	v_bfe_u32 v7, v5, 27, 4
	v_lshlrev_b32_sdwa v5, v9, v5 dst_sel:DWORD dst_unused:UNUSED_PAD src0_sel:DWORD src1_sel:BYTE_3
	v_sub_u32_e32 v8, 29, v8
	v_and_b32_e32 v5, 7, v5
	v_cmp_eq_u16_e32 vcc, 0, v6
	v_cndmask_b32_e32 v3, v3, v5, vcc
	v_cndmask_b32_e32 v5, v7, v8, vcc
	v_mov_b32_e32 v6, 0x3b800000
	v_lshlrev_b32_e32 v3, 20, v3
	v_lshl_add_u32 v5, v5, 23, v6
	v_or3_b32 v3, v4, v5, v3
.LBB2_3712:
	s_or_b64 exec, exec, s[6:7]
	s_nop 0
	v_mfma_f32_16x16x4f32 a[0:3], v2, v3, a[0:3]
	s_movk_i32 s4, 0x7f
                                        ; implicit-def: $sgpr10
	s_nop 7
	s_nop 1
	flat_store_dwordx4 v[10:11], a[0:3] offset:448
	flat_load_dwordx4 v[12:15], v[0:1]
	s_nop 0
	flat_load_dwordx2 v[10:11], v[0:1] offset:16
	s_waitcnt vmcnt(0) lgkmcnt(0)
	flat_load_dwordx4 v[6:9], v[12:13] offset:48
	flat_load_dwordx4 v[2:5], v[14:15] offset:80
	s_waitcnt vmcnt(0) lgkmcnt(0)
	v_cmp_gt_i16_sdwa s[6:7], v6, s4 src0_sel:BYTE_0 src1_sel:DWORD
	s_mov_b64 s[4:5], 0
	s_and_saveexec_b64 s[8:9], s[6:7]
	s_xor_b64 s[6:7], exec, s[8:9]
	s_cbranch_execz .LBB2_3713
; %bb.39553:
	s_getpc_b64 s[14:15]
.Lpost_getpc23360:
	s_add_u32 s14, s14, (.LBB2_18049-.Lpost_getpc23360)&4294967295
	s_addc_u32 s15, s15, (.LBB2_18049-.Lpost_getpc23360)>>32
	s_setpc_b64 s[14:15]
.LBB2_3713:
	s_or_saveexec_b64 s[6:7], s[6:7]
	v_mov_b32_e32 v12, s10
	s_xor_b64 exec, exec, s[6:7]
	s_cbranch_execz .LBB2_3714
; %bb.39555:
	s_getpc_b64 s[14:15]
.Lpost_getpc23361:
	s_add_u32 s14, s14, (.LBB2_18052-.Lpost_getpc23361)&4294967295
	s_addc_u32 s15, s15, (.LBB2_18052-.Lpost_getpc23361)>>32
	s_setpc_b64 s[14:15]
.LBB2_3714:
	s_or_b64 exec, exec, s[6:7]
	s_and_saveexec_b64 s[6:7], s[4:5]
	s_cbranch_execz .LBB2_3716
.LBB2_3715:
	v_and_b32_e32 v12, 7, v6
	v_ffbh_u32_e32 v14, v12
	v_min_u32_e32 v14, 32, v14
	v_lshrrev_b16_e32 v13, 3, v6
	v_subrev_u32_e32 v15, 28, v14
	v_and_b32_e32 v13, 15, v13
	v_lshlrev_b32_e32 v15, v15, v6
	v_sub_u32_e32 v14, 29, v14
	v_and_b32_e32 v15, 7, v15
	v_cmp_eq_u16_e32 vcc, 0, v13
	v_cndmask_b32_e32 v12, v12, v15, vcc
	v_cndmask_b32_e32 v13, v13, v14, vcc
	v_lshlrev_b32_e32 v14, 24, v6
	v_mov_b32_e32 v15, 0x3b800000
	v_lshlrev_b32_e32 v12, 20, v12
	v_and_b32_e32 v14, 0x80000000, v14
	v_lshl_add_u32 v13, v13, 23, v15
	v_or3_b32 v12, v14, v13, v12
.LBB2_3716:
	s_or_b64 exec, exec, s[6:7]
	s_movk_i32 s4, 0x7f
	v_cmp_gt_i16_sdwa s[6:7], v2, s4 src0_sel:BYTE_0 src1_sel:DWORD
	s_mov_b64 s[4:5], 0
                                        ; implicit-def: $sgpr10
	s_and_saveexec_b64 s[8:9], s[6:7]
	s_xor_b64 s[6:7], exec, s[8:9]
	s_cbranch_execz .LBB2_3717
; %bb.39557:
	s_getpc_b64 s[14:15]
.Lpost_getpc23362:
	s_add_u32 s14, s14, (.LBB2_18053-.Lpost_getpc23362)&4294967295
	s_addc_u32 s15, s15, (.LBB2_18053-.Lpost_getpc23362)>>32
	s_setpc_b64 s[14:15]
.LBB2_3717:
	s_or_saveexec_b64 s[6:7], s[6:7]
	v_mov_b32_e32 v13, s10
	s_xor_b64 exec, exec, s[6:7]
	s_cbranch_execz .LBB2_3718
; %bb.39559:
	s_getpc_b64 s[14:15]
.Lpost_getpc23363:
	s_add_u32 s14, s14, (.LBB2_18056-.Lpost_getpc23363)&4294967295
	s_addc_u32 s15, s15, (.LBB2_18056-.Lpost_getpc23363)>>32
	s_setpc_b64 s[14:15]
.LBB2_3718:
	s_or_b64 exec, exec, s[6:7]
	s_and_saveexec_b64 s[6:7], s[4:5]
	s_cbranch_execz .LBB2_3720
.LBB2_3719:
	v_and_b32_e32 v13, 7, v2
	v_ffbh_u32_e32 v15, v13
	v_min_u32_e32 v15, 32, v15
	v_lshrrev_b16_e32 v14, 3, v2
	v_subrev_u32_e32 v16, 28, v15
	v_and_b32_e32 v14, 15, v14
	v_lshlrev_b32_e32 v16, v16, v2
	v_sub_u32_e32 v15, 29, v15
	v_and_b32_e32 v16, 7, v16
	v_cmp_eq_u16_e32 vcc, 0, v14
	v_cndmask_b32_e32 v13, v13, v16, vcc
	v_cndmask_b32_e32 v14, v14, v15, vcc
	v_lshlrev_b32_e32 v15, 24, v2
	v_mov_b32_e32 v16, 0x3b800000
	v_lshlrev_b32_e32 v13, 20, v13
	v_and_b32_e32 v15, 0x80000000, v15
	v_lshl_add_u32 v14, v14, 23, v16
	v_or3_b32 v13, v15, v14, v13
.LBB2_3720:
	s_or_b64 exec, exec, s[6:7]
	flat_load_dwordx4 a[0:3], v[10:11] offset:464
	s_movk_i32 s4, 0x7f
                                        ; implicit-def: $sgpr10
	s_waitcnt vmcnt(0) lgkmcnt(0)
	v_mfma_f32_16x16x4f32 a[0:3], v12, v13, a[0:3]
	v_lshrrev_b32_e32 v13, 8, v6
	v_cmp_gt_i16_sdwa s[6:7], v13, s4 src0_sel:BYTE_0 src1_sel:DWORD
	s_mov_b64 s[4:5], 0
	s_and_saveexec_b64 s[8:9], s[6:7]
	s_xor_b64 s[6:7], exec, s[8:9]
	s_cbranch_execz .LBB2_3721
; %bb.39561:
	s_getpc_b64 s[14:15]
.Lpost_getpc23364:
	s_add_u32 s14, s14, (.LBB2_18057-.Lpost_getpc23364)&4294967295
	s_addc_u32 s15, s15, (.LBB2_18057-.Lpost_getpc23364)>>32
	s_setpc_b64 s[14:15]
.LBB2_3721:
	s_or_saveexec_b64 s[6:7], s[6:7]
	v_mov_b32_e32 v12, s10
	s_xor_b64 exec, exec, s[6:7]
	s_cbranch_execz .LBB2_3722
; %bb.39563:
	s_getpc_b64 s[14:15]
.Lpost_getpc23365:
	s_add_u32 s14, s14, (.LBB2_18060-.Lpost_getpc23365)&4294967295
	s_addc_u32 s15, s15, (.LBB2_18060-.Lpost_getpc23365)>>32
	s_setpc_b64 s[14:15]
.LBB2_3722:
	s_or_b64 exec, exec, s[6:7]
	s_and_saveexec_b64 s[6:7], s[4:5]
	s_cbranch_execz .LBB2_3724
.LBB2_3723:
	v_bfe_u32 v12, v6, 8, 3
	v_ffbh_u32_e32 v15, v12
	v_min_u32_e32 v15, 32, v15
	v_lshrrev_b16_e32 v14, 3, v13
	v_subrev_u32_e32 v16, 28, v15
	v_and_b32_e32 v14, 15, v14
	v_lshlrev_b32_e32 v13, v16, v13
	v_sub_u32_e32 v15, 29, v15
	v_and_b32_e32 v13, 7, v13
	v_cmp_eq_u16_e32 vcc, 0, v14
	v_cndmask_b32_e32 v12, v12, v13, vcc
	v_cndmask_b32_e32 v13, v14, v15, vcc
	v_lshlrev_b32_e32 v14, 16, v6
	v_mov_b32_e32 v15, 0x3b800000
	v_lshlrev_b32_e32 v12, 20, v12
	v_and_b32_e32 v14, 0x80000000, v14
	v_lshl_add_u32 v13, v13, 23, v15
	v_or3_b32 v12, v14, v13, v12
.LBB2_3724:
	s_or_b64 exec, exec, s[6:7]
	v_lshrrev_b32_e32 v13, 8, v2
	s_movk_i32 s4, 0x7f
	v_cmp_gt_i16_sdwa s[6:7], v13, s4 src0_sel:BYTE_0 src1_sel:DWORD
	s_mov_b64 s[4:5], 0
                                        ; implicit-def: $sgpr10
	s_and_saveexec_b64 s[8:9], s[6:7]
	s_xor_b64 s[6:7], exec, s[8:9]
	s_cbranch_execz .LBB2_3725
; %bb.39565:
	s_getpc_b64 s[14:15]
.Lpost_getpc23366:
	s_add_u32 s14, s14, (.LBB2_18061-.Lpost_getpc23366)&4294967295
	s_addc_u32 s15, s15, (.LBB2_18061-.Lpost_getpc23366)>>32
	s_setpc_b64 s[14:15]
.LBB2_3725:
	s_or_saveexec_b64 s[6:7], s[6:7]
	v_mov_b32_e32 v14, s10
	s_xor_b64 exec, exec, s[6:7]
	s_cbranch_execz .LBB2_3726
; %bb.39567:
	s_getpc_b64 s[14:15]
.Lpost_getpc23367:
	s_add_u32 s14, s14, (.LBB2_18064-.Lpost_getpc23367)&4294967295
	s_addc_u32 s15, s15, (.LBB2_18064-.Lpost_getpc23367)>>32
	s_setpc_b64 s[14:15]
.LBB2_3726:
	s_or_b64 exec, exec, s[6:7]
	s_and_saveexec_b64 s[6:7], s[4:5]
	s_cbranch_execz .LBB2_3728
.LBB2_3727:
	v_bfe_u32 v14, v2, 8, 3
	v_ffbh_u32_e32 v16, v14
	v_min_u32_e32 v16, 32, v16
	v_lshrrev_b16_e32 v15, 3, v13
	v_subrev_u32_e32 v17, 28, v16
	v_and_b32_e32 v15, 15, v15
	v_lshlrev_b32_e32 v13, v17, v13
	v_sub_u32_e32 v16, 29, v16
	v_and_b32_e32 v13, 7, v13
	v_cmp_eq_u16_e32 vcc, 0, v15
	v_cndmask_b32_e32 v13, v14, v13, vcc
	v_cndmask_b32_e32 v14, v15, v16, vcc
	v_lshlrev_b32_e32 v15, 16, v2
	v_mov_b32_e32 v16, 0x3b800000
	v_lshlrev_b32_e32 v13, 20, v13
	v_and_b32_e32 v15, 0x80000000, v15
	v_lshl_add_u32 v14, v14, 23, v16
	v_or3_b32 v14, v15, v14, v13
.LBB2_3728:
	s_or_b64 exec, exec, s[6:7]
	s_nop 0
	v_mfma_f32_16x16x4f32 a[0:3], v12, v14, a[0:3]
	s_movk_i32 s4, 0xff
	v_and_b32_sdwa v13, v6, s4 dst_sel:DWORD dst_unused:UNUSED_PAD src0_sel:WORD_1 src1_sel:DWORD
	s_movk_i32 s4, 0x7f
	v_cmp_lt_i16_e32 vcc, s4, v13
	s_mov_b64 s[4:5], 0
                                        ; implicit-def: $sgpr10
	s_and_saveexec_b64 s[6:7], vcc
	s_xor_b64 s[6:7], exec, s[6:7]
	s_cbranch_execz .LBB2_3729
; %bb.39569:
	s_getpc_b64 s[14:15]
.Lpost_getpc23368:
	s_add_u32 s14, s14, (.LBB2_18065-.Lpost_getpc23368)&4294967295
	s_addc_u32 s15, s15, (.LBB2_18065-.Lpost_getpc23368)>>32
	s_setpc_b64 s[14:15]
.LBB2_3729:
	s_or_saveexec_b64 s[6:7], s[6:7]
	v_mov_b32_e32 v12, s10
	s_xor_b64 exec, exec, s[6:7]
	s_cbranch_execz .LBB2_3730
; %bb.39571:
	s_getpc_b64 s[14:15]
.Lpost_getpc23369:
	s_add_u32 s14, s14, (.LBB2_18068-.Lpost_getpc23369)&4294967295
	s_addc_u32 s15, s15, (.LBB2_18068-.Lpost_getpc23369)>>32
	s_setpc_b64 s[14:15]
.LBB2_3730:
	s_or_b64 exec, exec, s[6:7]
	s_and_saveexec_b64 s[6:7], s[4:5]
	s_cbranch_execz .LBB2_3732
.LBB2_3731:
	v_bfe_u32 v12, v6, 16, 3
	v_ffbh_u32_e32 v15, v12
	v_min_u32_e32 v15, 32, v15
	v_lshrrev_b32_e32 v13, 19, v6
	v_subrev_u32_e32 v16, 28, v15
	v_and_b32_e32 v13, 15, v13
	v_lshlrev_b32_sdwa v16, v16, v6 dst_sel:DWORD dst_unused:UNUSED_PAD src0_sel:DWORD src1_sel:WORD_1
	v_bfe_u32 v14, v6, 19, 4
	v_sub_u32_e32 v15, 29, v15
	v_and_b32_e32 v16, 7, v16
	v_cmp_eq_u16_e32 vcc, 0, v13
	v_cndmask_b32_e32 v12, v12, v16, vcc
	v_cndmask_b32_e32 v13, v14, v15, vcc
	v_lshlrev_b32_e32 v14, 8, v6
	v_mov_b32_e32 v15, 0x3b800000
	v_lshlrev_b32_e32 v12, 20, v12
	v_and_b32_e32 v14, 0x80000000, v14
	v_lshl_add_u32 v13, v13, 23, v15
	v_or3_b32 v12, v14, v13, v12
.LBB2_3732:
	s_or_b64 exec, exec, s[6:7]
	s_movk_i32 s4, 0xff
	v_and_b32_sdwa v13, v2, s4 dst_sel:DWORD dst_unused:UNUSED_PAD src0_sel:WORD_1 src1_sel:DWORD
	s_movk_i32 s4, 0x7f
	v_cmp_lt_i16_e32 vcc, s4, v13
	s_mov_b64 s[4:5], 0
                                        ; implicit-def: $sgpr10
	s_and_saveexec_b64 s[6:7], vcc
	s_xor_b64 s[6:7], exec, s[6:7]
	s_cbranch_execz .LBB2_3733
; %bb.39573:
	s_getpc_b64 s[14:15]
.Lpost_getpc23370:
	s_add_u32 s14, s14, (.LBB2_18069-.Lpost_getpc23370)&4294967295
	s_addc_u32 s15, s15, (.LBB2_18069-.Lpost_getpc23370)>>32
	s_setpc_b64 s[14:15]
.LBB2_3733:
	s_or_saveexec_b64 s[6:7], s[6:7]
	v_mov_b32_e32 v14, s10
	s_xor_b64 exec, exec, s[6:7]
	s_cbranch_execz .LBB2_3734
; %bb.39575:
	s_getpc_b64 s[14:15]
.Lpost_getpc23371:
	s_add_u32 s14, s14, (.LBB2_18072-.Lpost_getpc23371)&4294967295
	s_addc_u32 s15, s15, (.LBB2_18072-.Lpost_getpc23371)>>32
	s_setpc_b64 s[14:15]
.LBB2_3734:
	s_or_b64 exec, exec, s[6:7]
	s_and_saveexec_b64 s[6:7], s[4:5]
	s_cbranch_execz .LBB2_3736
.LBB2_3735:
	v_bfe_u32 v13, v2, 16, 3
	v_ffbh_u32_e32 v16, v13
	v_min_u32_e32 v16, 32, v16
	v_lshrrev_b32_e32 v14, 19, v2
	v_subrev_u32_e32 v17, 28, v16
	v_and_b32_e32 v14, 15, v14
	v_lshlrev_b32_sdwa v17, v17, v2 dst_sel:DWORD dst_unused:UNUSED_PAD src0_sel:DWORD src1_sel:WORD_1
	v_bfe_u32 v15, v2, 19, 4
	v_sub_u32_e32 v16, 29, v16
	v_and_b32_e32 v17, 7, v17
	v_cmp_eq_u16_e32 vcc, 0, v14
	v_cndmask_b32_e32 v13, v13, v17, vcc
	v_cndmask_b32_e32 v14, v15, v16, vcc
	v_lshlrev_b32_e32 v15, 8, v2
	v_mov_b32_e32 v16, 0x3b800000
	v_lshlrev_b32_e32 v13, 20, v13
	v_and_b32_e32 v15, 0x80000000, v15
	v_lshl_add_u32 v14, v14, 23, v16
	v_or3_b32 v14, v15, v14, v13
.LBB2_3736:
	s_or_b64 exec, exec, s[6:7]
	s_nop 0
	v_mfma_f32_16x16x4f32 a[0:3], v12, v14, a[0:3]
	s_movk_i32 s4, 0x7f
	v_cmp_gt_i16_sdwa s[6:7], v6, s4 src0_sel:BYTE_3 src1_sel:DWORD
	s_mov_b64 s[4:5], 0
                                        ; implicit-def: $sgpr10
	s_and_saveexec_b64 s[8:9], s[6:7]
	s_xor_b64 s[6:7], exec, s[8:9]
	s_cbranch_execz .LBB2_3737
; %bb.39577:
	s_getpc_b64 s[14:15]
.Lpost_getpc23372:
	s_add_u32 s14, s14, (.LBB2_18073-.Lpost_getpc23372)&4294967295
	s_addc_u32 s15, s15, (.LBB2_18073-.Lpost_getpc23372)>>32
	s_setpc_b64 s[14:15]
.LBB2_3737:
	s_or_saveexec_b64 s[6:7], s[6:7]
	v_mov_b32_e32 v12, s10
	s_xor_b64 exec, exec, s[6:7]
	s_cbranch_execz .LBB2_3738
; %bb.39579:
	s_getpc_b64 s[14:15]
.Lpost_getpc23373:
	s_add_u32 s14, s14, (.LBB2_18076-.Lpost_getpc23373)&4294967295
	s_addc_u32 s15, s15, (.LBB2_18076-.Lpost_getpc23373)>>32
	s_setpc_b64 s[14:15]
.LBB2_3738:
	s_or_b64 exec, exec, s[6:7]
	s_and_saveexec_b64 s[6:7], s[4:5]
	s_cbranch_execz .LBB2_3740
.LBB2_3739:
	v_bfe_u32 v12, v6, 24, 3
	v_ffbh_u32_e32 v16, v12
	v_min_u32_e32 v16, 32, v16
	v_lshrrev_b32_e32 v14, 27, v6
	v_subrev_u32_e32 v17, 28, v16
	v_and_b32_e32 v13, 0x80000000, v6
	v_and_b32_e32 v14, 15, v14
	v_bfe_u32 v15, v6, 27, 4
	v_lshlrev_b32_sdwa v6, v17, v6 dst_sel:DWORD dst_unused:UNUSED_PAD src0_sel:DWORD src1_sel:BYTE_3
	v_sub_u32_e32 v16, 29, v16
	v_and_b32_e32 v6, 7, v6
	v_cmp_eq_u16_e32 vcc, 0, v14
	v_cndmask_b32_e32 v6, v12, v6, vcc
	v_cndmask_b32_e32 v12, v15, v16, vcc
	v_mov_b32_e32 v14, 0x3b800000
	v_lshlrev_b32_e32 v6, 20, v6
	v_lshl_add_u32 v12, v12, 23, v14
	v_or3_b32 v12, v13, v12, v6
.LBB2_3740:
	s_or_b64 exec, exec, s[6:7]
	s_movk_i32 s4, 0x7f
	v_cmp_gt_i16_sdwa s[6:7], v2, s4 src0_sel:BYTE_3 src1_sel:DWORD
	s_mov_b64 s[4:5], 0
                                        ; implicit-def: $sgpr10
	s_and_saveexec_b64 s[8:9], s[6:7]
	s_xor_b64 s[6:7], exec, s[8:9]
	s_cbranch_execz .LBB2_3741
; %bb.39581:
	s_getpc_b64 s[14:15]
.Lpost_getpc23374:
	s_add_u32 s14, s14, (.LBB2_18077-.Lpost_getpc23374)&4294967295
	s_addc_u32 s15, s15, (.LBB2_18077-.Lpost_getpc23374)>>32
	s_setpc_b64 s[14:15]
.LBB2_3741:
	s_or_saveexec_b64 s[6:7], s[6:7]
	v_mov_b32_e32 v6, s10
	s_xor_b64 exec, exec, s[6:7]
	s_cbranch_execz .LBB2_3742
; %bb.39583:
	s_getpc_b64 s[14:15]
.Lpost_getpc23375:
	s_add_u32 s14, s14, (.LBB2_18080-.Lpost_getpc23375)&4294967295
	s_addc_u32 s15, s15, (.LBB2_18080-.Lpost_getpc23375)>>32
	s_setpc_b64 s[14:15]
.LBB2_3742:
	s_or_b64 exec, exec, s[6:7]
	s_and_saveexec_b64 s[6:7], s[4:5]
	s_cbranch_execz .LBB2_3744
.LBB2_3743:
	v_bfe_u32 v6, v2, 24, 3
	v_ffbh_u32_e32 v16, v6
	v_min_u32_e32 v16, 32, v16
	v_lshrrev_b32_e32 v14, 27, v2
	v_subrev_u32_e32 v17, 28, v16
	v_and_b32_e32 v13, 0x80000000, v2
	v_and_b32_e32 v14, 15, v14
	v_bfe_u32 v15, v2, 27, 4
	v_lshlrev_b32_sdwa v2, v17, v2 dst_sel:DWORD dst_unused:UNUSED_PAD src0_sel:DWORD src1_sel:BYTE_3
	v_sub_u32_e32 v16, 29, v16
	v_and_b32_e32 v2, 7, v2
	v_cmp_eq_u16_e32 vcc, 0, v14
	v_cndmask_b32_e32 v2, v6, v2, vcc
	v_cndmask_b32_e32 v6, v15, v16, vcc
	v_mov_b32_e32 v14, 0x3b800000
	v_lshlrev_b32_e32 v2, 20, v2
	v_lshl_add_u32 v6, v6, 23, v14
	v_or3_b32 v6, v13, v6, v2
.LBB2_3744:
	s_or_b64 exec, exec, s[6:7]
	s_nop 0
	v_mfma_f32_16x16x4f32 a[0:3], v12, v6, a[0:3]
	s_movk_i32 s4, 0x7f
	v_cmp_gt_i16_sdwa s[6:7], v7, s4 src0_sel:BYTE_0 src1_sel:DWORD
	s_mov_b64 s[4:5], 0
                                        ; implicit-def: $sgpr10
	s_and_saveexec_b64 s[8:9], s[6:7]
	s_xor_b64 s[6:7], exec, s[8:9]
	s_cbranch_execz .LBB2_3745
; %bb.39585:
	s_getpc_b64 s[14:15]
.Lpost_getpc23376:
	s_add_u32 s14, s14, (.LBB2_18081-.Lpost_getpc23376)&4294967295
	s_addc_u32 s15, s15, (.LBB2_18081-.Lpost_getpc23376)>>32
	s_setpc_b64 s[14:15]
.LBB2_3745:
	s_or_saveexec_b64 s[6:7], s[6:7]
	v_mov_b32_e32 v2, s10
	s_xor_b64 exec, exec, s[6:7]
	s_cbranch_execz .LBB2_3746
; %bb.39587:
	s_getpc_b64 s[14:15]
.Lpost_getpc23377:
	s_add_u32 s14, s14, (.LBB2_18084-.Lpost_getpc23377)&4294967295
	s_addc_u32 s15, s15, (.LBB2_18084-.Lpost_getpc23377)>>32
	s_setpc_b64 s[14:15]
.LBB2_3746:
	s_or_b64 exec, exec, s[6:7]
	s_and_saveexec_b64 s[6:7], s[4:5]
	s_cbranch_execz .LBB2_3748
.LBB2_3747:
	v_and_b32_e32 v2, 7, v7
	v_ffbh_u32_e32 v12, v2
	v_min_u32_e32 v12, 32, v12
	v_lshrrev_b16_e32 v6, 3, v7
	v_subrev_u32_e32 v13, 28, v12
	v_and_b32_e32 v6, 15, v6
	v_lshlrev_b32_e32 v13, v13, v7
	v_sub_u32_e32 v12, 29, v12
	v_and_b32_e32 v13, 7, v13
	v_cmp_eq_u16_e32 vcc, 0, v6
	v_cndmask_b32_e32 v2, v2, v13, vcc
	v_cndmask_b32_e32 v6, v6, v12, vcc
	v_lshlrev_b32_e32 v12, 24, v7
	v_mov_b32_e32 v13, 0x3b800000
	v_lshlrev_b32_e32 v2, 20, v2
	v_and_b32_e32 v12, 0x80000000, v12
	v_lshl_add_u32 v6, v6, 23, v13
	v_or3_b32 v2, v12, v6, v2
.LBB2_3748:
	s_or_b64 exec, exec, s[6:7]
	s_movk_i32 s4, 0x7f
	v_cmp_gt_i16_sdwa s[6:7], v3, s4 src0_sel:BYTE_0 src1_sel:DWORD
	s_mov_b64 s[4:5], 0
                                        ; implicit-def: $sgpr10
	s_and_saveexec_b64 s[8:9], s[6:7]
	s_xor_b64 s[6:7], exec, s[8:9]
	s_cbranch_execz .LBB2_3749
; %bb.39589:
	s_getpc_b64 s[14:15]
.Lpost_getpc23378:
	s_add_u32 s14, s14, (.LBB2_18085-.Lpost_getpc23378)&4294967295
	s_addc_u32 s15, s15, (.LBB2_18085-.Lpost_getpc23378)>>32
	s_setpc_b64 s[14:15]
.LBB2_3749:
	s_or_saveexec_b64 s[6:7], s[6:7]
	v_mov_b32_e32 v6, s10
	s_xor_b64 exec, exec, s[6:7]
	s_cbranch_execz .LBB2_3750
; %bb.39591:
	s_getpc_b64 s[14:15]
.Lpost_getpc23379:
	s_add_u32 s14, s14, (.LBB2_18088-.Lpost_getpc23379)&4294967295
	s_addc_u32 s15, s15, (.LBB2_18088-.Lpost_getpc23379)>>32
	s_setpc_b64 s[14:15]
.LBB2_3750:
	s_or_b64 exec, exec, s[6:7]
	s_and_saveexec_b64 s[6:7], s[4:5]
	s_cbranch_execz .LBB2_3752
.LBB2_3751:
	v_and_b32_e32 v6, 7, v3
	v_ffbh_u32_e32 v13, v6
	v_min_u32_e32 v13, 32, v13
	v_lshrrev_b16_e32 v12, 3, v3
	v_subrev_u32_e32 v14, 28, v13
	v_and_b32_e32 v12, 15, v12
	v_lshlrev_b32_e32 v14, v14, v3
	v_sub_u32_e32 v13, 29, v13
	v_and_b32_e32 v14, 7, v14
	v_cmp_eq_u16_e32 vcc, 0, v12
	v_cndmask_b32_e32 v6, v6, v14, vcc
	v_cndmask_b32_e32 v12, v12, v13, vcc
	v_lshlrev_b32_e32 v13, 24, v3
	v_mov_b32_e32 v14, 0x3b800000
	v_lshlrev_b32_e32 v6, 20, v6
	v_and_b32_e32 v13, 0x80000000, v13
	v_lshl_add_u32 v12, v12, 23, v14
	v_or3_b32 v6, v13, v12, v6
.LBB2_3752:
	s_or_b64 exec, exec, s[6:7]
	s_nop 0
	v_mfma_f32_16x16x4f32 a[0:3], v2, v6, a[0:3]
	v_lshrrev_b32_e32 v6, 8, v7
	s_movk_i32 s4, 0x7f
	v_cmp_gt_i16_sdwa s[6:7], v6, s4 src0_sel:BYTE_0 src1_sel:DWORD
	s_mov_b64 s[4:5], 0
                                        ; implicit-def: $sgpr10
	s_and_saveexec_b64 s[8:9], s[6:7]
	s_xor_b64 s[6:7], exec, s[8:9]
	s_cbranch_execz .LBB2_3753
; %bb.39593:
	s_getpc_b64 s[14:15]
.Lpost_getpc23380:
	s_add_u32 s14, s14, (.LBB2_18089-.Lpost_getpc23380)&4294967295
	s_addc_u32 s15, s15, (.LBB2_18089-.Lpost_getpc23380)>>32
	s_setpc_b64 s[14:15]
.LBB2_3753:
	s_or_saveexec_b64 s[6:7], s[6:7]
	v_mov_b32_e32 v2, s10
	s_xor_b64 exec, exec, s[6:7]
	s_cbranch_execz .LBB2_3754
; %bb.39595:
	s_getpc_b64 s[14:15]
.Lpost_getpc23381:
	s_add_u32 s14, s14, (.LBB2_18092-.Lpost_getpc23381)&4294967295
	s_addc_u32 s15, s15, (.LBB2_18092-.Lpost_getpc23381)>>32
	s_setpc_b64 s[14:15]
.LBB2_3754:
	s_or_b64 exec, exec, s[6:7]
	s_and_saveexec_b64 s[6:7], s[4:5]
	s_cbranch_execz .LBB2_3756
.LBB2_3755:
	v_bfe_u32 v2, v7, 8, 3
	v_ffbh_u32_e32 v13, v2
	v_min_u32_e32 v13, 32, v13
	v_lshrrev_b16_e32 v12, 3, v6
	v_subrev_u32_e32 v14, 28, v13
	v_and_b32_e32 v12, 15, v12
	v_lshlrev_b32_e32 v6, v14, v6
	v_sub_u32_e32 v13, 29, v13
	v_and_b32_e32 v6, 7, v6
	v_cmp_eq_u16_e32 vcc, 0, v12
	v_cndmask_b32_e32 v2, v2, v6, vcc
	v_cndmask_b32_e32 v6, v12, v13, vcc
	v_lshlrev_b32_e32 v12, 16, v7
	v_mov_b32_e32 v13, 0x3b800000
	v_lshlrev_b32_e32 v2, 20, v2
	v_and_b32_e32 v12, 0x80000000, v12
	v_lshl_add_u32 v6, v6, 23, v13
	v_or3_b32 v2, v12, v6, v2
.LBB2_3756:
	s_or_b64 exec, exec, s[6:7]
	v_lshrrev_b32_e32 v6, 8, v3
	s_movk_i32 s4, 0x7f
	v_cmp_gt_i16_sdwa s[6:7], v6, s4 src0_sel:BYTE_0 src1_sel:DWORD
	s_mov_b64 s[4:5], 0
                                        ; implicit-def: $sgpr10
	s_and_saveexec_b64 s[8:9], s[6:7]
	s_xor_b64 s[6:7], exec, s[8:9]
	s_cbranch_execz .LBB2_3757
; %bb.39597:
	s_getpc_b64 s[14:15]
.Lpost_getpc23382:
	s_add_u32 s14, s14, (.LBB2_18093-.Lpost_getpc23382)&4294967295
	s_addc_u32 s15, s15, (.LBB2_18093-.Lpost_getpc23382)>>32
	s_setpc_b64 s[14:15]
.LBB2_3757:
	s_or_saveexec_b64 s[6:7], s[6:7]
	v_mov_b32_e32 v12, s10
	s_xor_b64 exec, exec, s[6:7]
	s_cbranch_execz .LBB2_3758
; %bb.39599:
	s_getpc_b64 s[14:15]
.Lpost_getpc23383:
	s_add_u32 s14, s14, (.LBB2_18096-.Lpost_getpc23383)&4294967295
	s_addc_u32 s15, s15, (.LBB2_18096-.Lpost_getpc23383)>>32
	s_setpc_b64 s[14:15]
.LBB2_3758:
	s_or_b64 exec, exec, s[6:7]
	s_and_saveexec_b64 s[6:7], s[4:5]
	s_cbranch_execz .LBB2_3760
.LBB2_3759:
	v_bfe_u32 v12, v3, 8, 3
	v_ffbh_u32_e32 v14, v12
	v_min_u32_e32 v14, 32, v14
	v_lshrrev_b16_e32 v13, 3, v6
	v_subrev_u32_e32 v15, 28, v14
	v_and_b32_e32 v13, 15, v13
	v_lshlrev_b32_e32 v6, v15, v6
	v_sub_u32_e32 v14, 29, v14
	v_and_b32_e32 v6, 7, v6
	v_cmp_eq_u16_e32 vcc, 0, v13
	v_cndmask_b32_e32 v6, v12, v6, vcc
	v_cndmask_b32_e32 v12, v13, v14, vcc
	v_lshlrev_b32_e32 v13, 16, v3
	v_mov_b32_e32 v14, 0x3b800000
	v_lshlrev_b32_e32 v6, 20, v6
	v_and_b32_e32 v13, 0x80000000, v13
	v_lshl_add_u32 v12, v12, 23, v14
	v_or3_b32 v12, v13, v12, v6
.LBB2_3760:
	s_or_b64 exec, exec, s[6:7]
	s_nop 0
	v_mfma_f32_16x16x4f32 a[0:3], v2, v12, a[0:3]
	s_movk_i32 s4, 0xff
	v_and_b32_sdwa v6, v7, s4 dst_sel:DWORD dst_unused:UNUSED_PAD src0_sel:WORD_1 src1_sel:DWORD
	s_movk_i32 s4, 0x7f
	v_cmp_lt_i16_e32 vcc, s4, v6
	s_mov_b64 s[4:5], 0
                                        ; implicit-def: $sgpr10
	s_and_saveexec_b64 s[6:7], vcc
	s_xor_b64 s[6:7], exec, s[6:7]
	s_cbranch_execz .LBB2_3761
; %bb.39601:
	s_getpc_b64 s[14:15]
.Lpost_getpc23384:
	s_add_u32 s14, s14, (.LBB2_18097-.Lpost_getpc23384)&4294967295
	s_addc_u32 s15, s15, (.LBB2_18097-.Lpost_getpc23384)>>32
	s_setpc_b64 s[14:15]
.LBB2_3761:
	s_or_saveexec_b64 s[6:7], s[6:7]
	v_mov_b32_e32 v2, s10
	s_xor_b64 exec, exec, s[6:7]
	s_cbranch_execz .LBB2_3762
; %bb.39603:
	s_getpc_b64 s[14:15]
.Lpost_getpc23385:
	s_add_u32 s14, s14, (.LBB2_18100-.Lpost_getpc23385)&4294967295
	s_addc_u32 s15, s15, (.LBB2_18100-.Lpost_getpc23385)>>32
	s_setpc_b64 s[14:15]
.LBB2_3762:
	s_or_b64 exec, exec, s[6:7]
	s_and_saveexec_b64 s[6:7], s[4:5]
	s_cbranch_execz .LBB2_3764
.LBB2_3763:
	v_bfe_u32 v2, v7, 16, 3
	v_ffbh_u32_e32 v13, v2
	v_min_u32_e32 v13, 32, v13
	v_lshrrev_b32_e32 v6, 19, v7
	v_subrev_u32_e32 v14, 28, v13
	v_and_b32_e32 v6, 15, v6
	v_lshlrev_b32_sdwa v14, v14, v7 dst_sel:DWORD dst_unused:UNUSED_PAD src0_sel:DWORD src1_sel:WORD_1
	v_bfe_u32 v12, v7, 19, 4
	v_sub_u32_e32 v13, 29, v13
	v_and_b32_e32 v14, 7, v14
	v_cmp_eq_u16_e32 vcc, 0, v6
	v_cndmask_b32_e32 v2, v2, v14, vcc
	v_cndmask_b32_e32 v6, v12, v13, vcc
	v_lshlrev_b32_e32 v12, 8, v7
	v_mov_b32_e32 v13, 0x3b800000
	v_lshlrev_b32_e32 v2, 20, v2
	v_and_b32_e32 v12, 0x80000000, v12
	v_lshl_add_u32 v6, v6, 23, v13
	v_or3_b32 v2, v12, v6, v2
.LBB2_3764:
	s_or_b64 exec, exec, s[6:7]
	s_movk_i32 s4, 0xff
	v_and_b32_sdwa v6, v3, s4 dst_sel:DWORD dst_unused:UNUSED_PAD src0_sel:WORD_1 src1_sel:DWORD
	s_movk_i32 s4, 0x7f
	v_cmp_lt_i16_e32 vcc, s4, v6
	s_mov_b64 s[4:5], 0
                                        ; implicit-def: $sgpr10
	s_and_saveexec_b64 s[6:7], vcc
	s_xor_b64 s[6:7], exec, s[6:7]
	s_cbranch_execz .LBB2_3765
; %bb.39605:
	s_getpc_b64 s[14:15]
.Lpost_getpc23386:
	s_add_u32 s14, s14, (.LBB2_18101-.Lpost_getpc23386)&4294967295
	s_addc_u32 s15, s15, (.LBB2_18101-.Lpost_getpc23386)>>32
	s_setpc_b64 s[14:15]
.LBB2_3765:
	s_or_saveexec_b64 s[6:7], s[6:7]
	v_mov_b32_e32 v12, s10
	s_xor_b64 exec, exec, s[6:7]
	s_cbranch_execz .LBB2_3766
; %bb.39607:
	s_getpc_b64 s[14:15]
.Lpost_getpc23387:
	s_add_u32 s14, s14, (.LBB2_18104-.Lpost_getpc23387)&4294967295
	s_addc_u32 s15, s15, (.LBB2_18104-.Lpost_getpc23387)>>32
	s_setpc_b64 s[14:15]
.LBB2_3766:
	s_or_b64 exec, exec, s[6:7]
	s_and_saveexec_b64 s[6:7], s[4:5]
	s_cbranch_execz .LBB2_3768
.LBB2_3767:
	v_bfe_u32 v6, v3, 16, 3
	v_ffbh_u32_e32 v14, v6
	v_min_u32_e32 v14, 32, v14
	v_lshrrev_b32_e32 v12, 19, v3
	v_subrev_u32_e32 v15, 28, v14
	v_and_b32_e32 v12, 15, v12
	v_lshlrev_b32_sdwa v15, v15, v3 dst_sel:DWORD dst_unused:UNUSED_PAD src0_sel:DWORD src1_sel:WORD_1
	v_bfe_u32 v13, v3, 19, 4
	v_sub_u32_e32 v14, 29, v14
	v_and_b32_e32 v15, 7, v15
	v_cmp_eq_u16_e32 vcc, 0, v12
	v_cndmask_b32_e32 v6, v6, v15, vcc
	v_cndmask_b32_e32 v12, v13, v14, vcc
	v_lshlrev_b32_e32 v13, 8, v3
	v_mov_b32_e32 v14, 0x3b800000
	v_lshlrev_b32_e32 v6, 20, v6
	v_and_b32_e32 v13, 0x80000000, v13
	v_lshl_add_u32 v12, v12, 23, v14
	v_or3_b32 v12, v13, v12, v6
.LBB2_3768:
	s_or_b64 exec, exec, s[6:7]
	s_nop 0
	v_mfma_f32_16x16x4f32 a[0:3], v2, v12, a[0:3]
	s_movk_i32 s4, 0x7f
	v_cmp_gt_i16_sdwa s[6:7], v7, s4 src0_sel:BYTE_3 src1_sel:DWORD
	s_mov_b64 s[4:5], 0
                                        ; implicit-def: $sgpr10
	s_and_saveexec_b64 s[8:9], s[6:7]
	s_xor_b64 s[6:7], exec, s[8:9]
	s_cbranch_execz .LBB2_3769
; %bb.39609:
	s_getpc_b64 s[14:15]
.Lpost_getpc23388:
	s_add_u32 s14, s14, (.LBB2_18105-.Lpost_getpc23388)&4294967295
	s_addc_u32 s15, s15, (.LBB2_18105-.Lpost_getpc23388)>>32
	s_setpc_b64 s[14:15]
.LBB2_3769:
	s_or_saveexec_b64 s[6:7], s[6:7]
	v_mov_b32_e32 v2, s10
	s_xor_b64 exec, exec, s[6:7]
	s_cbranch_execz .LBB2_3770
; %bb.39611:
	s_getpc_b64 s[14:15]
.Lpost_getpc23389:
	s_add_u32 s14, s14, (.LBB2_18108-.Lpost_getpc23389)&4294967295
	s_addc_u32 s15, s15, (.LBB2_18108-.Lpost_getpc23389)>>32
	s_setpc_b64 s[14:15]
.LBB2_3770:
	s_or_b64 exec, exec, s[6:7]
	s_and_saveexec_b64 s[6:7], s[4:5]
	s_cbranch_execz .LBB2_3772
.LBB2_3771:
	v_bfe_u32 v2, v7, 24, 3
	v_ffbh_u32_e32 v14, v2
	v_min_u32_e32 v14, 32, v14
	v_lshrrev_b32_e32 v12, 27, v7
	v_subrev_u32_e32 v15, 28, v14
	v_and_b32_e32 v6, 0x80000000, v7
	v_and_b32_e32 v12, 15, v12
	v_bfe_u32 v13, v7, 27, 4
	v_lshlrev_b32_sdwa v7, v15, v7 dst_sel:DWORD dst_unused:UNUSED_PAD src0_sel:DWORD src1_sel:BYTE_3
	v_sub_u32_e32 v14, 29, v14
	v_and_b32_e32 v7, 7, v7
	v_cmp_eq_u16_e32 vcc, 0, v12
	v_cndmask_b32_e32 v2, v2, v7, vcc
	v_cndmask_b32_e32 v7, v13, v14, vcc
	v_mov_b32_e32 v12, 0x3b800000
	v_lshlrev_b32_e32 v2, 20, v2
	v_lshl_add_u32 v7, v7, 23, v12
	v_or3_b32 v2, v6, v7, v2
.LBB2_3772:
	s_or_b64 exec, exec, s[6:7]
	s_movk_i32 s4, 0x7f
	v_cmp_gt_i16_sdwa s[6:7], v3, s4 src0_sel:BYTE_3 src1_sel:DWORD
	s_mov_b64 s[4:5], 0
                                        ; implicit-def: $sgpr10
	s_and_saveexec_b64 s[8:9], s[6:7]
	s_xor_b64 s[6:7], exec, s[8:9]
	s_cbranch_execz .LBB2_3773
; %bb.39613:
	s_getpc_b64 s[14:15]
.Lpost_getpc23390:
	s_add_u32 s14, s14, (.LBB2_18109-.Lpost_getpc23390)&4294967295
	s_addc_u32 s15, s15, (.LBB2_18109-.Lpost_getpc23390)>>32
	s_setpc_b64 s[14:15]
.LBB2_3773:
	s_or_saveexec_b64 s[6:7], s[6:7]
	v_mov_b32_e32 v6, s10
	s_xor_b64 exec, exec, s[6:7]
	s_cbranch_execz .LBB2_3774
; %bb.39615:
	s_getpc_b64 s[14:15]
.Lpost_getpc23391:
	s_add_u32 s14, s14, (.LBB2_18112-.Lpost_getpc23391)&4294967295
	s_addc_u32 s15, s15, (.LBB2_18112-.Lpost_getpc23391)>>32
	s_setpc_b64 s[14:15]
.LBB2_3774:
	s_or_b64 exec, exec, s[6:7]
	s_and_saveexec_b64 s[6:7], s[4:5]
	s_cbranch_execz .LBB2_3776
.LBB2_3775:
	v_bfe_u32 v6, v3, 24, 3
	v_ffbh_u32_e32 v14, v6
	v_min_u32_e32 v14, 32, v14
	v_lshrrev_b32_e32 v12, 27, v3
	v_subrev_u32_e32 v15, 28, v14
	v_and_b32_e32 v7, 0x80000000, v3
	v_and_b32_e32 v12, 15, v12
	v_bfe_u32 v13, v3, 27, 4
	v_lshlrev_b32_sdwa v3, v15, v3 dst_sel:DWORD dst_unused:UNUSED_PAD src0_sel:DWORD src1_sel:BYTE_3
	v_sub_u32_e32 v14, 29, v14
	v_and_b32_e32 v3, 7, v3
	v_cmp_eq_u16_e32 vcc, 0, v12
	v_cndmask_b32_e32 v3, v6, v3, vcc
	v_cndmask_b32_e32 v6, v13, v14, vcc
	v_mov_b32_e32 v12, 0x3b800000
	v_lshlrev_b32_e32 v3, 20, v3
	v_lshl_add_u32 v6, v6, 23, v12
	v_or3_b32 v6, v7, v6, v3
.LBB2_3776:
	s_or_b64 exec, exec, s[6:7]
	s_nop 0
	v_mfma_f32_16x16x4f32 a[0:3], v2, v6, a[0:3]
	s_movk_i32 s4, 0x7f
	v_cmp_gt_i16_sdwa s[6:7], v8, s4 src0_sel:BYTE_0 src1_sel:DWORD
	s_mov_b64 s[4:5], 0
                                        ; implicit-def: $sgpr10
	s_and_saveexec_b64 s[8:9], s[6:7]
	s_xor_b64 s[6:7], exec, s[8:9]
	s_cbranch_execz .LBB2_3777
; %bb.39617:
	s_getpc_b64 s[14:15]
.Lpost_getpc23392:
	s_add_u32 s14, s14, (.LBB2_18113-.Lpost_getpc23392)&4294967295
	s_addc_u32 s15, s15, (.LBB2_18113-.Lpost_getpc23392)>>32
	s_setpc_b64 s[14:15]
.LBB2_3777:
	s_or_saveexec_b64 s[6:7], s[6:7]
	v_mov_b32_e32 v2, s10
	s_xor_b64 exec, exec, s[6:7]
	s_cbranch_execz .LBB2_3778
; %bb.39619:
	s_getpc_b64 s[14:15]
.Lpost_getpc23393:
	s_add_u32 s14, s14, (.LBB2_18116-.Lpost_getpc23393)&4294967295
	s_addc_u32 s15, s15, (.LBB2_18116-.Lpost_getpc23393)>>32
	s_setpc_b64 s[14:15]
.LBB2_3778:
	s_or_b64 exec, exec, s[6:7]
	s_and_saveexec_b64 s[6:7], s[4:5]
	s_cbranch_execz .LBB2_3780
.LBB2_3779:
	v_and_b32_e32 v2, 7, v8
	v_ffbh_u32_e32 v6, v2
	v_min_u32_e32 v6, 32, v6
	v_lshrrev_b16_e32 v3, 3, v8
	v_subrev_u32_e32 v7, 28, v6
	v_and_b32_e32 v3, 15, v3
	v_lshlrev_b32_e32 v7, v7, v8
	v_sub_u32_e32 v6, 29, v6
	v_and_b32_e32 v7, 7, v7
	v_cmp_eq_u16_e32 vcc, 0, v3
	v_cndmask_b32_e32 v2, v2, v7, vcc
	v_cndmask_b32_e32 v3, v3, v6, vcc
	v_lshlrev_b32_e32 v6, 24, v8
	v_mov_b32_e32 v7, 0x3b800000
	v_lshlrev_b32_e32 v2, 20, v2
	v_and_b32_e32 v6, 0x80000000, v6
	v_lshl_add_u32 v3, v3, 23, v7
	v_or3_b32 v2, v6, v3, v2
.LBB2_3780:
	s_or_b64 exec, exec, s[6:7]
	s_movk_i32 s4, 0x7f
	v_cmp_gt_i16_sdwa s[6:7], v4, s4 src0_sel:BYTE_0 src1_sel:DWORD
	s_mov_b64 s[4:5], 0
                                        ; implicit-def: $sgpr10
	s_and_saveexec_b64 s[8:9], s[6:7]
	s_xor_b64 s[6:7], exec, s[8:9]
	s_cbranch_execz .LBB2_3781
; %bb.39621:
	s_getpc_b64 s[14:15]
.Lpost_getpc23394:
	s_add_u32 s14, s14, (.LBB2_18117-.Lpost_getpc23394)&4294967295
	s_addc_u32 s15, s15, (.LBB2_18117-.Lpost_getpc23394)>>32
	s_setpc_b64 s[14:15]
.LBB2_3781:
	s_or_saveexec_b64 s[6:7], s[6:7]
	v_mov_b32_e32 v3, s10
	s_xor_b64 exec, exec, s[6:7]
	s_cbranch_execz .LBB2_3782
; %bb.39623:
	s_getpc_b64 s[14:15]
.Lpost_getpc23395:
	s_add_u32 s14, s14, (.LBB2_18120-.Lpost_getpc23395)&4294967295
	s_addc_u32 s15, s15, (.LBB2_18120-.Lpost_getpc23395)>>32
	s_setpc_b64 s[14:15]
.LBB2_3782:
	s_or_b64 exec, exec, s[6:7]
	s_and_saveexec_b64 s[6:7], s[4:5]
	s_cbranch_execz .LBB2_3784
.LBB2_3783:
	v_and_b32_e32 v3, 7, v4
	v_ffbh_u32_e32 v7, v3
	v_min_u32_e32 v7, 32, v7
	v_lshrrev_b16_e32 v6, 3, v4
	v_subrev_u32_e32 v12, 28, v7
	v_and_b32_e32 v6, 15, v6
	v_lshlrev_b32_e32 v12, v12, v4
	v_sub_u32_e32 v7, 29, v7
	v_and_b32_e32 v12, 7, v12
	v_cmp_eq_u16_e32 vcc, 0, v6
	v_cndmask_b32_e32 v3, v3, v12, vcc
	v_cndmask_b32_e32 v6, v6, v7, vcc
	v_lshlrev_b32_e32 v7, 24, v4
	v_mov_b32_e32 v12, 0x3b800000
	v_lshlrev_b32_e32 v3, 20, v3
	v_and_b32_e32 v7, 0x80000000, v7
	v_lshl_add_u32 v6, v6, 23, v12
	v_or3_b32 v3, v7, v6, v3
.LBB2_3784:
	s_or_b64 exec, exec, s[6:7]
	s_nop 0
	v_mfma_f32_16x16x4f32 a[0:3], v2, v3, a[0:3]
	v_lshrrev_b32_e32 v3, 8, v8
	s_movk_i32 s4, 0x7f
	v_cmp_gt_i16_sdwa s[6:7], v3, s4 src0_sel:BYTE_0 src1_sel:DWORD
	s_mov_b64 s[4:5], 0
                                        ; implicit-def: $sgpr10
	s_and_saveexec_b64 s[8:9], s[6:7]
	s_xor_b64 s[6:7], exec, s[8:9]
	s_cbranch_execz .LBB2_3785
; %bb.39625:
	s_getpc_b64 s[14:15]
.Lpost_getpc23396:
	s_add_u32 s14, s14, (.LBB2_18121-.Lpost_getpc23396)&4294967295
	s_addc_u32 s15, s15, (.LBB2_18121-.Lpost_getpc23396)>>32
	s_setpc_b64 s[14:15]
.LBB2_3785:
	s_or_saveexec_b64 s[6:7], s[6:7]
	v_mov_b32_e32 v2, s10
	s_xor_b64 exec, exec, s[6:7]
	s_cbranch_execz .LBB2_3786
; %bb.39627:
	s_getpc_b64 s[14:15]
.Lpost_getpc23397:
	s_add_u32 s14, s14, (.LBB2_18124-.Lpost_getpc23397)&4294967295
	s_addc_u32 s15, s15, (.LBB2_18124-.Lpost_getpc23397)>>32
	s_setpc_b64 s[14:15]
.LBB2_3786:
	s_or_b64 exec, exec, s[6:7]
	s_and_saveexec_b64 s[6:7], s[4:5]
	s_cbranch_execz .LBB2_3788
.LBB2_3787:
	v_bfe_u32 v2, v8, 8, 3
	v_ffbh_u32_e32 v7, v2
	v_min_u32_e32 v7, 32, v7
	v_lshrrev_b16_e32 v6, 3, v3
	v_subrev_u32_e32 v12, 28, v7
	v_and_b32_e32 v6, 15, v6
	v_lshlrev_b32_e32 v3, v12, v3
	v_sub_u32_e32 v7, 29, v7
	v_and_b32_e32 v3, 7, v3
	v_cmp_eq_u16_e32 vcc, 0, v6
	v_cndmask_b32_e32 v2, v2, v3, vcc
	v_cndmask_b32_e32 v3, v6, v7, vcc
	v_lshlrev_b32_e32 v6, 16, v8
	v_mov_b32_e32 v7, 0x3b800000
	v_lshlrev_b32_e32 v2, 20, v2
	v_and_b32_e32 v6, 0x80000000, v6
	v_lshl_add_u32 v3, v3, 23, v7
	v_or3_b32 v2, v6, v3, v2
.LBB2_3788:
	s_or_b64 exec, exec, s[6:7]
	v_lshrrev_b32_e32 v3, 8, v4
	s_movk_i32 s4, 0x7f
	v_cmp_gt_i16_sdwa s[6:7], v3, s4 src0_sel:BYTE_0 src1_sel:DWORD
	s_mov_b64 s[4:5], 0
                                        ; implicit-def: $sgpr10
	s_and_saveexec_b64 s[8:9], s[6:7]
	s_xor_b64 s[6:7], exec, s[8:9]
	s_cbranch_execz .LBB2_3789
; %bb.39629:
	s_getpc_b64 s[14:15]
.Lpost_getpc23398:
	s_add_u32 s14, s14, (.LBB2_18125-.Lpost_getpc23398)&4294967295
	s_addc_u32 s15, s15, (.LBB2_18125-.Lpost_getpc23398)>>32
	s_setpc_b64 s[14:15]
.LBB2_3789:
	s_or_saveexec_b64 s[6:7], s[6:7]
	v_mov_b32_e32 v6, s10
	s_xor_b64 exec, exec, s[6:7]
	s_cbranch_execz .LBB2_3790
; %bb.39631:
	s_getpc_b64 s[14:15]
.Lpost_getpc23399:
	s_add_u32 s14, s14, (.LBB2_18128-.Lpost_getpc23399)&4294967295
	s_addc_u32 s15, s15, (.LBB2_18128-.Lpost_getpc23399)>>32
	s_setpc_b64 s[14:15]
.LBB2_3790:
	s_or_b64 exec, exec, s[6:7]
	s_and_saveexec_b64 s[6:7], s[4:5]
	s_cbranch_execz .LBB2_3792
.LBB2_3791:
	v_bfe_u32 v6, v4, 8, 3
	v_ffbh_u32_e32 v12, v6
	v_min_u32_e32 v12, 32, v12
	v_lshrrev_b16_e32 v7, 3, v3
	v_subrev_u32_e32 v13, 28, v12
	v_and_b32_e32 v7, 15, v7
	v_lshlrev_b32_e32 v3, v13, v3
	v_sub_u32_e32 v12, 29, v12
	v_and_b32_e32 v3, 7, v3
	v_cmp_eq_u16_e32 vcc, 0, v7
	v_cndmask_b32_e32 v3, v6, v3, vcc
	v_cndmask_b32_e32 v6, v7, v12, vcc
	v_lshlrev_b32_e32 v7, 16, v4
	v_mov_b32_e32 v12, 0x3b800000
	v_lshlrev_b32_e32 v3, 20, v3
	v_and_b32_e32 v7, 0x80000000, v7
	v_lshl_add_u32 v6, v6, 23, v12
	v_or3_b32 v6, v7, v6, v3
.LBB2_3792:
	s_or_b64 exec, exec, s[6:7]
	s_nop 0
	v_mfma_f32_16x16x4f32 a[0:3], v2, v6, a[0:3]
	s_movk_i32 s4, 0xff
	v_and_b32_sdwa v3, v8, s4 dst_sel:DWORD dst_unused:UNUSED_PAD src0_sel:WORD_1 src1_sel:DWORD
	s_movk_i32 s4, 0x7f
	v_cmp_lt_i16_e32 vcc, s4, v3
	s_mov_b64 s[4:5], 0
                                        ; implicit-def: $sgpr10
	s_and_saveexec_b64 s[6:7], vcc
	s_xor_b64 s[6:7], exec, s[6:7]
	s_cbranch_execz .LBB2_3793
; %bb.39633:
	s_getpc_b64 s[14:15]
.Lpost_getpc23400:
	s_add_u32 s14, s14, (.LBB2_18129-.Lpost_getpc23400)&4294967295
	s_addc_u32 s15, s15, (.LBB2_18129-.Lpost_getpc23400)>>32
	s_setpc_b64 s[14:15]
.LBB2_3793:
	s_or_saveexec_b64 s[6:7], s[6:7]
	v_mov_b32_e32 v2, s10
	s_xor_b64 exec, exec, s[6:7]
	s_cbranch_execz .LBB2_3794
; %bb.39635:
	s_getpc_b64 s[14:15]
.Lpost_getpc23401:
	s_add_u32 s14, s14, (.LBB2_18132-.Lpost_getpc23401)&4294967295
	s_addc_u32 s15, s15, (.LBB2_18132-.Lpost_getpc23401)>>32
	s_setpc_b64 s[14:15]
.LBB2_3794:
	s_or_b64 exec, exec, s[6:7]
	s_and_saveexec_b64 s[6:7], s[4:5]
	s_cbranch_execz .LBB2_3796
.LBB2_3795:
	v_bfe_u32 v2, v8, 16, 3
	v_ffbh_u32_e32 v7, v2
	v_min_u32_e32 v7, 32, v7
	v_lshrrev_b32_e32 v3, 19, v8
	v_subrev_u32_e32 v12, 28, v7
	v_and_b32_e32 v3, 15, v3
	v_lshlrev_b32_sdwa v12, v12, v8 dst_sel:DWORD dst_unused:UNUSED_PAD src0_sel:DWORD src1_sel:WORD_1
	v_bfe_u32 v6, v8, 19, 4
	v_sub_u32_e32 v7, 29, v7
	v_and_b32_e32 v12, 7, v12
	v_cmp_eq_u16_e32 vcc, 0, v3
	v_cndmask_b32_e32 v2, v2, v12, vcc
	v_cndmask_b32_e32 v3, v6, v7, vcc
	v_lshlrev_b32_e32 v6, 8, v8
	v_mov_b32_e32 v7, 0x3b800000
	v_lshlrev_b32_e32 v2, 20, v2
	v_and_b32_e32 v6, 0x80000000, v6
	v_lshl_add_u32 v3, v3, 23, v7
	v_or3_b32 v2, v6, v3, v2
.LBB2_3796:
	s_or_b64 exec, exec, s[6:7]
	s_movk_i32 s4, 0xff
	v_and_b32_sdwa v3, v4, s4 dst_sel:DWORD dst_unused:UNUSED_PAD src0_sel:WORD_1 src1_sel:DWORD
	s_movk_i32 s4, 0x7f
	v_cmp_lt_i16_e32 vcc, s4, v3
	s_mov_b64 s[4:5], 0
                                        ; implicit-def: $sgpr10
	s_and_saveexec_b64 s[6:7], vcc
	s_xor_b64 s[6:7], exec, s[6:7]
	s_cbranch_execz .LBB2_3797
; %bb.39637:
	s_getpc_b64 s[14:15]
.Lpost_getpc23402:
	s_add_u32 s14, s14, (.LBB2_18133-.Lpost_getpc23402)&4294967295
	s_addc_u32 s15, s15, (.LBB2_18133-.Lpost_getpc23402)>>32
	s_setpc_b64 s[14:15]
.LBB2_3797:
	s_or_saveexec_b64 s[6:7], s[6:7]
	v_mov_b32_e32 v6, s10
	s_xor_b64 exec, exec, s[6:7]
	s_cbranch_execz .LBB2_3798
; %bb.39639:
	s_getpc_b64 s[14:15]
.Lpost_getpc23403:
	s_add_u32 s14, s14, (.LBB2_18136-.Lpost_getpc23403)&4294967295
	s_addc_u32 s15, s15, (.LBB2_18136-.Lpost_getpc23403)>>32
	s_setpc_b64 s[14:15]
.LBB2_3798:
	s_or_b64 exec, exec, s[6:7]
	s_and_saveexec_b64 s[6:7], s[4:5]
	s_cbranch_execz .LBB2_3800
.LBB2_3799:
	v_bfe_u32 v3, v4, 16, 3
	v_ffbh_u32_e32 v12, v3
	v_min_u32_e32 v12, 32, v12
	v_lshrrev_b32_e32 v6, 19, v4
	v_subrev_u32_e32 v13, 28, v12
	v_and_b32_e32 v6, 15, v6
	v_lshlrev_b32_sdwa v13, v13, v4 dst_sel:DWORD dst_unused:UNUSED_PAD src0_sel:DWORD src1_sel:WORD_1
	v_bfe_u32 v7, v4, 19, 4
	v_sub_u32_e32 v12, 29, v12
	v_and_b32_e32 v13, 7, v13
	v_cmp_eq_u16_e32 vcc, 0, v6
	v_cndmask_b32_e32 v3, v3, v13, vcc
	v_cndmask_b32_e32 v6, v7, v12, vcc
	v_lshlrev_b32_e32 v7, 8, v4
	v_mov_b32_e32 v12, 0x3b800000
	v_lshlrev_b32_e32 v3, 20, v3
	v_and_b32_e32 v7, 0x80000000, v7
	v_lshl_add_u32 v6, v6, 23, v12
	v_or3_b32 v6, v7, v6, v3
.LBB2_3800:
	s_or_b64 exec, exec, s[6:7]
	s_nop 0
	v_mfma_f32_16x16x4f32 a[0:3], v2, v6, a[0:3]
	s_movk_i32 s4, 0x7f
	v_cmp_gt_i16_sdwa s[6:7], v8, s4 src0_sel:BYTE_3 src1_sel:DWORD
	s_mov_b64 s[4:5], 0
                                        ; implicit-def: $sgpr10
	s_and_saveexec_b64 s[8:9], s[6:7]
	s_xor_b64 s[6:7], exec, s[8:9]
	s_cbranch_execz .LBB2_3801
; %bb.39641:
	s_getpc_b64 s[14:15]
.Lpost_getpc23404:
	s_add_u32 s14, s14, (.LBB2_18137-.Lpost_getpc23404)&4294967295
	s_addc_u32 s15, s15, (.LBB2_18137-.Lpost_getpc23404)>>32
	s_setpc_b64 s[14:15]
.LBB2_3801:
	s_or_saveexec_b64 s[6:7], s[6:7]
	v_mov_b32_e32 v2, s10
	s_xor_b64 exec, exec, s[6:7]
	s_cbranch_execz .LBB2_3802
; %bb.39643:
	s_getpc_b64 s[14:15]
.Lpost_getpc23405:
	s_add_u32 s14, s14, (.LBB2_18140-.Lpost_getpc23405)&4294967295
	s_addc_u32 s15, s15, (.LBB2_18140-.Lpost_getpc23405)>>32
	s_setpc_b64 s[14:15]
.LBB2_3802:
	s_or_b64 exec, exec, s[6:7]
	s_and_saveexec_b64 s[6:7], s[4:5]
	s_cbranch_execz .LBB2_3804
.LBB2_3803:
	v_bfe_u32 v2, v8, 24, 3
	v_ffbh_u32_e32 v12, v2
	v_min_u32_e32 v12, 32, v12
	v_lshrrev_b32_e32 v6, 27, v8
	v_subrev_u32_e32 v13, 28, v12
	v_and_b32_e32 v3, 0x80000000, v8
	v_and_b32_e32 v6, 15, v6
	v_bfe_u32 v7, v8, 27, 4
	v_lshlrev_b32_sdwa v8, v13, v8 dst_sel:DWORD dst_unused:UNUSED_PAD src0_sel:DWORD src1_sel:BYTE_3
	v_sub_u32_e32 v12, 29, v12
	v_and_b32_e32 v8, 7, v8
	v_cmp_eq_u16_e32 vcc, 0, v6
	v_cndmask_b32_e32 v2, v2, v8, vcc
	v_cndmask_b32_e32 v6, v7, v12, vcc
	v_mov_b32_e32 v7, 0x3b800000
	v_lshlrev_b32_e32 v2, 20, v2
	v_lshl_add_u32 v6, v6, 23, v7
	v_or3_b32 v2, v3, v6, v2
.LBB2_3804:
	s_or_b64 exec, exec, s[6:7]
	s_movk_i32 s4, 0x7f
	v_cmp_gt_i16_sdwa s[6:7], v4, s4 src0_sel:BYTE_3 src1_sel:DWORD
	s_mov_b64 s[4:5], 0
                                        ; implicit-def: $sgpr10
	s_and_saveexec_b64 s[8:9], s[6:7]
	s_xor_b64 s[6:7], exec, s[8:9]
	s_cbranch_execz .LBB2_3805
; %bb.39645:
	s_getpc_b64 s[14:15]
.Lpost_getpc23406:
	s_add_u32 s14, s14, (.LBB2_18141-.Lpost_getpc23406)&4294967295
	s_addc_u32 s15, s15, (.LBB2_18141-.Lpost_getpc23406)>>32
	s_setpc_b64 s[14:15]
.LBB2_3805:
	s_or_saveexec_b64 s[6:7], s[6:7]
	v_mov_b32_e32 v3, s10
	s_xor_b64 exec, exec, s[6:7]
	s_cbranch_execz .LBB2_3806
; %bb.39647:
	s_getpc_b64 s[14:15]
.Lpost_getpc23407:
	s_add_u32 s14, s14, (.LBB2_18144-.Lpost_getpc23407)&4294967295
	s_addc_u32 s15, s15, (.LBB2_18144-.Lpost_getpc23407)>>32
	s_setpc_b64 s[14:15]
.LBB2_3806:
	s_or_b64 exec, exec, s[6:7]
	s_and_saveexec_b64 s[6:7], s[4:5]
	s_cbranch_execz .LBB2_3808
.LBB2_3807:
	v_bfe_u32 v3, v4, 24, 3
	v_ffbh_u32_e32 v12, v3
	v_min_u32_e32 v12, 32, v12
	v_lshrrev_b32_e32 v7, 27, v4
	v_subrev_u32_e32 v13, 28, v12
	v_and_b32_e32 v6, 0x80000000, v4
	v_and_b32_e32 v7, 15, v7
	v_bfe_u32 v8, v4, 27, 4
	v_lshlrev_b32_sdwa v4, v13, v4 dst_sel:DWORD dst_unused:UNUSED_PAD src0_sel:DWORD src1_sel:BYTE_3
	v_sub_u32_e32 v12, 29, v12
	v_and_b32_e32 v4, 7, v4
	v_cmp_eq_u16_e32 vcc, 0, v7
	v_cndmask_b32_e32 v3, v3, v4, vcc
	v_cndmask_b32_e32 v4, v8, v12, vcc
	v_mov_b32_e32 v7, 0x3b800000
	v_lshlrev_b32_e32 v3, 20, v3
	v_lshl_add_u32 v4, v4, 23, v7
	v_or3_b32 v3, v6, v4, v3
.LBB2_3808:
	s_or_b64 exec, exec, s[6:7]
	s_nop 0
	v_mfma_f32_16x16x4f32 a[0:3], v2, v3, a[0:3]
	s_movk_i32 s4, 0x7f
	v_cmp_gt_i16_sdwa s[6:7], v9, s4 src0_sel:BYTE_0 src1_sel:DWORD
	s_mov_b64 s[4:5], 0
                                        ; implicit-def: $sgpr10
	s_and_saveexec_b64 s[8:9], s[6:7]
	s_xor_b64 s[6:7], exec, s[8:9]
	s_cbranch_execz .LBB2_3809
; %bb.39649:
	s_getpc_b64 s[14:15]
.Lpost_getpc23408:
	s_add_u32 s14, s14, (.LBB2_18145-.Lpost_getpc23408)&4294967295
	s_addc_u32 s15, s15, (.LBB2_18145-.Lpost_getpc23408)>>32
	s_setpc_b64 s[14:15]
.LBB2_3809:
	s_or_saveexec_b64 s[6:7], s[6:7]
	v_mov_b32_e32 v2, s10
	s_xor_b64 exec, exec, s[6:7]
	s_cbranch_execz .LBB2_3810
; %bb.39651:
	s_getpc_b64 s[14:15]
.Lpost_getpc23409:
	s_add_u32 s14, s14, (.LBB2_18148-.Lpost_getpc23409)&4294967295
	s_addc_u32 s15, s15, (.LBB2_18148-.Lpost_getpc23409)>>32
	s_setpc_b64 s[14:15]
.LBB2_3810:
	s_or_b64 exec, exec, s[6:7]
	s_and_saveexec_b64 s[6:7], s[4:5]
	s_cbranch_execz .LBB2_3812
.LBB2_3811:
	v_mov_b32_e32 v2, 8
	v_and_b32_e32 v3, 7, v9
	v_lshrrev_b32_sdwa v2, v2, v9 dst_sel:BYTE_1 dst_unused:UNUSED_PAD src0_sel:DWORD src1_sel:DWORD
	v_ffbh_u32_e32 v4, v3
	v_or_b32_sdwa v2, v9, v2 dst_sel:DWORD dst_unused:UNUSED_PAD src0_sel:BYTE_0 src1_sel:DWORD
	v_min_u32_e32 v4, 32, v4
	v_lshrrev_b16_e32 v2, 3, v2
	v_subrev_u32_e32 v6, 28, v4
	v_and_b32_e32 v2, 15, v2
	v_lshlrev_b32_e32 v6, v6, v9
	v_sub_u32_e32 v4, 29, v4
	v_and_b32_e32 v6, 7, v6
	v_cmp_eq_u16_e32 vcc, 0, v2
	v_cndmask_b32_e32 v3, v3, v6, vcc
	v_cndmask_b32_e32 v2, v2, v4, vcc
	v_lshlrev_b32_e32 v4, 24, v9
	v_mov_b32_e32 v6, 0x3b800000
	v_lshlrev_b32_e32 v3, 20, v3
	v_and_b32_e32 v4, 0x80000000, v4
	v_lshl_add_u32 v2, v2, 23, v6
	v_or3_b32 v2, v4, v2, v3
.LBB2_3812:
	s_or_b64 exec, exec, s[6:7]
	s_movk_i32 s4, 0x7f
	v_cmp_gt_i16_sdwa s[6:7], v5, s4 src0_sel:BYTE_0 src1_sel:DWORD
	s_mov_b64 s[4:5], 0
                                        ; implicit-def: $sgpr10
	s_and_saveexec_b64 s[8:9], s[6:7]
	s_xor_b64 s[6:7], exec, s[8:9]
	s_cbranch_execz .LBB2_3813
; %bb.39653:
	s_getpc_b64 s[14:15]
.Lpost_getpc23410:
	s_add_u32 s14, s14, (.LBB2_18149-.Lpost_getpc23410)&4294967295
	s_addc_u32 s15, s15, (.LBB2_18149-.Lpost_getpc23410)>>32
	s_setpc_b64 s[14:15]
.LBB2_3813:
	s_or_saveexec_b64 s[6:7], s[6:7]
	v_mov_b32_e32 v3, s10
	s_xor_b64 exec, exec, s[6:7]
	s_cbranch_execz .LBB2_3814
; %bb.39655:
	s_getpc_b64 s[14:15]
.Lpost_getpc23411:
	s_add_u32 s14, s14, (.LBB2_18152-.Lpost_getpc23411)&4294967295
	s_addc_u32 s15, s15, (.LBB2_18152-.Lpost_getpc23411)>>32
	s_setpc_b64 s[14:15]
.LBB2_3814:
	s_or_b64 exec, exec, s[6:7]
	s_and_saveexec_b64 s[6:7], s[4:5]
	s_cbranch_execz .LBB2_3816
.LBB2_3815:
	v_mov_b32_e32 v3, 8
	v_and_b32_e32 v4, 7, v5
	v_lshrrev_b32_sdwa v3, v3, v5 dst_sel:BYTE_1 dst_unused:UNUSED_PAD src0_sel:DWORD src1_sel:DWORD
	v_ffbh_u32_e32 v6, v4
	v_or_b32_sdwa v3, v5, v3 dst_sel:DWORD dst_unused:UNUSED_PAD src0_sel:BYTE_0 src1_sel:DWORD
	v_min_u32_e32 v6, 32, v6
	v_lshrrev_b16_e32 v3, 3, v3
	v_subrev_u32_e32 v7, 28, v6
	v_and_b32_e32 v3, 15, v3
	v_lshlrev_b32_e32 v7, v7, v5
	v_sub_u32_e32 v6, 29, v6
	v_and_b32_e32 v7, 7, v7
	v_cmp_eq_u16_e32 vcc, 0, v3
	v_cndmask_b32_e32 v4, v4, v7, vcc
	v_cndmask_b32_e32 v3, v3, v6, vcc
	v_lshlrev_b32_e32 v6, 24, v5
	v_mov_b32_e32 v7, 0x3b800000
	v_lshlrev_b32_e32 v4, 20, v4
	v_and_b32_e32 v6, 0x80000000, v6
	v_lshl_add_u32 v3, v3, 23, v7
	v_or3_b32 v3, v6, v3, v4
.LBB2_3816:
	s_or_b64 exec, exec, s[6:7]
	s_nop 0
	v_mfma_f32_16x16x4f32 a[0:3], v2, v3, a[0:3]
	v_lshrrev_b32_e32 v3, 8, v9
	s_movk_i32 s4, 0x7f
	v_cmp_gt_i16_sdwa s[6:7], v3, s4 src0_sel:BYTE_0 src1_sel:DWORD
	s_mov_b64 s[4:5], 0
                                        ; implicit-def: $sgpr10
	s_and_saveexec_b64 s[8:9], s[6:7]
	s_xor_b64 s[6:7], exec, s[8:9]
	s_cbranch_execz .LBB2_3817
; %bb.39657:
	s_getpc_b64 s[14:15]
.Lpost_getpc23412:
	s_add_u32 s14, s14, (.LBB2_18153-.Lpost_getpc23412)&4294967295
	s_addc_u32 s15, s15, (.LBB2_18153-.Lpost_getpc23412)>>32
	s_setpc_b64 s[14:15]
.LBB2_3817:
	s_or_saveexec_b64 s[6:7], s[6:7]
	v_mov_b32_e32 v2, s10
	s_xor_b64 exec, exec, s[6:7]
	s_cbranch_execz .LBB2_3818
; %bb.39659:
	s_getpc_b64 s[14:15]
.Lpost_getpc23413:
	s_add_u32 s14, s14, (.LBB2_18156-.Lpost_getpc23413)&4294967295
	s_addc_u32 s15, s15, (.LBB2_18156-.Lpost_getpc23413)>>32
	s_setpc_b64 s[14:15]
.LBB2_3818:
	s_or_b64 exec, exec, s[6:7]
	s_and_saveexec_b64 s[6:7], s[4:5]
	s_cbranch_execz .LBB2_3820
.LBB2_3819:
	v_bfe_u32 v2, v9, 8, 3
	v_ffbh_u32_e32 v6, v2
	v_min_u32_e32 v6, 32, v6
	v_lshrrev_b16_e32 v4, 3, v3
	v_subrev_u32_e32 v7, 28, v6
	v_and_b32_e32 v4, 15, v4
	v_lshlrev_b32_e32 v3, v7, v3
	v_sub_u32_e32 v6, 29, v6
	v_and_b32_e32 v3, 7, v3
	v_cmp_eq_u16_e32 vcc, 0, v4
	v_cndmask_b32_e32 v2, v2, v3, vcc
	v_cndmask_b32_e32 v3, v4, v6, vcc
	v_lshlrev_b32_e32 v4, 16, v9
	v_mov_b32_e32 v6, 0x3b800000
	v_lshlrev_b32_e32 v2, 20, v2
	v_and_b32_e32 v4, 0x80000000, v4
	v_lshl_add_u32 v3, v3, 23, v6
	v_or3_b32 v2, v4, v3, v2
.LBB2_3820:
	s_or_b64 exec, exec, s[6:7]
	v_lshrrev_b32_e32 v3, 8, v5
	s_movk_i32 s4, 0x7f
	v_cmp_gt_i16_sdwa s[6:7], v3, s4 src0_sel:BYTE_0 src1_sel:DWORD
	s_mov_b64 s[4:5], 0
                                        ; implicit-def: $sgpr10
	s_and_saveexec_b64 s[8:9], s[6:7]
	s_xor_b64 s[6:7], exec, s[8:9]
	s_cbranch_execz .LBB2_3821
; %bb.39661:
	s_getpc_b64 s[14:15]
.Lpost_getpc23414:
	s_add_u32 s14, s14, (.LBB2_18157-.Lpost_getpc23414)&4294967295
	s_addc_u32 s15, s15, (.LBB2_18157-.Lpost_getpc23414)>>32
	s_setpc_b64 s[14:15]
.LBB2_3821:
	s_or_saveexec_b64 s[6:7], s[6:7]
	v_mov_b32_e32 v4, s10
	s_xor_b64 exec, exec, s[6:7]
	s_cbranch_execz .LBB2_3822
; %bb.39663:
	s_getpc_b64 s[14:15]
.Lpost_getpc23415:
	s_add_u32 s14, s14, (.LBB2_18160-.Lpost_getpc23415)&4294967295
	s_addc_u32 s15, s15, (.LBB2_18160-.Lpost_getpc23415)>>32
	s_setpc_b64 s[14:15]
.LBB2_3822:
	s_or_b64 exec, exec, s[6:7]
	s_and_saveexec_b64 s[6:7], s[4:5]
	s_cbranch_execz .LBB2_3824
.LBB2_3823:
	v_bfe_u32 v4, v5, 8, 3
	v_ffbh_u32_e32 v7, v4
	v_min_u32_e32 v7, 32, v7
	v_lshrrev_b16_e32 v6, 3, v3
	v_subrev_u32_e32 v8, 28, v7
	v_and_b32_e32 v6, 15, v6
	v_lshlrev_b32_e32 v3, v8, v3
	v_sub_u32_e32 v7, 29, v7
	v_and_b32_e32 v3, 7, v3
	v_cmp_eq_u16_e32 vcc, 0, v6
	v_cndmask_b32_e32 v3, v4, v3, vcc
	v_cndmask_b32_e32 v4, v6, v7, vcc
	v_lshlrev_b32_e32 v6, 16, v5
	v_mov_b32_e32 v7, 0x3b800000
	v_lshlrev_b32_e32 v3, 20, v3
	v_and_b32_e32 v6, 0x80000000, v6
	v_lshl_add_u32 v4, v4, 23, v7
	v_or3_b32 v4, v6, v4, v3
.LBB2_3824:
	s_or_b64 exec, exec, s[6:7]
	s_nop 0
	v_mfma_f32_16x16x4f32 a[0:3], v2, v4, a[0:3]
	s_movk_i32 s4, 0xff
	v_and_b32_sdwa v3, v9, s4 dst_sel:DWORD dst_unused:UNUSED_PAD src0_sel:WORD_1 src1_sel:DWORD
	s_movk_i32 s4, 0x7f
	v_cmp_lt_i16_e32 vcc, s4, v3
	s_mov_b64 s[4:5], 0
                                        ; implicit-def: $sgpr10
	s_and_saveexec_b64 s[6:7], vcc
	s_xor_b64 s[6:7], exec, s[6:7]
	s_cbranch_execz .LBB2_3825
; %bb.39665:
	s_getpc_b64 s[14:15]
.Lpost_getpc23416:
	s_add_u32 s14, s14, (.LBB2_18161-.Lpost_getpc23416)&4294967295
	s_addc_u32 s15, s15, (.LBB2_18161-.Lpost_getpc23416)>>32
	s_setpc_b64 s[14:15]
.LBB2_3825:
	s_or_saveexec_b64 s[6:7], s[6:7]
	v_mov_b32_e32 v2, s10
	s_xor_b64 exec, exec, s[6:7]
	s_cbranch_execz .LBB2_3826
; %bb.39667:
	s_getpc_b64 s[14:15]
.Lpost_getpc23417:
	s_add_u32 s14, s14, (.LBB2_18164-.Lpost_getpc23417)&4294967295
	s_addc_u32 s15, s15, (.LBB2_18164-.Lpost_getpc23417)>>32
	s_setpc_b64 s[14:15]
.LBB2_3826:
	s_or_b64 exec, exec, s[6:7]
	s_and_saveexec_b64 s[6:7], s[4:5]
	s_cbranch_execz .LBB2_3828
.LBB2_3827:
	v_bfe_u32 v2, v9, 16, 3
	v_ffbh_u32_e32 v6, v2
	v_min_u32_e32 v6, 32, v6
	v_lshrrev_b32_e32 v3, 19, v9
	v_subrev_u32_e32 v7, 28, v6
	v_and_b32_e32 v3, 15, v3
	v_lshlrev_b32_sdwa v7, v7, v9 dst_sel:DWORD dst_unused:UNUSED_PAD src0_sel:DWORD src1_sel:WORD_1
	v_bfe_u32 v4, v9, 19, 4
	v_sub_u32_e32 v6, 29, v6
	v_and_b32_e32 v7, 7, v7
	v_cmp_eq_u16_e32 vcc, 0, v3
	v_cndmask_b32_e32 v2, v2, v7, vcc
	v_cndmask_b32_e32 v3, v4, v6, vcc
	v_lshlrev_b32_e32 v4, 8, v9
	v_mov_b32_e32 v6, 0x3b800000
	v_lshlrev_b32_e32 v2, 20, v2
	v_and_b32_e32 v4, 0x80000000, v4
	v_lshl_add_u32 v3, v3, 23, v6
	v_or3_b32 v2, v4, v3, v2
.LBB2_3828:
	s_or_b64 exec, exec, s[6:7]
	s_movk_i32 s4, 0xff
	v_and_b32_sdwa v3, v5, s4 dst_sel:DWORD dst_unused:UNUSED_PAD src0_sel:WORD_1 src1_sel:DWORD
	s_movk_i32 s4, 0x7f
	v_cmp_lt_i16_e32 vcc, s4, v3
	s_mov_b64 s[4:5], 0
                                        ; implicit-def: $sgpr10
	s_and_saveexec_b64 s[6:7], vcc
	s_xor_b64 s[6:7], exec, s[6:7]
	s_cbranch_execz .LBB2_3829
; %bb.39669:
	s_getpc_b64 s[14:15]
.Lpost_getpc23418:
	s_add_u32 s14, s14, (.LBB2_18165-.Lpost_getpc23418)&4294967295
	s_addc_u32 s15, s15, (.LBB2_18165-.Lpost_getpc23418)>>32
	s_setpc_b64 s[14:15]
.LBB2_3829:
	s_or_saveexec_b64 s[6:7], s[6:7]
	v_mov_b32_e32 v4, s10
	s_xor_b64 exec, exec, s[6:7]
	s_cbranch_execz .LBB2_3830
; %bb.39671:
	s_getpc_b64 s[14:15]
.Lpost_getpc23419:
	s_add_u32 s14, s14, (.LBB2_18168-.Lpost_getpc23419)&4294967295
	s_addc_u32 s15, s15, (.LBB2_18168-.Lpost_getpc23419)>>32
	s_setpc_b64 s[14:15]
.LBB2_3830:
	s_or_b64 exec, exec, s[6:7]
	s_and_saveexec_b64 s[6:7], s[4:5]
	s_cbranch_execz .LBB2_3832
.LBB2_3831:
	v_bfe_u32 v3, v5, 16, 3
	v_ffbh_u32_e32 v7, v3
	v_min_u32_e32 v7, 32, v7
	v_lshrrev_b32_e32 v4, 19, v5
	v_subrev_u32_e32 v8, 28, v7
	v_and_b32_e32 v4, 15, v4
	v_lshlrev_b32_sdwa v8, v8, v5 dst_sel:DWORD dst_unused:UNUSED_PAD src0_sel:DWORD src1_sel:WORD_1
	v_bfe_u32 v6, v5, 19, 4
	v_sub_u32_e32 v7, 29, v7
	v_and_b32_e32 v8, 7, v8
	v_cmp_eq_u16_e32 vcc, 0, v4
	v_cndmask_b32_e32 v3, v3, v8, vcc
	v_cndmask_b32_e32 v4, v6, v7, vcc
	v_lshlrev_b32_e32 v6, 8, v5
	v_mov_b32_e32 v7, 0x3b800000
	v_lshlrev_b32_e32 v3, 20, v3
	v_and_b32_e32 v6, 0x80000000, v6
	v_lshl_add_u32 v4, v4, 23, v7
	v_or3_b32 v4, v6, v4, v3
.LBB2_3832:
	s_or_b64 exec, exec, s[6:7]
	s_nop 0
	v_mfma_f32_16x16x4f32 a[0:3], v2, v4, a[0:3]
	s_movk_i32 s4, 0x7f
	v_cmp_gt_i16_sdwa s[6:7], v9, s4 src0_sel:BYTE_3 src1_sel:DWORD
	s_mov_b64 s[4:5], 0
                                        ; implicit-def: $sgpr10
	s_and_saveexec_b64 s[8:9], s[6:7]
	s_xor_b64 s[6:7], exec, s[8:9]
	s_cbranch_execz .LBB2_3833
; %bb.39673:
	s_getpc_b64 s[14:15]
.Lpost_getpc23420:
	s_add_u32 s14, s14, (.LBB2_18169-.Lpost_getpc23420)&4294967295
	s_addc_u32 s15, s15, (.LBB2_18169-.Lpost_getpc23420)>>32
	s_setpc_b64 s[14:15]
.LBB2_3833:
	s_or_saveexec_b64 s[6:7], s[6:7]
	v_mov_b32_e32 v2, s10
	s_xor_b64 exec, exec, s[6:7]
	s_cbranch_execz .LBB2_3834
; %bb.39675:
	s_getpc_b64 s[14:15]
.Lpost_getpc23421:
	s_add_u32 s14, s14, (.LBB2_18172-.Lpost_getpc23421)&4294967295
	s_addc_u32 s15, s15, (.LBB2_18172-.Lpost_getpc23421)>>32
	s_setpc_b64 s[14:15]
.LBB2_3834:
	s_or_b64 exec, exec, s[6:7]
	s_and_saveexec_b64 s[6:7], s[4:5]
	s_cbranch_execz .LBB2_3836
.LBB2_3835:
	v_bfe_u32 v2, v9, 24, 3
	v_ffbh_u32_e32 v7, v2
	v_min_u32_e32 v7, 32, v7
	v_lshrrev_b32_e32 v4, 27, v9
	v_subrev_u32_e32 v8, 28, v7
	v_and_b32_e32 v4, 15, v4
	v_lshlrev_b32_sdwa v8, v8, v9 dst_sel:DWORD dst_unused:UNUSED_PAD src0_sel:DWORD src1_sel:BYTE_3
	v_bfe_u32 v6, v9, 27, 4
	v_sub_u32_e32 v7, 29, v7
	v_and_b32_e32 v8, 7, v8
	v_cmp_eq_u16_e32 vcc, 0, v4
	v_cndmask_b32_e32 v2, v2, v8, vcc
	v_cndmask_b32_e32 v4, v6, v7, vcc
	v_mov_b32_e32 v6, 0x3b800000
	v_and_b32_e32 v3, 0x80000000, v9
	v_lshlrev_b32_e32 v2, 20, v2
	v_lshl_add_u32 v4, v4, 23, v6
	v_or3_b32 v2, v3, v4, v2
.LBB2_3836:
	s_or_b64 exec, exec, s[6:7]
	s_movk_i32 s4, 0x7f
	v_cmp_gt_i16_sdwa s[6:7], v5, s4 src0_sel:BYTE_3 src1_sel:DWORD
	s_mov_b64 s[4:5], 0
                                        ; implicit-def: $sgpr10
	s_and_saveexec_b64 s[8:9], s[6:7]
	s_xor_b64 s[6:7], exec, s[8:9]
	s_cbranch_execz .LBB2_3837
; %bb.39677:
	s_getpc_b64 s[14:15]
.Lpost_getpc23422:
	s_add_u32 s14, s14, (.LBB2_18173-.Lpost_getpc23422)&4294967295
	s_addc_u32 s15, s15, (.LBB2_18173-.Lpost_getpc23422)>>32
	s_setpc_b64 s[14:15]
.LBB2_3837:
	s_or_saveexec_b64 s[6:7], s[6:7]
	v_mov_b32_e32 v3, s10
	s_xor_b64 exec, exec, s[6:7]
	s_cbranch_execz .LBB2_3838
; %bb.39679:
	s_getpc_b64 s[14:15]
.Lpost_getpc23423:
	s_add_u32 s14, s14, (.LBB2_18176-.Lpost_getpc23423)&4294967295
	s_addc_u32 s15, s15, (.LBB2_18176-.Lpost_getpc23423)>>32
	s_setpc_b64 s[14:15]
.LBB2_3838:
	s_or_b64 exec, exec, s[6:7]
	s_and_saveexec_b64 s[6:7], s[4:5]
	s_cbranch_execz .LBB2_3840
.LBB2_3839:
	v_bfe_u32 v3, v5, 24, 3
	v_ffbh_u32_e32 v8, v3
	v_min_u32_e32 v8, 32, v8
	v_lshrrev_b32_e32 v6, 27, v5
	v_subrev_u32_e32 v9, 28, v8
	v_and_b32_e32 v4, 0x80000000, v5
	v_and_b32_e32 v6, 15, v6
	v_bfe_u32 v7, v5, 27, 4
	v_lshlrev_b32_sdwa v5, v9, v5 dst_sel:DWORD dst_unused:UNUSED_PAD src0_sel:DWORD src1_sel:BYTE_3
	v_sub_u32_e32 v8, 29, v8
	v_and_b32_e32 v5, 7, v5
	v_cmp_eq_u16_e32 vcc, 0, v6
	v_cndmask_b32_e32 v3, v3, v5, vcc
	v_cndmask_b32_e32 v5, v7, v8, vcc
	v_mov_b32_e32 v6, 0x3b800000
	v_lshlrev_b32_e32 v3, 20, v3
	v_lshl_add_u32 v5, v5, 23, v6
	v_or3_b32 v3, v4, v5, v3
.LBB2_3840:
	s_or_b64 exec, exec, s[6:7]
	s_nop 0
	v_mfma_f32_16x16x4f32 a[0:3], v2, v3, a[0:3]
	s_movk_i32 s4, 0x7f
                                        ; implicit-def: $sgpr10
	s_nop 7
	s_nop 1
	flat_store_dwordx4 v[10:11], a[0:3] offset:464
	flat_load_dwordx4 v[12:15], v[0:1]
	s_nop 0
	flat_load_dwordx2 v[10:11], v[0:1] offset:16
	s_waitcnt vmcnt(0) lgkmcnt(0)
	flat_load_dwordx4 v[6:9], v[12:13] offset:48
	flat_load_dwordx4 v[2:5], v[14:15] offset:96
	s_waitcnt vmcnt(0) lgkmcnt(0)
	v_cmp_gt_i16_sdwa s[6:7], v6, s4 src0_sel:BYTE_0 src1_sel:DWORD
	s_mov_b64 s[4:5], 0
	s_and_saveexec_b64 s[8:9], s[6:7]
	s_xor_b64 s[6:7], exec, s[8:9]
	s_cbranch_execz .LBB2_3841
; %bb.39681:
	s_getpc_b64 s[14:15]
.Lpost_getpc23424:
	s_add_u32 s14, s14, (.LBB2_18177-.Lpost_getpc23424)&4294967295
	s_addc_u32 s15, s15, (.LBB2_18177-.Lpost_getpc23424)>>32
	s_setpc_b64 s[14:15]
.LBB2_3841:
	s_or_saveexec_b64 s[6:7], s[6:7]
	v_mov_b32_e32 v12, s10
	s_xor_b64 exec, exec, s[6:7]
	s_cbranch_execz .LBB2_3842
; %bb.39683:
	s_getpc_b64 s[14:15]
.Lpost_getpc23425:
	s_add_u32 s14, s14, (.LBB2_18180-.Lpost_getpc23425)&4294967295
	s_addc_u32 s15, s15, (.LBB2_18180-.Lpost_getpc23425)>>32
	s_setpc_b64 s[14:15]
.LBB2_3842:
	s_or_b64 exec, exec, s[6:7]
	s_and_saveexec_b64 s[6:7], s[4:5]
	s_cbranch_execz .LBB2_3844
.LBB2_3843:
	v_and_b32_e32 v12, 7, v6
	v_ffbh_u32_e32 v14, v12
	v_min_u32_e32 v14, 32, v14
	v_lshrrev_b16_e32 v13, 3, v6
	v_subrev_u32_e32 v15, 28, v14
	v_and_b32_e32 v13, 15, v13
	v_lshlrev_b32_e32 v15, v15, v6
	v_sub_u32_e32 v14, 29, v14
	v_and_b32_e32 v15, 7, v15
	v_cmp_eq_u16_e32 vcc, 0, v13
	v_cndmask_b32_e32 v12, v12, v15, vcc
	v_cndmask_b32_e32 v13, v13, v14, vcc
	v_lshlrev_b32_e32 v14, 24, v6
	v_mov_b32_e32 v15, 0x3b800000
	v_lshlrev_b32_e32 v12, 20, v12
	v_and_b32_e32 v14, 0x80000000, v14
	v_lshl_add_u32 v13, v13, 23, v15
	v_or3_b32 v12, v14, v13, v12
.LBB2_3844:
	s_or_b64 exec, exec, s[6:7]
	s_movk_i32 s4, 0x7f
	v_cmp_gt_i16_sdwa s[6:7], v2, s4 src0_sel:BYTE_0 src1_sel:DWORD
	s_mov_b64 s[4:5], 0
                                        ; implicit-def: $sgpr10
	s_and_saveexec_b64 s[8:9], s[6:7]
	s_xor_b64 s[6:7], exec, s[8:9]
	s_cbranch_execz .LBB2_3845
; %bb.39685:
	s_getpc_b64 s[14:15]
.Lpost_getpc23426:
	s_add_u32 s14, s14, (.LBB2_18181-.Lpost_getpc23426)&4294967295
	s_addc_u32 s15, s15, (.LBB2_18181-.Lpost_getpc23426)>>32
	s_setpc_b64 s[14:15]
.LBB2_3845:
	s_or_saveexec_b64 s[6:7], s[6:7]
	v_mov_b32_e32 v13, s10
	s_xor_b64 exec, exec, s[6:7]
	s_cbranch_execz .LBB2_3846
; %bb.39687:
	s_getpc_b64 s[14:15]
.Lpost_getpc23427:
	s_add_u32 s14, s14, (.LBB2_18184-.Lpost_getpc23427)&4294967295
	s_addc_u32 s15, s15, (.LBB2_18184-.Lpost_getpc23427)>>32
	s_setpc_b64 s[14:15]
.LBB2_3846:
	s_or_b64 exec, exec, s[6:7]
	s_and_saveexec_b64 s[6:7], s[4:5]
	s_cbranch_execz .LBB2_3848
.LBB2_3847:
	v_and_b32_e32 v13, 7, v2
	v_ffbh_u32_e32 v15, v13
	v_min_u32_e32 v15, 32, v15
	v_lshrrev_b16_e32 v14, 3, v2
	v_subrev_u32_e32 v16, 28, v15
	v_and_b32_e32 v14, 15, v14
	v_lshlrev_b32_e32 v16, v16, v2
	v_sub_u32_e32 v15, 29, v15
	v_and_b32_e32 v16, 7, v16
	v_cmp_eq_u16_e32 vcc, 0, v14
	v_cndmask_b32_e32 v13, v13, v16, vcc
	v_cndmask_b32_e32 v14, v14, v15, vcc
	v_lshlrev_b32_e32 v15, 24, v2
	v_mov_b32_e32 v16, 0x3b800000
	v_lshlrev_b32_e32 v13, 20, v13
	v_and_b32_e32 v15, 0x80000000, v15
	v_lshl_add_u32 v14, v14, 23, v16
	v_or3_b32 v13, v15, v14, v13
.LBB2_3848:
	s_or_b64 exec, exec, s[6:7]
	flat_load_dwordx4 a[0:3], v[10:11] offset:480
	s_movk_i32 s4, 0x7f
                                        ; implicit-def: $sgpr10
	s_waitcnt vmcnt(0) lgkmcnt(0)
	v_mfma_f32_16x16x4f32 a[0:3], v12, v13, a[0:3]
	v_lshrrev_b32_e32 v13, 8, v6
	v_cmp_gt_i16_sdwa s[6:7], v13, s4 src0_sel:BYTE_0 src1_sel:DWORD
	s_mov_b64 s[4:5], 0
	s_and_saveexec_b64 s[8:9], s[6:7]
	s_xor_b64 s[6:7], exec, s[8:9]
	s_cbranch_execz .LBB2_3849
; %bb.39689:
	s_getpc_b64 s[14:15]
.Lpost_getpc23428:
	s_add_u32 s14, s14, (.LBB2_18185-.Lpost_getpc23428)&4294967295
	s_addc_u32 s15, s15, (.LBB2_18185-.Lpost_getpc23428)>>32
	s_setpc_b64 s[14:15]
.LBB2_3849:
	s_or_saveexec_b64 s[6:7], s[6:7]
	v_mov_b32_e32 v12, s10
	s_xor_b64 exec, exec, s[6:7]
	s_cbranch_execz .LBB2_3850
; %bb.39691:
	s_getpc_b64 s[14:15]
.Lpost_getpc23429:
	s_add_u32 s14, s14, (.LBB2_18188-.Lpost_getpc23429)&4294967295
	s_addc_u32 s15, s15, (.LBB2_18188-.Lpost_getpc23429)>>32
	s_setpc_b64 s[14:15]
.LBB2_3850:
	s_or_b64 exec, exec, s[6:7]
	s_and_saveexec_b64 s[6:7], s[4:5]
	s_cbranch_execz .LBB2_3852
.LBB2_3851:
	v_bfe_u32 v12, v6, 8, 3
	v_ffbh_u32_e32 v15, v12
	v_min_u32_e32 v15, 32, v15
	v_lshrrev_b16_e32 v14, 3, v13
	v_subrev_u32_e32 v16, 28, v15
	v_and_b32_e32 v14, 15, v14
	v_lshlrev_b32_e32 v13, v16, v13
	v_sub_u32_e32 v15, 29, v15
	v_and_b32_e32 v13, 7, v13
	v_cmp_eq_u16_e32 vcc, 0, v14
	v_cndmask_b32_e32 v12, v12, v13, vcc
	v_cndmask_b32_e32 v13, v14, v15, vcc
	v_lshlrev_b32_e32 v14, 16, v6
	v_mov_b32_e32 v15, 0x3b800000
	v_lshlrev_b32_e32 v12, 20, v12
	v_and_b32_e32 v14, 0x80000000, v14
	v_lshl_add_u32 v13, v13, 23, v15
	v_or3_b32 v12, v14, v13, v12
.LBB2_3852:
	s_or_b64 exec, exec, s[6:7]
	v_lshrrev_b32_e32 v13, 8, v2
	s_movk_i32 s4, 0x7f
	v_cmp_gt_i16_sdwa s[6:7], v13, s4 src0_sel:BYTE_0 src1_sel:DWORD
	s_mov_b64 s[4:5], 0
                                        ; implicit-def: $sgpr10
	s_and_saveexec_b64 s[8:9], s[6:7]
	s_xor_b64 s[6:7], exec, s[8:9]
	s_cbranch_execz .LBB2_3853
; %bb.39693:
	s_getpc_b64 s[14:15]
.Lpost_getpc23430:
	s_add_u32 s14, s14, (.LBB2_18189-.Lpost_getpc23430)&4294967295
	s_addc_u32 s15, s15, (.LBB2_18189-.Lpost_getpc23430)>>32
	s_setpc_b64 s[14:15]
.LBB2_3853:
	s_or_saveexec_b64 s[6:7], s[6:7]
	v_mov_b32_e32 v14, s10
	s_xor_b64 exec, exec, s[6:7]
	s_cbranch_execz .LBB2_3854
; %bb.39695:
	s_getpc_b64 s[14:15]
.Lpost_getpc23431:
	s_add_u32 s14, s14, (.LBB2_18192-.Lpost_getpc23431)&4294967295
	s_addc_u32 s15, s15, (.LBB2_18192-.Lpost_getpc23431)>>32
	s_setpc_b64 s[14:15]
.LBB2_3854:
	s_or_b64 exec, exec, s[6:7]
	s_and_saveexec_b64 s[6:7], s[4:5]
	s_cbranch_execz .LBB2_3856
.LBB2_3855:
	v_bfe_u32 v14, v2, 8, 3
	v_ffbh_u32_e32 v16, v14
	v_min_u32_e32 v16, 32, v16
	v_lshrrev_b16_e32 v15, 3, v13
	v_subrev_u32_e32 v17, 28, v16
	v_and_b32_e32 v15, 15, v15
	v_lshlrev_b32_e32 v13, v17, v13
	v_sub_u32_e32 v16, 29, v16
	v_and_b32_e32 v13, 7, v13
	v_cmp_eq_u16_e32 vcc, 0, v15
	v_cndmask_b32_e32 v13, v14, v13, vcc
	v_cndmask_b32_e32 v14, v15, v16, vcc
	v_lshlrev_b32_e32 v15, 16, v2
	v_mov_b32_e32 v16, 0x3b800000
	v_lshlrev_b32_e32 v13, 20, v13
	v_and_b32_e32 v15, 0x80000000, v15
	v_lshl_add_u32 v14, v14, 23, v16
	v_or3_b32 v14, v15, v14, v13
.LBB2_3856:
	s_or_b64 exec, exec, s[6:7]
	s_nop 0
	v_mfma_f32_16x16x4f32 a[0:3], v12, v14, a[0:3]
	s_movk_i32 s4, 0xff
	v_and_b32_sdwa v13, v6, s4 dst_sel:DWORD dst_unused:UNUSED_PAD src0_sel:WORD_1 src1_sel:DWORD
	s_movk_i32 s4, 0x7f
	v_cmp_lt_i16_e32 vcc, s4, v13
	s_mov_b64 s[4:5], 0
                                        ; implicit-def: $sgpr10
	s_and_saveexec_b64 s[6:7], vcc
	s_xor_b64 s[6:7], exec, s[6:7]
	s_cbranch_execz .LBB2_3857
; %bb.39697:
	s_getpc_b64 s[14:15]
.Lpost_getpc23432:
	s_add_u32 s14, s14, (.LBB2_18193-.Lpost_getpc23432)&4294967295
	s_addc_u32 s15, s15, (.LBB2_18193-.Lpost_getpc23432)>>32
	s_setpc_b64 s[14:15]
.LBB2_3857:
	s_or_saveexec_b64 s[6:7], s[6:7]
	v_mov_b32_e32 v12, s10
	s_xor_b64 exec, exec, s[6:7]
	s_cbranch_execz .LBB2_3858
; %bb.39699:
	s_getpc_b64 s[14:15]
.Lpost_getpc23433:
	s_add_u32 s14, s14, (.LBB2_18196-.Lpost_getpc23433)&4294967295
	s_addc_u32 s15, s15, (.LBB2_18196-.Lpost_getpc23433)>>32
	s_setpc_b64 s[14:15]
.LBB2_3858:
	s_or_b64 exec, exec, s[6:7]
	s_and_saveexec_b64 s[6:7], s[4:5]
	s_cbranch_execz .LBB2_3860
.LBB2_3859:
	v_bfe_u32 v12, v6, 16, 3
	v_ffbh_u32_e32 v15, v12
	v_min_u32_e32 v15, 32, v15
	v_lshrrev_b32_e32 v13, 19, v6
	v_subrev_u32_e32 v16, 28, v15
	v_and_b32_e32 v13, 15, v13
	v_lshlrev_b32_sdwa v16, v16, v6 dst_sel:DWORD dst_unused:UNUSED_PAD src0_sel:DWORD src1_sel:WORD_1
	v_bfe_u32 v14, v6, 19, 4
	v_sub_u32_e32 v15, 29, v15
	v_and_b32_e32 v16, 7, v16
	v_cmp_eq_u16_e32 vcc, 0, v13
	v_cndmask_b32_e32 v12, v12, v16, vcc
	v_cndmask_b32_e32 v13, v14, v15, vcc
	v_lshlrev_b32_e32 v14, 8, v6
	v_mov_b32_e32 v15, 0x3b800000
	v_lshlrev_b32_e32 v12, 20, v12
	v_and_b32_e32 v14, 0x80000000, v14
	v_lshl_add_u32 v13, v13, 23, v15
	v_or3_b32 v12, v14, v13, v12
.LBB2_3860:
	s_or_b64 exec, exec, s[6:7]
	s_movk_i32 s4, 0xff
	v_and_b32_sdwa v13, v2, s4 dst_sel:DWORD dst_unused:UNUSED_PAD src0_sel:WORD_1 src1_sel:DWORD
	s_movk_i32 s4, 0x7f
	v_cmp_lt_i16_e32 vcc, s4, v13
	s_mov_b64 s[4:5], 0
                                        ; implicit-def: $sgpr10
	s_and_saveexec_b64 s[6:7], vcc
	s_xor_b64 s[6:7], exec, s[6:7]
	s_cbranch_execz .LBB2_3861
; %bb.39701:
	s_getpc_b64 s[14:15]
.Lpost_getpc23434:
	s_add_u32 s14, s14, (.LBB2_18197-.Lpost_getpc23434)&4294967295
	s_addc_u32 s15, s15, (.LBB2_18197-.Lpost_getpc23434)>>32
	s_setpc_b64 s[14:15]
.LBB2_3861:
	s_or_saveexec_b64 s[6:7], s[6:7]
	v_mov_b32_e32 v14, s10
	s_xor_b64 exec, exec, s[6:7]
	s_cbranch_execz .LBB2_3862
; %bb.39703:
	s_getpc_b64 s[14:15]
.Lpost_getpc23435:
	s_add_u32 s14, s14, (.LBB2_18200-.Lpost_getpc23435)&4294967295
	s_addc_u32 s15, s15, (.LBB2_18200-.Lpost_getpc23435)>>32
	s_setpc_b64 s[14:15]
.LBB2_3862:
	s_or_b64 exec, exec, s[6:7]
	s_and_saveexec_b64 s[6:7], s[4:5]
	s_cbranch_execz .LBB2_3864
.LBB2_3863:
	v_bfe_u32 v13, v2, 16, 3
	v_ffbh_u32_e32 v16, v13
	v_min_u32_e32 v16, 32, v16
	v_lshrrev_b32_e32 v14, 19, v2
	v_subrev_u32_e32 v17, 28, v16
	v_and_b32_e32 v14, 15, v14
	v_lshlrev_b32_sdwa v17, v17, v2 dst_sel:DWORD dst_unused:UNUSED_PAD src0_sel:DWORD src1_sel:WORD_1
	v_bfe_u32 v15, v2, 19, 4
	v_sub_u32_e32 v16, 29, v16
	v_and_b32_e32 v17, 7, v17
	v_cmp_eq_u16_e32 vcc, 0, v14
	v_cndmask_b32_e32 v13, v13, v17, vcc
	v_cndmask_b32_e32 v14, v15, v16, vcc
	v_lshlrev_b32_e32 v15, 8, v2
	v_mov_b32_e32 v16, 0x3b800000
	v_lshlrev_b32_e32 v13, 20, v13
	v_and_b32_e32 v15, 0x80000000, v15
	v_lshl_add_u32 v14, v14, 23, v16
	v_or3_b32 v14, v15, v14, v13
.LBB2_3864:
	s_or_b64 exec, exec, s[6:7]
	s_nop 0
	v_mfma_f32_16x16x4f32 a[0:3], v12, v14, a[0:3]
	s_movk_i32 s4, 0x7f
	v_cmp_gt_i16_sdwa s[6:7], v6, s4 src0_sel:BYTE_3 src1_sel:DWORD
	s_mov_b64 s[4:5], 0
                                        ; implicit-def: $sgpr10
	s_and_saveexec_b64 s[8:9], s[6:7]
	s_xor_b64 s[6:7], exec, s[8:9]
	s_cbranch_execz .LBB2_3865
; %bb.39705:
	s_getpc_b64 s[14:15]
.Lpost_getpc23436:
	s_add_u32 s14, s14, (.LBB2_18201-.Lpost_getpc23436)&4294967295
	s_addc_u32 s15, s15, (.LBB2_18201-.Lpost_getpc23436)>>32
	s_setpc_b64 s[14:15]
.LBB2_3865:
	s_or_saveexec_b64 s[6:7], s[6:7]
	v_mov_b32_e32 v12, s10
	s_xor_b64 exec, exec, s[6:7]
	s_cbranch_execz .LBB2_3866
; %bb.39707:
	s_getpc_b64 s[14:15]
.Lpost_getpc23437:
	s_add_u32 s14, s14, (.LBB2_18204-.Lpost_getpc23437)&4294967295
	s_addc_u32 s15, s15, (.LBB2_18204-.Lpost_getpc23437)>>32
	s_setpc_b64 s[14:15]
.LBB2_3866:
	s_or_b64 exec, exec, s[6:7]
	s_and_saveexec_b64 s[6:7], s[4:5]
	s_cbranch_execz .LBB2_3868
.LBB2_3867:
	v_bfe_u32 v12, v6, 24, 3
	v_ffbh_u32_e32 v16, v12
	v_min_u32_e32 v16, 32, v16
	v_lshrrev_b32_e32 v14, 27, v6
	v_subrev_u32_e32 v17, 28, v16
	v_and_b32_e32 v13, 0x80000000, v6
	v_and_b32_e32 v14, 15, v14
	v_bfe_u32 v15, v6, 27, 4
	v_lshlrev_b32_sdwa v6, v17, v6 dst_sel:DWORD dst_unused:UNUSED_PAD src0_sel:DWORD src1_sel:BYTE_3
	v_sub_u32_e32 v16, 29, v16
	v_and_b32_e32 v6, 7, v6
	v_cmp_eq_u16_e32 vcc, 0, v14
	v_cndmask_b32_e32 v6, v12, v6, vcc
	v_cndmask_b32_e32 v12, v15, v16, vcc
	v_mov_b32_e32 v14, 0x3b800000
	v_lshlrev_b32_e32 v6, 20, v6
	v_lshl_add_u32 v12, v12, 23, v14
	v_or3_b32 v12, v13, v12, v6
.LBB2_3868:
	s_or_b64 exec, exec, s[6:7]
	s_movk_i32 s4, 0x7f
	v_cmp_gt_i16_sdwa s[6:7], v2, s4 src0_sel:BYTE_3 src1_sel:DWORD
	s_mov_b64 s[4:5], 0
                                        ; implicit-def: $sgpr10
	s_and_saveexec_b64 s[8:9], s[6:7]
	s_xor_b64 s[6:7], exec, s[8:9]
	s_cbranch_execz .LBB2_3869
; %bb.39709:
	s_getpc_b64 s[14:15]
.Lpost_getpc23438:
	s_add_u32 s14, s14, (.LBB2_18205-.Lpost_getpc23438)&4294967295
	s_addc_u32 s15, s15, (.LBB2_18205-.Lpost_getpc23438)>>32
	s_setpc_b64 s[14:15]
.LBB2_3869:
	s_or_saveexec_b64 s[6:7], s[6:7]
	v_mov_b32_e32 v6, s10
	s_xor_b64 exec, exec, s[6:7]
	s_cbranch_execz .LBB2_3870
; %bb.39711:
	s_getpc_b64 s[14:15]
.Lpost_getpc23439:
	s_add_u32 s14, s14, (.LBB2_18208-.Lpost_getpc23439)&4294967295
	s_addc_u32 s15, s15, (.LBB2_18208-.Lpost_getpc23439)>>32
	s_setpc_b64 s[14:15]
.LBB2_3870:
	s_or_b64 exec, exec, s[6:7]
	s_and_saveexec_b64 s[6:7], s[4:5]
	s_cbranch_execz .LBB2_3872
.LBB2_3871:
	v_bfe_u32 v6, v2, 24, 3
	v_ffbh_u32_e32 v16, v6
	v_min_u32_e32 v16, 32, v16
	v_lshrrev_b32_e32 v14, 27, v2
	v_subrev_u32_e32 v17, 28, v16
	v_and_b32_e32 v13, 0x80000000, v2
	v_and_b32_e32 v14, 15, v14
	v_bfe_u32 v15, v2, 27, 4
	v_lshlrev_b32_sdwa v2, v17, v2 dst_sel:DWORD dst_unused:UNUSED_PAD src0_sel:DWORD src1_sel:BYTE_3
	v_sub_u32_e32 v16, 29, v16
	v_and_b32_e32 v2, 7, v2
	v_cmp_eq_u16_e32 vcc, 0, v14
	v_cndmask_b32_e32 v2, v6, v2, vcc
	v_cndmask_b32_e32 v6, v15, v16, vcc
	v_mov_b32_e32 v14, 0x3b800000
	v_lshlrev_b32_e32 v2, 20, v2
	v_lshl_add_u32 v6, v6, 23, v14
	v_or3_b32 v6, v13, v6, v2
.LBB2_3872:
	s_or_b64 exec, exec, s[6:7]
	s_nop 0
	v_mfma_f32_16x16x4f32 a[0:3], v12, v6, a[0:3]
	s_movk_i32 s4, 0x7f
	v_cmp_gt_i16_sdwa s[6:7], v7, s4 src0_sel:BYTE_0 src1_sel:DWORD
	s_mov_b64 s[4:5], 0
                                        ; implicit-def: $sgpr10
	s_and_saveexec_b64 s[8:9], s[6:7]
	s_xor_b64 s[6:7], exec, s[8:9]
	s_cbranch_execz .LBB2_3873
; %bb.39713:
	s_getpc_b64 s[14:15]
.Lpost_getpc23440:
	s_add_u32 s14, s14, (.LBB2_18209-.Lpost_getpc23440)&4294967295
	s_addc_u32 s15, s15, (.LBB2_18209-.Lpost_getpc23440)>>32
	s_setpc_b64 s[14:15]
.LBB2_3873:
	s_or_saveexec_b64 s[6:7], s[6:7]
	v_mov_b32_e32 v2, s10
	s_xor_b64 exec, exec, s[6:7]
	s_cbranch_execz .LBB2_3874
; %bb.39715:
	s_getpc_b64 s[14:15]
.Lpost_getpc23441:
	s_add_u32 s14, s14, (.LBB2_18212-.Lpost_getpc23441)&4294967295
	s_addc_u32 s15, s15, (.LBB2_18212-.Lpost_getpc23441)>>32
	s_setpc_b64 s[14:15]
.LBB2_3874:
	s_or_b64 exec, exec, s[6:7]
	s_and_saveexec_b64 s[6:7], s[4:5]
	s_cbranch_execz .LBB2_3876
.LBB2_3875:
	v_and_b32_e32 v2, 7, v7
	v_ffbh_u32_e32 v12, v2
	v_min_u32_e32 v12, 32, v12
	v_lshrrev_b16_e32 v6, 3, v7
	v_subrev_u32_e32 v13, 28, v12
	v_and_b32_e32 v6, 15, v6
	v_lshlrev_b32_e32 v13, v13, v7
	v_sub_u32_e32 v12, 29, v12
	v_and_b32_e32 v13, 7, v13
	v_cmp_eq_u16_e32 vcc, 0, v6
	v_cndmask_b32_e32 v2, v2, v13, vcc
	v_cndmask_b32_e32 v6, v6, v12, vcc
	v_lshlrev_b32_e32 v12, 24, v7
	v_mov_b32_e32 v13, 0x3b800000
	v_lshlrev_b32_e32 v2, 20, v2
	v_and_b32_e32 v12, 0x80000000, v12
	v_lshl_add_u32 v6, v6, 23, v13
	v_or3_b32 v2, v12, v6, v2
.LBB2_3876:
	s_or_b64 exec, exec, s[6:7]
	s_movk_i32 s4, 0x7f
	v_cmp_gt_i16_sdwa s[6:7], v3, s4 src0_sel:BYTE_0 src1_sel:DWORD
	s_mov_b64 s[4:5], 0
                                        ; implicit-def: $sgpr10
	s_and_saveexec_b64 s[8:9], s[6:7]
	s_xor_b64 s[6:7], exec, s[8:9]
	s_cbranch_execz .LBB2_3877
; %bb.39717:
	s_getpc_b64 s[14:15]
.Lpost_getpc23442:
	s_add_u32 s14, s14, (.LBB2_18213-.Lpost_getpc23442)&4294967295
	s_addc_u32 s15, s15, (.LBB2_18213-.Lpost_getpc23442)>>32
	s_setpc_b64 s[14:15]
.LBB2_3877:
	s_or_saveexec_b64 s[6:7], s[6:7]
	v_mov_b32_e32 v6, s10
	s_xor_b64 exec, exec, s[6:7]
	s_cbranch_execz .LBB2_3878
; %bb.39719:
	s_getpc_b64 s[14:15]
.Lpost_getpc23443:
	s_add_u32 s14, s14, (.LBB2_18216-.Lpost_getpc23443)&4294967295
	s_addc_u32 s15, s15, (.LBB2_18216-.Lpost_getpc23443)>>32
	s_setpc_b64 s[14:15]
.LBB2_3878:
	s_or_b64 exec, exec, s[6:7]
	s_and_saveexec_b64 s[6:7], s[4:5]
	s_cbranch_execz .LBB2_3880
.LBB2_3879:
	v_and_b32_e32 v6, 7, v3
	v_ffbh_u32_e32 v13, v6
	v_min_u32_e32 v13, 32, v13
	v_lshrrev_b16_e32 v12, 3, v3
	v_subrev_u32_e32 v14, 28, v13
	v_and_b32_e32 v12, 15, v12
	v_lshlrev_b32_e32 v14, v14, v3
	v_sub_u32_e32 v13, 29, v13
	v_and_b32_e32 v14, 7, v14
	v_cmp_eq_u16_e32 vcc, 0, v12
	v_cndmask_b32_e32 v6, v6, v14, vcc
	v_cndmask_b32_e32 v12, v12, v13, vcc
	v_lshlrev_b32_e32 v13, 24, v3
	v_mov_b32_e32 v14, 0x3b800000
	v_lshlrev_b32_e32 v6, 20, v6
	v_and_b32_e32 v13, 0x80000000, v13
	v_lshl_add_u32 v12, v12, 23, v14
	v_or3_b32 v6, v13, v12, v6
.LBB2_3880:
	s_or_b64 exec, exec, s[6:7]
	s_nop 0
	v_mfma_f32_16x16x4f32 a[0:3], v2, v6, a[0:3]
	v_lshrrev_b32_e32 v6, 8, v7
	s_movk_i32 s4, 0x7f
	v_cmp_gt_i16_sdwa s[6:7], v6, s4 src0_sel:BYTE_0 src1_sel:DWORD
	s_mov_b64 s[4:5], 0
                                        ; implicit-def: $sgpr10
	s_and_saveexec_b64 s[8:9], s[6:7]
	s_xor_b64 s[6:7], exec, s[8:9]
	s_cbranch_execz .LBB2_3881
; %bb.39721:
	s_getpc_b64 s[14:15]
.Lpost_getpc23444:
	s_add_u32 s14, s14, (.LBB2_18217-.Lpost_getpc23444)&4294967295
	s_addc_u32 s15, s15, (.LBB2_18217-.Lpost_getpc23444)>>32
	s_setpc_b64 s[14:15]
.LBB2_3881:
	s_or_saveexec_b64 s[6:7], s[6:7]
	v_mov_b32_e32 v2, s10
	s_xor_b64 exec, exec, s[6:7]
	s_cbranch_execz .LBB2_3882
; %bb.39723:
	s_getpc_b64 s[14:15]
.Lpost_getpc23445:
	s_add_u32 s14, s14, (.LBB2_18220-.Lpost_getpc23445)&4294967295
	s_addc_u32 s15, s15, (.LBB2_18220-.Lpost_getpc23445)>>32
	s_setpc_b64 s[14:15]
.LBB2_3882:
	s_or_b64 exec, exec, s[6:7]
	s_and_saveexec_b64 s[6:7], s[4:5]
	s_cbranch_execz .LBB2_3884
.LBB2_3883:
	v_bfe_u32 v2, v7, 8, 3
	v_ffbh_u32_e32 v13, v2
	v_min_u32_e32 v13, 32, v13
	v_lshrrev_b16_e32 v12, 3, v6
	v_subrev_u32_e32 v14, 28, v13
	v_and_b32_e32 v12, 15, v12
	v_lshlrev_b32_e32 v6, v14, v6
	v_sub_u32_e32 v13, 29, v13
	v_and_b32_e32 v6, 7, v6
	v_cmp_eq_u16_e32 vcc, 0, v12
	v_cndmask_b32_e32 v2, v2, v6, vcc
	v_cndmask_b32_e32 v6, v12, v13, vcc
	v_lshlrev_b32_e32 v12, 16, v7
	v_mov_b32_e32 v13, 0x3b800000
	v_lshlrev_b32_e32 v2, 20, v2
	v_and_b32_e32 v12, 0x80000000, v12
	v_lshl_add_u32 v6, v6, 23, v13
	v_or3_b32 v2, v12, v6, v2
.LBB2_3884:
	s_or_b64 exec, exec, s[6:7]
	v_lshrrev_b32_e32 v6, 8, v3
	s_movk_i32 s4, 0x7f
	v_cmp_gt_i16_sdwa s[6:7], v6, s4 src0_sel:BYTE_0 src1_sel:DWORD
	s_mov_b64 s[4:5], 0
                                        ; implicit-def: $sgpr10
	s_and_saveexec_b64 s[8:9], s[6:7]
	s_xor_b64 s[6:7], exec, s[8:9]
	s_cbranch_execz .LBB2_3885
; %bb.39725:
	s_getpc_b64 s[14:15]
.Lpost_getpc23446:
	s_add_u32 s14, s14, (.LBB2_18221-.Lpost_getpc23446)&4294967295
	s_addc_u32 s15, s15, (.LBB2_18221-.Lpost_getpc23446)>>32
	s_setpc_b64 s[14:15]
.LBB2_3885:
	s_or_saveexec_b64 s[6:7], s[6:7]
	v_mov_b32_e32 v12, s10
	s_xor_b64 exec, exec, s[6:7]
	s_cbranch_execz .LBB2_3886
; %bb.39727:
	s_getpc_b64 s[14:15]
.Lpost_getpc23447:
	s_add_u32 s14, s14, (.LBB2_18224-.Lpost_getpc23447)&4294967295
	s_addc_u32 s15, s15, (.LBB2_18224-.Lpost_getpc23447)>>32
	s_setpc_b64 s[14:15]
.LBB2_3886:
	s_or_b64 exec, exec, s[6:7]
	s_and_saveexec_b64 s[6:7], s[4:5]
	s_cbranch_execz .LBB2_3888
.LBB2_3887:
	v_bfe_u32 v12, v3, 8, 3
	v_ffbh_u32_e32 v14, v12
	v_min_u32_e32 v14, 32, v14
	v_lshrrev_b16_e32 v13, 3, v6
	v_subrev_u32_e32 v15, 28, v14
	v_and_b32_e32 v13, 15, v13
	v_lshlrev_b32_e32 v6, v15, v6
	v_sub_u32_e32 v14, 29, v14
	v_and_b32_e32 v6, 7, v6
	v_cmp_eq_u16_e32 vcc, 0, v13
	v_cndmask_b32_e32 v6, v12, v6, vcc
	v_cndmask_b32_e32 v12, v13, v14, vcc
	v_lshlrev_b32_e32 v13, 16, v3
	v_mov_b32_e32 v14, 0x3b800000
	v_lshlrev_b32_e32 v6, 20, v6
	v_and_b32_e32 v13, 0x80000000, v13
	v_lshl_add_u32 v12, v12, 23, v14
	v_or3_b32 v12, v13, v12, v6
.LBB2_3888:
	s_or_b64 exec, exec, s[6:7]
	s_nop 0
	v_mfma_f32_16x16x4f32 a[0:3], v2, v12, a[0:3]
	s_movk_i32 s4, 0xff
	v_and_b32_sdwa v6, v7, s4 dst_sel:DWORD dst_unused:UNUSED_PAD src0_sel:WORD_1 src1_sel:DWORD
	s_movk_i32 s4, 0x7f
	v_cmp_lt_i16_e32 vcc, s4, v6
	s_mov_b64 s[4:5], 0
                                        ; implicit-def: $sgpr10
	s_and_saveexec_b64 s[6:7], vcc
	s_xor_b64 s[6:7], exec, s[6:7]
	s_cbranch_execz .LBB2_3889
; %bb.39729:
	s_getpc_b64 s[14:15]
.Lpost_getpc23448:
	s_add_u32 s14, s14, (.LBB2_18225-.Lpost_getpc23448)&4294967295
	s_addc_u32 s15, s15, (.LBB2_18225-.Lpost_getpc23448)>>32
	s_setpc_b64 s[14:15]
.LBB2_3889:
	s_or_saveexec_b64 s[6:7], s[6:7]
	v_mov_b32_e32 v2, s10
	s_xor_b64 exec, exec, s[6:7]
	s_cbranch_execz .LBB2_3890
; %bb.39731:
	s_getpc_b64 s[14:15]
.Lpost_getpc23449:
	s_add_u32 s14, s14, (.LBB2_18228-.Lpost_getpc23449)&4294967295
	s_addc_u32 s15, s15, (.LBB2_18228-.Lpost_getpc23449)>>32
	s_setpc_b64 s[14:15]
.LBB2_3890:
	s_or_b64 exec, exec, s[6:7]
	s_and_saveexec_b64 s[6:7], s[4:5]
	s_cbranch_execz .LBB2_3892
.LBB2_3891:
	v_bfe_u32 v2, v7, 16, 3
	v_ffbh_u32_e32 v13, v2
	v_min_u32_e32 v13, 32, v13
	v_lshrrev_b32_e32 v6, 19, v7
	v_subrev_u32_e32 v14, 28, v13
	v_and_b32_e32 v6, 15, v6
	v_lshlrev_b32_sdwa v14, v14, v7 dst_sel:DWORD dst_unused:UNUSED_PAD src0_sel:DWORD src1_sel:WORD_1
	v_bfe_u32 v12, v7, 19, 4
	v_sub_u32_e32 v13, 29, v13
	v_and_b32_e32 v14, 7, v14
	v_cmp_eq_u16_e32 vcc, 0, v6
	v_cndmask_b32_e32 v2, v2, v14, vcc
	v_cndmask_b32_e32 v6, v12, v13, vcc
	v_lshlrev_b32_e32 v12, 8, v7
	v_mov_b32_e32 v13, 0x3b800000
	v_lshlrev_b32_e32 v2, 20, v2
	v_and_b32_e32 v12, 0x80000000, v12
	v_lshl_add_u32 v6, v6, 23, v13
	v_or3_b32 v2, v12, v6, v2
.LBB2_3892:
	s_or_b64 exec, exec, s[6:7]
	s_movk_i32 s4, 0xff
	v_and_b32_sdwa v6, v3, s4 dst_sel:DWORD dst_unused:UNUSED_PAD src0_sel:WORD_1 src1_sel:DWORD
	s_movk_i32 s4, 0x7f
	v_cmp_lt_i16_e32 vcc, s4, v6
	s_mov_b64 s[4:5], 0
                                        ; implicit-def: $sgpr10
	s_and_saveexec_b64 s[6:7], vcc
	s_xor_b64 s[6:7], exec, s[6:7]
	s_cbranch_execz .LBB2_3893
; %bb.39733:
	s_getpc_b64 s[14:15]
.Lpost_getpc23450:
	s_add_u32 s14, s14, (.LBB2_18229-.Lpost_getpc23450)&4294967295
	s_addc_u32 s15, s15, (.LBB2_18229-.Lpost_getpc23450)>>32
	s_setpc_b64 s[14:15]
.LBB2_3893:
	s_or_saveexec_b64 s[6:7], s[6:7]
	v_mov_b32_e32 v12, s10
	s_xor_b64 exec, exec, s[6:7]
	s_cbranch_execz .LBB2_3894
; %bb.39735:
	s_getpc_b64 s[14:15]
.Lpost_getpc23451:
	s_add_u32 s14, s14, (.LBB2_18232-.Lpost_getpc23451)&4294967295
	s_addc_u32 s15, s15, (.LBB2_18232-.Lpost_getpc23451)>>32
	s_setpc_b64 s[14:15]
.LBB2_3894:
	s_or_b64 exec, exec, s[6:7]
	s_and_saveexec_b64 s[6:7], s[4:5]
	s_cbranch_execz .LBB2_3896
.LBB2_3895:
	v_bfe_u32 v6, v3, 16, 3
	v_ffbh_u32_e32 v14, v6
	v_min_u32_e32 v14, 32, v14
	v_lshrrev_b32_e32 v12, 19, v3
	v_subrev_u32_e32 v15, 28, v14
	v_and_b32_e32 v12, 15, v12
	v_lshlrev_b32_sdwa v15, v15, v3 dst_sel:DWORD dst_unused:UNUSED_PAD src0_sel:DWORD src1_sel:WORD_1
	v_bfe_u32 v13, v3, 19, 4
	v_sub_u32_e32 v14, 29, v14
	v_and_b32_e32 v15, 7, v15
	v_cmp_eq_u16_e32 vcc, 0, v12
	v_cndmask_b32_e32 v6, v6, v15, vcc
	v_cndmask_b32_e32 v12, v13, v14, vcc
	v_lshlrev_b32_e32 v13, 8, v3
	v_mov_b32_e32 v14, 0x3b800000
	v_lshlrev_b32_e32 v6, 20, v6
	v_and_b32_e32 v13, 0x80000000, v13
	v_lshl_add_u32 v12, v12, 23, v14
	v_or3_b32 v12, v13, v12, v6
.LBB2_3896:
	s_or_b64 exec, exec, s[6:7]
	s_nop 0
	v_mfma_f32_16x16x4f32 a[0:3], v2, v12, a[0:3]
	s_movk_i32 s4, 0x7f
	v_cmp_gt_i16_sdwa s[6:7], v7, s4 src0_sel:BYTE_3 src1_sel:DWORD
	s_mov_b64 s[4:5], 0
                                        ; implicit-def: $sgpr10
	s_and_saveexec_b64 s[8:9], s[6:7]
	s_xor_b64 s[6:7], exec, s[8:9]
	s_cbranch_execz .LBB2_3897
; %bb.39737:
	s_getpc_b64 s[14:15]
.Lpost_getpc23452:
	s_add_u32 s14, s14, (.LBB2_18233-.Lpost_getpc23452)&4294967295
	s_addc_u32 s15, s15, (.LBB2_18233-.Lpost_getpc23452)>>32
	s_setpc_b64 s[14:15]
.LBB2_3897:
	s_or_saveexec_b64 s[6:7], s[6:7]
	v_mov_b32_e32 v2, s10
	s_xor_b64 exec, exec, s[6:7]
	s_cbranch_execz .LBB2_3898
; %bb.39739:
	s_getpc_b64 s[14:15]
.Lpost_getpc23453:
	s_add_u32 s14, s14, (.LBB2_18236-.Lpost_getpc23453)&4294967295
	s_addc_u32 s15, s15, (.LBB2_18236-.Lpost_getpc23453)>>32
	s_setpc_b64 s[14:15]
.LBB2_3898:
	s_or_b64 exec, exec, s[6:7]
	s_and_saveexec_b64 s[6:7], s[4:5]
	s_cbranch_execz .LBB2_3900
.LBB2_3899:
	v_bfe_u32 v2, v7, 24, 3
	v_ffbh_u32_e32 v14, v2
	v_min_u32_e32 v14, 32, v14
	v_lshrrev_b32_e32 v12, 27, v7
	v_subrev_u32_e32 v15, 28, v14
	v_and_b32_e32 v6, 0x80000000, v7
	v_and_b32_e32 v12, 15, v12
	v_bfe_u32 v13, v7, 27, 4
	v_lshlrev_b32_sdwa v7, v15, v7 dst_sel:DWORD dst_unused:UNUSED_PAD src0_sel:DWORD src1_sel:BYTE_3
	v_sub_u32_e32 v14, 29, v14
	v_and_b32_e32 v7, 7, v7
	v_cmp_eq_u16_e32 vcc, 0, v12
	v_cndmask_b32_e32 v2, v2, v7, vcc
	v_cndmask_b32_e32 v7, v13, v14, vcc
	v_mov_b32_e32 v12, 0x3b800000
	v_lshlrev_b32_e32 v2, 20, v2
	v_lshl_add_u32 v7, v7, 23, v12
	v_or3_b32 v2, v6, v7, v2
.LBB2_3900:
	s_or_b64 exec, exec, s[6:7]
	s_movk_i32 s4, 0x7f
	v_cmp_gt_i16_sdwa s[6:7], v3, s4 src0_sel:BYTE_3 src1_sel:DWORD
	s_mov_b64 s[4:5], 0
                                        ; implicit-def: $sgpr10
	s_and_saveexec_b64 s[8:9], s[6:7]
	s_xor_b64 s[6:7], exec, s[8:9]
	s_cbranch_execz .LBB2_3901
; %bb.39741:
	s_getpc_b64 s[14:15]
.Lpost_getpc23454:
	s_add_u32 s14, s14, (.LBB2_18237-.Lpost_getpc23454)&4294967295
	s_addc_u32 s15, s15, (.LBB2_18237-.Lpost_getpc23454)>>32
	s_setpc_b64 s[14:15]
.LBB2_3901:
	s_or_saveexec_b64 s[6:7], s[6:7]
	v_mov_b32_e32 v6, s10
	s_xor_b64 exec, exec, s[6:7]
	s_cbranch_execz .LBB2_3902
; %bb.39743:
	s_getpc_b64 s[14:15]
.Lpost_getpc23455:
	s_add_u32 s14, s14, (.LBB2_18240-.Lpost_getpc23455)&4294967295
	s_addc_u32 s15, s15, (.LBB2_18240-.Lpost_getpc23455)>>32
	s_setpc_b64 s[14:15]
.LBB2_3902:
	s_or_b64 exec, exec, s[6:7]
	s_and_saveexec_b64 s[6:7], s[4:5]
	s_cbranch_execz .LBB2_3904
.LBB2_3903:
	v_bfe_u32 v6, v3, 24, 3
	v_ffbh_u32_e32 v14, v6
	v_min_u32_e32 v14, 32, v14
	v_lshrrev_b32_e32 v12, 27, v3
	v_subrev_u32_e32 v15, 28, v14
	v_and_b32_e32 v7, 0x80000000, v3
	v_and_b32_e32 v12, 15, v12
	v_bfe_u32 v13, v3, 27, 4
	v_lshlrev_b32_sdwa v3, v15, v3 dst_sel:DWORD dst_unused:UNUSED_PAD src0_sel:DWORD src1_sel:BYTE_3
	v_sub_u32_e32 v14, 29, v14
	v_and_b32_e32 v3, 7, v3
	v_cmp_eq_u16_e32 vcc, 0, v12
	v_cndmask_b32_e32 v3, v6, v3, vcc
	v_cndmask_b32_e32 v6, v13, v14, vcc
	v_mov_b32_e32 v12, 0x3b800000
	v_lshlrev_b32_e32 v3, 20, v3
	v_lshl_add_u32 v6, v6, 23, v12
	v_or3_b32 v6, v7, v6, v3
.LBB2_3904:
	s_or_b64 exec, exec, s[6:7]
	s_nop 0
	v_mfma_f32_16x16x4f32 a[0:3], v2, v6, a[0:3]
	s_movk_i32 s4, 0x7f
	v_cmp_gt_i16_sdwa s[6:7], v8, s4 src0_sel:BYTE_0 src1_sel:DWORD
	s_mov_b64 s[4:5], 0
                                        ; implicit-def: $sgpr10
	s_and_saveexec_b64 s[8:9], s[6:7]
	s_xor_b64 s[6:7], exec, s[8:9]
	s_cbranch_execz .LBB2_3905
; %bb.39745:
	s_getpc_b64 s[14:15]
.Lpost_getpc23456:
	s_add_u32 s14, s14, (.LBB2_18241-.Lpost_getpc23456)&4294967295
	s_addc_u32 s15, s15, (.LBB2_18241-.Lpost_getpc23456)>>32
	s_setpc_b64 s[14:15]
.LBB2_3905:
	s_or_saveexec_b64 s[6:7], s[6:7]
	v_mov_b32_e32 v2, s10
	s_xor_b64 exec, exec, s[6:7]
	s_cbranch_execz .LBB2_3906
; %bb.39747:
	s_getpc_b64 s[14:15]
.Lpost_getpc23457:
	s_add_u32 s14, s14, (.LBB2_18244-.Lpost_getpc23457)&4294967295
	s_addc_u32 s15, s15, (.LBB2_18244-.Lpost_getpc23457)>>32
	s_setpc_b64 s[14:15]
.LBB2_3906:
	s_or_b64 exec, exec, s[6:7]
	s_and_saveexec_b64 s[6:7], s[4:5]
	s_cbranch_execz .LBB2_3908
.LBB2_3907:
	v_and_b32_e32 v2, 7, v8
	v_ffbh_u32_e32 v6, v2
	v_min_u32_e32 v6, 32, v6
	v_lshrrev_b16_e32 v3, 3, v8
	v_subrev_u32_e32 v7, 28, v6
	v_and_b32_e32 v3, 15, v3
	v_lshlrev_b32_e32 v7, v7, v8
	v_sub_u32_e32 v6, 29, v6
	v_and_b32_e32 v7, 7, v7
	v_cmp_eq_u16_e32 vcc, 0, v3
	v_cndmask_b32_e32 v2, v2, v7, vcc
	v_cndmask_b32_e32 v3, v3, v6, vcc
	v_lshlrev_b32_e32 v6, 24, v8
	v_mov_b32_e32 v7, 0x3b800000
	v_lshlrev_b32_e32 v2, 20, v2
	v_and_b32_e32 v6, 0x80000000, v6
	v_lshl_add_u32 v3, v3, 23, v7
	v_or3_b32 v2, v6, v3, v2
.LBB2_3908:
	s_or_b64 exec, exec, s[6:7]
	s_movk_i32 s4, 0x7f
	v_cmp_gt_i16_sdwa s[6:7], v4, s4 src0_sel:BYTE_0 src1_sel:DWORD
	s_mov_b64 s[4:5], 0
                                        ; implicit-def: $sgpr10
	s_and_saveexec_b64 s[8:9], s[6:7]
	s_xor_b64 s[6:7], exec, s[8:9]
	s_cbranch_execz .LBB2_3909
; %bb.39749:
	s_getpc_b64 s[14:15]
.Lpost_getpc23458:
	s_add_u32 s14, s14, (.LBB2_18245-.Lpost_getpc23458)&4294967295
	s_addc_u32 s15, s15, (.LBB2_18245-.Lpost_getpc23458)>>32
	s_setpc_b64 s[14:15]
.LBB2_3909:
	s_or_saveexec_b64 s[6:7], s[6:7]
	v_mov_b32_e32 v3, s10
	s_xor_b64 exec, exec, s[6:7]
	s_cbranch_execz .LBB2_3910
; %bb.39751:
	s_getpc_b64 s[14:15]
.Lpost_getpc23459:
	s_add_u32 s14, s14, (.LBB2_18248-.Lpost_getpc23459)&4294967295
	s_addc_u32 s15, s15, (.LBB2_18248-.Lpost_getpc23459)>>32
	s_setpc_b64 s[14:15]
.LBB2_3910:
	s_or_b64 exec, exec, s[6:7]
	s_and_saveexec_b64 s[6:7], s[4:5]
	s_cbranch_execz .LBB2_3912
.LBB2_3911:
	v_and_b32_e32 v3, 7, v4
	v_ffbh_u32_e32 v7, v3
	v_min_u32_e32 v7, 32, v7
	v_lshrrev_b16_e32 v6, 3, v4
	v_subrev_u32_e32 v12, 28, v7
	v_and_b32_e32 v6, 15, v6
	v_lshlrev_b32_e32 v12, v12, v4
	v_sub_u32_e32 v7, 29, v7
	v_and_b32_e32 v12, 7, v12
	v_cmp_eq_u16_e32 vcc, 0, v6
	v_cndmask_b32_e32 v3, v3, v12, vcc
	v_cndmask_b32_e32 v6, v6, v7, vcc
	v_lshlrev_b32_e32 v7, 24, v4
	v_mov_b32_e32 v12, 0x3b800000
	v_lshlrev_b32_e32 v3, 20, v3
	v_and_b32_e32 v7, 0x80000000, v7
	v_lshl_add_u32 v6, v6, 23, v12
	v_or3_b32 v3, v7, v6, v3
.LBB2_3912:
	s_or_b64 exec, exec, s[6:7]
	s_nop 0
	v_mfma_f32_16x16x4f32 a[0:3], v2, v3, a[0:3]
	v_lshrrev_b32_e32 v3, 8, v8
	s_movk_i32 s4, 0x7f
	v_cmp_gt_i16_sdwa s[6:7], v3, s4 src0_sel:BYTE_0 src1_sel:DWORD
	s_mov_b64 s[4:5], 0
                                        ; implicit-def: $sgpr10
	s_and_saveexec_b64 s[8:9], s[6:7]
	s_xor_b64 s[6:7], exec, s[8:9]
	s_cbranch_execz .LBB2_3913
; %bb.39753:
	s_getpc_b64 s[14:15]
.Lpost_getpc23460:
	s_add_u32 s14, s14, (.LBB2_18249-.Lpost_getpc23460)&4294967295
	s_addc_u32 s15, s15, (.LBB2_18249-.Lpost_getpc23460)>>32
	s_setpc_b64 s[14:15]
.LBB2_3913:
	s_or_saveexec_b64 s[6:7], s[6:7]
	v_mov_b32_e32 v2, s10
	s_xor_b64 exec, exec, s[6:7]
	s_cbranch_execz .LBB2_3914
; %bb.39755:
	s_getpc_b64 s[14:15]
.Lpost_getpc23461:
	s_add_u32 s14, s14, (.LBB2_18252-.Lpost_getpc23461)&4294967295
	s_addc_u32 s15, s15, (.LBB2_18252-.Lpost_getpc23461)>>32
	s_setpc_b64 s[14:15]
.LBB2_3914:
	s_or_b64 exec, exec, s[6:7]
	s_and_saveexec_b64 s[6:7], s[4:5]
	s_cbranch_execz .LBB2_3916
.LBB2_3915:
	v_bfe_u32 v2, v8, 8, 3
	v_ffbh_u32_e32 v7, v2
	v_min_u32_e32 v7, 32, v7
	v_lshrrev_b16_e32 v6, 3, v3
	v_subrev_u32_e32 v12, 28, v7
	v_and_b32_e32 v6, 15, v6
	v_lshlrev_b32_e32 v3, v12, v3
	v_sub_u32_e32 v7, 29, v7
	v_and_b32_e32 v3, 7, v3
	v_cmp_eq_u16_e32 vcc, 0, v6
	v_cndmask_b32_e32 v2, v2, v3, vcc
	v_cndmask_b32_e32 v3, v6, v7, vcc
	v_lshlrev_b32_e32 v6, 16, v8
	v_mov_b32_e32 v7, 0x3b800000
	v_lshlrev_b32_e32 v2, 20, v2
	v_and_b32_e32 v6, 0x80000000, v6
	v_lshl_add_u32 v3, v3, 23, v7
	v_or3_b32 v2, v6, v3, v2
.LBB2_3916:
	s_or_b64 exec, exec, s[6:7]
	v_lshrrev_b32_e32 v3, 8, v4
	s_movk_i32 s4, 0x7f
	v_cmp_gt_i16_sdwa s[6:7], v3, s4 src0_sel:BYTE_0 src1_sel:DWORD
	s_mov_b64 s[4:5], 0
                                        ; implicit-def: $sgpr10
	s_and_saveexec_b64 s[8:9], s[6:7]
	s_xor_b64 s[6:7], exec, s[8:9]
	s_cbranch_execz .LBB2_3917
; %bb.39757:
	s_getpc_b64 s[14:15]
.Lpost_getpc23462:
	s_add_u32 s14, s14, (.LBB2_18253-.Lpost_getpc23462)&4294967295
	s_addc_u32 s15, s15, (.LBB2_18253-.Lpost_getpc23462)>>32
	s_setpc_b64 s[14:15]
.LBB2_3917:
	s_or_saveexec_b64 s[6:7], s[6:7]
	v_mov_b32_e32 v6, s10
	s_xor_b64 exec, exec, s[6:7]
	s_cbranch_execz .LBB2_3918
; %bb.39759:
	s_getpc_b64 s[14:15]
.Lpost_getpc23463:
	s_add_u32 s14, s14, (.LBB2_18256-.Lpost_getpc23463)&4294967295
	s_addc_u32 s15, s15, (.LBB2_18256-.Lpost_getpc23463)>>32
	s_setpc_b64 s[14:15]
.LBB2_3918:
	s_or_b64 exec, exec, s[6:7]
	s_and_saveexec_b64 s[6:7], s[4:5]
	s_cbranch_execz .LBB2_3920
.LBB2_3919:
	v_bfe_u32 v6, v4, 8, 3
	v_ffbh_u32_e32 v12, v6
	v_min_u32_e32 v12, 32, v12
	v_lshrrev_b16_e32 v7, 3, v3
	v_subrev_u32_e32 v13, 28, v12
	v_and_b32_e32 v7, 15, v7
	v_lshlrev_b32_e32 v3, v13, v3
	v_sub_u32_e32 v12, 29, v12
	v_and_b32_e32 v3, 7, v3
	v_cmp_eq_u16_e32 vcc, 0, v7
	v_cndmask_b32_e32 v3, v6, v3, vcc
	v_cndmask_b32_e32 v6, v7, v12, vcc
	v_lshlrev_b32_e32 v7, 16, v4
	v_mov_b32_e32 v12, 0x3b800000
	v_lshlrev_b32_e32 v3, 20, v3
	v_and_b32_e32 v7, 0x80000000, v7
	v_lshl_add_u32 v6, v6, 23, v12
	v_or3_b32 v6, v7, v6, v3
.LBB2_3920:
	s_or_b64 exec, exec, s[6:7]
	s_nop 0
	v_mfma_f32_16x16x4f32 a[0:3], v2, v6, a[0:3]
	s_movk_i32 s4, 0xff
	v_and_b32_sdwa v3, v8, s4 dst_sel:DWORD dst_unused:UNUSED_PAD src0_sel:WORD_1 src1_sel:DWORD
	s_movk_i32 s4, 0x7f
	v_cmp_lt_i16_e32 vcc, s4, v3
	s_mov_b64 s[4:5], 0
                                        ; implicit-def: $sgpr10
	s_and_saveexec_b64 s[6:7], vcc
	s_xor_b64 s[6:7], exec, s[6:7]
	s_cbranch_execz .LBB2_3921
; %bb.39761:
	s_getpc_b64 s[14:15]
.Lpost_getpc23464:
	s_add_u32 s14, s14, (.LBB2_18257-.Lpost_getpc23464)&4294967295
	s_addc_u32 s15, s15, (.LBB2_18257-.Lpost_getpc23464)>>32
	s_setpc_b64 s[14:15]
.LBB2_3921:
	s_or_saveexec_b64 s[6:7], s[6:7]
	v_mov_b32_e32 v2, s10
	s_xor_b64 exec, exec, s[6:7]
	s_cbranch_execz .LBB2_3922
; %bb.39763:
	s_getpc_b64 s[14:15]
.Lpost_getpc23465:
	s_add_u32 s14, s14, (.LBB2_18260-.Lpost_getpc23465)&4294967295
	s_addc_u32 s15, s15, (.LBB2_18260-.Lpost_getpc23465)>>32
	s_setpc_b64 s[14:15]
.LBB2_3922:
	s_or_b64 exec, exec, s[6:7]
	s_and_saveexec_b64 s[6:7], s[4:5]
	s_cbranch_execz .LBB2_3924
.LBB2_3923:
	v_bfe_u32 v2, v8, 16, 3
	v_ffbh_u32_e32 v7, v2
	v_min_u32_e32 v7, 32, v7
	v_lshrrev_b32_e32 v3, 19, v8
	v_subrev_u32_e32 v12, 28, v7
	v_and_b32_e32 v3, 15, v3
	v_lshlrev_b32_sdwa v12, v12, v8 dst_sel:DWORD dst_unused:UNUSED_PAD src0_sel:DWORD src1_sel:WORD_1
	v_bfe_u32 v6, v8, 19, 4
	v_sub_u32_e32 v7, 29, v7
	v_and_b32_e32 v12, 7, v12
	v_cmp_eq_u16_e32 vcc, 0, v3
	v_cndmask_b32_e32 v2, v2, v12, vcc
	v_cndmask_b32_e32 v3, v6, v7, vcc
	v_lshlrev_b32_e32 v6, 8, v8
	v_mov_b32_e32 v7, 0x3b800000
	v_lshlrev_b32_e32 v2, 20, v2
	v_and_b32_e32 v6, 0x80000000, v6
	v_lshl_add_u32 v3, v3, 23, v7
	v_or3_b32 v2, v6, v3, v2
.LBB2_3924:
	s_or_b64 exec, exec, s[6:7]
	s_movk_i32 s4, 0xff
	v_and_b32_sdwa v3, v4, s4 dst_sel:DWORD dst_unused:UNUSED_PAD src0_sel:WORD_1 src1_sel:DWORD
	s_movk_i32 s4, 0x7f
	v_cmp_lt_i16_e32 vcc, s4, v3
	s_mov_b64 s[4:5], 0
                                        ; implicit-def: $sgpr10
	s_and_saveexec_b64 s[6:7], vcc
	s_xor_b64 s[6:7], exec, s[6:7]
	s_cbranch_execz .LBB2_3925
; %bb.39765:
	s_getpc_b64 s[14:15]
.Lpost_getpc23466:
	s_add_u32 s14, s14, (.LBB2_18261-.Lpost_getpc23466)&4294967295
	s_addc_u32 s15, s15, (.LBB2_18261-.Lpost_getpc23466)>>32
	s_setpc_b64 s[14:15]
.LBB2_3925:
	s_or_saveexec_b64 s[6:7], s[6:7]
	v_mov_b32_e32 v6, s10
	s_xor_b64 exec, exec, s[6:7]
	s_cbranch_execz .LBB2_3926
; %bb.39767:
	s_getpc_b64 s[14:15]
.Lpost_getpc23467:
	s_add_u32 s14, s14, (.LBB2_18264-.Lpost_getpc23467)&4294967295
	s_addc_u32 s15, s15, (.LBB2_18264-.Lpost_getpc23467)>>32
	s_setpc_b64 s[14:15]
.LBB2_3926:
	s_or_b64 exec, exec, s[6:7]
	s_and_saveexec_b64 s[6:7], s[4:5]
	s_cbranch_execz .LBB2_3928
.LBB2_3927:
	v_bfe_u32 v3, v4, 16, 3
	v_ffbh_u32_e32 v12, v3
	v_min_u32_e32 v12, 32, v12
	v_lshrrev_b32_e32 v6, 19, v4
	v_subrev_u32_e32 v13, 28, v12
	v_and_b32_e32 v6, 15, v6
	v_lshlrev_b32_sdwa v13, v13, v4 dst_sel:DWORD dst_unused:UNUSED_PAD src0_sel:DWORD src1_sel:WORD_1
	v_bfe_u32 v7, v4, 19, 4
	v_sub_u32_e32 v12, 29, v12
	v_and_b32_e32 v13, 7, v13
	v_cmp_eq_u16_e32 vcc, 0, v6
	v_cndmask_b32_e32 v3, v3, v13, vcc
	v_cndmask_b32_e32 v6, v7, v12, vcc
	v_lshlrev_b32_e32 v7, 8, v4
	v_mov_b32_e32 v12, 0x3b800000
	v_lshlrev_b32_e32 v3, 20, v3
	v_and_b32_e32 v7, 0x80000000, v7
	v_lshl_add_u32 v6, v6, 23, v12
	v_or3_b32 v6, v7, v6, v3
.LBB2_3928:
	s_or_b64 exec, exec, s[6:7]
	s_nop 0
	v_mfma_f32_16x16x4f32 a[0:3], v2, v6, a[0:3]
	s_movk_i32 s4, 0x7f
	v_cmp_gt_i16_sdwa s[6:7], v8, s4 src0_sel:BYTE_3 src1_sel:DWORD
	s_mov_b64 s[4:5], 0
                                        ; implicit-def: $sgpr10
	s_and_saveexec_b64 s[8:9], s[6:7]
	s_xor_b64 s[6:7], exec, s[8:9]
	s_cbranch_execz .LBB2_3929
; %bb.39769:
	s_getpc_b64 s[14:15]
.Lpost_getpc23468:
	s_add_u32 s14, s14, (.LBB2_18265-.Lpost_getpc23468)&4294967295
	s_addc_u32 s15, s15, (.LBB2_18265-.Lpost_getpc23468)>>32
	s_setpc_b64 s[14:15]
.LBB2_3929:
	s_or_saveexec_b64 s[6:7], s[6:7]
	v_mov_b32_e32 v2, s10
	s_xor_b64 exec, exec, s[6:7]
	s_cbranch_execz .LBB2_3930
; %bb.39771:
	s_getpc_b64 s[14:15]
.Lpost_getpc23469:
	s_add_u32 s14, s14, (.LBB2_18268-.Lpost_getpc23469)&4294967295
	s_addc_u32 s15, s15, (.LBB2_18268-.Lpost_getpc23469)>>32
	s_setpc_b64 s[14:15]
.LBB2_3930:
	s_or_b64 exec, exec, s[6:7]
	s_and_saveexec_b64 s[6:7], s[4:5]
	s_cbranch_execz .LBB2_3932
.LBB2_3931:
	v_bfe_u32 v2, v8, 24, 3
	v_ffbh_u32_e32 v12, v2
	v_min_u32_e32 v12, 32, v12
	v_lshrrev_b32_e32 v6, 27, v8
	v_subrev_u32_e32 v13, 28, v12
	v_and_b32_e32 v3, 0x80000000, v8
	v_and_b32_e32 v6, 15, v6
	v_bfe_u32 v7, v8, 27, 4
	v_lshlrev_b32_sdwa v8, v13, v8 dst_sel:DWORD dst_unused:UNUSED_PAD src0_sel:DWORD src1_sel:BYTE_3
	v_sub_u32_e32 v12, 29, v12
	v_and_b32_e32 v8, 7, v8
	v_cmp_eq_u16_e32 vcc, 0, v6
	v_cndmask_b32_e32 v2, v2, v8, vcc
	v_cndmask_b32_e32 v6, v7, v12, vcc
	v_mov_b32_e32 v7, 0x3b800000
	v_lshlrev_b32_e32 v2, 20, v2
	v_lshl_add_u32 v6, v6, 23, v7
	v_or3_b32 v2, v3, v6, v2
.LBB2_3932:
	s_or_b64 exec, exec, s[6:7]
	s_movk_i32 s4, 0x7f
	v_cmp_gt_i16_sdwa s[6:7], v4, s4 src0_sel:BYTE_3 src1_sel:DWORD
	s_mov_b64 s[4:5], 0
                                        ; implicit-def: $sgpr10
	s_and_saveexec_b64 s[8:9], s[6:7]
	s_xor_b64 s[6:7], exec, s[8:9]
	s_cbranch_execz .LBB2_3933
; %bb.39773:
	s_getpc_b64 s[14:15]
.Lpost_getpc23470:
	s_add_u32 s14, s14, (.LBB2_18269-.Lpost_getpc23470)&4294967295
	s_addc_u32 s15, s15, (.LBB2_18269-.Lpost_getpc23470)>>32
	s_setpc_b64 s[14:15]
.LBB2_3933:
	s_or_saveexec_b64 s[6:7], s[6:7]
	v_mov_b32_e32 v3, s10
	s_xor_b64 exec, exec, s[6:7]
	s_cbranch_execz .LBB2_3934
; %bb.39775:
	s_getpc_b64 s[14:15]
.Lpost_getpc23471:
	s_add_u32 s14, s14, (.LBB2_18272-.Lpost_getpc23471)&4294967295
	s_addc_u32 s15, s15, (.LBB2_18272-.Lpost_getpc23471)>>32
	s_setpc_b64 s[14:15]
.LBB2_3934:
	s_or_b64 exec, exec, s[6:7]
	s_and_saveexec_b64 s[6:7], s[4:5]
	s_cbranch_execz .LBB2_3936
.LBB2_3935:
	v_bfe_u32 v3, v4, 24, 3
	v_ffbh_u32_e32 v12, v3
	v_min_u32_e32 v12, 32, v12
	v_lshrrev_b32_e32 v7, 27, v4
	v_subrev_u32_e32 v13, 28, v12
	v_and_b32_e32 v6, 0x80000000, v4
	v_and_b32_e32 v7, 15, v7
	v_bfe_u32 v8, v4, 27, 4
	v_lshlrev_b32_sdwa v4, v13, v4 dst_sel:DWORD dst_unused:UNUSED_PAD src0_sel:DWORD src1_sel:BYTE_3
	v_sub_u32_e32 v12, 29, v12
	v_and_b32_e32 v4, 7, v4
	v_cmp_eq_u16_e32 vcc, 0, v7
	v_cndmask_b32_e32 v3, v3, v4, vcc
	v_cndmask_b32_e32 v4, v8, v12, vcc
	v_mov_b32_e32 v7, 0x3b800000
	v_lshlrev_b32_e32 v3, 20, v3
	v_lshl_add_u32 v4, v4, 23, v7
	v_or3_b32 v3, v6, v4, v3
.LBB2_3936:
	s_or_b64 exec, exec, s[6:7]
	s_nop 0
	v_mfma_f32_16x16x4f32 a[0:3], v2, v3, a[0:3]
	s_movk_i32 s4, 0x7f
	v_cmp_gt_i16_sdwa s[6:7], v9, s4 src0_sel:BYTE_0 src1_sel:DWORD
	s_mov_b64 s[4:5], 0
                                        ; implicit-def: $sgpr10
	s_and_saveexec_b64 s[8:9], s[6:7]
	s_xor_b64 s[6:7], exec, s[8:9]
	s_cbranch_execz .LBB2_3937
; %bb.39777:
	s_getpc_b64 s[14:15]
.Lpost_getpc23472:
	s_add_u32 s14, s14, (.LBB2_18273-.Lpost_getpc23472)&4294967295
	s_addc_u32 s15, s15, (.LBB2_18273-.Lpost_getpc23472)>>32
	s_setpc_b64 s[14:15]
.LBB2_3937:
	s_or_saveexec_b64 s[6:7], s[6:7]
	v_mov_b32_e32 v2, s10
	s_xor_b64 exec, exec, s[6:7]
	s_cbranch_execz .LBB2_3938
; %bb.39779:
	s_getpc_b64 s[14:15]
.Lpost_getpc23473:
	s_add_u32 s14, s14, (.LBB2_18276-.Lpost_getpc23473)&4294967295
	s_addc_u32 s15, s15, (.LBB2_18276-.Lpost_getpc23473)>>32
	s_setpc_b64 s[14:15]
.LBB2_3938:
	s_or_b64 exec, exec, s[6:7]
	s_and_saveexec_b64 s[6:7], s[4:5]
	s_cbranch_execz .LBB2_3940
.LBB2_3939:
	v_mov_b32_e32 v2, 8
	v_and_b32_e32 v3, 7, v9
	v_lshrrev_b32_sdwa v2, v2, v9 dst_sel:BYTE_1 dst_unused:UNUSED_PAD src0_sel:DWORD src1_sel:DWORD
	v_ffbh_u32_e32 v4, v3
	v_or_b32_sdwa v2, v9, v2 dst_sel:DWORD dst_unused:UNUSED_PAD src0_sel:BYTE_0 src1_sel:DWORD
	v_min_u32_e32 v4, 32, v4
	v_lshrrev_b16_e32 v2, 3, v2
	v_subrev_u32_e32 v6, 28, v4
	v_and_b32_e32 v2, 15, v2
	v_lshlrev_b32_e32 v6, v6, v9
	v_sub_u32_e32 v4, 29, v4
	v_and_b32_e32 v6, 7, v6
	v_cmp_eq_u16_e32 vcc, 0, v2
	v_cndmask_b32_e32 v3, v3, v6, vcc
	v_cndmask_b32_e32 v2, v2, v4, vcc
	v_lshlrev_b32_e32 v4, 24, v9
	v_mov_b32_e32 v6, 0x3b800000
	v_lshlrev_b32_e32 v3, 20, v3
	v_and_b32_e32 v4, 0x80000000, v4
	v_lshl_add_u32 v2, v2, 23, v6
	v_or3_b32 v2, v4, v2, v3
.LBB2_3940:
	s_or_b64 exec, exec, s[6:7]
	s_movk_i32 s4, 0x7f
	v_cmp_gt_i16_sdwa s[6:7], v5, s4 src0_sel:BYTE_0 src1_sel:DWORD
	s_mov_b64 s[4:5], 0
                                        ; implicit-def: $sgpr10
	s_and_saveexec_b64 s[8:9], s[6:7]
	s_xor_b64 s[6:7], exec, s[8:9]
	s_cbranch_execz .LBB2_3941
; %bb.39781:
	s_getpc_b64 s[14:15]
.Lpost_getpc23474:
	s_add_u32 s14, s14, (.LBB2_18277-.Lpost_getpc23474)&4294967295
	s_addc_u32 s15, s15, (.LBB2_18277-.Lpost_getpc23474)>>32
	s_setpc_b64 s[14:15]
.LBB2_3941:
	s_or_saveexec_b64 s[6:7], s[6:7]
	v_mov_b32_e32 v3, s10
	s_xor_b64 exec, exec, s[6:7]
	s_cbranch_execz .LBB2_3942
; %bb.39783:
	s_getpc_b64 s[14:15]
.Lpost_getpc23475:
	s_add_u32 s14, s14, (.LBB2_18280-.Lpost_getpc23475)&4294967295
	s_addc_u32 s15, s15, (.LBB2_18280-.Lpost_getpc23475)>>32
	s_setpc_b64 s[14:15]
.LBB2_3942:
	s_or_b64 exec, exec, s[6:7]
	s_and_saveexec_b64 s[6:7], s[4:5]
	s_cbranch_execz .LBB2_3944
.LBB2_3943:
	v_mov_b32_e32 v3, 8
	v_and_b32_e32 v4, 7, v5
	v_lshrrev_b32_sdwa v3, v3, v5 dst_sel:BYTE_1 dst_unused:UNUSED_PAD src0_sel:DWORD src1_sel:DWORD
	v_ffbh_u32_e32 v6, v4
	v_or_b32_sdwa v3, v5, v3 dst_sel:DWORD dst_unused:UNUSED_PAD src0_sel:BYTE_0 src1_sel:DWORD
	v_min_u32_e32 v6, 32, v6
	v_lshrrev_b16_e32 v3, 3, v3
	v_subrev_u32_e32 v7, 28, v6
	v_and_b32_e32 v3, 15, v3
	v_lshlrev_b32_e32 v7, v7, v5
	v_sub_u32_e32 v6, 29, v6
	v_and_b32_e32 v7, 7, v7
	v_cmp_eq_u16_e32 vcc, 0, v3
	v_cndmask_b32_e32 v4, v4, v7, vcc
	v_cndmask_b32_e32 v3, v3, v6, vcc
	v_lshlrev_b32_e32 v6, 24, v5
	v_mov_b32_e32 v7, 0x3b800000
	v_lshlrev_b32_e32 v4, 20, v4
	v_and_b32_e32 v6, 0x80000000, v6
	v_lshl_add_u32 v3, v3, 23, v7
	v_or3_b32 v3, v6, v3, v4
.LBB2_3944:
	s_or_b64 exec, exec, s[6:7]
	s_nop 0
	v_mfma_f32_16x16x4f32 a[0:3], v2, v3, a[0:3]
	v_lshrrev_b32_e32 v3, 8, v9
	s_movk_i32 s4, 0x7f
	v_cmp_gt_i16_sdwa s[6:7], v3, s4 src0_sel:BYTE_0 src1_sel:DWORD
	s_mov_b64 s[4:5], 0
                                        ; implicit-def: $sgpr10
	s_and_saveexec_b64 s[8:9], s[6:7]
	s_xor_b64 s[6:7], exec, s[8:9]
	s_cbranch_execz .LBB2_3945
; %bb.39785:
	s_getpc_b64 s[14:15]
.Lpost_getpc23476:
	s_add_u32 s14, s14, (.LBB2_18281-.Lpost_getpc23476)&4294967295
	s_addc_u32 s15, s15, (.LBB2_18281-.Lpost_getpc23476)>>32
	s_setpc_b64 s[14:15]
.LBB2_3945:
	s_or_saveexec_b64 s[6:7], s[6:7]
	v_mov_b32_e32 v2, s10
	s_xor_b64 exec, exec, s[6:7]
	s_cbranch_execz .LBB2_3946
; %bb.39787:
	s_getpc_b64 s[14:15]
.Lpost_getpc23477:
	s_add_u32 s14, s14, (.LBB2_18284-.Lpost_getpc23477)&4294967295
	s_addc_u32 s15, s15, (.LBB2_18284-.Lpost_getpc23477)>>32
	s_setpc_b64 s[14:15]
.LBB2_3946:
	s_or_b64 exec, exec, s[6:7]
	s_and_saveexec_b64 s[6:7], s[4:5]
	s_cbranch_execz .LBB2_3948
.LBB2_3947:
	v_bfe_u32 v2, v9, 8, 3
	v_ffbh_u32_e32 v6, v2
	v_min_u32_e32 v6, 32, v6
	v_lshrrev_b16_e32 v4, 3, v3
	v_subrev_u32_e32 v7, 28, v6
	v_and_b32_e32 v4, 15, v4
	v_lshlrev_b32_e32 v3, v7, v3
	v_sub_u32_e32 v6, 29, v6
	v_and_b32_e32 v3, 7, v3
	v_cmp_eq_u16_e32 vcc, 0, v4
	v_cndmask_b32_e32 v2, v2, v3, vcc
	v_cndmask_b32_e32 v3, v4, v6, vcc
	v_lshlrev_b32_e32 v4, 16, v9
	v_mov_b32_e32 v6, 0x3b800000
	v_lshlrev_b32_e32 v2, 20, v2
	v_and_b32_e32 v4, 0x80000000, v4
	v_lshl_add_u32 v3, v3, 23, v6
	v_or3_b32 v2, v4, v3, v2
.LBB2_3948:
	s_or_b64 exec, exec, s[6:7]
	v_lshrrev_b32_e32 v3, 8, v5
	s_movk_i32 s4, 0x7f
	v_cmp_gt_i16_sdwa s[6:7], v3, s4 src0_sel:BYTE_0 src1_sel:DWORD
	s_mov_b64 s[4:5], 0
                                        ; implicit-def: $sgpr10
	s_and_saveexec_b64 s[8:9], s[6:7]
	s_xor_b64 s[6:7], exec, s[8:9]
	s_cbranch_execz .LBB2_3949
; %bb.39789:
	s_getpc_b64 s[14:15]
.Lpost_getpc23478:
	s_add_u32 s14, s14, (.LBB2_18285-.Lpost_getpc23478)&4294967295
	s_addc_u32 s15, s15, (.LBB2_18285-.Lpost_getpc23478)>>32
	s_setpc_b64 s[14:15]
.LBB2_3949:
	s_or_saveexec_b64 s[6:7], s[6:7]
	v_mov_b32_e32 v4, s10
	s_xor_b64 exec, exec, s[6:7]
	s_cbranch_execz .LBB2_3950
; %bb.39791:
	s_getpc_b64 s[14:15]
.Lpost_getpc23479:
	s_add_u32 s14, s14, (.LBB2_18288-.Lpost_getpc23479)&4294967295
	s_addc_u32 s15, s15, (.LBB2_18288-.Lpost_getpc23479)>>32
	s_setpc_b64 s[14:15]
.LBB2_3950:
	s_or_b64 exec, exec, s[6:7]
	s_and_saveexec_b64 s[6:7], s[4:5]
	s_cbranch_execz .LBB2_3952
.LBB2_3951:
	v_bfe_u32 v4, v5, 8, 3
	v_ffbh_u32_e32 v7, v4
	v_min_u32_e32 v7, 32, v7
	v_lshrrev_b16_e32 v6, 3, v3
	v_subrev_u32_e32 v8, 28, v7
	v_and_b32_e32 v6, 15, v6
	v_lshlrev_b32_e32 v3, v8, v3
	v_sub_u32_e32 v7, 29, v7
	v_and_b32_e32 v3, 7, v3
	v_cmp_eq_u16_e32 vcc, 0, v6
	v_cndmask_b32_e32 v3, v4, v3, vcc
	v_cndmask_b32_e32 v4, v6, v7, vcc
	v_lshlrev_b32_e32 v6, 16, v5
	v_mov_b32_e32 v7, 0x3b800000
	v_lshlrev_b32_e32 v3, 20, v3
	v_and_b32_e32 v6, 0x80000000, v6
	v_lshl_add_u32 v4, v4, 23, v7
	v_or3_b32 v4, v6, v4, v3
.LBB2_3952:
	s_or_b64 exec, exec, s[6:7]
	s_nop 0
	v_mfma_f32_16x16x4f32 a[0:3], v2, v4, a[0:3]
	s_movk_i32 s4, 0xff
	v_and_b32_sdwa v3, v9, s4 dst_sel:DWORD dst_unused:UNUSED_PAD src0_sel:WORD_1 src1_sel:DWORD
	s_movk_i32 s4, 0x7f
	v_cmp_lt_i16_e32 vcc, s4, v3
	s_mov_b64 s[4:5], 0
                                        ; implicit-def: $sgpr10
	s_and_saveexec_b64 s[6:7], vcc
	s_xor_b64 s[6:7], exec, s[6:7]
	s_cbranch_execz .LBB2_3953
; %bb.39793:
	s_getpc_b64 s[14:15]
.Lpost_getpc23480:
	s_add_u32 s14, s14, (.LBB2_18289-.Lpost_getpc23480)&4294967295
	s_addc_u32 s15, s15, (.LBB2_18289-.Lpost_getpc23480)>>32
	s_setpc_b64 s[14:15]
.LBB2_3953:
	s_or_saveexec_b64 s[6:7], s[6:7]
	v_mov_b32_e32 v2, s10
	s_xor_b64 exec, exec, s[6:7]
	s_cbranch_execz .LBB2_3954
; %bb.39795:
	s_getpc_b64 s[14:15]
.Lpost_getpc23481:
	s_add_u32 s14, s14, (.LBB2_18292-.Lpost_getpc23481)&4294967295
	s_addc_u32 s15, s15, (.LBB2_18292-.Lpost_getpc23481)>>32
	s_setpc_b64 s[14:15]
.LBB2_3954:
	s_or_b64 exec, exec, s[6:7]
	s_and_saveexec_b64 s[6:7], s[4:5]
	s_cbranch_execz .LBB2_3956
.LBB2_3955:
	v_bfe_u32 v2, v9, 16, 3
	v_ffbh_u32_e32 v6, v2
	v_min_u32_e32 v6, 32, v6
	v_lshrrev_b32_e32 v3, 19, v9
	v_subrev_u32_e32 v7, 28, v6
	v_and_b32_e32 v3, 15, v3
	v_lshlrev_b32_sdwa v7, v7, v9 dst_sel:DWORD dst_unused:UNUSED_PAD src0_sel:DWORD src1_sel:WORD_1
	v_bfe_u32 v4, v9, 19, 4
	v_sub_u32_e32 v6, 29, v6
	v_and_b32_e32 v7, 7, v7
	v_cmp_eq_u16_e32 vcc, 0, v3
	v_cndmask_b32_e32 v2, v2, v7, vcc
	v_cndmask_b32_e32 v3, v4, v6, vcc
	v_lshlrev_b32_e32 v4, 8, v9
	v_mov_b32_e32 v6, 0x3b800000
	v_lshlrev_b32_e32 v2, 20, v2
	v_and_b32_e32 v4, 0x80000000, v4
	v_lshl_add_u32 v3, v3, 23, v6
	v_or3_b32 v2, v4, v3, v2
.LBB2_3956:
	s_or_b64 exec, exec, s[6:7]
	s_movk_i32 s4, 0xff
	v_and_b32_sdwa v3, v5, s4 dst_sel:DWORD dst_unused:UNUSED_PAD src0_sel:WORD_1 src1_sel:DWORD
	s_movk_i32 s4, 0x7f
	v_cmp_lt_i16_e32 vcc, s4, v3
	s_mov_b64 s[4:5], 0
                                        ; implicit-def: $sgpr10
	s_and_saveexec_b64 s[6:7], vcc
	s_xor_b64 s[6:7], exec, s[6:7]
	s_cbranch_execz .LBB2_3957
; %bb.39797:
	s_getpc_b64 s[14:15]
.Lpost_getpc23482:
	s_add_u32 s14, s14, (.LBB2_18293-.Lpost_getpc23482)&4294967295
	s_addc_u32 s15, s15, (.LBB2_18293-.Lpost_getpc23482)>>32
	s_setpc_b64 s[14:15]
.LBB2_3957:
	s_or_saveexec_b64 s[6:7], s[6:7]
	v_mov_b32_e32 v4, s10
	s_xor_b64 exec, exec, s[6:7]
	s_cbranch_execz .LBB2_3958
; %bb.39799:
	s_getpc_b64 s[14:15]
.Lpost_getpc23483:
	s_add_u32 s14, s14, (.LBB2_18296-.Lpost_getpc23483)&4294967295
	s_addc_u32 s15, s15, (.LBB2_18296-.Lpost_getpc23483)>>32
	s_setpc_b64 s[14:15]
.LBB2_3958:
	s_or_b64 exec, exec, s[6:7]
	s_and_saveexec_b64 s[6:7], s[4:5]
	s_cbranch_execz .LBB2_3960
.LBB2_3959:
	v_bfe_u32 v3, v5, 16, 3
	v_ffbh_u32_e32 v7, v3
	v_min_u32_e32 v7, 32, v7
	v_lshrrev_b32_e32 v4, 19, v5
	v_subrev_u32_e32 v8, 28, v7
	v_and_b32_e32 v4, 15, v4
	v_lshlrev_b32_sdwa v8, v8, v5 dst_sel:DWORD dst_unused:UNUSED_PAD src0_sel:DWORD src1_sel:WORD_1
	v_bfe_u32 v6, v5, 19, 4
	v_sub_u32_e32 v7, 29, v7
	v_and_b32_e32 v8, 7, v8
	v_cmp_eq_u16_e32 vcc, 0, v4
	v_cndmask_b32_e32 v3, v3, v8, vcc
	v_cndmask_b32_e32 v4, v6, v7, vcc
	v_lshlrev_b32_e32 v6, 8, v5
	v_mov_b32_e32 v7, 0x3b800000
	v_lshlrev_b32_e32 v3, 20, v3
	v_and_b32_e32 v6, 0x80000000, v6
	v_lshl_add_u32 v4, v4, 23, v7
	v_or3_b32 v4, v6, v4, v3
.LBB2_3960:
	s_or_b64 exec, exec, s[6:7]
	s_nop 0
	v_mfma_f32_16x16x4f32 a[0:3], v2, v4, a[0:3]
	s_movk_i32 s4, 0x7f
	v_cmp_gt_i16_sdwa s[6:7], v9, s4 src0_sel:BYTE_3 src1_sel:DWORD
	s_mov_b64 s[4:5], 0
                                        ; implicit-def: $sgpr10
	s_and_saveexec_b64 s[8:9], s[6:7]
	s_xor_b64 s[6:7], exec, s[8:9]
	s_cbranch_execz .LBB2_3961
; %bb.39801:
	s_getpc_b64 s[14:15]
.Lpost_getpc23484:
	s_add_u32 s14, s14, (.LBB2_18297-.Lpost_getpc23484)&4294967295
	s_addc_u32 s15, s15, (.LBB2_18297-.Lpost_getpc23484)>>32
	s_setpc_b64 s[14:15]
.LBB2_3961:
	s_or_saveexec_b64 s[6:7], s[6:7]
	v_mov_b32_e32 v2, s10
	s_xor_b64 exec, exec, s[6:7]
	s_cbranch_execz .LBB2_3962
; %bb.39803:
	s_getpc_b64 s[14:15]
.Lpost_getpc23485:
	s_add_u32 s14, s14, (.LBB2_18300-.Lpost_getpc23485)&4294967295
	s_addc_u32 s15, s15, (.LBB2_18300-.Lpost_getpc23485)>>32
	s_setpc_b64 s[14:15]
.LBB2_3962:
	s_or_b64 exec, exec, s[6:7]
	s_and_saveexec_b64 s[6:7], s[4:5]
	s_cbranch_execz .LBB2_3964
.LBB2_3963:
	v_bfe_u32 v2, v9, 24, 3
	v_ffbh_u32_e32 v7, v2
	v_min_u32_e32 v7, 32, v7
	v_lshrrev_b32_e32 v4, 27, v9
	v_subrev_u32_e32 v8, 28, v7
	v_and_b32_e32 v4, 15, v4
	v_lshlrev_b32_sdwa v8, v8, v9 dst_sel:DWORD dst_unused:UNUSED_PAD src0_sel:DWORD src1_sel:BYTE_3
	v_bfe_u32 v6, v9, 27, 4
	v_sub_u32_e32 v7, 29, v7
	v_and_b32_e32 v8, 7, v8
	v_cmp_eq_u16_e32 vcc, 0, v4
	v_cndmask_b32_e32 v2, v2, v8, vcc
	v_cndmask_b32_e32 v4, v6, v7, vcc
	v_mov_b32_e32 v6, 0x3b800000
	v_and_b32_e32 v3, 0x80000000, v9
	v_lshlrev_b32_e32 v2, 20, v2
	v_lshl_add_u32 v4, v4, 23, v6
	v_or3_b32 v2, v3, v4, v2
.LBB2_3964:
	s_or_b64 exec, exec, s[6:7]
	s_movk_i32 s4, 0x7f
	v_cmp_gt_i16_sdwa s[6:7], v5, s4 src0_sel:BYTE_3 src1_sel:DWORD
	s_mov_b64 s[4:5], 0
                                        ; implicit-def: $sgpr10
	s_and_saveexec_b64 s[8:9], s[6:7]
	s_xor_b64 s[6:7], exec, s[8:9]
	s_cbranch_execz .LBB2_3965
; %bb.39805:
	s_getpc_b64 s[14:15]
.Lpost_getpc23486:
	s_add_u32 s14, s14, (.LBB2_18301-.Lpost_getpc23486)&4294967295
	s_addc_u32 s15, s15, (.LBB2_18301-.Lpost_getpc23486)>>32
	s_setpc_b64 s[14:15]
.LBB2_3965:
	s_or_saveexec_b64 s[6:7], s[6:7]
	v_mov_b32_e32 v3, s10
	s_xor_b64 exec, exec, s[6:7]
	s_cbranch_execz .LBB2_3966
; %bb.39807:
	s_getpc_b64 s[14:15]
.Lpost_getpc23487:
	s_add_u32 s14, s14, (.LBB2_18304-.Lpost_getpc23487)&4294967295
	s_addc_u32 s15, s15, (.LBB2_18304-.Lpost_getpc23487)>>32
	s_setpc_b64 s[14:15]
.LBB2_3966:
	s_or_b64 exec, exec, s[6:7]
	s_and_saveexec_b64 s[6:7], s[4:5]
	s_cbranch_execz .LBB2_3968
.LBB2_3967:
	v_bfe_u32 v3, v5, 24, 3
	v_ffbh_u32_e32 v8, v3
	v_min_u32_e32 v8, 32, v8
	v_lshrrev_b32_e32 v6, 27, v5
	v_subrev_u32_e32 v9, 28, v8
	v_and_b32_e32 v4, 0x80000000, v5
	v_and_b32_e32 v6, 15, v6
	v_bfe_u32 v7, v5, 27, 4
	v_lshlrev_b32_sdwa v5, v9, v5 dst_sel:DWORD dst_unused:UNUSED_PAD src0_sel:DWORD src1_sel:BYTE_3
	v_sub_u32_e32 v8, 29, v8
	v_and_b32_e32 v5, 7, v5
	v_cmp_eq_u16_e32 vcc, 0, v6
	v_cndmask_b32_e32 v3, v3, v5, vcc
	v_cndmask_b32_e32 v5, v7, v8, vcc
	v_mov_b32_e32 v6, 0x3b800000
	v_lshlrev_b32_e32 v3, 20, v3
	v_lshl_add_u32 v5, v5, 23, v6
	v_or3_b32 v3, v4, v5, v3
.LBB2_3968:
	s_or_b64 exec, exec, s[6:7]
	s_nop 0
	v_mfma_f32_16x16x4f32 a[0:3], v2, v3, a[0:3]
	s_movk_i32 s4, 0x7f
                                        ; implicit-def: $sgpr10
	s_nop 7
	s_nop 1
	flat_store_dwordx4 v[10:11], a[0:3] offset:480
	flat_load_dwordx4 v[12:15], v[0:1]
	s_nop 0
	flat_load_dwordx2 v[10:11], v[0:1] offset:16
	s_waitcnt vmcnt(0) lgkmcnt(0)
	flat_load_dwordx4 v[6:9], v[12:13] offset:48
	flat_load_dwordx4 v[2:5], v[14:15] offset:112
	s_waitcnt vmcnt(0) lgkmcnt(0)
	v_cmp_gt_i16_sdwa s[6:7], v6, s4 src0_sel:BYTE_0 src1_sel:DWORD
	s_mov_b64 s[4:5], 0
	s_and_saveexec_b64 s[8:9], s[6:7]
	s_xor_b64 s[6:7], exec, s[8:9]
	s_cbranch_execz .LBB2_3969
; %bb.39809:
	s_getpc_b64 s[14:15]
.Lpost_getpc23488:
	s_add_u32 s14, s14, (.LBB2_18305-.Lpost_getpc23488)&4294967295
	s_addc_u32 s15, s15, (.LBB2_18305-.Lpost_getpc23488)>>32
	s_setpc_b64 s[14:15]
.LBB2_3969:
	s_or_saveexec_b64 s[6:7], s[6:7]
	v_mov_b32_e32 v12, s10
	s_xor_b64 exec, exec, s[6:7]
	s_cbranch_execz .LBB2_3970
; %bb.39811:
	s_getpc_b64 s[14:15]
.Lpost_getpc23489:
	s_add_u32 s14, s14, (.LBB2_18308-.Lpost_getpc23489)&4294967295
	s_addc_u32 s15, s15, (.LBB2_18308-.Lpost_getpc23489)>>32
	s_setpc_b64 s[14:15]
.LBB2_3970:
	s_or_b64 exec, exec, s[6:7]
	s_and_saveexec_b64 s[6:7], s[4:5]
	s_cbranch_execz .LBB2_3972
.LBB2_3971:
	v_and_b32_e32 v12, 7, v6
	v_ffbh_u32_e32 v14, v12
	v_min_u32_e32 v14, 32, v14
	v_lshrrev_b16_e32 v13, 3, v6
	v_subrev_u32_e32 v15, 28, v14
	v_and_b32_e32 v13, 15, v13
	v_lshlrev_b32_e32 v15, v15, v6
	v_sub_u32_e32 v14, 29, v14
	v_and_b32_e32 v15, 7, v15
	v_cmp_eq_u16_e32 vcc, 0, v13
	v_cndmask_b32_e32 v12, v12, v15, vcc
	v_cndmask_b32_e32 v13, v13, v14, vcc
	v_lshlrev_b32_e32 v14, 24, v6
	v_mov_b32_e32 v15, 0x3b800000
	v_lshlrev_b32_e32 v12, 20, v12
	v_and_b32_e32 v14, 0x80000000, v14
	v_lshl_add_u32 v13, v13, 23, v15
	v_or3_b32 v12, v14, v13, v12
.LBB2_3972:
	s_or_b64 exec, exec, s[6:7]
	s_movk_i32 s4, 0x7f
	v_cmp_gt_i16_sdwa s[6:7], v2, s4 src0_sel:BYTE_0 src1_sel:DWORD
	s_mov_b64 s[4:5], 0
                                        ; implicit-def: $sgpr10
	s_and_saveexec_b64 s[8:9], s[6:7]
	s_xor_b64 s[6:7], exec, s[8:9]
	s_cbranch_execz .LBB2_3973
; %bb.39813:
	s_getpc_b64 s[14:15]
.Lpost_getpc23490:
	s_add_u32 s14, s14, (.LBB2_18309-.Lpost_getpc23490)&4294967295
	s_addc_u32 s15, s15, (.LBB2_18309-.Lpost_getpc23490)>>32
	s_setpc_b64 s[14:15]
.LBB2_3973:
	s_or_saveexec_b64 s[6:7], s[6:7]
	v_mov_b32_e32 v13, s10
	s_xor_b64 exec, exec, s[6:7]
	s_cbranch_execz .LBB2_3974
; %bb.39815:
	s_getpc_b64 s[14:15]
.Lpost_getpc23491:
	s_add_u32 s14, s14, (.LBB2_18312-.Lpost_getpc23491)&4294967295
	s_addc_u32 s15, s15, (.LBB2_18312-.Lpost_getpc23491)>>32
	s_setpc_b64 s[14:15]
.LBB2_3974:
	s_or_b64 exec, exec, s[6:7]
	s_and_saveexec_b64 s[6:7], s[4:5]
	s_cbranch_execz .LBB2_3976
.LBB2_3975:
	v_and_b32_e32 v13, 7, v2
	v_ffbh_u32_e32 v15, v13
	v_min_u32_e32 v15, 32, v15
	v_lshrrev_b16_e32 v14, 3, v2
	v_subrev_u32_e32 v16, 28, v15
	v_and_b32_e32 v14, 15, v14
	v_lshlrev_b32_e32 v16, v16, v2
	v_sub_u32_e32 v15, 29, v15
	v_and_b32_e32 v16, 7, v16
	v_cmp_eq_u16_e32 vcc, 0, v14
	v_cndmask_b32_e32 v13, v13, v16, vcc
	v_cndmask_b32_e32 v14, v14, v15, vcc
	v_lshlrev_b32_e32 v15, 24, v2
	v_mov_b32_e32 v16, 0x3b800000
	v_lshlrev_b32_e32 v13, 20, v13
	v_and_b32_e32 v15, 0x80000000, v15
	v_lshl_add_u32 v14, v14, 23, v16
	v_or3_b32 v13, v15, v14, v13
.LBB2_3976:
	s_or_b64 exec, exec, s[6:7]
	flat_load_dwordx4 a[0:3], v[10:11] offset:496
	s_movk_i32 s4, 0x7f
                                        ; implicit-def: $sgpr10
	s_waitcnt vmcnt(0) lgkmcnt(0)
	v_mfma_f32_16x16x4f32 a[0:3], v12, v13, a[0:3]
	v_lshrrev_b32_e32 v13, 8, v6
	v_cmp_gt_i16_sdwa s[6:7], v13, s4 src0_sel:BYTE_0 src1_sel:DWORD
	s_mov_b64 s[4:5], 0
	s_and_saveexec_b64 s[8:9], s[6:7]
	s_xor_b64 s[6:7], exec, s[8:9]
	s_cbranch_execz .LBB2_3977
; %bb.39817:
	s_getpc_b64 s[14:15]
.Lpost_getpc23492:
	s_add_u32 s14, s14, (.LBB2_18313-.Lpost_getpc23492)&4294967295
	s_addc_u32 s15, s15, (.LBB2_18313-.Lpost_getpc23492)>>32
	s_setpc_b64 s[14:15]
.LBB2_3977:
	s_or_saveexec_b64 s[6:7], s[6:7]
	v_mov_b32_e32 v12, s10
	s_xor_b64 exec, exec, s[6:7]
	s_cbranch_execz .LBB2_3978
; %bb.39819:
	s_getpc_b64 s[14:15]
.Lpost_getpc23493:
	s_add_u32 s14, s14, (.LBB2_18316-.Lpost_getpc23493)&4294967295
	s_addc_u32 s15, s15, (.LBB2_18316-.Lpost_getpc23493)>>32
	s_setpc_b64 s[14:15]
.LBB2_3978:
	s_or_b64 exec, exec, s[6:7]
	s_and_saveexec_b64 s[6:7], s[4:5]
	s_cbranch_execz .LBB2_3980
.LBB2_3979:
	v_bfe_u32 v12, v6, 8, 3
	v_ffbh_u32_e32 v15, v12
	v_min_u32_e32 v15, 32, v15
	v_lshrrev_b16_e32 v14, 3, v13
	v_subrev_u32_e32 v16, 28, v15
	v_and_b32_e32 v14, 15, v14
	v_lshlrev_b32_e32 v13, v16, v13
	v_sub_u32_e32 v15, 29, v15
	v_and_b32_e32 v13, 7, v13
	v_cmp_eq_u16_e32 vcc, 0, v14
	v_cndmask_b32_e32 v12, v12, v13, vcc
	v_cndmask_b32_e32 v13, v14, v15, vcc
	v_lshlrev_b32_e32 v14, 16, v6
	v_mov_b32_e32 v15, 0x3b800000
	v_lshlrev_b32_e32 v12, 20, v12
	v_and_b32_e32 v14, 0x80000000, v14
	v_lshl_add_u32 v13, v13, 23, v15
	v_or3_b32 v12, v14, v13, v12
.LBB2_3980:
	s_or_b64 exec, exec, s[6:7]
	v_lshrrev_b32_e32 v13, 8, v2
	s_movk_i32 s4, 0x7f
	v_cmp_gt_i16_sdwa s[6:7], v13, s4 src0_sel:BYTE_0 src1_sel:DWORD
	s_mov_b64 s[4:5], 0
                                        ; implicit-def: $sgpr10
	s_and_saveexec_b64 s[8:9], s[6:7]
	s_xor_b64 s[6:7], exec, s[8:9]
	s_cbranch_execz .LBB2_3981
; %bb.39821:
	s_getpc_b64 s[14:15]
.Lpost_getpc23494:
	s_add_u32 s14, s14, (.LBB2_18317-.Lpost_getpc23494)&4294967295
	s_addc_u32 s15, s15, (.LBB2_18317-.Lpost_getpc23494)>>32
	s_setpc_b64 s[14:15]
.LBB2_3981:
	s_or_saveexec_b64 s[6:7], s[6:7]
	v_mov_b32_e32 v14, s10
	s_xor_b64 exec, exec, s[6:7]
	s_cbranch_execz .LBB2_3982
; %bb.39823:
	s_getpc_b64 s[14:15]
.Lpost_getpc23495:
	s_add_u32 s14, s14, (.LBB2_18320-.Lpost_getpc23495)&4294967295
	s_addc_u32 s15, s15, (.LBB2_18320-.Lpost_getpc23495)>>32
	s_setpc_b64 s[14:15]
.LBB2_3982:
	s_or_b64 exec, exec, s[6:7]
	s_and_saveexec_b64 s[6:7], s[4:5]
	s_cbranch_execz .LBB2_3984
.LBB2_3983:
	v_bfe_u32 v14, v2, 8, 3
	v_ffbh_u32_e32 v16, v14
	v_min_u32_e32 v16, 32, v16
	v_lshrrev_b16_e32 v15, 3, v13
	v_subrev_u32_e32 v17, 28, v16
	v_and_b32_e32 v15, 15, v15
	v_lshlrev_b32_e32 v13, v17, v13
	v_sub_u32_e32 v16, 29, v16
	v_and_b32_e32 v13, 7, v13
	v_cmp_eq_u16_e32 vcc, 0, v15
	v_cndmask_b32_e32 v13, v14, v13, vcc
	v_cndmask_b32_e32 v14, v15, v16, vcc
	v_lshlrev_b32_e32 v15, 16, v2
	v_mov_b32_e32 v16, 0x3b800000
	v_lshlrev_b32_e32 v13, 20, v13
	v_and_b32_e32 v15, 0x80000000, v15
	v_lshl_add_u32 v14, v14, 23, v16
	v_or3_b32 v14, v15, v14, v13
.LBB2_3984:
	s_or_b64 exec, exec, s[6:7]
	s_nop 0
	v_mfma_f32_16x16x4f32 a[0:3], v12, v14, a[0:3]
	s_movk_i32 s4, 0xff
	v_and_b32_sdwa v13, v6, s4 dst_sel:DWORD dst_unused:UNUSED_PAD src0_sel:WORD_1 src1_sel:DWORD
	s_movk_i32 s4, 0x7f
	v_cmp_lt_i16_e32 vcc, s4, v13
	s_mov_b64 s[4:5], 0
                                        ; implicit-def: $sgpr10
	s_and_saveexec_b64 s[6:7], vcc
	s_xor_b64 s[6:7], exec, s[6:7]
	s_cbranch_execz .LBB2_3985
; %bb.39825:
	s_getpc_b64 s[14:15]
.Lpost_getpc23496:
	s_add_u32 s14, s14, (.LBB2_18321-.Lpost_getpc23496)&4294967295
	s_addc_u32 s15, s15, (.LBB2_18321-.Lpost_getpc23496)>>32
	s_setpc_b64 s[14:15]
.LBB2_3985:
	s_or_saveexec_b64 s[6:7], s[6:7]
	v_mov_b32_e32 v12, s10
	s_xor_b64 exec, exec, s[6:7]
	s_cbranch_execz .LBB2_3986
; %bb.39827:
	s_getpc_b64 s[14:15]
.Lpost_getpc23497:
	s_add_u32 s14, s14, (.LBB2_18324-.Lpost_getpc23497)&4294967295
	s_addc_u32 s15, s15, (.LBB2_18324-.Lpost_getpc23497)>>32
	s_setpc_b64 s[14:15]
.LBB2_3986:
	s_or_b64 exec, exec, s[6:7]
	s_and_saveexec_b64 s[6:7], s[4:5]
	s_cbranch_execz .LBB2_3988
.LBB2_3987:
	v_bfe_u32 v12, v6, 16, 3
	v_ffbh_u32_e32 v15, v12
	v_min_u32_e32 v15, 32, v15
	v_lshrrev_b32_e32 v13, 19, v6
	v_subrev_u32_e32 v16, 28, v15
	v_and_b32_e32 v13, 15, v13
	v_lshlrev_b32_sdwa v16, v16, v6 dst_sel:DWORD dst_unused:UNUSED_PAD src0_sel:DWORD src1_sel:WORD_1
	v_bfe_u32 v14, v6, 19, 4
	v_sub_u32_e32 v15, 29, v15
	v_and_b32_e32 v16, 7, v16
	v_cmp_eq_u16_e32 vcc, 0, v13
	v_cndmask_b32_e32 v12, v12, v16, vcc
	v_cndmask_b32_e32 v13, v14, v15, vcc
	v_lshlrev_b32_e32 v14, 8, v6
	v_mov_b32_e32 v15, 0x3b800000
	v_lshlrev_b32_e32 v12, 20, v12
	v_and_b32_e32 v14, 0x80000000, v14
	v_lshl_add_u32 v13, v13, 23, v15
	v_or3_b32 v12, v14, v13, v12
.LBB2_3988:
	s_or_b64 exec, exec, s[6:7]
	s_movk_i32 s4, 0xff
	v_and_b32_sdwa v13, v2, s4 dst_sel:DWORD dst_unused:UNUSED_PAD src0_sel:WORD_1 src1_sel:DWORD
	s_movk_i32 s4, 0x7f
	v_cmp_lt_i16_e32 vcc, s4, v13
	s_mov_b64 s[4:5], 0
                                        ; implicit-def: $sgpr10
	s_and_saveexec_b64 s[6:7], vcc
	s_xor_b64 s[6:7], exec, s[6:7]
	s_cbranch_execz .LBB2_3989
; %bb.39829:
	s_getpc_b64 s[14:15]
.Lpost_getpc23498:
	s_add_u32 s14, s14, (.LBB2_18325-.Lpost_getpc23498)&4294967295
	s_addc_u32 s15, s15, (.LBB2_18325-.Lpost_getpc23498)>>32
	s_setpc_b64 s[14:15]
.LBB2_3989:
	s_or_saveexec_b64 s[6:7], s[6:7]
	v_mov_b32_e32 v14, s10
	s_xor_b64 exec, exec, s[6:7]
	s_cbranch_execz .LBB2_3990
; %bb.39831:
	s_getpc_b64 s[14:15]
.Lpost_getpc23499:
	s_add_u32 s14, s14, (.LBB2_18328-.Lpost_getpc23499)&4294967295
	s_addc_u32 s15, s15, (.LBB2_18328-.Lpost_getpc23499)>>32
	s_setpc_b64 s[14:15]
.LBB2_3990:
	s_or_b64 exec, exec, s[6:7]
	s_and_saveexec_b64 s[6:7], s[4:5]
	s_cbranch_execz .LBB2_3992
.LBB2_3991:
	v_bfe_u32 v13, v2, 16, 3
	v_ffbh_u32_e32 v16, v13
	v_min_u32_e32 v16, 32, v16
	v_lshrrev_b32_e32 v14, 19, v2
	v_subrev_u32_e32 v17, 28, v16
	v_and_b32_e32 v14, 15, v14
	v_lshlrev_b32_sdwa v17, v17, v2 dst_sel:DWORD dst_unused:UNUSED_PAD src0_sel:DWORD src1_sel:WORD_1
	v_bfe_u32 v15, v2, 19, 4
	v_sub_u32_e32 v16, 29, v16
	v_and_b32_e32 v17, 7, v17
	v_cmp_eq_u16_e32 vcc, 0, v14
	v_cndmask_b32_e32 v13, v13, v17, vcc
	v_cndmask_b32_e32 v14, v15, v16, vcc
	v_lshlrev_b32_e32 v15, 8, v2
	v_mov_b32_e32 v16, 0x3b800000
	v_lshlrev_b32_e32 v13, 20, v13
	v_and_b32_e32 v15, 0x80000000, v15
	v_lshl_add_u32 v14, v14, 23, v16
	v_or3_b32 v14, v15, v14, v13
.LBB2_3992:
	s_or_b64 exec, exec, s[6:7]
	s_nop 0
	v_mfma_f32_16x16x4f32 a[0:3], v12, v14, a[0:3]
	s_movk_i32 s4, 0x7f
	v_cmp_gt_i16_sdwa s[6:7], v6, s4 src0_sel:BYTE_3 src1_sel:DWORD
	s_mov_b64 s[4:5], 0
                                        ; implicit-def: $sgpr10
	s_and_saveexec_b64 s[8:9], s[6:7]
	s_xor_b64 s[6:7], exec, s[8:9]
	s_cbranch_execz .LBB2_3993
; %bb.39833:
	s_getpc_b64 s[14:15]
.Lpost_getpc23500:
	s_add_u32 s14, s14, (.LBB2_18329-.Lpost_getpc23500)&4294967295
	s_addc_u32 s15, s15, (.LBB2_18329-.Lpost_getpc23500)>>32
	s_setpc_b64 s[14:15]
.LBB2_3993:
	s_or_saveexec_b64 s[6:7], s[6:7]
	v_mov_b32_e32 v12, s10
	s_xor_b64 exec, exec, s[6:7]
	s_cbranch_execz .LBB2_3994
; %bb.39835:
	s_getpc_b64 s[14:15]
.Lpost_getpc23501:
	s_add_u32 s14, s14, (.LBB2_18332-.Lpost_getpc23501)&4294967295
	s_addc_u32 s15, s15, (.LBB2_18332-.Lpost_getpc23501)>>32
	s_setpc_b64 s[14:15]
.LBB2_3994:
	s_or_b64 exec, exec, s[6:7]
	s_and_saveexec_b64 s[6:7], s[4:5]
	s_cbranch_execz .LBB2_3996
.LBB2_3995:
	v_bfe_u32 v12, v6, 24, 3
	v_ffbh_u32_e32 v16, v12
	v_min_u32_e32 v16, 32, v16
	v_lshrrev_b32_e32 v14, 27, v6
	v_subrev_u32_e32 v17, 28, v16
	v_and_b32_e32 v13, 0x80000000, v6
	v_and_b32_e32 v14, 15, v14
	v_bfe_u32 v15, v6, 27, 4
	v_lshlrev_b32_sdwa v6, v17, v6 dst_sel:DWORD dst_unused:UNUSED_PAD src0_sel:DWORD src1_sel:BYTE_3
	v_sub_u32_e32 v16, 29, v16
	v_and_b32_e32 v6, 7, v6
	v_cmp_eq_u16_e32 vcc, 0, v14
	v_cndmask_b32_e32 v6, v12, v6, vcc
	v_cndmask_b32_e32 v12, v15, v16, vcc
	v_mov_b32_e32 v14, 0x3b800000
	v_lshlrev_b32_e32 v6, 20, v6
	v_lshl_add_u32 v12, v12, 23, v14
	v_or3_b32 v12, v13, v12, v6
.LBB2_3996:
	s_or_b64 exec, exec, s[6:7]
	s_movk_i32 s4, 0x7f
	v_cmp_gt_i16_sdwa s[6:7], v2, s4 src0_sel:BYTE_3 src1_sel:DWORD
	s_mov_b64 s[4:5], 0
                                        ; implicit-def: $sgpr10
	s_and_saveexec_b64 s[8:9], s[6:7]
	s_xor_b64 s[6:7], exec, s[8:9]
	s_cbranch_execz .LBB2_3997
; %bb.39837:
	s_getpc_b64 s[14:15]
.Lpost_getpc23502:
	s_add_u32 s14, s14, (.LBB2_18333-.Lpost_getpc23502)&4294967295
	s_addc_u32 s15, s15, (.LBB2_18333-.Lpost_getpc23502)>>32
	s_setpc_b64 s[14:15]
.LBB2_3997:
	s_or_saveexec_b64 s[6:7], s[6:7]
	v_mov_b32_e32 v6, s10
	s_xor_b64 exec, exec, s[6:7]
	s_cbranch_execz .LBB2_3998
; %bb.39839:
	s_getpc_b64 s[14:15]
.Lpost_getpc23503:
	s_add_u32 s14, s14, (.LBB2_18336-.Lpost_getpc23503)&4294967295
	s_addc_u32 s15, s15, (.LBB2_18336-.Lpost_getpc23503)>>32
	s_setpc_b64 s[14:15]
.LBB2_3998:
	s_or_b64 exec, exec, s[6:7]
	s_and_saveexec_b64 s[6:7], s[4:5]
	s_cbranch_execz .LBB2_4000
.LBB2_3999:
	v_bfe_u32 v6, v2, 24, 3
	v_ffbh_u32_e32 v16, v6
	v_min_u32_e32 v16, 32, v16
	v_lshrrev_b32_e32 v14, 27, v2
	v_subrev_u32_e32 v17, 28, v16
	v_and_b32_e32 v13, 0x80000000, v2
	v_and_b32_e32 v14, 15, v14
	v_bfe_u32 v15, v2, 27, 4
	v_lshlrev_b32_sdwa v2, v17, v2 dst_sel:DWORD dst_unused:UNUSED_PAD src0_sel:DWORD src1_sel:BYTE_3
	v_sub_u32_e32 v16, 29, v16
	v_and_b32_e32 v2, 7, v2
	v_cmp_eq_u16_e32 vcc, 0, v14
	v_cndmask_b32_e32 v2, v6, v2, vcc
	v_cndmask_b32_e32 v6, v15, v16, vcc
	v_mov_b32_e32 v14, 0x3b800000
	v_lshlrev_b32_e32 v2, 20, v2
	v_lshl_add_u32 v6, v6, 23, v14
	v_or3_b32 v6, v13, v6, v2
.LBB2_4000:
	s_or_b64 exec, exec, s[6:7]
	s_nop 0
	v_mfma_f32_16x16x4f32 a[0:3], v12, v6, a[0:3]
	s_movk_i32 s4, 0x7f
	v_cmp_gt_i16_sdwa s[6:7], v7, s4 src0_sel:BYTE_0 src1_sel:DWORD
	s_mov_b64 s[4:5], 0
                                        ; implicit-def: $sgpr10
	s_and_saveexec_b64 s[8:9], s[6:7]
	s_xor_b64 s[6:7], exec, s[8:9]
	s_cbranch_execz .LBB2_4001
; %bb.39841:
	s_getpc_b64 s[14:15]
.Lpost_getpc23504:
	s_add_u32 s14, s14, (.LBB2_18337-.Lpost_getpc23504)&4294967295
	s_addc_u32 s15, s15, (.LBB2_18337-.Lpost_getpc23504)>>32
	s_setpc_b64 s[14:15]
.LBB2_4001:
	s_or_saveexec_b64 s[6:7], s[6:7]
	v_mov_b32_e32 v2, s10
	s_xor_b64 exec, exec, s[6:7]
	s_cbranch_execz .LBB2_4002
; %bb.39843:
	s_getpc_b64 s[14:15]
.Lpost_getpc23505:
	s_add_u32 s14, s14, (.LBB2_18340-.Lpost_getpc23505)&4294967295
	s_addc_u32 s15, s15, (.LBB2_18340-.Lpost_getpc23505)>>32
	s_setpc_b64 s[14:15]
.LBB2_4002:
	s_or_b64 exec, exec, s[6:7]
	s_and_saveexec_b64 s[6:7], s[4:5]
	s_cbranch_execz .LBB2_4004
.LBB2_4003:
	v_and_b32_e32 v2, 7, v7
	v_ffbh_u32_e32 v12, v2
	v_min_u32_e32 v12, 32, v12
	v_lshrrev_b16_e32 v6, 3, v7
	v_subrev_u32_e32 v13, 28, v12
	v_and_b32_e32 v6, 15, v6
	v_lshlrev_b32_e32 v13, v13, v7
	v_sub_u32_e32 v12, 29, v12
	v_and_b32_e32 v13, 7, v13
	v_cmp_eq_u16_e32 vcc, 0, v6
	v_cndmask_b32_e32 v2, v2, v13, vcc
	v_cndmask_b32_e32 v6, v6, v12, vcc
	v_lshlrev_b32_e32 v12, 24, v7
	v_mov_b32_e32 v13, 0x3b800000
	v_lshlrev_b32_e32 v2, 20, v2
	v_and_b32_e32 v12, 0x80000000, v12
	v_lshl_add_u32 v6, v6, 23, v13
	v_or3_b32 v2, v12, v6, v2
.LBB2_4004:
	s_or_b64 exec, exec, s[6:7]
	s_movk_i32 s4, 0x7f
	v_cmp_gt_i16_sdwa s[6:7], v3, s4 src0_sel:BYTE_0 src1_sel:DWORD
	s_mov_b64 s[4:5], 0
                                        ; implicit-def: $sgpr10
	s_and_saveexec_b64 s[8:9], s[6:7]
	s_xor_b64 s[6:7], exec, s[8:9]
	s_cbranch_execz .LBB2_4005
; %bb.39845:
	s_getpc_b64 s[14:15]
.Lpost_getpc23506:
	s_add_u32 s14, s14, (.LBB2_18341-.Lpost_getpc23506)&4294967295
	s_addc_u32 s15, s15, (.LBB2_18341-.Lpost_getpc23506)>>32
	s_setpc_b64 s[14:15]
.LBB2_4005:
	s_or_saveexec_b64 s[6:7], s[6:7]
	v_mov_b32_e32 v6, s10
	s_xor_b64 exec, exec, s[6:7]
	s_cbranch_execz .LBB2_4006
; %bb.39847:
	s_getpc_b64 s[14:15]
.Lpost_getpc23507:
	s_add_u32 s14, s14, (.LBB2_18344-.Lpost_getpc23507)&4294967295
	s_addc_u32 s15, s15, (.LBB2_18344-.Lpost_getpc23507)>>32
	s_setpc_b64 s[14:15]
.LBB2_4006:
	s_or_b64 exec, exec, s[6:7]
	s_and_saveexec_b64 s[6:7], s[4:5]
	s_cbranch_execz .LBB2_4008
.LBB2_4007:
	v_and_b32_e32 v6, 7, v3
	v_ffbh_u32_e32 v13, v6
	v_min_u32_e32 v13, 32, v13
	v_lshrrev_b16_e32 v12, 3, v3
	v_subrev_u32_e32 v14, 28, v13
	v_and_b32_e32 v12, 15, v12
	v_lshlrev_b32_e32 v14, v14, v3
	v_sub_u32_e32 v13, 29, v13
	v_and_b32_e32 v14, 7, v14
	v_cmp_eq_u16_e32 vcc, 0, v12
	v_cndmask_b32_e32 v6, v6, v14, vcc
	v_cndmask_b32_e32 v12, v12, v13, vcc
	v_lshlrev_b32_e32 v13, 24, v3
	v_mov_b32_e32 v14, 0x3b800000
	v_lshlrev_b32_e32 v6, 20, v6
	v_and_b32_e32 v13, 0x80000000, v13
	v_lshl_add_u32 v12, v12, 23, v14
	v_or3_b32 v6, v13, v12, v6
.LBB2_4008:
	s_or_b64 exec, exec, s[6:7]
	s_nop 0
	v_mfma_f32_16x16x4f32 a[0:3], v2, v6, a[0:3]
	v_lshrrev_b32_e32 v6, 8, v7
	s_movk_i32 s4, 0x7f
	v_cmp_gt_i16_sdwa s[6:7], v6, s4 src0_sel:BYTE_0 src1_sel:DWORD
	s_mov_b64 s[4:5], 0
                                        ; implicit-def: $sgpr10
	s_and_saveexec_b64 s[8:9], s[6:7]
	s_xor_b64 s[6:7], exec, s[8:9]
	s_cbranch_execz .LBB2_4009
; %bb.39849:
	s_getpc_b64 s[14:15]
.Lpost_getpc23508:
	s_add_u32 s14, s14, (.LBB2_18345-.Lpost_getpc23508)&4294967295
	s_addc_u32 s15, s15, (.LBB2_18345-.Lpost_getpc23508)>>32
	s_setpc_b64 s[14:15]
.LBB2_4009:
	s_or_saveexec_b64 s[6:7], s[6:7]
	v_mov_b32_e32 v2, s10
	s_xor_b64 exec, exec, s[6:7]
	s_cbranch_execz .LBB2_4010
; %bb.39851:
	s_getpc_b64 s[14:15]
.Lpost_getpc23509:
	s_add_u32 s14, s14, (.LBB2_18348-.Lpost_getpc23509)&4294967295
	s_addc_u32 s15, s15, (.LBB2_18348-.Lpost_getpc23509)>>32
	s_setpc_b64 s[14:15]
.LBB2_4010:
	s_or_b64 exec, exec, s[6:7]
	s_and_saveexec_b64 s[6:7], s[4:5]
	s_cbranch_execz .LBB2_4012
.LBB2_4011:
	v_bfe_u32 v2, v7, 8, 3
	v_ffbh_u32_e32 v13, v2
	v_min_u32_e32 v13, 32, v13
	v_lshrrev_b16_e32 v12, 3, v6
	v_subrev_u32_e32 v14, 28, v13
	v_and_b32_e32 v12, 15, v12
	v_lshlrev_b32_e32 v6, v14, v6
	v_sub_u32_e32 v13, 29, v13
	v_and_b32_e32 v6, 7, v6
	v_cmp_eq_u16_e32 vcc, 0, v12
	v_cndmask_b32_e32 v2, v2, v6, vcc
	v_cndmask_b32_e32 v6, v12, v13, vcc
	v_lshlrev_b32_e32 v12, 16, v7
	v_mov_b32_e32 v13, 0x3b800000
	v_lshlrev_b32_e32 v2, 20, v2
	v_and_b32_e32 v12, 0x80000000, v12
	v_lshl_add_u32 v6, v6, 23, v13
	v_or3_b32 v2, v12, v6, v2
.LBB2_4012:
	s_or_b64 exec, exec, s[6:7]
	v_lshrrev_b32_e32 v6, 8, v3
	s_movk_i32 s4, 0x7f
	v_cmp_gt_i16_sdwa s[6:7], v6, s4 src0_sel:BYTE_0 src1_sel:DWORD
	s_mov_b64 s[4:5], 0
                                        ; implicit-def: $sgpr10
	s_and_saveexec_b64 s[8:9], s[6:7]
	s_xor_b64 s[6:7], exec, s[8:9]
	s_cbranch_execz .LBB2_4013
; %bb.39853:
	s_getpc_b64 s[14:15]
.Lpost_getpc23510:
	s_add_u32 s14, s14, (.LBB2_18349-.Lpost_getpc23510)&4294967295
	s_addc_u32 s15, s15, (.LBB2_18349-.Lpost_getpc23510)>>32
	s_setpc_b64 s[14:15]
.LBB2_4013:
	s_or_saveexec_b64 s[6:7], s[6:7]
	v_mov_b32_e32 v12, s10
	s_xor_b64 exec, exec, s[6:7]
	s_cbranch_execz .LBB2_4014
; %bb.39855:
	s_getpc_b64 s[14:15]
.Lpost_getpc23511:
	s_add_u32 s14, s14, (.LBB2_18352-.Lpost_getpc23511)&4294967295
	s_addc_u32 s15, s15, (.LBB2_18352-.Lpost_getpc23511)>>32
	s_setpc_b64 s[14:15]
.LBB2_4014:
	s_or_b64 exec, exec, s[6:7]
	s_and_saveexec_b64 s[6:7], s[4:5]
	s_cbranch_execz .LBB2_4016
.LBB2_4015:
	v_bfe_u32 v12, v3, 8, 3
	v_ffbh_u32_e32 v14, v12
	v_min_u32_e32 v14, 32, v14
	v_lshrrev_b16_e32 v13, 3, v6
	v_subrev_u32_e32 v15, 28, v14
	v_and_b32_e32 v13, 15, v13
	v_lshlrev_b32_e32 v6, v15, v6
	v_sub_u32_e32 v14, 29, v14
	v_and_b32_e32 v6, 7, v6
	v_cmp_eq_u16_e32 vcc, 0, v13
	v_cndmask_b32_e32 v6, v12, v6, vcc
	v_cndmask_b32_e32 v12, v13, v14, vcc
	v_lshlrev_b32_e32 v13, 16, v3
	v_mov_b32_e32 v14, 0x3b800000
	v_lshlrev_b32_e32 v6, 20, v6
	v_and_b32_e32 v13, 0x80000000, v13
	v_lshl_add_u32 v12, v12, 23, v14
	v_or3_b32 v12, v13, v12, v6
.LBB2_4016:
	s_or_b64 exec, exec, s[6:7]
	s_nop 0
	v_mfma_f32_16x16x4f32 a[0:3], v2, v12, a[0:3]
	s_movk_i32 s4, 0xff
	v_and_b32_sdwa v6, v7, s4 dst_sel:DWORD dst_unused:UNUSED_PAD src0_sel:WORD_1 src1_sel:DWORD
	s_movk_i32 s4, 0x7f
	v_cmp_lt_i16_e32 vcc, s4, v6
	s_mov_b64 s[4:5], 0
                                        ; implicit-def: $sgpr10
	s_and_saveexec_b64 s[6:7], vcc
	s_xor_b64 s[6:7], exec, s[6:7]
	s_cbranch_execz .LBB2_4017
; %bb.39857:
	s_getpc_b64 s[14:15]
.Lpost_getpc23512:
	s_add_u32 s14, s14, (.LBB2_18353-.Lpost_getpc23512)&4294967295
	s_addc_u32 s15, s15, (.LBB2_18353-.Lpost_getpc23512)>>32
	s_setpc_b64 s[14:15]
.LBB2_4017:
	s_or_saveexec_b64 s[6:7], s[6:7]
	v_mov_b32_e32 v2, s10
	s_xor_b64 exec, exec, s[6:7]
	s_cbranch_execz .LBB2_4018
; %bb.39859:
	s_getpc_b64 s[14:15]
.Lpost_getpc23513:
	s_add_u32 s14, s14, (.LBB2_18356-.Lpost_getpc23513)&4294967295
	s_addc_u32 s15, s15, (.LBB2_18356-.Lpost_getpc23513)>>32
	s_setpc_b64 s[14:15]
.LBB2_4018:
	s_or_b64 exec, exec, s[6:7]
	s_and_saveexec_b64 s[6:7], s[4:5]
	s_cbranch_execz .LBB2_4020
.LBB2_4019:
	v_bfe_u32 v2, v7, 16, 3
	v_ffbh_u32_e32 v13, v2
	v_min_u32_e32 v13, 32, v13
	v_lshrrev_b32_e32 v6, 19, v7
	v_subrev_u32_e32 v14, 28, v13
	v_and_b32_e32 v6, 15, v6
	v_lshlrev_b32_sdwa v14, v14, v7 dst_sel:DWORD dst_unused:UNUSED_PAD src0_sel:DWORD src1_sel:WORD_1
	v_bfe_u32 v12, v7, 19, 4
	v_sub_u32_e32 v13, 29, v13
	v_and_b32_e32 v14, 7, v14
	v_cmp_eq_u16_e32 vcc, 0, v6
	v_cndmask_b32_e32 v2, v2, v14, vcc
	v_cndmask_b32_e32 v6, v12, v13, vcc
	v_lshlrev_b32_e32 v12, 8, v7
	v_mov_b32_e32 v13, 0x3b800000
	v_lshlrev_b32_e32 v2, 20, v2
	v_and_b32_e32 v12, 0x80000000, v12
	v_lshl_add_u32 v6, v6, 23, v13
	v_or3_b32 v2, v12, v6, v2
.LBB2_4020:
	s_or_b64 exec, exec, s[6:7]
	s_movk_i32 s4, 0xff
	v_and_b32_sdwa v6, v3, s4 dst_sel:DWORD dst_unused:UNUSED_PAD src0_sel:WORD_1 src1_sel:DWORD
	s_movk_i32 s4, 0x7f
	v_cmp_lt_i16_e32 vcc, s4, v6
	s_mov_b64 s[4:5], 0
                                        ; implicit-def: $sgpr10
	s_and_saveexec_b64 s[6:7], vcc
	s_xor_b64 s[6:7], exec, s[6:7]
	s_cbranch_execz .LBB2_4021
; %bb.39861:
	s_getpc_b64 s[14:15]
.Lpost_getpc23514:
	s_add_u32 s14, s14, (.LBB2_18357-.Lpost_getpc23514)&4294967295
	s_addc_u32 s15, s15, (.LBB2_18357-.Lpost_getpc23514)>>32
	s_setpc_b64 s[14:15]
.LBB2_4021:
	s_or_saveexec_b64 s[6:7], s[6:7]
	v_mov_b32_e32 v12, s10
	s_xor_b64 exec, exec, s[6:7]
	s_cbranch_execz .LBB2_4022
; %bb.39863:
	s_getpc_b64 s[14:15]
.Lpost_getpc23515:
	s_add_u32 s14, s14, (.LBB2_18360-.Lpost_getpc23515)&4294967295
	s_addc_u32 s15, s15, (.LBB2_18360-.Lpost_getpc23515)>>32
	s_setpc_b64 s[14:15]
.LBB2_4022:
	s_or_b64 exec, exec, s[6:7]
	s_and_saveexec_b64 s[6:7], s[4:5]
	s_cbranch_execz .LBB2_4024
.LBB2_4023:
	v_bfe_u32 v6, v3, 16, 3
	v_ffbh_u32_e32 v14, v6
	v_min_u32_e32 v14, 32, v14
	v_lshrrev_b32_e32 v12, 19, v3
	v_subrev_u32_e32 v15, 28, v14
	v_and_b32_e32 v12, 15, v12
	v_lshlrev_b32_sdwa v15, v15, v3 dst_sel:DWORD dst_unused:UNUSED_PAD src0_sel:DWORD src1_sel:WORD_1
	v_bfe_u32 v13, v3, 19, 4
	v_sub_u32_e32 v14, 29, v14
	v_and_b32_e32 v15, 7, v15
	v_cmp_eq_u16_e32 vcc, 0, v12
	v_cndmask_b32_e32 v6, v6, v15, vcc
	v_cndmask_b32_e32 v12, v13, v14, vcc
	v_lshlrev_b32_e32 v13, 8, v3
	v_mov_b32_e32 v14, 0x3b800000
	v_lshlrev_b32_e32 v6, 20, v6
	v_and_b32_e32 v13, 0x80000000, v13
	v_lshl_add_u32 v12, v12, 23, v14
	v_or3_b32 v12, v13, v12, v6
.LBB2_4024:
	s_or_b64 exec, exec, s[6:7]
	s_nop 0
	v_mfma_f32_16x16x4f32 a[0:3], v2, v12, a[0:3]
	s_movk_i32 s4, 0x7f
	v_cmp_gt_i16_sdwa s[6:7], v7, s4 src0_sel:BYTE_3 src1_sel:DWORD
	s_mov_b64 s[4:5], 0
                                        ; implicit-def: $sgpr10
	s_and_saveexec_b64 s[8:9], s[6:7]
	s_xor_b64 s[6:7], exec, s[8:9]
	s_cbranch_execz .LBB2_4025
; %bb.39865:
	s_getpc_b64 s[14:15]
.Lpost_getpc23516:
	s_add_u32 s14, s14, (.LBB2_18361-.Lpost_getpc23516)&4294967295
	s_addc_u32 s15, s15, (.LBB2_18361-.Lpost_getpc23516)>>32
	s_setpc_b64 s[14:15]
.LBB2_4025:
	s_or_saveexec_b64 s[6:7], s[6:7]
	v_mov_b32_e32 v2, s10
	s_xor_b64 exec, exec, s[6:7]
	s_cbranch_execz .LBB2_4026
; %bb.39867:
	s_getpc_b64 s[14:15]
.Lpost_getpc23517:
	s_add_u32 s14, s14, (.LBB2_18364-.Lpost_getpc23517)&4294967295
	s_addc_u32 s15, s15, (.LBB2_18364-.Lpost_getpc23517)>>32
	s_setpc_b64 s[14:15]
.LBB2_4026:
	s_or_b64 exec, exec, s[6:7]
	s_and_saveexec_b64 s[6:7], s[4:5]
	s_cbranch_execz .LBB2_4028
.LBB2_4027:
	v_bfe_u32 v2, v7, 24, 3
	v_ffbh_u32_e32 v14, v2
	v_min_u32_e32 v14, 32, v14
	v_lshrrev_b32_e32 v12, 27, v7
	v_subrev_u32_e32 v15, 28, v14
	v_and_b32_e32 v6, 0x80000000, v7
	v_and_b32_e32 v12, 15, v12
	v_bfe_u32 v13, v7, 27, 4
	v_lshlrev_b32_sdwa v7, v15, v7 dst_sel:DWORD dst_unused:UNUSED_PAD src0_sel:DWORD src1_sel:BYTE_3
	v_sub_u32_e32 v14, 29, v14
	v_and_b32_e32 v7, 7, v7
	v_cmp_eq_u16_e32 vcc, 0, v12
	v_cndmask_b32_e32 v2, v2, v7, vcc
	v_cndmask_b32_e32 v7, v13, v14, vcc
	v_mov_b32_e32 v12, 0x3b800000
	v_lshlrev_b32_e32 v2, 20, v2
	v_lshl_add_u32 v7, v7, 23, v12
	v_or3_b32 v2, v6, v7, v2
.LBB2_4028:
	s_or_b64 exec, exec, s[6:7]
	s_movk_i32 s4, 0x7f
	v_cmp_gt_i16_sdwa s[6:7], v3, s4 src0_sel:BYTE_3 src1_sel:DWORD
	s_mov_b64 s[4:5], 0
                                        ; implicit-def: $sgpr10
	s_and_saveexec_b64 s[8:9], s[6:7]
	s_xor_b64 s[6:7], exec, s[8:9]
	s_cbranch_execz .LBB2_4029
; %bb.39869:
	s_getpc_b64 s[14:15]
.Lpost_getpc23518:
	s_add_u32 s14, s14, (.LBB2_18365-.Lpost_getpc23518)&4294967295
	s_addc_u32 s15, s15, (.LBB2_18365-.Lpost_getpc23518)>>32
	s_setpc_b64 s[14:15]
.LBB2_4029:
	s_or_saveexec_b64 s[6:7], s[6:7]
	v_mov_b32_e32 v6, s10
	s_xor_b64 exec, exec, s[6:7]
	s_cbranch_execz .LBB2_4030
; %bb.39871:
	s_getpc_b64 s[14:15]
.Lpost_getpc23519:
	s_add_u32 s14, s14, (.LBB2_18368-.Lpost_getpc23519)&4294967295
	s_addc_u32 s15, s15, (.LBB2_18368-.Lpost_getpc23519)>>32
	s_setpc_b64 s[14:15]
.LBB2_4030:
	s_or_b64 exec, exec, s[6:7]
	s_and_saveexec_b64 s[6:7], s[4:5]
	s_cbranch_execz .LBB2_4032
.LBB2_4031:
	v_bfe_u32 v6, v3, 24, 3
	v_ffbh_u32_e32 v14, v6
	v_min_u32_e32 v14, 32, v14
	v_lshrrev_b32_e32 v12, 27, v3
	v_subrev_u32_e32 v15, 28, v14
	v_and_b32_e32 v7, 0x80000000, v3
	v_and_b32_e32 v12, 15, v12
	v_bfe_u32 v13, v3, 27, 4
	v_lshlrev_b32_sdwa v3, v15, v3 dst_sel:DWORD dst_unused:UNUSED_PAD src0_sel:DWORD src1_sel:BYTE_3
	v_sub_u32_e32 v14, 29, v14
	v_and_b32_e32 v3, 7, v3
	v_cmp_eq_u16_e32 vcc, 0, v12
	v_cndmask_b32_e32 v3, v6, v3, vcc
	v_cndmask_b32_e32 v6, v13, v14, vcc
	v_mov_b32_e32 v12, 0x3b800000
	v_lshlrev_b32_e32 v3, 20, v3
	v_lshl_add_u32 v6, v6, 23, v12
	v_or3_b32 v6, v7, v6, v3
.LBB2_4032:
	s_or_b64 exec, exec, s[6:7]
	s_nop 0
	v_mfma_f32_16x16x4f32 a[0:3], v2, v6, a[0:3]
	s_movk_i32 s4, 0x7f
	v_cmp_gt_i16_sdwa s[6:7], v8, s4 src0_sel:BYTE_0 src1_sel:DWORD
	s_mov_b64 s[4:5], 0
                                        ; implicit-def: $sgpr10
	s_and_saveexec_b64 s[8:9], s[6:7]
	s_xor_b64 s[6:7], exec, s[8:9]
	s_cbranch_execz .LBB2_4033
; %bb.39873:
	s_getpc_b64 s[14:15]
.Lpost_getpc23520:
	s_add_u32 s14, s14, (.LBB2_18369-.Lpost_getpc23520)&4294967295
	s_addc_u32 s15, s15, (.LBB2_18369-.Lpost_getpc23520)>>32
	s_setpc_b64 s[14:15]
.LBB2_4033:
	s_or_saveexec_b64 s[6:7], s[6:7]
	v_mov_b32_e32 v2, s10
	s_xor_b64 exec, exec, s[6:7]
	s_cbranch_execz .LBB2_4034
; %bb.39875:
	s_getpc_b64 s[14:15]
.Lpost_getpc23521:
	s_add_u32 s14, s14, (.LBB2_18372-.Lpost_getpc23521)&4294967295
	s_addc_u32 s15, s15, (.LBB2_18372-.Lpost_getpc23521)>>32
	s_setpc_b64 s[14:15]
.LBB2_4034:
	s_or_b64 exec, exec, s[6:7]
	s_and_saveexec_b64 s[6:7], s[4:5]
	s_cbranch_execz .LBB2_4036
.LBB2_4035:
	v_and_b32_e32 v2, 7, v8
	v_ffbh_u32_e32 v6, v2
	v_min_u32_e32 v6, 32, v6
	v_lshrrev_b16_e32 v3, 3, v8
	v_subrev_u32_e32 v7, 28, v6
	v_and_b32_e32 v3, 15, v3
	v_lshlrev_b32_e32 v7, v7, v8
	v_sub_u32_e32 v6, 29, v6
	v_and_b32_e32 v7, 7, v7
	v_cmp_eq_u16_e32 vcc, 0, v3
	v_cndmask_b32_e32 v2, v2, v7, vcc
	v_cndmask_b32_e32 v3, v3, v6, vcc
	v_lshlrev_b32_e32 v6, 24, v8
	v_mov_b32_e32 v7, 0x3b800000
	v_lshlrev_b32_e32 v2, 20, v2
	v_and_b32_e32 v6, 0x80000000, v6
	v_lshl_add_u32 v3, v3, 23, v7
	v_or3_b32 v2, v6, v3, v2
.LBB2_4036:
	s_or_b64 exec, exec, s[6:7]
	s_movk_i32 s4, 0x7f
	v_cmp_gt_i16_sdwa s[6:7], v4, s4 src0_sel:BYTE_0 src1_sel:DWORD
	s_mov_b64 s[4:5], 0
                                        ; implicit-def: $sgpr10
	s_and_saveexec_b64 s[8:9], s[6:7]
	s_xor_b64 s[6:7], exec, s[8:9]
	s_cbranch_execz .LBB2_4037
; %bb.39877:
	s_getpc_b64 s[14:15]
.Lpost_getpc23522:
	s_add_u32 s14, s14, (.LBB2_18373-.Lpost_getpc23522)&4294967295
	s_addc_u32 s15, s15, (.LBB2_18373-.Lpost_getpc23522)>>32
	s_setpc_b64 s[14:15]
.LBB2_4037:
	s_or_saveexec_b64 s[6:7], s[6:7]
	v_mov_b32_e32 v3, s10
	s_xor_b64 exec, exec, s[6:7]
	s_cbranch_execz .LBB2_4038
; %bb.39879:
	s_getpc_b64 s[14:15]
.Lpost_getpc23523:
	s_add_u32 s14, s14, (.LBB2_18376-.Lpost_getpc23523)&4294967295
	s_addc_u32 s15, s15, (.LBB2_18376-.Lpost_getpc23523)>>32
	s_setpc_b64 s[14:15]
.LBB2_4038:
	s_or_b64 exec, exec, s[6:7]
	s_and_saveexec_b64 s[6:7], s[4:5]
	s_cbranch_execz .LBB2_4040
.LBB2_4039:
	v_and_b32_e32 v3, 7, v4
	v_ffbh_u32_e32 v7, v3
	v_min_u32_e32 v7, 32, v7
	v_lshrrev_b16_e32 v6, 3, v4
	v_subrev_u32_e32 v12, 28, v7
	v_and_b32_e32 v6, 15, v6
	v_lshlrev_b32_e32 v12, v12, v4
	v_sub_u32_e32 v7, 29, v7
	v_and_b32_e32 v12, 7, v12
	v_cmp_eq_u16_e32 vcc, 0, v6
	v_cndmask_b32_e32 v3, v3, v12, vcc
	v_cndmask_b32_e32 v6, v6, v7, vcc
	v_lshlrev_b32_e32 v7, 24, v4
	v_mov_b32_e32 v12, 0x3b800000
	v_lshlrev_b32_e32 v3, 20, v3
	v_and_b32_e32 v7, 0x80000000, v7
	v_lshl_add_u32 v6, v6, 23, v12
	v_or3_b32 v3, v7, v6, v3
.LBB2_4040:
	s_or_b64 exec, exec, s[6:7]
	s_nop 0
	v_mfma_f32_16x16x4f32 a[0:3], v2, v3, a[0:3]
	v_lshrrev_b32_e32 v3, 8, v8
	s_movk_i32 s4, 0x7f
	v_cmp_gt_i16_sdwa s[6:7], v3, s4 src0_sel:BYTE_0 src1_sel:DWORD
	s_mov_b64 s[4:5], 0
                                        ; implicit-def: $sgpr10
	s_and_saveexec_b64 s[8:9], s[6:7]
	s_xor_b64 s[6:7], exec, s[8:9]
	s_cbranch_execz .LBB2_4041
; %bb.39881:
	s_getpc_b64 s[14:15]
.Lpost_getpc23524:
	s_add_u32 s14, s14, (.LBB2_18377-.Lpost_getpc23524)&4294967295
	s_addc_u32 s15, s15, (.LBB2_18377-.Lpost_getpc23524)>>32
	s_setpc_b64 s[14:15]
.LBB2_4041:
	s_or_saveexec_b64 s[6:7], s[6:7]
	v_mov_b32_e32 v2, s10
	s_xor_b64 exec, exec, s[6:7]
	s_cbranch_execz .LBB2_4042
; %bb.39883:
	s_getpc_b64 s[14:15]
.Lpost_getpc23525:
	s_add_u32 s14, s14, (.LBB2_18380-.Lpost_getpc23525)&4294967295
	s_addc_u32 s15, s15, (.LBB2_18380-.Lpost_getpc23525)>>32
	s_setpc_b64 s[14:15]
.LBB2_4042:
	s_or_b64 exec, exec, s[6:7]
	s_and_saveexec_b64 s[6:7], s[4:5]
	s_cbranch_execz .LBB2_4044
.LBB2_4043:
	v_bfe_u32 v2, v8, 8, 3
	v_ffbh_u32_e32 v7, v2
	v_min_u32_e32 v7, 32, v7
	v_lshrrev_b16_e32 v6, 3, v3
	v_subrev_u32_e32 v12, 28, v7
	v_and_b32_e32 v6, 15, v6
	v_lshlrev_b32_e32 v3, v12, v3
	v_sub_u32_e32 v7, 29, v7
	v_and_b32_e32 v3, 7, v3
	v_cmp_eq_u16_e32 vcc, 0, v6
	v_cndmask_b32_e32 v2, v2, v3, vcc
	v_cndmask_b32_e32 v3, v6, v7, vcc
	v_lshlrev_b32_e32 v6, 16, v8
	v_mov_b32_e32 v7, 0x3b800000
	v_lshlrev_b32_e32 v2, 20, v2
	v_and_b32_e32 v6, 0x80000000, v6
	v_lshl_add_u32 v3, v3, 23, v7
	v_or3_b32 v2, v6, v3, v2
.LBB2_4044:
	s_or_b64 exec, exec, s[6:7]
	v_lshrrev_b32_e32 v3, 8, v4
	s_movk_i32 s4, 0x7f
	v_cmp_gt_i16_sdwa s[6:7], v3, s4 src0_sel:BYTE_0 src1_sel:DWORD
	s_mov_b64 s[4:5], 0
                                        ; implicit-def: $sgpr10
	s_and_saveexec_b64 s[8:9], s[6:7]
	s_xor_b64 s[6:7], exec, s[8:9]
	s_cbranch_execz .LBB2_4045
; %bb.39885:
	s_getpc_b64 s[14:15]
.Lpost_getpc23526:
	s_add_u32 s14, s14, (.LBB2_18381-.Lpost_getpc23526)&4294967295
	s_addc_u32 s15, s15, (.LBB2_18381-.Lpost_getpc23526)>>32
	s_setpc_b64 s[14:15]
.LBB2_4045:
	s_or_saveexec_b64 s[6:7], s[6:7]
	v_mov_b32_e32 v6, s10
	s_xor_b64 exec, exec, s[6:7]
	s_cbranch_execz .LBB2_4046
; %bb.39887:
	s_getpc_b64 s[14:15]
.Lpost_getpc23527:
	s_add_u32 s14, s14, (.LBB2_18384-.Lpost_getpc23527)&4294967295
	s_addc_u32 s15, s15, (.LBB2_18384-.Lpost_getpc23527)>>32
	s_setpc_b64 s[14:15]
.LBB2_4046:
	s_or_b64 exec, exec, s[6:7]
	s_and_saveexec_b64 s[6:7], s[4:5]
	s_cbranch_execz .LBB2_4048
.LBB2_4047:
	v_bfe_u32 v6, v4, 8, 3
	v_ffbh_u32_e32 v12, v6
	v_min_u32_e32 v12, 32, v12
	v_lshrrev_b16_e32 v7, 3, v3
	v_subrev_u32_e32 v13, 28, v12
	v_and_b32_e32 v7, 15, v7
	v_lshlrev_b32_e32 v3, v13, v3
	v_sub_u32_e32 v12, 29, v12
	v_and_b32_e32 v3, 7, v3
	v_cmp_eq_u16_e32 vcc, 0, v7
	v_cndmask_b32_e32 v3, v6, v3, vcc
	v_cndmask_b32_e32 v6, v7, v12, vcc
	v_lshlrev_b32_e32 v7, 16, v4
	v_mov_b32_e32 v12, 0x3b800000
	v_lshlrev_b32_e32 v3, 20, v3
	v_and_b32_e32 v7, 0x80000000, v7
	v_lshl_add_u32 v6, v6, 23, v12
	v_or3_b32 v6, v7, v6, v3
.LBB2_4048:
	s_or_b64 exec, exec, s[6:7]
	s_nop 0
	v_mfma_f32_16x16x4f32 a[0:3], v2, v6, a[0:3]
	s_movk_i32 s4, 0xff
	v_and_b32_sdwa v3, v8, s4 dst_sel:DWORD dst_unused:UNUSED_PAD src0_sel:WORD_1 src1_sel:DWORD
	s_movk_i32 s4, 0x7f
	v_cmp_lt_i16_e32 vcc, s4, v3
	s_mov_b64 s[4:5], 0
                                        ; implicit-def: $sgpr10
	s_and_saveexec_b64 s[6:7], vcc
	s_xor_b64 s[6:7], exec, s[6:7]
	s_cbranch_execz .LBB2_4049
; %bb.39889:
	s_getpc_b64 s[14:15]
.Lpost_getpc23528:
	s_add_u32 s14, s14, (.LBB2_18385-.Lpost_getpc23528)&4294967295
	s_addc_u32 s15, s15, (.LBB2_18385-.Lpost_getpc23528)>>32
	s_setpc_b64 s[14:15]
.LBB2_4049:
	s_or_saveexec_b64 s[6:7], s[6:7]
	v_mov_b32_e32 v2, s10
	s_xor_b64 exec, exec, s[6:7]
	s_cbranch_execz .LBB2_4050
; %bb.39891:
	s_getpc_b64 s[14:15]
.Lpost_getpc23529:
	s_add_u32 s14, s14, (.LBB2_18388-.Lpost_getpc23529)&4294967295
	s_addc_u32 s15, s15, (.LBB2_18388-.Lpost_getpc23529)>>32
	s_setpc_b64 s[14:15]
.LBB2_4050:
	s_or_b64 exec, exec, s[6:7]
	s_and_saveexec_b64 s[6:7], s[4:5]
	s_cbranch_execz .LBB2_4052
.LBB2_4051:
	v_bfe_u32 v2, v8, 16, 3
	v_ffbh_u32_e32 v7, v2
	v_min_u32_e32 v7, 32, v7
	v_lshrrev_b32_e32 v3, 19, v8
	v_subrev_u32_e32 v12, 28, v7
	v_and_b32_e32 v3, 15, v3
	v_lshlrev_b32_sdwa v12, v12, v8 dst_sel:DWORD dst_unused:UNUSED_PAD src0_sel:DWORD src1_sel:WORD_1
	v_bfe_u32 v6, v8, 19, 4
	v_sub_u32_e32 v7, 29, v7
	v_and_b32_e32 v12, 7, v12
	v_cmp_eq_u16_e32 vcc, 0, v3
	v_cndmask_b32_e32 v2, v2, v12, vcc
	v_cndmask_b32_e32 v3, v6, v7, vcc
	v_lshlrev_b32_e32 v6, 8, v8
	v_mov_b32_e32 v7, 0x3b800000
	v_lshlrev_b32_e32 v2, 20, v2
	v_and_b32_e32 v6, 0x80000000, v6
	v_lshl_add_u32 v3, v3, 23, v7
	v_or3_b32 v2, v6, v3, v2
.LBB2_4052:
	s_or_b64 exec, exec, s[6:7]
	s_movk_i32 s4, 0xff
	v_and_b32_sdwa v3, v4, s4 dst_sel:DWORD dst_unused:UNUSED_PAD src0_sel:WORD_1 src1_sel:DWORD
	s_movk_i32 s4, 0x7f
	v_cmp_lt_i16_e32 vcc, s4, v3
	s_mov_b64 s[4:5], 0
                                        ; implicit-def: $sgpr10
	s_and_saveexec_b64 s[6:7], vcc
	s_xor_b64 s[6:7], exec, s[6:7]
	s_cbranch_execz .LBB2_4053
; %bb.39893:
	s_getpc_b64 s[14:15]
.Lpost_getpc23530:
	s_add_u32 s14, s14, (.LBB2_18389-.Lpost_getpc23530)&4294967295
	s_addc_u32 s15, s15, (.LBB2_18389-.Lpost_getpc23530)>>32
	s_setpc_b64 s[14:15]
.LBB2_4053:
	s_or_saveexec_b64 s[6:7], s[6:7]
	v_mov_b32_e32 v6, s10
	s_xor_b64 exec, exec, s[6:7]
	s_cbranch_execz .LBB2_4054
; %bb.39895:
	s_getpc_b64 s[14:15]
.Lpost_getpc23531:
	s_add_u32 s14, s14, (.LBB2_18392-.Lpost_getpc23531)&4294967295
	s_addc_u32 s15, s15, (.LBB2_18392-.Lpost_getpc23531)>>32
	s_setpc_b64 s[14:15]
.LBB2_4054:
	s_or_b64 exec, exec, s[6:7]
	s_and_saveexec_b64 s[6:7], s[4:5]
	s_cbranch_execz .LBB2_4056
.LBB2_4055:
	v_bfe_u32 v3, v4, 16, 3
	v_ffbh_u32_e32 v12, v3
	v_min_u32_e32 v12, 32, v12
	v_lshrrev_b32_e32 v6, 19, v4
	v_subrev_u32_e32 v13, 28, v12
	v_and_b32_e32 v6, 15, v6
	v_lshlrev_b32_sdwa v13, v13, v4 dst_sel:DWORD dst_unused:UNUSED_PAD src0_sel:DWORD src1_sel:WORD_1
	v_bfe_u32 v7, v4, 19, 4
	v_sub_u32_e32 v12, 29, v12
	v_and_b32_e32 v13, 7, v13
	v_cmp_eq_u16_e32 vcc, 0, v6
	v_cndmask_b32_e32 v3, v3, v13, vcc
	v_cndmask_b32_e32 v6, v7, v12, vcc
	v_lshlrev_b32_e32 v7, 8, v4
	v_mov_b32_e32 v12, 0x3b800000
	v_lshlrev_b32_e32 v3, 20, v3
	v_and_b32_e32 v7, 0x80000000, v7
	v_lshl_add_u32 v6, v6, 23, v12
	v_or3_b32 v6, v7, v6, v3
.LBB2_4056:
	s_or_b64 exec, exec, s[6:7]
	s_nop 0
	v_mfma_f32_16x16x4f32 a[0:3], v2, v6, a[0:3]
	s_movk_i32 s4, 0x7f
	v_cmp_gt_i16_sdwa s[6:7], v8, s4 src0_sel:BYTE_3 src1_sel:DWORD
	s_mov_b64 s[4:5], 0
                                        ; implicit-def: $sgpr10
	s_and_saveexec_b64 s[8:9], s[6:7]
	s_xor_b64 s[6:7], exec, s[8:9]
	s_cbranch_execz .LBB2_4057
; %bb.39897:
	s_getpc_b64 s[14:15]
.Lpost_getpc23532:
	s_add_u32 s14, s14, (.LBB2_18393-.Lpost_getpc23532)&4294967295
	s_addc_u32 s15, s15, (.LBB2_18393-.Lpost_getpc23532)>>32
	s_setpc_b64 s[14:15]
.LBB2_4057:
	s_or_saveexec_b64 s[6:7], s[6:7]
	v_mov_b32_e32 v2, s10
	s_xor_b64 exec, exec, s[6:7]
	s_cbranch_execz .LBB2_4058
; %bb.39899:
	s_getpc_b64 s[14:15]
.Lpost_getpc23533:
	s_add_u32 s14, s14, (.LBB2_18396-.Lpost_getpc23533)&4294967295
	s_addc_u32 s15, s15, (.LBB2_18396-.Lpost_getpc23533)>>32
	s_setpc_b64 s[14:15]
.LBB2_4058:
	s_or_b64 exec, exec, s[6:7]
	s_and_saveexec_b64 s[6:7], s[4:5]
	s_cbranch_execz .LBB2_4060
.LBB2_4059:
	v_bfe_u32 v2, v8, 24, 3
	v_ffbh_u32_e32 v12, v2
	v_min_u32_e32 v12, 32, v12
	v_lshrrev_b32_e32 v6, 27, v8
	v_subrev_u32_e32 v13, 28, v12
	v_and_b32_e32 v3, 0x80000000, v8
	v_and_b32_e32 v6, 15, v6
	v_bfe_u32 v7, v8, 27, 4
	v_lshlrev_b32_sdwa v8, v13, v8 dst_sel:DWORD dst_unused:UNUSED_PAD src0_sel:DWORD src1_sel:BYTE_3
	v_sub_u32_e32 v12, 29, v12
	v_and_b32_e32 v8, 7, v8
	v_cmp_eq_u16_e32 vcc, 0, v6
	v_cndmask_b32_e32 v2, v2, v8, vcc
	v_cndmask_b32_e32 v6, v7, v12, vcc
	v_mov_b32_e32 v7, 0x3b800000
	v_lshlrev_b32_e32 v2, 20, v2
	v_lshl_add_u32 v6, v6, 23, v7
	v_or3_b32 v2, v3, v6, v2
.LBB2_4060:
	s_or_b64 exec, exec, s[6:7]
	s_movk_i32 s4, 0x7f
	v_cmp_gt_i16_sdwa s[6:7], v4, s4 src0_sel:BYTE_3 src1_sel:DWORD
	s_mov_b64 s[4:5], 0
                                        ; implicit-def: $sgpr10
	s_and_saveexec_b64 s[8:9], s[6:7]
	s_xor_b64 s[6:7], exec, s[8:9]
	s_cbranch_execz .LBB2_4061
; %bb.39901:
	s_getpc_b64 s[14:15]
.Lpost_getpc23534:
	s_add_u32 s14, s14, (.LBB2_18397-.Lpost_getpc23534)&4294967295
	s_addc_u32 s15, s15, (.LBB2_18397-.Lpost_getpc23534)>>32
	s_setpc_b64 s[14:15]
.LBB2_4061:
	s_or_saveexec_b64 s[6:7], s[6:7]
	v_mov_b32_e32 v3, s10
	s_xor_b64 exec, exec, s[6:7]
	s_cbranch_execz .LBB2_4062
; %bb.39903:
	s_getpc_b64 s[14:15]
.Lpost_getpc23535:
	s_add_u32 s14, s14, (.LBB2_18400-.Lpost_getpc23535)&4294967295
	s_addc_u32 s15, s15, (.LBB2_18400-.Lpost_getpc23535)>>32
	s_setpc_b64 s[14:15]
.LBB2_4062:
	s_or_b64 exec, exec, s[6:7]
	s_and_saveexec_b64 s[6:7], s[4:5]
	s_cbranch_execz .LBB2_4064
.LBB2_4063:
	v_bfe_u32 v3, v4, 24, 3
	v_ffbh_u32_e32 v12, v3
	v_min_u32_e32 v12, 32, v12
	v_lshrrev_b32_e32 v7, 27, v4
	v_subrev_u32_e32 v13, 28, v12
	v_and_b32_e32 v6, 0x80000000, v4
	v_and_b32_e32 v7, 15, v7
	v_bfe_u32 v8, v4, 27, 4
	v_lshlrev_b32_sdwa v4, v13, v4 dst_sel:DWORD dst_unused:UNUSED_PAD src0_sel:DWORD src1_sel:BYTE_3
	v_sub_u32_e32 v12, 29, v12
	v_and_b32_e32 v4, 7, v4
	v_cmp_eq_u16_e32 vcc, 0, v7
	v_cndmask_b32_e32 v3, v3, v4, vcc
	v_cndmask_b32_e32 v4, v8, v12, vcc
	v_mov_b32_e32 v7, 0x3b800000
	v_lshlrev_b32_e32 v3, 20, v3
	v_lshl_add_u32 v4, v4, 23, v7
	v_or3_b32 v3, v6, v4, v3
.LBB2_4064:
	s_or_b64 exec, exec, s[6:7]
	s_nop 0
	v_mfma_f32_16x16x4f32 a[0:3], v2, v3, a[0:3]
	s_movk_i32 s4, 0x7f
	v_cmp_gt_i16_sdwa s[6:7], v9, s4 src0_sel:BYTE_0 src1_sel:DWORD
	s_mov_b64 s[4:5], 0
                                        ; implicit-def: $sgpr10
	s_and_saveexec_b64 s[8:9], s[6:7]
	s_xor_b64 s[6:7], exec, s[8:9]
	s_cbranch_execz .LBB2_4065
; %bb.39905:
	s_getpc_b64 s[14:15]
.Lpost_getpc23536:
	s_add_u32 s14, s14, (.LBB2_18401-.Lpost_getpc23536)&4294967295
	s_addc_u32 s15, s15, (.LBB2_18401-.Lpost_getpc23536)>>32
	s_setpc_b64 s[14:15]
.LBB2_4065:
	s_or_saveexec_b64 s[6:7], s[6:7]
	v_mov_b32_e32 v2, s10
	s_xor_b64 exec, exec, s[6:7]
	s_cbranch_execz .LBB2_4066
; %bb.39907:
	s_getpc_b64 s[14:15]
.Lpost_getpc23537:
	s_add_u32 s14, s14, (.LBB2_18404-.Lpost_getpc23537)&4294967295
	s_addc_u32 s15, s15, (.LBB2_18404-.Lpost_getpc23537)>>32
	s_setpc_b64 s[14:15]
.LBB2_4066:
	s_or_b64 exec, exec, s[6:7]
	s_and_saveexec_b64 s[6:7], s[4:5]
	s_cbranch_execz .LBB2_4068
.LBB2_4067:
	v_mov_b32_e32 v2, 8
	v_and_b32_e32 v3, 7, v9
	v_lshrrev_b32_sdwa v2, v2, v9 dst_sel:BYTE_1 dst_unused:UNUSED_PAD src0_sel:DWORD src1_sel:DWORD
	v_ffbh_u32_e32 v4, v3
	v_or_b32_sdwa v2, v9, v2 dst_sel:DWORD dst_unused:UNUSED_PAD src0_sel:BYTE_0 src1_sel:DWORD
	v_min_u32_e32 v4, 32, v4
	v_lshrrev_b16_e32 v2, 3, v2
	v_subrev_u32_e32 v6, 28, v4
	v_and_b32_e32 v2, 15, v2
	v_lshlrev_b32_e32 v6, v6, v9
	v_sub_u32_e32 v4, 29, v4
	v_and_b32_e32 v6, 7, v6
	v_cmp_eq_u16_e32 vcc, 0, v2
	v_cndmask_b32_e32 v3, v3, v6, vcc
	v_cndmask_b32_e32 v2, v2, v4, vcc
	v_lshlrev_b32_e32 v4, 24, v9
	v_mov_b32_e32 v6, 0x3b800000
	v_lshlrev_b32_e32 v3, 20, v3
	v_and_b32_e32 v4, 0x80000000, v4
	v_lshl_add_u32 v2, v2, 23, v6
	v_or3_b32 v2, v4, v2, v3
.LBB2_4068:
	s_or_b64 exec, exec, s[6:7]
	s_movk_i32 s4, 0x7f
	v_cmp_gt_i16_sdwa s[6:7], v5, s4 src0_sel:BYTE_0 src1_sel:DWORD
	s_mov_b64 s[4:5], 0
                                        ; implicit-def: $sgpr10
	s_and_saveexec_b64 s[8:9], s[6:7]
	s_xor_b64 s[6:7], exec, s[8:9]
	s_cbranch_execz .LBB2_4069
; %bb.39909:
	s_getpc_b64 s[14:15]
.Lpost_getpc23538:
	s_add_u32 s14, s14, (.LBB2_18405-.Lpost_getpc23538)&4294967295
	s_addc_u32 s15, s15, (.LBB2_18405-.Lpost_getpc23538)>>32
	s_setpc_b64 s[14:15]
.LBB2_4069:
	s_or_saveexec_b64 s[6:7], s[6:7]
	v_mov_b32_e32 v3, s10
	s_xor_b64 exec, exec, s[6:7]
	s_cbranch_execz .LBB2_4070
; %bb.39911:
	s_getpc_b64 s[14:15]
.Lpost_getpc23539:
	s_add_u32 s14, s14, (.LBB2_18408-.Lpost_getpc23539)&4294967295
	s_addc_u32 s15, s15, (.LBB2_18408-.Lpost_getpc23539)>>32
	s_setpc_b64 s[14:15]
.LBB2_4070:
	s_or_b64 exec, exec, s[6:7]
	s_and_saveexec_b64 s[6:7], s[4:5]
	s_cbranch_execz .LBB2_4072
.LBB2_4071:
	v_mov_b32_e32 v3, 8
	v_and_b32_e32 v4, 7, v5
	v_lshrrev_b32_sdwa v3, v3, v5 dst_sel:BYTE_1 dst_unused:UNUSED_PAD src0_sel:DWORD src1_sel:DWORD
	v_ffbh_u32_e32 v6, v4
	v_or_b32_sdwa v3, v5, v3 dst_sel:DWORD dst_unused:UNUSED_PAD src0_sel:BYTE_0 src1_sel:DWORD
	v_min_u32_e32 v6, 32, v6
	v_lshrrev_b16_e32 v3, 3, v3
	v_subrev_u32_e32 v7, 28, v6
	v_and_b32_e32 v3, 15, v3
	v_lshlrev_b32_e32 v7, v7, v5
	v_sub_u32_e32 v6, 29, v6
	v_and_b32_e32 v7, 7, v7
	v_cmp_eq_u16_e32 vcc, 0, v3
	v_cndmask_b32_e32 v4, v4, v7, vcc
	v_cndmask_b32_e32 v3, v3, v6, vcc
	v_lshlrev_b32_e32 v6, 24, v5
	v_mov_b32_e32 v7, 0x3b800000
	v_lshlrev_b32_e32 v4, 20, v4
	v_and_b32_e32 v6, 0x80000000, v6
	v_lshl_add_u32 v3, v3, 23, v7
	v_or3_b32 v3, v6, v3, v4
.LBB2_4072:
	s_or_b64 exec, exec, s[6:7]
	s_nop 0
	v_mfma_f32_16x16x4f32 a[0:3], v2, v3, a[0:3]
	v_lshrrev_b32_e32 v3, 8, v9
	s_movk_i32 s4, 0x7f
	v_cmp_gt_i16_sdwa s[6:7], v3, s4 src0_sel:BYTE_0 src1_sel:DWORD
	s_mov_b64 s[4:5], 0
                                        ; implicit-def: $sgpr10
	s_and_saveexec_b64 s[8:9], s[6:7]
	s_xor_b64 s[6:7], exec, s[8:9]
	s_cbranch_execz .LBB2_4073
; %bb.39913:
	s_getpc_b64 s[14:15]
.Lpost_getpc23540:
	s_add_u32 s14, s14, (.LBB2_18409-.Lpost_getpc23540)&4294967295
	s_addc_u32 s15, s15, (.LBB2_18409-.Lpost_getpc23540)>>32
	s_setpc_b64 s[14:15]
.LBB2_4073:
	s_or_saveexec_b64 s[6:7], s[6:7]
	v_mov_b32_e32 v2, s10
	s_xor_b64 exec, exec, s[6:7]
	s_cbranch_execz .LBB2_4074
; %bb.39915:
	s_getpc_b64 s[14:15]
.Lpost_getpc23541:
	s_add_u32 s14, s14, (.LBB2_18412-.Lpost_getpc23541)&4294967295
	s_addc_u32 s15, s15, (.LBB2_18412-.Lpost_getpc23541)>>32
	s_setpc_b64 s[14:15]
.LBB2_4074:
	s_or_b64 exec, exec, s[6:7]
	s_and_saveexec_b64 s[6:7], s[4:5]
	s_cbranch_execz .LBB2_4076
.LBB2_4075:
	v_bfe_u32 v2, v9, 8, 3
	v_ffbh_u32_e32 v6, v2
	v_min_u32_e32 v6, 32, v6
	v_lshrrev_b16_e32 v4, 3, v3
	v_subrev_u32_e32 v7, 28, v6
	v_and_b32_e32 v4, 15, v4
	v_lshlrev_b32_e32 v3, v7, v3
	v_sub_u32_e32 v6, 29, v6
	v_and_b32_e32 v3, 7, v3
	v_cmp_eq_u16_e32 vcc, 0, v4
	v_cndmask_b32_e32 v2, v2, v3, vcc
	v_cndmask_b32_e32 v3, v4, v6, vcc
	v_lshlrev_b32_e32 v4, 16, v9
	v_mov_b32_e32 v6, 0x3b800000
	v_lshlrev_b32_e32 v2, 20, v2
	v_and_b32_e32 v4, 0x80000000, v4
	v_lshl_add_u32 v3, v3, 23, v6
	v_or3_b32 v2, v4, v3, v2
.LBB2_4076:
	s_or_b64 exec, exec, s[6:7]
	v_lshrrev_b32_e32 v3, 8, v5
	s_movk_i32 s4, 0x7f
	v_cmp_gt_i16_sdwa s[6:7], v3, s4 src0_sel:BYTE_0 src1_sel:DWORD
	s_mov_b64 s[4:5], 0
                                        ; implicit-def: $sgpr10
	s_and_saveexec_b64 s[8:9], s[6:7]
	s_xor_b64 s[6:7], exec, s[8:9]
	s_cbranch_execz .LBB2_4077
; %bb.39917:
	s_getpc_b64 s[14:15]
.Lpost_getpc23542:
	s_add_u32 s14, s14, (.LBB2_18413-.Lpost_getpc23542)&4294967295
	s_addc_u32 s15, s15, (.LBB2_18413-.Lpost_getpc23542)>>32
	s_setpc_b64 s[14:15]
.LBB2_4077:
	s_or_saveexec_b64 s[6:7], s[6:7]
	v_mov_b32_e32 v4, s10
	s_xor_b64 exec, exec, s[6:7]
	s_cbranch_execz .LBB2_4078
; %bb.39919:
	s_getpc_b64 s[14:15]
.Lpost_getpc23543:
	s_add_u32 s14, s14, (.LBB2_18416-.Lpost_getpc23543)&4294967295
	s_addc_u32 s15, s15, (.LBB2_18416-.Lpost_getpc23543)>>32
	s_setpc_b64 s[14:15]
.LBB2_4078:
	s_or_b64 exec, exec, s[6:7]
	s_and_saveexec_b64 s[6:7], s[4:5]
	s_cbranch_execz .LBB2_4080
.LBB2_4079:
	v_bfe_u32 v4, v5, 8, 3
	v_ffbh_u32_e32 v7, v4
	v_min_u32_e32 v7, 32, v7
	v_lshrrev_b16_e32 v6, 3, v3
	v_subrev_u32_e32 v8, 28, v7
	v_and_b32_e32 v6, 15, v6
	v_lshlrev_b32_e32 v3, v8, v3
	v_sub_u32_e32 v7, 29, v7
	v_and_b32_e32 v3, 7, v3
	v_cmp_eq_u16_e32 vcc, 0, v6
	v_cndmask_b32_e32 v3, v4, v3, vcc
	v_cndmask_b32_e32 v4, v6, v7, vcc
	v_lshlrev_b32_e32 v6, 16, v5
	v_mov_b32_e32 v7, 0x3b800000
	v_lshlrev_b32_e32 v3, 20, v3
	v_and_b32_e32 v6, 0x80000000, v6
	v_lshl_add_u32 v4, v4, 23, v7
	v_or3_b32 v4, v6, v4, v3
.LBB2_4080:
	s_or_b64 exec, exec, s[6:7]
	s_nop 0
	v_mfma_f32_16x16x4f32 a[0:3], v2, v4, a[0:3]
	s_movk_i32 s4, 0xff
	v_and_b32_sdwa v3, v9, s4 dst_sel:DWORD dst_unused:UNUSED_PAD src0_sel:WORD_1 src1_sel:DWORD
	s_movk_i32 s4, 0x7f
	v_cmp_lt_i16_e32 vcc, s4, v3
	s_mov_b64 s[4:5], 0
                                        ; implicit-def: $sgpr10
	s_and_saveexec_b64 s[6:7], vcc
	s_xor_b64 s[6:7], exec, s[6:7]
	s_cbranch_execz .LBB2_4081
; %bb.39921:
	s_getpc_b64 s[14:15]
.Lpost_getpc23544:
	s_add_u32 s14, s14, (.LBB2_18417-.Lpost_getpc23544)&4294967295
	s_addc_u32 s15, s15, (.LBB2_18417-.Lpost_getpc23544)>>32
	s_setpc_b64 s[14:15]
.LBB2_4081:
	s_or_saveexec_b64 s[6:7], s[6:7]
	v_mov_b32_e32 v2, s10
	s_xor_b64 exec, exec, s[6:7]
	s_cbranch_execz .LBB2_4082
; %bb.39923:
	s_getpc_b64 s[14:15]
.Lpost_getpc23545:
	s_add_u32 s14, s14, (.LBB2_18420-.Lpost_getpc23545)&4294967295
	s_addc_u32 s15, s15, (.LBB2_18420-.Lpost_getpc23545)>>32
	s_setpc_b64 s[14:15]
.LBB2_4082:
	s_or_b64 exec, exec, s[6:7]
	s_and_saveexec_b64 s[6:7], s[4:5]
	s_cbranch_execz .LBB2_4084
.LBB2_4083:
	v_bfe_u32 v2, v9, 16, 3
	v_ffbh_u32_e32 v6, v2
	v_min_u32_e32 v6, 32, v6
	v_lshrrev_b32_e32 v3, 19, v9
	v_subrev_u32_e32 v7, 28, v6
	v_and_b32_e32 v3, 15, v3
	v_lshlrev_b32_sdwa v7, v7, v9 dst_sel:DWORD dst_unused:UNUSED_PAD src0_sel:DWORD src1_sel:WORD_1
	v_bfe_u32 v4, v9, 19, 4
	v_sub_u32_e32 v6, 29, v6
	v_and_b32_e32 v7, 7, v7
	v_cmp_eq_u16_e32 vcc, 0, v3
	v_cndmask_b32_e32 v2, v2, v7, vcc
	v_cndmask_b32_e32 v3, v4, v6, vcc
	v_lshlrev_b32_e32 v4, 8, v9
	v_mov_b32_e32 v6, 0x3b800000
	v_lshlrev_b32_e32 v2, 20, v2
	v_and_b32_e32 v4, 0x80000000, v4
	v_lshl_add_u32 v3, v3, 23, v6
	v_or3_b32 v2, v4, v3, v2
.LBB2_4084:
	s_or_b64 exec, exec, s[6:7]
	s_movk_i32 s4, 0xff
	v_and_b32_sdwa v3, v5, s4 dst_sel:DWORD dst_unused:UNUSED_PAD src0_sel:WORD_1 src1_sel:DWORD
	s_movk_i32 s4, 0x7f
	v_cmp_lt_i16_e32 vcc, s4, v3
	s_mov_b64 s[4:5], 0
                                        ; implicit-def: $sgpr10
	s_and_saveexec_b64 s[6:7], vcc
	s_xor_b64 s[6:7], exec, s[6:7]
	s_cbranch_execz .LBB2_4085
; %bb.39925:
	s_getpc_b64 s[14:15]
.Lpost_getpc23546:
	s_add_u32 s14, s14, (.LBB2_18421-.Lpost_getpc23546)&4294967295
	s_addc_u32 s15, s15, (.LBB2_18421-.Lpost_getpc23546)>>32
	s_setpc_b64 s[14:15]
.LBB2_4085:
	s_or_saveexec_b64 s[6:7], s[6:7]
	v_mov_b32_e32 v4, s10
	s_xor_b64 exec, exec, s[6:7]
	s_cbranch_execz .LBB2_4086
; %bb.39927:
	s_getpc_b64 s[14:15]
.Lpost_getpc23547:
	s_add_u32 s14, s14, (.LBB2_18424-.Lpost_getpc23547)&4294967295
	s_addc_u32 s15, s15, (.LBB2_18424-.Lpost_getpc23547)>>32
	s_setpc_b64 s[14:15]
.LBB2_4086:
	s_or_b64 exec, exec, s[6:7]
	s_and_saveexec_b64 s[6:7], s[4:5]
	s_cbranch_execz .LBB2_4088
.LBB2_4087:
	v_bfe_u32 v3, v5, 16, 3
	v_ffbh_u32_e32 v7, v3
	v_min_u32_e32 v7, 32, v7
	v_lshrrev_b32_e32 v4, 19, v5
	v_subrev_u32_e32 v8, 28, v7
	v_and_b32_e32 v4, 15, v4
	v_lshlrev_b32_sdwa v8, v8, v5 dst_sel:DWORD dst_unused:UNUSED_PAD src0_sel:DWORD src1_sel:WORD_1
	v_bfe_u32 v6, v5, 19, 4
	v_sub_u32_e32 v7, 29, v7
	v_and_b32_e32 v8, 7, v8
	v_cmp_eq_u16_e32 vcc, 0, v4
	v_cndmask_b32_e32 v3, v3, v8, vcc
	v_cndmask_b32_e32 v4, v6, v7, vcc
	v_lshlrev_b32_e32 v6, 8, v5
	v_mov_b32_e32 v7, 0x3b800000
	v_lshlrev_b32_e32 v3, 20, v3
	v_and_b32_e32 v6, 0x80000000, v6
	v_lshl_add_u32 v4, v4, 23, v7
	v_or3_b32 v4, v6, v4, v3
.LBB2_4088:
	s_or_b64 exec, exec, s[6:7]
	s_nop 0
	v_mfma_f32_16x16x4f32 a[0:3], v2, v4, a[0:3]
	s_movk_i32 s4, 0x7f
	v_cmp_gt_i16_sdwa s[6:7], v9, s4 src0_sel:BYTE_3 src1_sel:DWORD
	s_mov_b64 s[4:5], 0
                                        ; implicit-def: $sgpr10
	s_and_saveexec_b64 s[8:9], s[6:7]
	s_xor_b64 s[6:7], exec, s[8:9]
	s_cbranch_execz .LBB2_4089
; %bb.39929:
	s_getpc_b64 s[14:15]
.Lpost_getpc23548:
	s_add_u32 s14, s14, (.LBB2_18425-.Lpost_getpc23548)&4294967295
	s_addc_u32 s15, s15, (.LBB2_18425-.Lpost_getpc23548)>>32
	s_setpc_b64 s[14:15]
.LBB2_4089:
	s_or_saveexec_b64 s[6:7], s[6:7]
	v_mov_b32_e32 v2, s10
	s_xor_b64 exec, exec, s[6:7]
	s_cbranch_execz .LBB2_4090
; %bb.39931:
	s_getpc_b64 s[14:15]
.Lpost_getpc23549:
	s_add_u32 s14, s14, (.LBB2_18428-.Lpost_getpc23549)&4294967295
	s_addc_u32 s15, s15, (.LBB2_18428-.Lpost_getpc23549)>>32
	s_setpc_b64 s[14:15]
.LBB2_4090:
	s_or_b64 exec, exec, s[6:7]
	s_and_saveexec_b64 s[6:7], s[4:5]
	s_cbranch_execz .LBB2_4092
.LBB2_4091:
	v_bfe_u32 v2, v9, 24, 3
	v_ffbh_u32_e32 v7, v2
	v_min_u32_e32 v7, 32, v7
	v_lshrrev_b32_e32 v4, 27, v9
	v_subrev_u32_e32 v8, 28, v7
	v_and_b32_e32 v4, 15, v4
	v_lshlrev_b32_sdwa v8, v8, v9 dst_sel:DWORD dst_unused:UNUSED_PAD src0_sel:DWORD src1_sel:BYTE_3
	v_bfe_u32 v6, v9, 27, 4
	v_sub_u32_e32 v7, 29, v7
	v_and_b32_e32 v8, 7, v8
	v_cmp_eq_u16_e32 vcc, 0, v4
	v_cndmask_b32_e32 v2, v2, v8, vcc
	v_cndmask_b32_e32 v4, v6, v7, vcc
	v_mov_b32_e32 v6, 0x3b800000
	v_and_b32_e32 v3, 0x80000000, v9
	v_lshlrev_b32_e32 v2, 20, v2
	v_lshl_add_u32 v4, v4, 23, v6
	v_or3_b32 v2, v3, v4, v2
.LBB2_4092:
	s_or_b64 exec, exec, s[6:7]
	s_movk_i32 s4, 0x7f
	v_cmp_gt_i16_sdwa s[6:7], v5, s4 src0_sel:BYTE_3 src1_sel:DWORD
	s_mov_b64 s[4:5], 0
                                        ; implicit-def: $sgpr10
	s_and_saveexec_b64 s[8:9], s[6:7]
	s_xor_b64 s[6:7], exec, s[8:9]
	s_cbranch_execz .LBB2_4093
; %bb.39933:
	s_getpc_b64 s[14:15]
.Lpost_getpc23550:
	s_add_u32 s14, s14, (.LBB2_18429-.Lpost_getpc23550)&4294967295
	s_addc_u32 s15, s15, (.LBB2_18429-.Lpost_getpc23550)>>32
	s_setpc_b64 s[14:15]
.LBB2_4093:
	s_or_saveexec_b64 s[6:7], s[6:7]
	v_mov_b32_e32 v3, s10
	s_xor_b64 exec, exec, s[6:7]
	s_cbranch_execz .LBB2_4094
; %bb.39935:
	s_getpc_b64 s[14:15]
.Lpost_getpc23551:
	s_add_u32 s14, s14, (.LBB2_18432-.Lpost_getpc23551)&4294967295
	s_addc_u32 s15, s15, (.LBB2_18432-.Lpost_getpc23551)>>32
	s_setpc_b64 s[14:15]
.LBB2_4094:
	s_or_b64 exec, exec, s[6:7]
	s_and_saveexec_b64 s[6:7], s[4:5]
	s_cbranch_execz .LBB2_4096
.LBB2_4095:
	v_bfe_u32 v3, v5, 24, 3
	v_ffbh_u32_e32 v8, v3
	v_min_u32_e32 v8, 32, v8
	v_lshrrev_b32_e32 v6, 27, v5
	v_subrev_u32_e32 v9, 28, v8
	v_and_b32_e32 v4, 0x80000000, v5
	v_and_b32_e32 v6, 15, v6
	v_bfe_u32 v7, v5, 27, 4
	v_lshlrev_b32_sdwa v5, v9, v5 dst_sel:DWORD dst_unused:UNUSED_PAD src0_sel:DWORD src1_sel:BYTE_3
	v_sub_u32_e32 v8, 29, v8
	v_and_b32_e32 v5, 7, v5
	v_cmp_eq_u16_e32 vcc, 0, v6
	v_cndmask_b32_e32 v3, v3, v5, vcc
	v_cndmask_b32_e32 v5, v7, v8, vcc
	v_mov_b32_e32 v6, 0x3b800000
	v_lshlrev_b32_e32 v3, 20, v3
	v_lshl_add_u32 v5, v5, 23, v6
	v_or3_b32 v3, v4, v5, v3
.LBB2_4096:
	s_or_b64 exec, exec, s[6:7]
	s_nop 0
	v_mfma_f32_16x16x4f32 a[0:3], v2, v3, a[0:3]
	s_movk_i32 s4, 0x7f
                                        ; implicit-def: $sgpr10
	s_nop 7
	s_nop 1
	flat_store_dwordx4 v[10:11], a[0:3] offset:496
	flat_load_dwordx4 v[12:15], v[0:1]
	s_nop 0
	flat_load_dwordx2 v[10:11], v[0:1] offset:16
	s_waitcnt vmcnt(0) lgkmcnt(0)
	flat_load_dwordx4 v[6:9], v[12:13] offset:64
	flat_load_dwordx4 v[2:5], v[14:15]
	s_waitcnt vmcnt(0) lgkmcnt(0)
	v_cmp_gt_i16_sdwa s[6:7], v6, s4 src0_sel:BYTE_0 src1_sel:DWORD
	s_mov_b64 s[4:5], 0
	s_and_saveexec_b64 s[8:9], s[6:7]
	s_xor_b64 s[6:7], exec, s[8:9]
	s_cbranch_execz .LBB2_4097
; %bb.39937:
	s_getpc_b64 s[14:15]
.Lpost_getpc23552:
	s_add_u32 s14, s14, (.LBB2_18433-.Lpost_getpc23552)&4294967295
	s_addc_u32 s15, s15, (.LBB2_18433-.Lpost_getpc23552)>>32
	s_setpc_b64 s[14:15]
.LBB2_4097:
	s_or_saveexec_b64 s[6:7], s[6:7]
	v_mov_b32_e32 v12, s10
	s_xor_b64 exec, exec, s[6:7]
	s_cbranch_execz .LBB2_4098
; %bb.39939:
	s_getpc_b64 s[14:15]
.Lpost_getpc23553:
	s_add_u32 s14, s14, (.LBB2_18436-.Lpost_getpc23553)&4294967295
	s_addc_u32 s15, s15, (.LBB2_18436-.Lpost_getpc23553)>>32
	s_setpc_b64 s[14:15]
.LBB2_4098:
	s_or_b64 exec, exec, s[6:7]
	s_and_saveexec_b64 s[6:7], s[4:5]
	s_cbranch_execz .LBB2_4100
.LBB2_4099:
	v_and_b32_e32 v12, 7, v6
	v_ffbh_u32_e32 v14, v12
	v_min_u32_e32 v14, 32, v14
	v_lshrrev_b16_e32 v13, 3, v6
	v_subrev_u32_e32 v15, 28, v14
	v_and_b32_e32 v13, 15, v13
	v_lshlrev_b32_e32 v15, v15, v6
	v_sub_u32_e32 v14, 29, v14
	v_and_b32_e32 v15, 7, v15
	v_cmp_eq_u16_e32 vcc, 0, v13
	v_cndmask_b32_e32 v12, v12, v15, vcc
	v_cndmask_b32_e32 v13, v13, v14, vcc
	v_lshlrev_b32_e32 v14, 24, v6
	v_mov_b32_e32 v15, 0x3b800000
	v_lshlrev_b32_e32 v12, 20, v12
	v_and_b32_e32 v14, 0x80000000, v14
	v_lshl_add_u32 v13, v13, 23, v15
	v_or3_b32 v12, v14, v13, v12
.LBB2_4100:
	s_or_b64 exec, exec, s[6:7]
	s_movk_i32 s4, 0x7f
	v_cmp_gt_i16_sdwa s[6:7], v2, s4 src0_sel:BYTE_0 src1_sel:DWORD
	s_mov_b64 s[4:5], 0
                                        ; implicit-def: $sgpr10
	s_and_saveexec_b64 s[8:9], s[6:7]
	s_xor_b64 s[6:7], exec, s[8:9]
	s_cbranch_execz .LBB2_4101
; %bb.39941:
	s_getpc_b64 s[14:15]
.Lpost_getpc23554:
	s_add_u32 s14, s14, (.LBB2_18437-.Lpost_getpc23554)&4294967295
	s_addc_u32 s15, s15, (.LBB2_18437-.Lpost_getpc23554)>>32
	s_setpc_b64 s[14:15]
.LBB2_4101:
	s_or_saveexec_b64 s[6:7], s[6:7]
	v_mov_b32_e32 v13, s10
	s_xor_b64 exec, exec, s[6:7]
	s_cbranch_execz .LBB2_4102
; %bb.39943:
	s_getpc_b64 s[14:15]
.Lpost_getpc23555:
	s_add_u32 s14, s14, (.LBB2_18440-.Lpost_getpc23555)&4294967295
	s_addc_u32 s15, s15, (.LBB2_18440-.Lpost_getpc23555)>>32
	s_setpc_b64 s[14:15]
.LBB2_4102:
	s_or_b64 exec, exec, s[6:7]
	s_and_saveexec_b64 s[6:7], s[4:5]
	s_cbranch_execz .LBB2_4104
.LBB2_4103:
	v_and_b32_e32 v13, 7, v2
	v_ffbh_u32_e32 v15, v13
	v_min_u32_e32 v15, 32, v15
	v_lshrrev_b16_e32 v14, 3, v2
	v_subrev_u32_e32 v16, 28, v15
	v_and_b32_e32 v14, 15, v14
	v_lshlrev_b32_e32 v16, v16, v2
	v_sub_u32_e32 v15, 29, v15
	v_and_b32_e32 v16, 7, v16
	v_cmp_eq_u16_e32 vcc, 0, v14
	v_cndmask_b32_e32 v13, v13, v16, vcc
	v_cndmask_b32_e32 v14, v14, v15, vcc
	v_lshlrev_b32_e32 v15, 24, v2
	v_mov_b32_e32 v16, 0x3b800000
	v_lshlrev_b32_e32 v13, 20, v13
	v_and_b32_e32 v15, 0x80000000, v15
	v_lshl_add_u32 v14, v14, 23, v16
	v_or3_b32 v13, v15, v14, v13
.LBB2_4104:
	s_or_b64 exec, exec, s[6:7]
	flat_load_dwordx4 a[0:3], v[10:11] offset:512
	s_movk_i32 s4, 0x7f
                                        ; implicit-def: $sgpr10
	s_waitcnt vmcnt(0) lgkmcnt(0)
	v_mfma_f32_16x16x4f32 a[0:3], v12, v13, a[0:3]
	v_lshrrev_b32_e32 v13, 8, v6
	v_cmp_gt_i16_sdwa s[6:7], v13, s4 src0_sel:BYTE_0 src1_sel:DWORD
	s_mov_b64 s[4:5], 0
	s_and_saveexec_b64 s[8:9], s[6:7]
	s_xor_b64 s[6:7], exec, s[8:9]
	s_cbranch_execz .LBB2_4105
; %bb.39945:
	s_getpc_b64 s[14:15]
.Lpost_getpc23556:
	s_add_u32 s14, s14, (.LBB2_18441-.Lpost_getpc23556)&4294967295
	s_addc_u32 s15, s15, (.LBB2_18441-.Lpost_getpc23556)>>32
	s_setpc_b64 s[14:15]
.LBB2_4105:
	s_or_saveexec_b64 s[6:7], s[6:7]
	v_mov_b32_e32 v12, s10
	s_xor_b64 exec, exec, s[6:7]
	s_cbranch_execz .LBB2_4106
; %bb.39947:
	s_getpc_b64 s[14:15]
.Lpost_getpc23557:
	s_add_u32 s14, s14, (.LBB2_18444-.Lpost_getpc23557)&4294967295
	s_addc_u32 s15, s15, (.LBB2_18444-.Lpost_getpc23557)>>32
	s_setpc_b64 s[14:15]
.LBB2_4106:
	s_or_b64 exec, exec, s[6:7]
	s_and_saveexec_b64 s[6:7], s[4:5]
	s_cbranch_execz .LBB2_4108
.LBB2_4107:
	v_bfe_u32 v12, v6, 8, 3
	v_ffbh_u32_e32 v15, v12
	v_min_u32_e32 v15, 32, v15
	v_lshrrev_b16_e32 v14, 3, v13
	v_subrev_u32_e32 v16, 28, v15
	v_and_b32_e32 v14, 15, v14
	v_lshlrev_b32_e32 v13, v16, v13
	v_sub_u32_e32 v15, 29, v15
	v_and_b32_e32 v13, 7, v13
	v_cmp_eq_u16_e32 vcc, 0, v14
	v_cndmask_b32_e32 v12, v12, v13, vcc
	v_cndmask_b32_e32 v13, v14, v15, vcc
	v_lshlrev_b32_e32 v14, 16, v6
	v_mov_b32_e32 v15, 0x3b800000
	v_lshlrev_b32_e32 v12, 20, v12
	v_and_b32_e32 v14, 0x80000000, v14
	v_lshl_add_u32 v13, v13, 23, v15
	v_or3_b32 v12, v14, v13, v12
.LBB2_4108:
	s_or_b64 exec, exec, s[6:7]
	v_lshrrev_b32_e32 v13, 8, v2
	s_movk_i32 s4, 0x7f
	v_cmp_gt_i16_sdwa s[6:7], v13, s4 src0_sel:BYTE_0 src1_sel:DWORD
	s_mov_b64 s[4:5], 0
                                        ; implicit-def: $sgpr10
	s_and_saveexec_b64 s[8:9], s[6:7]
	s_xor_b64 s[6:7], exec, s[8:9]
	s_cbranch_execz .LBB2_4109
; %bb.39949:
	s_getpc_b64 s[14:15]
.Lpost_getpc23558:
	s_add_u32 s14, s14, (.LBB2_18445-.Lpost_getpc23558)&4294967295
	s_addc_u32 s15, s15, (.LBB2_18445-.Lpost_getpc23558)>>32
	s_setpc_b64 s[14:15]
.LBB2_4109:
	s_or_saveexec_b64 s[6:7], s[6:7]
	v_mov_b32_e32 v14, s10
	s_xor_b64 exec, exec, s[6:7]
	s_cbranch_execz .LBB2_4110
; %bb.39951:
	s_getpc_b64 s[14:15]
.Lpost_getpc23559:
	s_add_u32 s14, s14, (.LBB2_18448-.Lpost_getpc23559)&4294967295
	s_addc_u32 s15, s15, (.LBB2_18448-.Lpost_getpc23559)>>32
	s_setpc_b64 s[14:15]
.LBB2_4110:
	s_or_b64 exec, exec, s[6:7]
	s_and_saveexec_b64 s[6:7], s[4:5]
	s_cbranch_execz .LBB2_4112
.LBB2_4111:
	v_bfe_u32 v14, v2, 8, 3
	v_ffbh_u32_e32 v16, v14
	v_min_u32_e32 v16, 32, v16
	v_lshrrev_b16_e32 v15, 3, v13
	v_subrev_u32_e32 v17, 28, v16
	v_and_b32_e32 v15, 15, v15
	v_lshlrev_b32_e32 v13, v17, v13
	v_sub_u32_e32 v16, 29, v16
	v_and_b32_e32 v13, 7, v13
	v_cmp_eq_u16_e32 vcc, 0, v15
	v_cndmask_b32_e32 v13, v14, v13, vcc
	v_cndmask_b32_e32 v14, v15, v16, vcc
	v_lshlrev_b32_e32 v15, 16, v2
	v_mov_b32_e32 v16, 0x3b800000
	v_lshlrev_b32_e32 v13, 20, v13
	v_and_b32_e32 v15, 0x80000000, v15
	v_lshl_add_u32 v14, v14, 23, v16
	v_or3_b32 v14, v15, v14, v13
.LBB2_4112:
	s_or_b64 exec, exec, s[6:7]
	s_nop 0
	v_mfma_f32_16x16x4f32 a[0:3], v12, v14, a[0:3]
	s_movk_i32 s4, 0xff
	v_and_b32_sdwa v13, v6, s4 dst_sel:DWORD dst_unused:UNUSED_PAD src0_sel:WORD_1 src1_sel:DWORD
	s_movk_i32 s4, 0x7f
	v_cmp_lt_i16_e32 vcc, s4, v13
	s_mov_b64 s[4:5], 0
                                        ; implicit-def: $sgpr10
	s_and_saveexec_b64 s[6:7], vcc
	s_xor_b64 s[6:7], exec, s[6:7]
	s_cbranch_execz .LBB2_4113
; %bb.39953:
	s_getpc_b64 s[14:15]
.Lpost_getpc23560:
	s_add_u32 s14, s14, (.LBB2_18449-.Lpost_getpc23560)&4294967295
	s_addc_u32 s15, s15, (.LBB2_18449-.Lpost_getpc23560)>>32
	s_setpc_b64 s[14:15]
.LBB2_4113:
	s_or_saveexec_b64 s[6:7], s[6:7]
	v_mov_b32_e32 v12, s10
	s_xor_b64 exec, exec, s[6:7]
	s_cbranch_execz .LBB2_4114
; %bb.39955:
	s_getpc_b64 s[14:15]
.Lpost_getpc23561:
	s_add_u32 s14, s14, (.LBB2_18452-.Lpost_getpc23561)&4294967295
	s_addc_u32 s15, s15, (.LBB2_18452-.Lpost_getpc23561)>>32
	s_setpc_b64 s[14:15]
.LBB2_4114:
	s_or_b64 exec, exec, s[6:7]
	s_and_saveexec_b64 s[6:7], s[4:5]
	s_cbranch_execz .LBB2_4116
.LBB2_4115:
	v_bfe_u32 v12, v6, 16, 3
	v_ffbh_u32_e32 v15, v12
	v_min_u32_e32 v15, 32, v15
	v_lshrrev_b32_e32 v13, 19, v6
	v_subrev_u32_e32 v16, 28, v15
	v_and_b32_e32 v13, 15, v13
	v_lshlrev_b32_sdwa v16, v16, v6 dst_sel:DWORD dst_unused:UNUSED_PAD src0_sel:DWORD src1_sel:WORD_1
	v_bfe_u32 v14, v6, 19, 4
	v_sub_u32_e32 v15, 29, v15
	v_and_b32_e32 v16, 7, v16
	v_cmp_eq_u16_e32 vcc, 0, v13
	v_cndmask_b32_e32 v12, v12, v16, vcc
	v_cndmask_b32_e32 v13, v14, v15, vcc
	v_lshlrev_b32_e32 v14, 8, v6
	v_mov_b32_e32 v15, 0x3b800000
	v_lshlrev_b32_e32 v12, 20, v12
	v_and_b32_e32 v14, 0x80000000, v14
	v_lshl_add_u32 v13, v13, 23, v15
	v_or3_b32 v12, v14, v13, v12
.LBB2_4116:
	s_or_b64 exec, exec, s[6:7]
	s_movk_i32 s4, 0xff
	v_and_b32_sdwa v13, v2, s4 dst_sel:DWORD dst_unused:UNUSED_PAD src0_sel:WORD_1 src1_sel:DWORD
	s_movk_i32 s4, 0x7f
	v_cmp_lt_i16_e32 vcc, s4, v13
	s_mov_b64 s[4:5], 0
                                        ; implicit-def: $sgpr10
	s_and_saveexec_b64 s[6:7], vcc
	s_xor_b64 s[6:7], exec, s[6:7]
	s_cbranch_execz .LBB2_4117
; %bb.39957:
	s_getpc_b64 s[14:15]
.Lpost_getpc23562:
	s_add_u32 s14, s14, (.LBB2_18453-.Lpost_getpc23562)&4294967295
	s_addc_u32 s15, s15, (.LBB2_18453-.Lpost_getpc23562)>>32
	s_setpc_b64 s[14:15]
.LBB2_4117:
	s_or_saveexec_b64 s[6:7], s[6:7]
	v_mov_b32_e32 v14, s10
	s_xor_b64 exec, exec, s[6:7]
	s_cbranch_execz .LBB2_4118
; %bb.39959:
	s_getpc_b64 s[14:15]
.Lpost_getpc23563:
	s_add_u32 s14, s14, (.LBB2_18456-.Lpost_getpc23563)&4294967295
	s_addc_u32 s15, s15, (.LBB2_18456-.Lpost_getpc23563)>>32
	s_setpc_b64 s[14:15]
.LBB2_4118:
	s_or_b64 exec, exec, s[6:7]
	s_and_saveexec_b64 s[6:7], s[4:5]
	s_cbranch_execz .LBB2_4120
.LBB2_4119:
	v_bfe_u32 v13, v2, 16, 3
	v_ffbh_u32_e32 v16, v13
	v_min_u32_e32 v16, 32, v16
	v_lshrrev_b32_e32 v14, 19, v2
	v_subrev_u32_e32 v17, 28, v16
	v_and_b32_e32 v14, 15, v14
	v_lshlrev_b32_sdwa v17, v17, v2 dst_sel:DWORD dst_unused:UNUSED_PAD src0_sel:DWORD src1_sel:WORD_1
	v_bfe_u32 v15, v2, 19, 4
	v_sub_u32_e32 v16, 29, v16
	v_and_b32_e32 v17, 7, v17
	v_cmp_eq_u16_e32 vcc, 0, v14
	v_cndmask_b32_e32 v13, v13, v17, vcc
	v_cndmask_b32_e32 v14, v15, v16, vcc
	v_lshlrev_b32_e32 v15, 8, v2
	v_mov_b32_e32 v16, 0x3b800000
	v_lshlrev_b32_e32 v13, 20, v13
	v_and_b32_e32 v15, 0x80000000, v15
	v_lshl_add_u32 v14, v14, 23, v16
	v_or3_b32 v14, v15, v14, v13
.LBB2_4120:
	s_or_b64 exec, exec, s[6:7]
	s_nop 0
	v_mfma_f32_16x16x4f32 a[0:3], v12, v14, a[0:3]
	s_movk_i32 s4, 0x7f
	v_cmp_gt_i16_sdwa s[6:7], v6, s4 src0_sel:BYTE_3 src1_sel:DWORD
	s_mov_b64 s[4:5], 0
                                        ; implicit-def: $sgpr10
	s_and_saveexec_b64 s[8:9], s[6:7]
	s_xor_b64 s[6:7], exec, s[8:9]
	s_cbranch_execz .LBB2_4121
; %bb.39961:
	s_getpc_b64 s[14:15]
.Lpost_getpc23564:
	s_add_u32 s14, s14, (.LBB2_18457-.Lpost_getpc23564)&4294967295
	s_addc_u32 s15, s15, (.LBB2_18457-.Lpost_getpc23564)>>32
	s_setpc_b64 s[14:15]
.LBB2_4121:
	s_or_saveexec_b64 s[6:7], s[6:7]
	v_mov_b32_e32 v12, s10
	s_xor_b64 exec, exec, s[6:7]
	s_cbranch_execz .LBB2_4122
; %bb.39963:
	s_getpc_b64 s[14:15]
.Lpost_getpc23565:
	s_add_u32 s14, s14, (.LBB2_18460-.Lpost_getpc23565)&4294967295
	s_addc_u32 s15, s15, (.LBB2_18460-.Lpost_getpc23565)>>32
	s_setpc_b64 s[14:15]
.LBB2_4122:
	s_or_b64 exec, exec, s[6:7]
	s_and_saveexec_b64 s[6:7], s[4:5]
	s_cbranch_execz .LBB2_4124
.LBB2_4123:
	v_bfe_u32 v12, v6, 24, 3
	v_ffbh_u32_e32 v16, v12
	v_min_u32_e32 v16, 32, v16
	v_lshrrev_b32_e32 v14, 27, v6
	v_subrev_u32_e32 v17, 28, v16
	v_and_b32_e32 v13, 0x80000000, v6
	v_and_b32_e32 v14, 15, v14
	v_bfe_u32 v15, v6, 27, 4
	v_lshlrev_b32_sdwa v6, v17, v6 dst_sel:DWORD dst_unused:UNUSED_PAD src0_sel:DWORD src1_sel:BYTE_3
	v_sub_u32_e32 v16, 29, v16
	v_and_b32_e32 v6, 7, v6
	v_cmp_eq_u16_e32 vcc, 0, v14
	v_cndmask_b32_e32 v6, v12, v6, vcc
	v_cndmask_b32_e32 v12, v15, v16, vcc
	v_mov_b32_e32 v14, 0x3b800000
	v_lshlrev_b32_e32 v6, 20, v6
	v_lshl_add_u32 v12, v12, 23, v14
	v_or3_b32 v12, v13, v12, v6
.LBB2_4124:
	s_or_b64 exec, exec, s[6:7]
	s_movk_i32 s4, 0x7f
	v_cmp_gt_i16_sdwa s[6:7], v2, s4 src0_sel:BYTE_3 src1_sel:DWORD
	s_mov_b64 s[4:5], 0
                                        ; implicit-def: $sgpr10
	s_and_saveexec_b64 s[8:9], s[6:7]
	s_xor_b64 s[6:7], exec, s[8:9]
	s_cbranch_execz .LBB2_4125
; %bb.39965:
	s_getpc_b64 s[14:15]
.Lpost_getpc23566:
	s_add_u32 s14, s14, (.LBB2_18461-.Lpost_getpc23566)&4294967295
	s_addc_u32 s15, s15, (.LBB2_18461-.Lpost_getpc23566)>>32
	s_setpc_b64 s[14:15]
.LBB2_4125:
	s_or_saveexec_b64 s[6:7], s[6:7]
	v_mov_b32_e32 v6, s10
	s_xor_b64 exec, exec, s[6:7]
	s_cbranch_execz .LBB2_4126
; %bb.39967:
	s_getpc_b64 s[14:15]
.Lpost_getpc23567:
	s_add_u32 s14, s14, (.LBB2_18464-.Lpost_getpc23567)&4294967295
	s_addc_u32 s15, s15, (.LBB2_18464-.Lpost_getpc23567)>>32
	s_setpc_b64 s[14:15]
.LBB2_4126:
	s_or_b64 exec, exec, s[6:7]
	s_and_saveexec_b64 s[6:7], s[4:5]
	s_cbranch_execz .LBB2_4128
.LBB2_4127:
	v_bfe_u32 v6, v2, 24, 3
	v_ffbh_u32_e32 v16, v6
	v_min_u32_e32 v16, 32, v16
	v_lshrrev_b32_e32 v14, 27, v2
	v_subrev_u32_e32 v17, 28, v16
	v_and_b32_e32 v13, 0x80000000, v2
	v_and_b32_e32 v14, 15, v14
	v_bfe_u32 v15, v2, 27, 4
	v_lshlrev_b32_sdwa v2, v17, v2 dst_sel:DWORD dst_unused:UNUSED_PAD src0_sel:DWORD src1_sel:BYTE_3
	v_sub_u32_e32 v16, 29, v16
	v_and_b32_e32 v2, 7, v2
	v_cmp_eq_u16_e32 vcc, 0, v14
	v_cndmask_b32_e32 v2, v6, v2, vcc
	v_cndmask_b32_e32 v6, v15, v16, vcc
	v_mov_b32_e32 v14, 0x3b800000
	v_lshlrev_b32_e32 v2, 20, v2
	v_lshl_add_u32 v6, v6, 23, v14
	v_or3_b32 v6, v13, v6, v2
.LBB2_4128:
	s_or_b64 exec, exec, s[6:7]
	s_nop 0
	v_mfma_f32_16x16x4f32 a[0:3], v12, v6, a[0:3]
	s_movk_i32 s4, 0x7f
	v_cmp_gt_i16_sdwa s[6:7], v7, s4 src0_sel:BYTE_0 src1_sel:DWORD
	s_mov_b64 s[4:5], 0
                                        ; implicit-def: $sgpr10
	s_and_saveexec_b64 s[8:9], s[6:7]
	s_xor_b64 s[6:7], exec, s[8:9]
	s_cbranch_execz .LBB2_4129
; %bb.39969:
	s_getpc_b64 s[14:15]
.Lpost_getpc23568:
	s_add_u32 s14, s14, (.LBB2_18465-.Lpost_getpc23568)&4294967295
	s_addc_u32 s15, s15, (.LBB2_18465-.Lpost_getpc23568)>>32
	s_setpc_b64 s[14:15]
.LBB2_4129:
	s_or_saveexec_b64 s[6:7], s[6:7]
	v_mov_b32_e32 v2, s10
	s_xor_b64 exec, exec, s[6:7]
	s_cbranch_execz .LBB2_4130
; %bb.39971:
	s_getpc_b64 s[14:15]
.Lpost_getpc23569:
	s_add_u32 s14, s14, (.LBB2_18468-.Lpost_getpc23569)&4294967295
	s_addc_u32 s15, s15, (.LBB2_18468-.Lpost_getpc23569)>>32
	s_setpc_b64 s[14:15]
.LBB2_4130:
	s_or_b64 exec, exec, s[6:7]
	s_and_saveexec_b64 s[6:7], s[4:5]
	s_cbranch_execz .LBB2_4132
.LBB2_4131:
	v_and_b32_e32 v2, 7, v7
	v_ffbh_u32_e32 v12, v2
	v_min_u32_e32 v12, 32, v12
	v_lshrrev_b16_e32 v6, 3, v7
	v_subrev_u32_e32 v13, 28, v12
	v_and_b32_e32 v6, 15, v6
	v_lshlrev_b32_e32 v13, v13, v7
	v_sub_u32_e32 v12, 29, v12
	v_and_b32_e32 v13, 7, v13
	v_cmp_eq_u16_e32 vcc, 0, v6
	v_cndmask_b32_e32 v2, v2, v13, vcc
	v_cndmask_b32_e32 v6, v6, v12, vcc
	v_lshlrev_b32_e32 v12, 24, v7
	v_mov_b32_e32 v13, 0x3b800000
	v_lshlrev_b32_e32 v2, 20, v2
	v_and_b32_e32 v12, 0x80000000, v12
	v_lshl_add_u32 v6, v6, 23, v13
	v_or3_b32 v2, v12, v6, v2
.LBB2_4132:
	s_or_b64 exec, exec, s[6:7]
	s_movk_i32 s4, 0x7f
	v_cmp_gt_i16_sdwa s[6:7], v3, s4 src0_sel:BYTE_0 src1_sel:DWORD
	s_mov_b64 s[4:5], 0
                                        ; implicit-def: $sgpr10
	s_and_saveexec_b64 s[8:9], s[6:7]
	s_xor_b64 s[6:7], exec, s[8:9]
	s_cbranch_execz .LBB2_4133
; %bb.39973:
	s_getpc_b64 s[14:15]
.Lpost_getpc23570:
	s_add_u32 s14, s14, (.LBB2_18469-.Lpost_getpc23570)&4294967295
	s_addc_u32 s15, s15, (.LBB2_18469-.Lpost_getpc23570)>>32
	s_setpc_b64 s[14:15]
.LBB2_4133:
	s_or_saveexec_b64 s[6:7], s[6:7]
	v_mov_b32_e32 v6, s10
	s_xor_b64 exec, exec, s[6:7]
	s_cbranch_execz .LBB2_4134
; %bb.39975:
	s_getpc_b64 s[14:15]
.Lpost_getpc23571:
	s_add_u32 s14, s14, (.LBB2_18472-.Lpost_getpc23571)&4294967295
	s_addc_u32 s15, s15, (.LBB2_18472-.Lpost_getpc23571)>>32
	s_setpc_b64 s[14:15]
.LBB2_4134:
	s_or_b64 exec, exec, s[6:7]
	s_and_saveexec_b64 s[6:7], s[4:5]
	s_cbranch_execz .LBB2_4136
.LBB2_4135:
	v_and_b32_e32 v6, 7, v3
	v_ffbh_u32_e32 v13, v6
	v_min_u32_e32 v13, 32, v13
	v_lshrrev_b16_e32 v12, 3, v3
	v_subrev_u32_e32 v14, 28, v13
	v_and_b32_e32 v12, 15, v12
	v_lshlrev_b32_e32 v14, v14, v3
	v_sub_u32_e32 v13, 29, v13
	v_and_b32_e32 v14, 7, v14
	v_cmp_eq_u16_e32 vcc, 0, v12
	v_cndmask_b32_e32 v6, v6, v14, vcc
	v_cndmask_b32_e32 v12, v12, v13, vcc
	v_lshlrev_b32_e32 v13, 24, v3
	v_mov_b32_e32 v14, 0x3b800000
	v_lshlrev_b32_e32 v6, 20, v6
	v_and_b32_e32 v13, 0x80000000, v13
	v_lshl_add_u32 v12, v12, 23, v14
	v_or3_b32 v6, v13, v12, v6
.LBB2_4136:
	s_or_b64 exec, exec, s[6:7]
	s_nop 0
	v_mfma_f32_16x16x4f32 a[0:3], v2, v6, a[0:3]
	v_lshrrev_b32_e32 v6, 8, v7
	s_movk_i32 s4, 0x7f
	v_cmp_gt_i16_sdwa s[6:7], v6, s4 src0_sel:BYTE_0 src1_sel:DWORD
	s_mov_b64 s[4:5], 0
                                        ; implicit-def: $sgpr10
	s_and_saveexec_b64 s[8:9], s[6:7]
	s_xor_b64 s[6:7], exec, s[8:9]
	s_cbranch_execz .LBB2_4137
; %bb.39977:
	s_getpc_b64 s[14:15]
.Lpost_getpc23572:
	s_add_u32 s14, s14, (.LBB2_18473-.Lpost_getpc23572)&4294967295
	s_addc_u32 s15, s15, (.LBB2_18473-.Lpost_getpc23572)>>32
	s_setpc_b64 s[14:15]
.LBB2_4137:
	s_or_saveexec_b64 s[6:7], s[6:7]
	v_mov_b32_e32 v2, s10
	s_xor_b64 exec, exec, s[6:7]
	s_cbranch_execz .LBB2_4138
; %bb.39979:
	s_getpc_b64 s[14:15]
.Lpost_getpc23573:
	s_add_u32 s14, s14, (.LBB2_18476-.Lpost_getpc23573)&4294967295
	s_addc_u32 s15, s15, (.LBB2_18476-.Lpost_getpc23573)>>32
	s_setpc_b64 s[14:15]
.LBB2_4138:
	s_or_b64 exec, exec, s[6:7]
	s_and_saveexec_b64 s[6:7], s[4:5]
	s_cbranch_execz .LBB2_4140
.LBB2_4139:
	v_bfe_u32 v2, v7, 8, 3
	v_ffbh_u32_e32 v13, v2
	v_min_u32_e32 v13, 32, v13
	v_lshrrev_b16_e32 v12, 3, v6
	v_subrev_u32_e32 v14, 28, v13
	v_and_b32_e32 v12, 15, v12
	v_lshlrev_b32_e32 v6, v14, v6
	v_sub_u32_e32 v13, 29, v13
	v_and_b32_e32 v6, 7, v6
	v_cmp_eq_u16_e32 vcc, 0, v12
	v_cndmask_b32_e32 v2, v2, v6, vcc
	v_cndmask_b32_e32 v6, v12, v13, vcc
	v_lshlrev_b32_e32 v12, 16, v7
	v_mov_b32_e32 v13, 0x3b800000
	v_lshlrev_b32_e32 v2, 20, v2
	v_and_b32_e32 v12, 0x80000000, v12
	v_lshl_add_u32 v6, v6, 23, v13
	v_or3_b32 v2, v12, v6, v2
.LBB2_4140:
	s_or_b64 exec, exec, s[6:7]
	v_lshrrev_b32_e32 v6, 8, v3
	s_movk_i32 s4, 0x7f
	v_cmp_gt_i16_sdwa s[6:7], v6, s4 src0_sel:BYTE_0 src1_sel:DWORD
	s_mov_b64 s[4:5], 0
                                        ; implicit-def: $sgpr10
	s_and_saveexec_b64 s[8:9], s[6:7]
	s_xor_b64 s[6:7], exec, s[8:9]
	s_cbranch_execz .LBB2_4141
; %bb.39981:
	s_getpc_b64 s[14:15]
.Lpost_getpc23574:
	s_add_u32 s14, s14, (.LBB2_18477-.Lpost_getpc23574)&4294967295
	s_addc_u32 s15, s15, (.LBB2_18477-.Lpost_getpc23574)>>32
	s_setpc_b64 s[14:15]
.LBB2_4141:
	s_or_saveexec_b64 s[6:7], s[6:7]
	v_mov_b32_e32 v12, s10
	s_xor_b64 exec, exec, s[6:7]
	s_cbranch_execz .LBB2_4142
; %bb.39983:
	s_getpc_b64 s[14:15]
.Lpost_getpc23575:
	s_add_u32 s14, s14, (.LBB2_18480-.Lpost_getpc23575)&4294967295
	s_addc_u32 s15, s15, (.LBB2_18480-.Lpost_getpc23575)>>32
	s_setpc_b64 s[14:15]
.LBB2_4142:
	s_or_b64 exec, exec, s[6:7]
	s_and_saveexec_b64 s[6:7], s[4:5]
	s_cbranch_execz .LBB2_4144
.LBB2_4143:
	v_bfe_u32 v12, v3, 8, 3
	v_ffbh_u32_e32 v14, v12
	v_min_u32_e32 v14, 32, v14
	v_lshrrev_b16_e32 v13, 3, v6
	v_subrev_u32_e32 v15, 28, v14
	v_and_b32_e32 v13, 15, v13
	v_lshlrev_b32_e32 v6, v15, v6
	v_sub_u32_e32 v14, 29, v14
	v_and_b32_e32 v6, 7, v6
	v_cmp_eq_u16_e32 vcc, 0, v13
	v_cndmask_b32_e32 v6, v12, v6, vcc
	v_cndmask_b32_e32 v12, v13, v14, vcc
	v_lshlrev_b32_e32 v13, 16, v3
	v_mov_b32_e32 v14, 0x3b800000
	v_lshlrev_b32_e32 v6, 20, v6
	v_and_b32_e32 v13, 0x80000000, v13
	v_lshl_add_u32 v12, v12, 23, v14
	v_or3_b32 v12, v13, v12, v6
.LBB2_4144:
	s_or_b64 exec, exec, s[6:7]
	s_nop 0
	v_mfma_f32_16x16x4f32 a[0:3], v2, v12, a[0:3]
	s_movk_i32 s4, 0xff
	v_and_b32_sdwa v6, v7, s4 dst_sel:DWORD dst_unused:UNUSED_PAD src0_sel:WORD_1 src1_sel:DWORD
	s_movk_i32 s4, 0x7f
	v_cmp_lt_i16_e32 vcc, s4, v6
	s_mov_b64 s[4:5], 0
                                        ; implicit-def: $sgpr10
	s_and_saveexec_b64 s[6:7], vcc
	s_xor_b64 s[6:7], exec, s[6:7]
	s_cbranch_execz .LBB2_4145
; %bb.39985:
	s_getpc_b64 s[14:15]
.Lpost_getpc23576:
	s_add_u32 s14, s14, (.LBB2_18481-.Lpost_getpc23576)&4294967295
	s_addc_u32 s15, s15, (.LBB2_18481-.Lpost_getpc23576)>>32
	s_setpc_b64 s[14:15]
.LBB2_4145:
	s_or_saveexec_b64 s[6:7], s[6:7]
	v_mov_b32_e32 v2, s10
	s_xor_b64 exec, exec, s[6:7]
	s_cbranch_execz .LBB2_4146
; %bb.39987:
	s_getpc_b64 s[14:15]
.Lpost_getpc23577:
	s_add_u32 s14, s14, (.LBB2_18484-.Lpost_getpc23577)&4294967295
	s_addc_u32 s15, s15, (.LBB2_18484-.Lpost_getpc23577)>>32
	s_setpc_b64 s[14:15]
.LBB2_4146:
	s_or_b64 exec, exec, s[6:7]
	s_and_saveexec_b64 s[6:7], s[4:5]
	s_cbranch_execz .LBB2_4148
.LBB2_4147:
	v_bfe_u32 v2, v7, 16, 3
	v_ffbh_u32_e32 v13, v2
	v_min_u32_e32 v13, 32, v13
	v_lshrrev_b32_e32 v6, 19, v7
	v_subrev_u32_e32 v14, 28, v13
	v_and_b32_e32 v6, 15, v6
	v_lshlrev_b32_sdwa v14, v14, v7 dst_sel:DWORD dst_unused:UNUSED_PAD src0_sel:DWORD src1_sel:WORD_1
	v_bfe_u32 v12, v7, 19, 4
	v_sub_u32_e32 v13, 29, v13
	v_and_b32_e32 v14, 7, v14
	v_cmp_eq_u16_e32 vcc, 0, v6
	v_cndmask_b32_e32 v2, v2, v14, vcc
	v_cndmask_b32_e32 v6, v12, v13, vcc
	v_lshlrev_b32_e32 v12, 8, v7
	v_mov_b32_e32 v13, 0x3b800000
	v_lshlrev_b32_e32 v2, 20, v2
	v_and_b32_e32 v12, 0x80000000, v12
	v_lshl_add_u32 v6, v6, 23, v13
	v_or3_b32 v2, v12, v6, v2
.LBB2_4148:
	s_or_b64 exec, exec, s[6:7]
	s_movk_i32 s4, 0xff
	v_and_b32_sdwa v6, v3, s4 dst_sel:DWORD dst_unused:UNUSED_PAD src0_sel:WORD_1 src1_sel:DWORD
	s_movk_i32 s4, 0x7f
	v_cmp_lt_i16_e32 vcc, s4, v6
	s_mov_b64 s[4:5], 0
                                        ; implicit-def: $sgpr10
	s_and_saveexec_b64 s[6:7], vcc
	s_xor_b64 s[6:7], exec, s[6:7]
	s_cbranch_execz .LBB2_4149
; %bb.39989:
	s_getpc_b64 s[14:15]
.Lpost_getpc23578:
	s_add_u32 s14, s14, (.LBB2_18485-.Lpost_getpc23578)&4294967295
	s_addc_u32 s15, s15, (.LBB2_18485-.Lpost_getpc23578)>>32
	s_setpc_b64 s[14:15]
.LBB2_4149:
	s_or_saveexec_b64 s[6:7], s[6:7]
	v_mov_b32_e32 v12, s10
	s_xor_b64 exec, exec, s[6:7]
	s_cbranch_execz .LBB2_4150
; %bb.39991:
	s_getpc_b64 s[14:15]
.Lpost_getpc23579:
	s_add_u32 s14, s14, (.LBB2_18488-.Lpost_getpc23579)&4294967295
	s_addc_u32 s15, s15, (.LBB2_18488-.Lpost_getpc23579)>>32
	s_setpc_b64 s[14:15]
.LBB2_4150:
	s_or_b64 exec, exec, s[6:7]
	s_and_saveexec_b64 s[6:7], s[4:5]
	s_cbranch_execz .LBB2_4152
.LBB2_4151:
	v_bfe_u32 v6, v3, 16, 3
	v_ffbh_u32_e32 v14, v6
	v_min_u32_e32 v14, 32, v14
	v_lshrrev_b32_e32 v12, 19, v3
	v_subrev_u32_e32 v15, 28, v14
	v_and_b32_e32 v12, 15, v12
	v_lshlrev_b32_sdwa v15, v15, v3 dst_sel:DWORD dst_unused:UNUSED_PAD src0_sel:DWORD src1_sel:WORD_1
	v_bfe_u32 v13, v3, 19, 4
	v_sub_u32_e32 v14, 29, v14
	v_and_b32_e32 v15, 7, v15
	v_cmp_eq_u16_e32 vcc, 0, v12
	v_cndmask_b32_e32 v6, v6, v15, vcc
	v_cndmask_b32_e32 v12, v13, v14, vcc
	v_lshlrev_b32_e32 v13, 8, v3
	v_mov_b32_e32 v14, 0x3b800000
	v_lshlrev_b32_e32 v6, 20, v6
	v_and_b32_e32 v13, 0x80000000, v13
	v_lshl_add_u32 v12, v12, 23, v14
	v_or3_b32 v12, v13, v12, v6
.LBB2_4152:
	s_or_b64 exec, exec, s[6:7]
	s_nop 0
	v_mfma_f32_16x16x4f32 a[0:3], v2, v12, a[0:3]
	s_movk_i32 s4, 0x7f
	v_cmp_gt_i16_sdwa s[6:7], v7, s4 src0_sel:BYTE_3 src1_sel:DWORD
	s_mov_b64 s[4:5], 0
                                        ; implicit-def: $sgpr10
	s_and_saveexec_b64 s[8:9], s[6:7]
	s_xor_b64 s[6:7], exec, s[8:9]
	s_cbranch_execz .LBB2_4153
; %bb.39993:
	s_getpc_b64 s[14:15]
.Lpost_getpc23580:
	s_add_u32 s14, s14, (.LBB2_18489-.Lpost_getpc23580)&4294967295
	s_addc_u32 s15, s15, (.LBB2_18489-.Lpost_getpc23580)>>32
	s_setpc_b64 s[14:15]
.LBB2_4153:
	s_or_saveexec_b64 s[6:7], s[6:7]
	v_mov_b32_e32 v2, s10
	s_xor_b64 exec, exec, s[6:7]
	s_cbranch_execz .LBB2_4154
; %bb.39995:
	s_getpc_b64 s[14:15]
.Lpost_getpc23581:
	s_add_u32 s14, s14, (.LBB2_18492-.Lpost_getpc23581)&4294967295
	s_addc_u32 s15, s15, (.LBB2_18492-.Lpost_getpc23581)>>32
	s_setpc_b64 s[14:15]
.LBB2_4154:
	s_or_b64 exec, exec, s[6:7]
	s_and_saveexec_b64 s[6:7], s[4:5]
	s_cbranch_execz .LBB2_4156
.LBB2_4155:
	v_bfe_u32 v2, v7, 24, 3
	v_ffbh_u32_e32 v14, v2
	v_min_u32_e32 v14, 32, v14
	v_lshrrev_b32_e32 v12, 27, v7
	v_subrev_u32_e32 v15, 28, v14
	v_and_b32_e32 v6, 0x80000000, v7
	v_and_b32_e32 v12, 15, v12
	v_bfe_u32 v13, v7, 27, 4
	v_lshlrev_b32_sdwa v7, v15, v7 dst_sel:DWORD dst_unused:UNUSED_PAD src0_sel:DWORD src1_sel:BYTE_3
	v_sub_u32_e32 v14, 29, v14
	v_and_b32_e32 v7, 7, v7
	v_cmp_eq_u16_e32 vcc, 0, v12
	v_cndmask_b32_e32 v2, v2, v7, vcc
	v_cndmask_b32_e32 v7, v13, v14, vcc
	v_mov_b32_e32 v12, 0x3b800000
	v_lshlrev_b32_e32 v2, 20, v2
	v_lshl_add_u32 v7, v7, 23, v12
	v_or3_b32 v2, v6, v7, v2
.LBB2_4156:
	s_or_b64 exec, exec, s[6:7]
	s_movk_i32 s4, 0x7f
	v_cmp_gt_i16_sdwa s[6:7], v3, s4 src0_sel:BYTE_3 src1_sel:DWORD
	s_mov_b64 s[4:5], 0
                                        ; implicit-def: $sgpr10
	s_and_saveexec_b64 s[8:9], s[6:7]
	s_xor_b64 s[6:7], exec, s[8:9]
	s_cbranch_execz .LBB2_4157
; %bb.39997:
	s_getpc_b64 s[14:15]
.Lpost_getpc23582:
	s_add_u32 s14, s14, (.LBB2_18493-.Lpost_getpc23582)&4294967295
	s_addc_u32 s15, s15, (.LBB2_18493-.Lpost_getpc23582)>>32
	s_setpc_b64 s[14:15]
.LBB2_4157:
	s_or_saveexec_b64 s[6:7], s[6:7]
	v_mov_b32_e32 v6, s10
	s_xor_b64 exec, exec, s[6:7]
	s_cbranch_execz .LBB2_4158
; %bb.39999:
	s_getpc_b64 s[14:15]
.Lpost_getpc23583:
	s_add_u32 s14, s14, (.LBB2_18496-.Lpost_getpc23583)&4294967295
	s_addc_u32 s15, s15, (.LBB2_18496-.Lpost_getpc23583)>>32
	s_setpc_b64 s[14:15]
.LBB2_4158:
	s_or_b64 exec, exec, s[6:7]
	s_and_saveexec_b64 s[6:7], s[4:5]
	s_cbranch_execz .LBB2_4160
.LBB2_4159:
	v_bfe_u32 v6, v3, 24, 3
	v_ffbh_u32_e32 v14, v6
	v_min_u32_e32 v14, 32, v14
	v_lshrrev_b32_e32 v12, 27, v3
	v_subrev_u32_e32 v15, 28, v14
	v_and_b32_e32 v7, 0x80000000, v3
	v_and_b32_e32 v12, 15, v12
	v_bfe_u32 v13, v3, 27, 4
	v_lshlrev_b32_sdwa v3, v15, v3 dst_sel:DWORD dst_unused:UNUSED_PAD src0_sel:DWORD src1_sel:BYTE_3
	v_sub_u32_e32 v14, 29, v14
	v_and_b32_e32 v3, 7, v3
	v_cmp_eq_u16_e32 vcc, 0, v12
	v_cndmask_b32_e32 v3, v6, v3, vcc
	v_cndmask_b32_e32 v6, v13, v14, vcc
	v_mov_b32_e32 v12, 0x3b800000
	v_lshlrev_b32_e32 v3, 20, v3
	v_lshl_add_u32 v6, v6, 23, v12
	v_or3_b32 v6, v7, v6, v3
.LBB2_4160:
	s_or_b64 exec, exec, s[6:7]
	s_nop 0
	v_mfma_f32_16x16x4f32 a[0:3], v2, v6, a[0:3]
	s_movk_i32 s4, 0x7f
	v_cmp_gt_i16_sdwa s[6:7], v8, s4 src0_sel:BYTE_0 src1_sel:DWORD
	s_mov_b64 s[4:5], 0
                                        ; implicit-def: $sgpr10
	s_and_saveexec_b64 s[8:9], s[6:7]
	s_xor_b64 s[6:7], exec, s[8:9]
	s_cbranch_execz .LBB2_4161
; %bb.40001:
	s_getpc_b64 s[14:15]
.Lpost_getpc23584:
	s_add_u32 s14, s14, (.LBB2_18497-.Lpost_getpc23584)&4294967295
	s_addc_u32 s15, s15, (.LBB2_18497-.Lpost_getpc23584)>>32
	s_setpc_b64 s[14:15]
.LBB2_4161:
	s_or_saveexec_b64 s[6:7], s[6:7]
	v_mov_b32_e32 v2, s10
	s_xor_b64 exec, exec, s[6:7]
	s_cbranch_execz .LBB2_4162
; %bb.40003:
	s_getpc_b64 s[14:15]
.Lpost_getpc23585:
	s_add_u32 s14, s14, (.LBB2_18500-.Lpost_getpc23585)&4294967295
	s_addc_u32 s15, s15, (.LBB2_18500-.Lpost_getpc23585)>>32
	s_setpc_b64 s[14:15]
.LBB2_4162:
	s_or_b64 exec, exec, s[6:7]
	s_and_saveexec_b64 s[6:7], s[4:5]
	s_cbranch_execz .LBB2_4164
.LBB2_4163:
	v_and_b32_e32 v2, 7, v8
	v_ffbh_u32_e32 v6, v2
	v_min_u32_e32 v6, 32, v6
	v_lshrrev_b16_e32 v3, 3, v8
	v_subrev_u32_e32 v7, 28, v6
	v_and_b32_e32 v3, 15, v3
	v_lshlrev_b32_e32 v7, v7, v8
	v_sub_u32_e32 v6, 29, v6
	v_and_b32_e32 v7, 7, v7
	v_cmp_eq_u16_e32 vcc, 0, v3
	v_cndmask_b32_e32 v2, v2, v7, vcc
	v_cndmask_b32_e32 v3, v3, v6, vcc
	v_lshlrev_b32_e32 v6, 24, v8
	v_mov_b32_e32 v7, 0x3b800000
	v_lshlrev_b32_e32 v2, 20, v2
	v_and_b32_e32 v6, 0x80000000, v6
	v_lshl_add_u32 v3, v3, 23, v7
	v_or3_b32 v2, v6, v3, v2
.LBB2_4164:
	s_or_b64 exec, exec, s[6:7]
	s_movk_i32 s4, 0x7f
	v_cmp_gt_i16_sdwa s[6:7], v4, s4 src0_sel:BYTE_0 src1_sel:DWORD
	s_mov_b64 s[4:5], 0
                                        ; implicit-def: $sgpr10
	s_and_saveexec_b64 s[8:9], s[6:7]
	s_xor_b64 s[6:7], exec, s[8:9]
	s_cbranch_execz .LBB2_4165
; %bb.40005:
	s_getpc_b64 s[14:15]
.Lpost_getpc23586:
	s_add_u32 s14, s14, (.LBB2_18501-.Lpost_getpc23586)&4294967295
	s_addc_u32 s15, s15, (.LBB2_18501-.Lpost_getpc23586)>>32
	s_setpc_b64 s[14:15]
.LBB2_4165:
	s_or_saveexec_b64 s[6:7], s[6:7]
	v_mov_b32_e32 v3, s10
	s_xor_b64 exec, exec, s[6:7]
	s_cbranch_execz .LBB2_4166
; %bb.40007:
	s_getpc_b64 s[14:15]
.Lpost_getpc23587:
	s_add_u32 s14, s14, (.LBB2_18504-.Lpost_getpc23587)&4294967295
	s_addc_u32 s15, s15, (.LBB2_18504-.Lpost_getpc23587)>>32
	s_setpc_b64 s[14:15]
.LBB2_4166:
	s_or_b64 exec, exec, s[6:7]
	s_and_saveexec_b64 s[6:7], s[4:5]
	s_cbranch_execz .LBB2_4168
.LBB2_4167:
	v_and_b32_e32 v3, 7, v4
	v_ffbh_u32_e32 v7, v3
	v_min_u32_e32 v7, 32, v7
	v_lshrrev_b16_e32 v6, 3, v4
	v_subrev_u32_e32 v12, 28, v7
	v_and_b32_e32 v6, 15, v6
	v_lshlrev_b32_e32 v12, v12, v4
	v_sub_u32_e32 v7, 29, v7
	v_and_b32_e32 v12, 7, v12
	v_cmp_eq_u16_e32 vcc, 0, v6
	v_cndmask_b32_e32 v3, v3, v12, vcc
	v_cndmask_b32_e32 v6, v6, v7, vcc
	v_lshlrev_b32_e32 v7, 24, v4
	v_mov_b32_e32 v12, 0x3b800000
	v_lshlrev_b32_e32 v3, 20, v3
	v_and_b32_e32 v7, 0x80000000, v7
	v_lshl_add_u32 v6, v6, 23, v12
	v_or3_b32 v3, v7, v6, v3
.LBB2_4168:
	s_or_b64 exec, exec, s[6:7]
	s_nop 0
	v_mfma_f32_16x16x4f32 a[0:3], v2, v3, a[0:3]
	v_lshrrev_b32_e32 v3, 8, v8
	s_movk_i32 s4, 0x7f
	v_cmp_gt_i16_sdwa s[6:7], v3, s4 src0_sel:BYTE_0 src1_sel:DWORD
	s_mov_b64 s[4:5], 0
                                        ; implicit-def: $sgpr10
	s_and_saveexec_b64 s[8:9], s[6:7]
	s_xor_b64 s[6:7], exec, s[8:9]
	s_cbranch_execz .LBB2_4169
; %bb.40009:
	s_getpc_b64 s[14:15]
.Lpost_getpc23588:
	s_add_u32 s14, s14, (.LBB2_18505-.Lpost_getpc23588)&4294967295
	s_addc_u32 s15, s15, (.LBB2_18505-.Lpost_getpc23588)>>32
	s_setpc_b64 s[14:15]
.LBB2_4169:
	s_or_saveexec_b64 s[6:7], s[6:7]
	v_mov_b32_e32 v2, s10
	s_xor_b64 exec, exec, s[6:7]
	s_cbranch_execz .LBB2_4170
; %bb.40011:
	s_getpc_b64 s[14:15]
.Lpost_getpc23589:
	s_add_u32 s14, s14, (.LBB2_18508-.Lpost_getpc23589)&4294967295
	s_addc_u32 s15, s15, (.LBB2_18508-.Lpost_getpc23589)>>32
	s_setpc_b64 s[14:15]
.LBB2_4170:
	s_or_b64 exec, exec, s[6:7]
	s_and_saveexec_b64 s[6:7], s[4:5]
	s_cbranch_execz .LBB2_4172
.LBB2_4171:
	v_bfe_u32 v2, v8, 8, 3
	v_ffbh_u32_e32 v7, v2
	v_min_u32_e32 v7, 32, v7
	v_lshrrev_b16_e32 v6, 3, v3
	v_subrev_u32_e32 v12, 28, v7
	v_and_b32_e32 v6, 15, v6
	v_lshlrev_b32_e32 v3, v12, v3
	v_sub_u32_e32 v7, 29, v7
	v_and_b32_e32 v3, 7, v3
	v_cmp_eq_u16_e32 vcc, 0, v6
	v_cndmask_b32_e32 v2, v2, v3, vcc
	v_cndmask_b32_e32 v3, v6, v7, vcc
	v_lshlrev_b32_e32 v6, 16, v8
	v_mov_b32_e32 v7, 0x3b800000
	v_lshlrev_b32_e32 v2, 20, v2
	v_and_b32_e32 v6, 0x80000000, v6
	v_lshl_add_u32 v3, v3, 23, v7
	v_or3_b32 v2, v6, v3, v2
.LBB2_4172:
	s_or_b64 exec, exec, s[6:7]
	v_lshrrev_b32_e32 v3, 8, v4
	s_movk_i32 s4, 0x7f
	v_cmp_gt_i16_sdwa s[6:7], v3, s4 src0_sel:BYTE_0 src1_sel:DWORD
	s_mov_b64 s[4:5], 0
                                        ; implicit-def: $sgpr10
	s_and_saveexec_b64 s[8:9], s[6:7]
	s_xor_b64 s[6:7], exec, s[8:9]
	s_cbranch_execz .LBB2_4173
; %bb.40013:
	s_getpc_b64 s[14:15]
.Lpost_getpc23590:
	s_add_u32 s14, s14, (.LBB2_18509-.Lpost_getpc23590)&4294967295
	s_addc_u32 s15, s15, (.LBB2_18509-.Lpost_getpc23590)>>32
	s_setpc_b64 s[14:15]
.LBB2_4173:
	s_or_saveexec_b64 s[6:7], s[6:7]
	v_mov_b32_e32 v6, s10
	s_xor_b64 exec, exec, s[6:7]
	s_cbranch_execz .LBB2_4174
; %bb.40015:
	s_getpc_b64 s[14:15]
.Lpost_getpc23591:
	s_add_u32 s14, s14, (.LBB2_18512-.Lpost_getpc23591)&4294967295
	s_addc_u32 s15, s15, (.LBB2_18512-.Lpost_getpc23591)>>32
	s_setpc_b64 s[14:15]
.LBB2_4174:
	s_or_b64 exec, exec, s[6:7]
	s_and_saveexec_b64 s[6:7], s[4:5]
	s_cbranch_execz .LBB2_4176
.LBB2_4175:
	v_bfe_u32 v6, v4, 8, 3
	v_ffbh_u32_e32 v12, v6
	v_min_u32_e32 v12, 32, v12
	v_lshrrev_b16_e32 v7, 3, v3
	v_subrev_u32_e32 v13, 28, v12
	v_and_b32_e32 v7, 15, v7
	v_lshlrev_b32_e32 v3, v13, v3
	v_sub_u32_e32 v12, 29, v12
	v_and_b32_e32 v3, 7, v3
	v_cmp_eq_u16_e32 vcc, 0, v7
	v_cndmask_b32_e32 v3, v6, v3, vcc
	v_cndmask_b32_e32 v6, v7, v12, vcc
	v_lshlrev_b32_e32 v7, 16, v4
	v_mov_b32_e32 v12, 0x3b800000
	v_lshlrev_b32_e32 v3, 20, v3
	v_and_b32_e32 v7, 0x80000000, v7
	v_lshl_add_u32 v6, v6, 23, v12
	v_or3_b32 v6, v7, v6, v3
.LBB2_4176:
	s_or_b64 exec, exec, s[6:7]
	s_nop 0
	v_mfma_f32_16x16x4f32 a[0:3], v2, v6, a[0:3]
	s_movk_i32 s4, 0xff
	v_and_b32_sdwa v3, v8, s4 dst_sel:DWORD dst_unused:UNUSED_PAD src0_sel:WORD_1 src1_sel:DWORD
	s_movk_i32 s4, 0x7f
	v_cmp_lt_i16_e32 vcc, s4, v3
	s_mov_b64 s[4:5], 0
                                        ; implicit-def: $sgpr10
	s_and_saveexec_b64 s[6:7], vcc
	s_xor_b64 s[6:7], exec, s[6:7]
	s_cbranch_execz .LBB2_4177
; %bb.40017:
	s_getpc_b64 s[14:15]
.Lpost_getpc23592:
	s_add_u32 s14, s14, (.LBB2_18513-.Lpost_getpc23592)&4294967295
	s_addc_u32 s15, s15, (.LBB2_18513-.Lpost_getpc23592)>>32
	s_setpc_b64 s[14:15]
.LBB2_4177:
	s_or_saveexec_b64 s[6:7], s[6:7]
	v_mov_b32_e32 v2, s10
	s_xor_b64 exec, exec, s[6:7]
	s_cbranch_execz .LBB2_4178
; %bb.40019:
	s_getpc_b64 s[14:15]
.Lpost_getpc23593:
	s_add_u32 s14, s14, (.LBB2_18516-.Lpost_getpc23593)&4294967295
	s_addc_u32 s15, s15, (.LBB2_18516-.Lpost_getpc23593)>>32
	s_setpc_b64 s[14:15]
.LBB2_4178:
	s_or_b64 exec, exec, s[6:7]
	s_and_saveexec_b64 s[6:7], s[4:5]
	s_cbranch_execz .LBB2_4180
.LBB2_4179:
	v_bfe_u32 v2, v8, 16, 3
	v_ffbh_u32_e32 v7, v2
	v_min_u32_e32 v7, 32, v7
	v_lshrrev_b32_e32 v3, 19, v8
	v_subrev_u32_e32 v12, 28, v7
	v_and_b32_e32 v3, 15, v3
	v_lshlrev_b32_sdwa v12, v12, v8 dst_sel:DWORD dst_unused:UNUSED_PAD src0_sel:DWORD src1_sel:WORD_1
	v_bfe_u32 v6, v8, 19, 4
	v_sub_u32_e32 v7, 29, v7
	v_and_b32_e32 v12, 7, v12
	v_cmp_eq_u16_e32 vcc, 0, v3
	v_cndmask_b32_e32 v2, v2, v12, vcc
	v_cndmask_b32_e32 v3, v6, v7, vcc
	v_lshlrev_b32_e32 v6, 8, v8
	v_mov_b32_e32 v7, 0x3b800000
	v_lshlrev_b32_e32 v2, 20, v2
	v_and_b32_e32 v6, 0x80000000, v6
	v_lshl_add_u32 v3, v3, 23, v7
	v_or3_b32 v2, v6, v3, v2
.LBB2_4180:
	s_or_b64 exec, exec, s[6:7]
	s_movk_i32 s4, 0xff
	v_and_b32_sdwa v3, v4, s4 dst_sel:DWORD dst_unused:UNUSED_PAD src0_sel:WORD_1 src1_sel:DWORD
	s_movk_i32 s4, 0x7f
	v_cmp_lt_i16_e32 vcc, s4, v3
	s_mov_b64 s[4:5], 0
                                        ; implicit-def: $sgpr10
	s_and_saveexec_b64 s[6:7], vcc
	s_xor_b64 s[6:7], exec, s[6:7]
	s_cbranch_execz .LBB2_4181
; %bb.40021:
	s_getpc_b64 s[14:15]
.Lpost_getpc23594:
	s_add_u32 s14, s14, (.LBB2_18517-.Lpost_getpc23594)&4294967295
	s_addc_u32 s15, s15, (.LBB2_18517-.Lpost_getpc23594)>>32
	s_setpc_b64 s[14:15]
.LBB2_4181:
	s_or_saveexec_b64 s[6:7], s[6:7]
	v_mov_b32_e32 v6, s10
	s_xor_b64 exec, exec, s[6:7]
	s_cbranch_execz .LBB2_4182
; %bb.40023:
	s_getpc_b64 s[14:15]
.Lpost_getpc23595:
	s_add_u32 s14, s14, (.LBB2_18520-.Lpost_getpc23595)&4294967295
	s_addc_u32 s15, s15, (.LBB2_18520-.Lpost_getpc23595)>>32
	s_setpc_b64 s[14:15]
.LBB2_4182:
	s_or_b64 exec, exec, s[6:7]
	s_and_saveexec_b64 s[6:7], s[4:5]
	s_cbranch_execz .LBB2_4184
.LBB2_4183:
	v_bfe_u32 v3, v4, 16, 3
	v_ffbh_u32_e32 v12, v3
	v_min_u32_e32 v12, 32, v12
	v_lshrrev_b32_e32 v6, 19, v4
	v_subrev_u32_e32 v13, 28, v12
	v_and_b32_e32 v6, 15, v6
	v_lshlrev_b32_sdwa v13, v13, v4 dst_sel:DWORD dst_unused:UNUSED_PAD src0_sel:DWORD src1_sel:WORD_1
	v_bfe_u32 v7, v4, 19, 4
	v_sub_u32_e32 v12, 29, v12
	v_and_b32_e32 v13, 7, v13
	v_cmp_eq_u16_e32 vcc, 0, v6
	v_cndmask_b32_e32 v3, v3, v13, vcc
	v_cndmask_b32_e32 v6, v7, v12, vcc
	v_lshlrev_b32_e32 v7, 8, v4
	v_mov_b32_e32 v12, 0x3b800000
	v_lshlrev_b32_e32 v3, 20, v3
	v_and_b32_e32 v7, 0x80000000, v7
	v_lshl_add_u32 v6, v6, 23, v12
	v_or3_b32 v6, v7, v6, v3
.LBB2_4184:
	s_or_b64 exec, exec, s[6:7]
	s_nop 0
	v_mfma_f32_16x16x4f32 a[0:3], v2, v6, a[0:3]
	s_movk_i32 s4, 0x7f
	v_cmp_gt_i16_sdwa s[6:7], v8, s4 src0_sel:BYTE_3 src1_sel:DWORD
	s_mov_b64 s[4:5], 0
                                        ; implicit-def: $sgpr10
	s_and_saveexec_b64 s[8:9], s[6:7]
	s_xor_b64 s[6:7], exec, s[8:9]
	s_cbranch_execz .LBB2_4185
; %bb.40025:
	s_getpc_b64 s[14:15]
.Lpost_getpc23596:
	s_add_u32 s14, s14, (.LBB2_18521-.Lpost_getpc23596)&4294967295
	s_addc_u32 s15, s15, (.LBB2_18521-.Lpost_getpc23596)>>32
	s_setpc_b64 s[14:15]
.LBB2_4185:
	s_or_saveexec_b64 s[6:7], s[6:7]
	v_mov_b32_e32 v2, s10
	s_xor_b64 exec, exec, s[6:7]
	s_cbranch_execz .LBB2_4186
; %bb.40027:
	s_getpc_b64 s[14:15]
.Lpost_getpc23597:
	s_add_u32 s14, s14, (.LBB2_18524-.Lpost_getpc23597)&4294967295
	s_addc_u32 s15, s15, (.LBB2_18524-.Lpost_getpc23597)>>32
	s_setpc_b64 s[14:15]
.LBB2_4186:
	s_or_b64 exec, exec, s[6:7]
	s_and_saveexec_b64 s[6:7], s[4:5]
	s_cbranch_execz .LBB2_4188
.LBB2_4187:
	v_bfe_u32 v2, v8, 24, 3
	v_ffbh_u32_e32 v12, v2
	v_min_u32_e32 v12, 32, v12
	v_lshrrev_b32_e32 v6, 27, v8
	v_subrev_u32_e32 v13, 28, v12
	v_and_b32_e32 v3, 0x80000000, v8
	v_and_b32_e32 v6, 15, v6
	v_bfe_u32 v7, v8, 27, 4
	v_lshlrev_b32_sdwa v8, v13, v8 dst_sel:DWORD dst_unused:UNUSED_PAD src0_sel:DWORD src1_sel:BYTE_3
	v_sub_u32_e32 v12, 29, v12
	v_and_b32_e32 v8, 7, v8
	v_cmp_eq_u16_e32 vcc, 0, v6
	v_cndmask_b32_e32 v2, v2, v8, vcc
	v_cndmask_b32_e32 v6, v7, v12, vcc
	v_mov_b32_e32 v7, 0x3b800000
	v_lshlrev_b32_e32 v2, 20, v2
	v_lshl_add_u32 v6, v6, 23, v7
	v_or3_b32 v2, v3, v6, v2
.LBB2_4188:
	s_or_b64 exec, exec, s[6:7]
	s_movk_i32 s4, 0x7f
	v_cmp_gt_i16_sdwa s[6:7], v4, s4 src0_sel:BYTE_3 src1_sel:DWORD
	s_mov_b64 s[4:5], 0
                                        ; implicit-def: $sgpr10
	s_and_saveexec_b64 s[8:9], s[6:7]
	s_xor_b64 s[6:7], exec, s[8:9]
	s_cbranch_execz .LBB2_4189
; %bb.40029:
	s_getpc_b64 s[14:15]
.Lpost_getpc23598:
	s_add_u32 s14, s14, (.LBB2_18525-.Lpost_getpc23598)&4294967295
	s_addc_u32 s15, s15, (.LBB2_18525-.Lpost_getpc23598)>>32
	s_setpc_b64 s[14:15]
.LBB2_4189:
	s_or_saveexec_b64 s[6:7], s[6:7]
	v_mov_b32_e32 v3, s10
	s_xor_b64 exec, exec, s[6:7]
	s_cbranch_execz .LBB2_4190
; %bb.40031:
	s_getpc_b64 s[14:15]
.Lpost_getpc23599:
	s_add_u32 s14, s14, (.LBB2_18528-.Lpost_getpc23599)&4294967295
	s_addc_u32 s15, s15, (.LBB2_18528-.Lpost_getpc23599)>>32
	s_setpc_b64 s[14:15]
.LBB2_4190:
	s_or_b64 exec, exec, s[6:7]
	s_and_saveexec_b64 s[6:7], s[4:5]
	s_cbranch_execz .LBB2_4192
.LBB2_4191:
	v_bfe_u32 v3, v4, 24, 3
	v_ffbh_u32_e32 v12, v3
	v_min_u32_e32 v12, 32, v12
	v_lshrrev_b32_e32 v7, 27, v4
	v_subrev_u32_e32 v13, 28, v12
	v_and_b32_e32 v6, 0x80000000, v4
	v_and_b32_e32 v7, 15, v7
	v_bfe_u32 v8, v4, 27, 4
	v_lshlrev_b32_sdwa v4, v13, v4 dst_sel:DWORD dst_unused:UNUSED_PAD src0_sel:DWORD src1_sel:BYTE_3
	v_sub_u32_e32 v12, 29, v12
	v_and_b32_e32 v4, 7, v4
	v_cmp_eq_u16_e32 vcc, 0, v7
	v_cndmask_b32_e32 v3, v3, v4, vcc
	v_cndmask_b32_e32 v4, v8, v12, vcc
	v_mov_b32_e32 v7, 0x3b800000
	v_lshlrev_b32_e32 v3, 20, v3
	v_lshl_add_u32 v4, v4, 23, v7
	v_or3_b32 v3, v6, v4, v3
.LBB2_4192:
	s_or_b64 exec, exec, s[6:7]
	s_nop 0
	v_mfma_f32_16x16x4f32 a[0:3], v2, v3, a[0:3]
	s_movk_i32 s4, 0x7f
	v_cmp_gt_i16_sdwa s[6:7], v9, s4 src0_sel:BYTE_0 src1_sel:DWORD
	s_mov_b64 s[4:5], 0
                                        ; implicit-def: $sgpr10
	s_and_saveexec_b64 s[8:9], s[6:7]
	s_xor_b64 s[6:7], exec, s[8:9]
	s_cbranch_execz .LBB2_4193
; %bb.40033:
	s_getpc_b64 s[14:15]
.Lpost_getpc23600:
	s_add_u32 s14, s14, (.LBB2_18529-.Lpost_getpc23600)&4294967295
	s_addc_u32 s15, s15, (.LBB2_18529-.Lpost_getpc23600)>>32
	s_setpc_b64 s[14:15]
.LBB2_4193:
	s_or_saveexec_b64 s[6:7], s[6:7]
	v_mov_b32_e32 v2, s10
	s_xor_b64 exec, exec, s[6:7]
	s_cbranch_execz .LBB2_4194
; %bb.40035:
	s_getpc_b64 s[14:15]
.Lpost_getpc23601:
	s_add_u32 s14, s14, (.LBB2_18532-.Lpost_getpc23601)&4294967295
	s_addc_u32 s15, s15, (.LBB2_18532-.Lpost_getpc23601)>>32
	s_setpc_b64 s[14:15]
.LBB2_4194:
	s_or_b64 exec, exec, s[6:7]
	s_and_saveexec_b64 s[6:7], s[4:5]
	s_cbranch_execz .LBB2_4196
.LBB2_4195:
	v_mov_b32_e32 v2, 8
	v_and_b32_e32 v3, 7, v9
	v_lshrrev_b32_sdwa v2, v2, v9 dst_sel:BYTE_1 dst_unused:UNUSED_PAD src0_sel:DWORD src1_sel:DWORD
	v_ffbh_u32_e32 v4, v3
	v_or_b32_sdwa v2, v9, v2 dst_sel:DWORD dst_unused:UNUSED_PAD src0_sel:BYTE_0 src1_sel:DWORD
	v_min_u32_e32 v4, 32, v4
	v_lshrrev_b16_e32 v2, 3, v2
	v_subrev_u32_e32 v6, 28, v4
	v_and_b32_e32 v2, 15, v2
	v_lshlrev_b32_e32 v6, v6, v9
	v_sub_u32_e32 v4, 29, v4
	v_and_b32_e32 v6, 7, v6
	v_cmp_eq_u16_e32 vcc, 0, v2
	v_cndmask_b32_e32 v3, v3, v6, vcc
	v_cndmask_b32_e32 v2, v2, v4, vcc
	v_lshlrev_b32_e32 v4, 24, v9
	v_mov_b32_e32 v6, 0x3b800000
	v_lshlrev_b32_e32 v3, 20, v3
	v_and_b32_e32 v4, 0x80000000, v4
	v_lshl_add_u32 v2, v2, 23, v6
	v_or3_b32 v2, v4, v2, v3
.LBB2_4196:
	s_or_b64 exec, exec, s[6:7]
	s_movk_i32 s4, 0x7f
	v_cmp_gt_i16_sdwa s[6:7], v5, s4 src0_sel:BYTE_0 src1_sel:DWORD
	s_mov_b64 s[4:5], 0
                                        ; implicit-def: $sgpr10
	s_and_saveexec_b64 s[8:9], s[6:7]
	s_xor_b64 s[6:7], exec, s[8:9]
	s_cbranch_execz .LBB2_4197
; %bb.40037:
	s_getpc_b64 s[14:15]
.Lpost_getpc23602:
	s_add_u32 s14, s14, (.LBB2_18533-.Lpost_getpc23602)&4294967295
	s_addc_u32 s15, s15, (.LBB2_18533-.Lpost_getpc23602)>>32
	s_setpc_b64 s[14:15]
.LBB2_4197:
	s_or_saveexec_b64 s[6:7], s[6:7]
	v_mov_b32_e32 v3, s10
	s_xor_b64 exec, exec, s[6:7]
	s_cbranch_execz .LBB2_4198
; %bb.40039:
	s_getpc_b64 s[14:15]
.Lpost_getpc23603:
	s_add_u32 s14, s14, (.LBB2_18536-.Lpost_getpc23603)&4294967295
	s_addc_u32 s15, s15, (.LBB2_18536-.Lpost_getpc23603)>>32
	s_setpc_b64 s[14:15]
.LBB2_4198:
	s_or_b64 exec, exec, s[6:7]
	s_and_saveexec_b64 s[6:7], s[4:5]
	s_cbranch_execz .LBB2_4200
.LBB2_4199:
	v_mov_b32_e32 v3, 8
	v_and_b32_e32 v4, 7, v5
	v_lshrrev_b32_sdwa v3, v3, v5 dst_sel:BYTE_1 dst_unused:UNUSED_PAD src0_sel:DWORD src1_sel:DWORD
	v_ffbh_u32_e32 v6, v4
	v_or_b32_sdwa v3, v5, v3 dst_sel:DWORD dst_unused:UNUSED_PAD src0_sel:BYTE_0 src1_sel:DWORD
	v_min_u32_e32 v6, 32, v6
	v_lshrrev_b16_e32 v3, 3, v3
	v_subrev_u32_e32 v7, 28, v6
	v_and_b32_e32 v3, 15, v3
	v_lshlrev_b32_e32 v7, v7, v5
	v_sub_u32_e32 v6, 29, v6
	v_and_b32_e32 v7, 7, v7
	v_cmp_eq_u16_e32 vcc, 0, v3
	v_cndmask_b32_e32 v4, v4, v7, vcc
	v_cndmask_b32_e32 v3, v3, v6, vcc
	v_lshlrev_b32_e32 v6, 24, v5
	v_mov_b32_e32 v7, 0x3b800000
	v_lshlrev_b32_e32 v4, 20, v4
	v_and_b32_e32 v6, 0x80000000, v6
	v_lshl_add_u32 v3, v3, 23, v7
	v_or3_b32 v3, v6, v3, v4
.LBB2_4200:
	s_or_b64 exec, exec, s[6:7]
	s_nop 0
	v_mfma_f32_16x16x4f32 a[0:3], v2, v3, a[0:3]
	v_lshrrev_b32_e32 v3, 8, v9
	s_movk_i32 s4, 0x7f
	v_cmp_gt_i16_sdwa s[6:7], v3, s4 src0_sel:BYTE_0 src1_sel:DWORD
	s_mov_b64 s[4:5], 0
                                        ; implicit-def: $sgpr10
	s_and_saveexec_b64 s[8:9], s[6:7]
	s_xor_b64 s[6:7], exec, s[8:9]
	s_cbranch_execz .LBB2_4201
; %bb.40041:
	s_getpc_b64 s[14:15]
.Lpost_getpc23604:
	s_add_u32 s14, s14, (.LBB2_18537-.Lpost_getpc23604)&4294967295
	s_addc_u32 s15, s15, (.LBB2_18537-.Lpost_getpc23604)>>32
	s_setpc_b64 s[14:15]
.LBB2_4201:
	s_or_saveexec_b64 s[6:7], s[6:7]
	v_mov_b32_e32 v2, s10
	s_xor_b64 exec, exec, s[6:7]
	s_cbranch_execz .LBB2_4202
; %bb.40043:
	s_getpc_b64 s[14:15]
.Lpost_getpc23605:
	s_add_u32 s14, s14, (.LBB2_18540-.Lpost_getpc23605)&4294967295
	s_addc_u32 s15, s15, (.LBB2_18540-.Lpost_getpc23605)>>32
	s_setpc_b64 s[14:15]
.LBB2_4202:
	s_or_b64 exec, exec, s[6:7]
	s_and_saveexec_b64 s[6:7], s[4:5]
	s_cbranch_execz .LBB2_4204
.LBB2_4203:
	v_bfe_u32 v2, v9, 8, 3
	v_ffbh_u32_e32 v6, v2
	v_min_u32_e32 v6, 32, v6
	v_lshrrev_b16_e32 v4, 3, v3
	v_subrev_u32_e32 v7, 28, v6
	v_and_b32_e32 v4, 15, v4
	v_lshlrev_b32_e32 v3, v7, v3
	v_sub_u32_e32 v6, 29, v6
	v_and_b32_e32 v3, 7, v3
	v_cmp_eq_u16_e32 vcc, 0, v4
	v_cndmask_b32_e32 v2, v2, v3, vcc
	v_cndmask_b32_e32 v3, v4, v6, vcc
	v_lshlrev_b32_e32 v4, 16, v9
	v_mov_b32_e32 v6, 0x3b800000
	v_lshlrev_b32_e32 v2, 20, v2
	v_and_b32_e32 v4, 0x80000000, v4
	v_lshl_add_u32 v3, v3, 23, v6
	v_or3_b32 v2, v4, v3, v2
.LBB2_4204:
	s_or_b64 exec, exec, s[6:7]
	v_lshrrev_b32_e32 v3, 8, v5
	s_movk_i32 s4, 0x7f
	v_cmp_gt_i16_sdwa s[6:7], v3, s4 src0_sel:BYTE_0 src1_sel:DWORD
	s_mov_b64 s[4:5], 0
                                        ; implicit-def: $sgpr10
	s_and_saveexec_b64 s[8:9], s[6:7]
	s_xor_b64 s[6:7], exec, s[8:9]
	s_cbranch_execz .LBB2_4205
; %bb.40045:
	s_getpc_b64 s[14:15]
.Lpost_getpc23606:
	s_add_u32 s14, s14, (.LBB2_18541-.Lpost_getpc23606)&4294967295
	s_addc_u32 s15, s15, (.LBB2_18541-.Lpost_getpc23606)>>32
	s_setpc_b64 s[14:15]
.LBB2_4205:
	s_or_saveexec_b64 s[6:7], s[6:7]
	v_mov_b32_e32 v4, s10
	s_xor_b64 exec, exec, s[6:7]
	s_cbranch_execz .LBB2_4206
; %bb.40047:
	s_getpc_b64 s[14:15]
.Lpost_getpc23607:
	s_add_u32 s14, s14, (.LBB2_18544-.Lpost_getpc23607)&4294967295
	s_addc_u32 s15, s15, (.LBB2_18544-.Lpost_getpc23607)>>32
	s_setpc_b64 s[14:15]
.LBB2_4206:
	s_or_b64 exec, exec, s[6:7]
	s_and_saveexec_b64 s[6:7], s[4:5]
	s_cbranch_execz .LBB2_4208
.LBB2_4207:
	v_bfe_u32 v4, v5, 8, 3
	v_ffbh_u32_e32 v7, v4
	v_min_u32_e32 v7, 32, v7
	v_lshrrev_b16_e32 v6, 3, v3
	v_subrev_u32_e32 v8, 28, v7
	v_and_b32_e32 v6, 15, v6
	v_lshlrev_b32_e32 v3, v8, v3
	v_sub_u32_e32 v7, 29, v7
	v_and_b32_e32 v3, 7, v3
	v_cmp_eq_u16_e32 vcc, 0, v6
	v_cndmask_b32_e32 v3, v4, v3, vcc
	v_cndmask_b32_e32 v4, v6, v7, vcc
	v_lshlrev_b32_e32 v6, 16, v5
	v_mov_b32_e32 v7, 0x3b800000
	v_lshlrev_b32_e32 v3, 20, v3
	v_and_b32_e32 v6, 0x80000000, v6
	v_lshl_add_u32 v4, v4, 23, v7
	v_or3_b32 v4, v6, v4, v3
.LBB2_4208:
	s_or_b64 exec, exec, s[6:7]
	s_nop 0
	v_mfma_f32_16x16x4f32 a[0:3], v2, v4, a[0:3]
	s_movk_i32 s4, 0xff
	v_and_b32_sdwa v3, v9, s4 dst_sel:DWORD dst_unused:UNUSED_PAD src0_sel:WORD_1 src1_sel:DWORD
	s_movk_i32 s4, 0x7f
	v_cmp_lt_i16_e32 vcc, s4, v3
	s_mov_b64 s[4:5], 0
                                        ; implicit-def: $sgpr10
	s_and_saveexec_b64 s[6:7], vcc
	s_xor_b64 s[6:7], exec, s[6:7]
	s_cbranch_execz .LBB2_4209
; %bb.40049:
	s_getpc_b64 s[14:15]
.Lpost_getpc23608:
	s_add_u32 s14, s14, (.LBB2_18545-.Lpost_getpc23608)&4294967295
	s_addc_u32 s15, s15, (.LBB2_18545-.Lpost_getpc23608)>>32
	s_setpc_b64 s[14:15]
.LBB2_4209:
	s_or_saveexec_b64 s[6:7], s[6:7]
	v_mov_b32_e32 v2, s10
	s_xor_b64 exec, exec, s[6:7]
	s_cbranch_execz .LBB2_4210
; %bb.40051:
	s_getpc_b64 s[14:15]
.Lpost_getpc23609:
	s_add_u32 s14, s14, (.LBB2_18548-.Lpost_getpc23609)&4294967295
	s_addc_u32 s15, s15, (.LBB2_18548-.Lpost_getpc23609)>>32
	s_setpc_b64 s[14:15]
.LBB2_4210:
	s_or_b64 exec, exec, s[6:7]
	s_and_saveexec_b64 s[6:7], s[4:5]
	s_cbranch_execz .LBB2_4212
.LBB2_4211:
	v_bfe_u32 v2, v9, 16, 3
	v_ffbh_u32_e32 v6, v2
	v_min_u32_e32 v6, 32, v6
	v_lshrrev_b32_e32 v3, 19, v9
	v_subrev_u32_e32 v7, 28, v6
	v_and_b32_e32 v3, 15, v3
	v_lshlrev_b32_sdwa v7, v7, v9 dst_sel:DWORD dst_unused:UNUSED_PAD src0_sel:DWORD src1_sel:WORD_1
	v_bfe_u32 v4, v9, 19, 4
	v_sub_u32_e32 v6, 29, v6
	v_and_b32_e32 v7, 7, v7
	v_cmp_eq_u16_e32 vcc, 0, v3
	v_cndmask_b32_e32 v2, v2, v7, vcc
	v_cndmask_b32_e32 v3, v4, v6, vcc
	v_lshlrev_b32_e32 v4, 8, v9
	v_mov_b32_e32 v6, 0x3b800000
	v_lshlrev_b32_e32 v2, 20, v2
	v_and_b32_e32 v4, 0x80000000, v4
	v_lshl_add_u32 v3, v3, 23, v6
	v_or3_b32 v2, v4, v3, v2
.LBB2_4212:
	s_or_b64 exec, exec, s[6:7]
	s_movk_i32 s4, 0xff
	v_and_b32_sdwa v3, v5, s4 dst_sel:DWORD dst_unused:UNUSED_PAD src0_sel:WORD_1 src1_sel:DWORD
	s_movk_i32 s4, 0x7f
	v_cmp_lt_i16_e32 vcc, s4, v3
	s_mov_b64 s[4:5], 0
                                        ; implicit-def: $sgpr10
	s_and_saveexec_b64 s[6:7], vcc
	s_xor_b64 s[6:7], exec, s[6:7]
	s_cbranch_execz .LBB2_4213
; %bb.40053:
	s_getpc_b64 s[14:15]
.Lpost_getpc23610:
	s_add_u32 s14, s14, (.LBB2_18549-.Lpost_getpc23610)&4294967295
	s_addc_u32 s15, s15, (.LBB2_18549-.Lpost_getpc23610)>>32
	s_setpc_b64 s[14:15]
.LBB2_4213:
	s_or_saveexec_b64 s[6:7], s[6:7]
	v_mov_b32_e32 v4, s10
	s_xor_b64 exec, exec, s[6:7]
	s_cbranch_execz .LBB2_4214
; %bb.40055:
	s_getpc_b64 s[14:15]
.Lpost_getpc23611:
	s_add_u32 s14, s14, (.LBB2_18552-.Lpost_getpc23611)&4294967295
	s_addc_u32 s15, s15, (.LBB2_18552-.Lpost_getpc23611)>>32
	s_setpc_b64 s[14:15]
.LBB2_4214:
	s_or_b64 exec, exec, s[6:7]
	s_and_saveexec_b64 s[6:7], s[4:5]
	s_cbranch_execz .LBB2_4216
.LBB2_4215:
	v_bfe_u32 v3, v5, 16, 3
	v_ffbh_u32_e32 v7, v3
	v_min_u32_e32 v7, 32, v7
	v_lshrrev_b32_e32 v4, 19, v5
	v_subrev_u32_e32 v8, 28, v7
	v_and_b32_e32 v4, 15, v4
	v_lshlrev_b32_sdwa v8, v8, v5 dst_sel:DWORD dst_unused:UNUSED_PAD src0_sel:DWORD src1_sel:WORD_1
	v_bfe_u32 v6, v5, 19, 4
	v_sub_u32_e32 v7, 29, v7
	v_and_b32_e32 v8, 7, v8
	v_cmp_eq_u16_e32 vcc, 0, v4
	v_cndmask_b32_e32 v3, v3, v8, vcc
	v_cndmask_b32_e32 v4, v6, v7, vcc
	v_lshlrev_b32_e32 v6, 8, v5
	v_mov_b32_e32 v7, 0x3b800000
	v_lshlrev_b32_e32 v3, 20, v3
	v_and_b32_e32 v6, 0x80000000, v6
	v_lshl_add_u32 v4, v4, 23, v7
	v_or3_b32 v4, v6, v4, v3
.LBB2_4216:
	s_or_b64 exec, exec, s[6:7]
	s_nop 0
	v_mfma_f32_16x16x4f32 a[0:3], v2, v4, a[0:3]
	s_movk_i32 s4, 0x7f
	v_cmp_gt_i16_sdwa s[6:7], v9, s4 src0_sel:BYTE_3 src1_sel:DWORD
	s_mov_b64 s[4:5], 0
                                        ; implicit-def: $sgpr10
	s_and_saveexec_b64 s[8:9], s[6:7]
	s_xor_b64 s[6:7], exec, s[8:9]
	s_cbranch_execz .LBB2_4217
; %bb.40057:
	s_getpc_b64 s[14:15]
.Lpost_getpc23612:
	s_add_u32 s14, s14, (.LBB2_18553-.Lpost_getpc23612)&4294967295
	s_addc_u32 s15, s15, (.LBB2_18553-.Lpost_getpc23612)>>32
	s_setpc_b64 s[14:15]
.LBB2_4217:
	s_or_saveexec_b64 s[6:7], s[6:7]
	v_mov_b32_e32 v2, s10
	s_xor_b64 exec, exec, s[6:7]
	s_cbranch_execz .LBB2_4218
; %bb.40059:
	s_getpc_b64 s[14:15]
.Lpost_getpc23613:
	s_add_u32 s14, s14, (.LBB2_18556-.Lpost_getpc23613)&4294967295
	s_addc_u32 s15, s15, (.LBB2_18556-.Lpost_getpc23613)>>32
	s_setpc_b64 s[14:15]
.LBB2_4218:
	s_or_b64 exec, exec, s[6:7]
	s_and_saveexec_b64 s[6:7], s[4:5]
	s_cbranch_execz .LBB2_4220
.LBB2_4219:
	v_bfe_u32 v2, v9, 24, 3
	v_ffbh_u32_e32 v7, v2
	v_min_u32_e32 v7, 32, v7
	v_lshrrev_b32_e32 v4, 27, v9
	v_subrev_u32_e32 v8, 28, v7
	v_and_b32_e32 v4, 15, v4
	v_lshlrev_b32_sdwa v8, v8, v9 dst_sel:DWORD dst_unused:UNUSED_PAD src0_sel:DWORD src1_sel:BYTE_3
	v_bfe_u32 v6, v9, 27, 4
	v_sub_u32_e32 v7, 29, v7
	v_and_b32_e32 v8, 7, v8
	v_cmp_eq_u16_e32 vcc, 0, v4
	v_cndmask_b32_e32 v2, v2, v8, vcc
	v_cndmask_b32_e32 v4, v6, v7, vcc
	v_mov_b32_e32 v6, 0x3b800000
	v_and_b32_e32 v3, 0x80000000, v9
	v_lshlrev_b32_e32 v2, 20, v2
	v_lshl_add_u32 v4, v4, 23, v6
	v_or3_b32 v2, v3, v4, v2
.LBB2_4220:
	s_or_b64 exec, exec, s[6:7]
	s_movk_i32 s4, 0x7f
	v_cmp_gt_i16_sdwa s[6:7], v5, s4 src0_sel:BYTE_3 src1_sel:DWORD
	s_mov_b64 s[4:5], 0
                                        ; implicit-def: $sgpr10
	s_and_saveexec_b64 s[8:9], s[6:7]
	s_xor_b64 s[6:7], exec, s[8:9]
	s_cbranch_execz .LBB2_4221
; %bb.40061:
	s_getpc_b64 s[14:15]
.Lpost_getpc23614:
	s_add_u32 s14, s14, (.LBB2_18557-.Lpost_getpc23614)&4294967295
	s_addc_u32 s15, s15, (.LBB2_18557-.Lpost_getpc23614)>>32
	s_setpc_b64 s[14:15]
.LBB2_4221:
	s_or_saveexec_b64 s[6:7], s[6:7]
	v_mov_b32_e32 v3, s10
	s_xor_b64 exec, exec, s[6:7]
	s_cbranch_execz .LBB2_4222
; %bb.40063:
	s_getpc_b64 s[14:15]
.Lpost_getpc23615:
	s_add_u32 s14, s14, (.LBB2_18560-.Lpost_getpc23615)&4294967295
	s_addc_u32 s15, s15, (.LBB2_18560-.Lpost_getpc23615)>>32
	s_setpc_b64 s[14:15]
.LBB2_4222:
	s_or_b64 exec, exec, s[6:7]
	s_and_saveexec_b64 s[6:7], s[4:5]
	s_cbranch_execz .LBB2_4224
.LBB2_4223:
	v_bfe_u32 v3, v5, 24, 3
	v_ffbh_u32_e32 v8, v3
	v_min_u32_e32 v8, 32, v8
	v_lshrrev_b32_e32 v6, 27, v5
	v_subrev_u32_e32 v9, 28, v8
	v_and_b32_e32 v4, 0x80000000, v5
	v_and_b32_e32 v6, 15, v6
	v_bfe_u32 v7, v5, 27, 4
	v_lshlrev_b32_sdwa v5, v9, v5 dst_sel:DWORD dst_unused:UNUSED_PAD src0_sel:DWORD src1_sel:BYTE_3
	v_sub_u32_e32 v8, 29, v8
	v_and_b32_e32 v5, 7, v5
	v_cmp_eq_u16_e32 vcc, 0, v6
	v_cndmask_b32_e32 v3, v3, v5, vcc
	v_cndmask_b32_e32 v5, v7, v8, vcc
	v_mov_b32_e32 v6, 0x3b800000
	v_lshlrev_b32_e32 v3, 20, v3
	v_lshl_add_u32 v5, v5, 23, v6
	v_or3_b32 v3, v4, v5, v3
.LBB2_4224:
	s_or_b64 exec, exec, s[6:7]
	s_nop 0
	v_mfma_f32_16x16x4f32 a[0:3], v2, v3, a[0:3]
	s_movk_i32 s4, 0x7f
                                        ; implicit-def: $sgpr10
	s_nop 7
	s_nop 1
	flat_store_dwordx4 v[10:11], a[0:3] offset:512
	flat_load_dwordx4 v[12:15], v[0:1]
	s_nop 0
	flat_load_dwordx2 v[10:11], v[0:1] offset:16
	s_waitcnt vmcnt(0) lgkmcnt(0)
	flat_load_dwordx4 v[6:9], v[12:13] offset:64
	flat_load_dwordx4 v[2:5], v[14:15] offset:16
	s_waitcnt vmcnt(0) lgkmcnt(0)
	v_cmp_gt_i16_sdwa s[6:7], v6, s4 src0_sel:BYTE_0 src1_sel:DWORD
	s_mov_b64 s[4:5], 0
	s_and_saveexec_b64 s[8:9], s[6:7]
	s_xor_b64 s[6:7], exec, s[8:9]
	s_cbranch_execz .LBB2_4225
; %bb.40065:
	s_getpc_b64 s[14:15]
.Lpost_getpc23616:
	s_add_u32 s14, s14, (.LBB2_18561-.Lpost_getpc23616)&4294967295
	s_addc_u32 s15, s15, (.LBB2_18561-.Lpost_getpc23616)>>32
	s_setpc_b64 s[14:15]
.LBB2_4225:
	s_or_saveexec_b64 s[6:7], s[6:7]
	v_mov_b32_e32 v12, s10
	s_xor_b64 exec, exec, s[6:7]
	s_cbranch_execz .LBB2_4226
; %bb.40067:
	s_getpc_b64 s[14:15]
.Lpost_getpc23617:
	s_add_u32 s14, s14, (.LBB2_18564-.Lpost_getpc23617)&4294967295
	s_addc_u32 s15, s15, (.LBB2_18564-.Lpost_getpc23617)>>32
	s_setpc_b64 s[14:15]
.LBB2_4226:
	s_or_b64 exec, exec, s[6:7]
	s_and_saveexec_b64 s[6:7], s[4:5]
	s_cbranch_execz .LBB2_4228
.LBB2_4227:
	v_and_b32_e32 v12, 7, v6
	v_ffbh_u32_e32 v14, v12
	v_min_u32_e32 v14, 32, v14
	v_lshrrev_b16_e32 v13, 3, v6
	v_subrev_u32_e32 v15, 28, v14
	v_and_b32_e32 v13, 15, v13
	v_lshlrev_b32_e32 v15, v15, v6
	v_sub_u32_e32 v14, 29, v14
	v_and_b32_e32 v15, 7, v15
	v_cmp_eq_u16_e32 vcc, 0, v13
	v_cndmask_b32_e32 v12, v12, v15, vcc
	v_cndmask_b32_e32 v13, v13, v14, vcc
	v_lshlrev_b32_e32 v14, 24, v6
	v_mov_b32_e32 v15, 0x3b800000
	v_lshlrev_b32_e32 v12, 20, v12
	v_and_b32_e32 v14, 0x80000000, v14
	v_lshl_add_u32 v13, v13, 23, v15
	v_or3_b32 v12, v14, v13, v12
.LBB2_4228:
	s_or_b64 exec, exec, s[6:7]
	s_movk_i32 s4, 0x7f
	v_cmp_gt_i16_sdwa s[6:7], v2, s4 src0_sel:BYTE_0 src1_sel:DWORD
	s_mov_b64 s[4:5], 0
                                        ; implicit-def: $sgpr10
	s_and_saveexec_b64 s[8:9], s[6:7]
	s_xor_b64 s[6:7], exec, s[8:9]
	s_cbranch_execz .LBB2_4229
; %bb.40069:
	s_getpc_b64 s[14:15]
.Lpost_getpc23618:
	s_add_u32 s14, s14, (.LBB2_18565-.Lpost_getpc23618)&4294967295
	s_addc_u32 s15, s15, (.LBB2_18565-.Lpost_getpc23618)>>32
	s_setpc_b64 s[14:15]
.LBB2_4229:
	s_or_saveexec_b64 s[6:7], s[6:7]
	v_mov_b32_e32 v13, s10
	s_xor_b64 exec, exec, s[6:7]
	s_cbranch_execz .LBB2_4230
; %bb.40071:
	s_getpc_b64 s[14:15]
.Lpost_getpc23619:
	s_add_u32 s14, s14, (.LBB2_18568-.Lpost_getpc23619)&4294967295
	s_addc_u32 s15, s15, (.LBB2_18568-.Lpost_getpc23619)>>32
	s_setpc_b64 s[14:15]
.LBB2_4230:
	s_or_b64 exec, exec, s[6:7]
	s_and_saveexec_b64 s[6:7], s[4:5]
	s_cbranch_execz .LBB2_4232
.LBB2_4231:
	v_and_b32_e32 v13, 7, v2
	v_ffbh_u32_e32 v15, v13
	v_min_u32_e32 v15, 32, v15
	v_lshrrev_b16_e32 v14, 3, v2
	v_subrev_u32_e32 v16, 28, v15
	v_and_b32_e32 v14, 15, v14
	v_lshlrev_b32_e32 v16, v16, v2
	v_sub_u32_e32 v15, 29, v15
	v_and_b32_e32 v16, 7, v16
	v_cmp_eq_u16_e32 vcc, 0, v14
	v_cndmask_b32_e32 v13, v13, v16, vcc
	v_cndmask_b32_e32 v14, v14, v15, vcc
	v_lshlrev_b32_e32 v15, 24, v2
	v_mov_b32_e32 v16, 0x3b800000
	v_lshlrev_b32_e32 v13, 20, v13
	v_and_b32_e32 v15, 0x80000000, v15
	v_lshl_add_u32 v14, v14, 23, v16
	v_or3_b32 v13, v15, v14, v13
.LBB2_4232:
	s_or_b64 exec, exec, s[6:7]
	flat_load_dwordx4 a[0:3], v[10:11] offset:528
	s_movk_i32 s4, 0x7f
                                        ; implicit-def: $sgpr10
	s_waitcnt vmcnt(0) lgkmcnt(0)
	v_mfma_f32_16x16x4f32 a[0:3], v12, v13, a[0:3]
	v_lshrrev_b32_e32 v13, 8, v6
	v_cmp_gt_i16_sdwa s[6:7], v13, s4 src0_sel:BYTE_0 src1_sel:DWORD
	s_mov_b64 s[4:5], 0
	s_and_saveexec_b64 s[8:9], s[6:7]
	s_xor_b64 s[6:7], exec, s[8:9]
	s_cbranch_execz .LBB2_4233
; %bb.40073:
	s_getpc_b64 s[14:15]
.Lpost_getpc23620:
	s_add_u32 s14, s14, (.LBB2_18569-.Lpost_getpc23620)&4294967295
	s_addc_u32 s15, s15, (.LBB2_18569-.Lpost_getpc23620)>>32
	s_setpc_b64 s[14:15]
.LBB2_4233:
	s_or_saveexec_b64 s[6:7], s[6:7]
	v_mov_b32_e32 v12, s10
	s_xor_b64 exec, exec, s[6:7]
	s_cbranch_execz .LBB2_4234
; %bb.40075:
	s_getpc_b64 s[14:15]
.Lpost_getpc23621:
	s_add_u32 s14, s14, (.LBB2_18572-.Lpost_getpc23621)&4294967295
	s_addc_u32 s15, s15, (.LBB2_18572-.Lpost_getpc23621)>>32
	s_setpc_b64 s[14:15]
.LBB2_4234:
	s_or_b64 exec, exec, s[6:7]
	s_and_saveexec_b64 s[6:7], s[4:5]
	s_cbranch_execz .LBB2_4236
.LBB2_4235:
	v_bfe_u32 v12, v6, 8, 3
	v_ffbh_u32_e32 v15, v12
	v_min_u32_e32 v15, 32, v15
	v_lshrrev_b16_e32 v14, 3, v13
	v_subrev_u32_e32 v16, 28, v15
	v_and_b32_e32 v14, 15, v14
	v_lshlrev_b32_e32 v13, v16, v13
	v_sub_u32_e32 v15, 29, v15
	v_and_b32_e32 v13, 7, v13
	v_cmp_eq_u16_e32 vcc, 0, v14
	v_cndmask_b32_e32 v12, v12, v13, vcc
	v_cndmask_b32_e32 v13, v14, v15, vcc
	v_lshlrev_b32_e32 v14, 16, v6
	v_mov_b32_e32 v15, 0x3b800000
	v_lshlrev_b32_e32 v12, 20, v12
	v_and_b32_e32 v14, 0x80000000, v14
	v_lshl_add_u32 v13, v13, 23, v15
	v_or3_b32 v12, v14, v13, v12
.LBB2_4236:
	s_or_b64 exec, exec, s[6:7]
	v_lshrrev_b32_e32 v13, 8, v2
	s_movk_i32 s4, 0x7f
	v_cmp_gt_i16_sdwa s[6:7], v13, s4 src0_sel:BYTE_0 src1_sel:DWORD
	s_mov_b64 s[4:5], 0
                                        ; implicit-def: $sgpr10
	s_and_saveexec_b64 s[8:9], s[6:7]
	s_xor_b64 s[6:7], exec, s[8:9]
	s_cbranch_execz .LBB2_4237
; %bb.40077:
	s_getpc_b64 s[14:15]
.Lpost_getpc23622:
	s_add_u32 s14, s14, (.LBB2_18573-.Lpost_getpc23622)&4294967295
	s_addc_u32 s15, s15, (.LBB2_18573-.Lpost_getpc23622)>>32
	s_setpc_b64 s[14:15]
.LBB2_4237:
	s_or_saveexec_b64 s[6:7], s[6:7]
	v_mov_b32_e32 v14, s10
	s_xor_b64 exec, exec, s[6:7]
	s_cbranch_execz .LBB2_4238
; %bb.40079:
	s_getpc_b64 s[14:15]
.Lpost_getpc23623:
	s_add_u32 s14, s14, (.LBB2_18576-.Lpost_getpc23623)&4294967295
	s_addc_u32 s15, s15, (.LBB2_18576-.Lpost_getpc23623)>>32
	s_setpc_b64 s[14:15]
.LBB2_4238:
	s_or_b64 exec, exec, s[6:7]
	s_and_saveexec_b64 s[6:7], s[4:5]
	s_cbranch_execz .LBB2_4240
.LBB2_4239:
	v_bfe_u32 v14, v2, 8, 3
	v_ffbh_u32_e32 v16, v14
	v_min_u32_e32 v16, 32, v16
	v_lshrrev_b16_e32 v15, 3, v13
	v_subrev_u32_e32 v17, 28, v16
	v_and_b32_e32 v15, 15, v15
	v_lshlrev_b32_e32 v13, v17, v13
	v_sub_u32_e32 v16, 29, v16
	v_and_b32_e32 v13, 7, v13
	v_cmp_eq_u16_e32 vcc, 0, v15
	v_cndmask_b32_e32 v13, v14, v13, vcc
	v_cndmask_b32_e32 v14, v15, v16, vcc
	v_lshlrev_b32_e32 v15, 16, v2
	v_mov_b32_e32 v16, 0x3b800000
	v_lshlrev_b32_e32 v13, 20, v13
	v_and_b32_e32 v15, 0x80000000, v15
	v_lshl_add_u32 v14, v14, 23, v16
	v_or3_b32 v14, v15, v14, v13
.LBB2_4240:
	s_or_b64 exec, exec, s[6:7]
	s_nop 0
	v_mfma_f32_16x16x4f32 a[0:3], v12, v14, a[0:3]
	s_movk_i32 s4, 0xff
	v_and_b32_sdwa v13, v6, s4 dst_sel:DWORD dst_unused:UNUSED_PAD src0_sel:WORD_1 src1_sel:DWORD
	s_movk_i32 s4, 0x7f
	v_cmp_lt_i16_e32 vcc, s4, v13
	s_mov_b64 s[4:5], 0
                                        ; implicit-def: $sgpr10
	s_and_saveexec_b64 s[6:7], vcc
	s_xor_b64 s[6:7], exec, s[6:7]
	s_cbranch_execz .LBB2_4241
; %bb.40081:
	s_getpc_b64 s[14:15]
.Lpost_getpc23624:
	s_add_u32 s14, s14, (.LBB2_18577-.Lpost_getpc23624)&4294967295
	s_addc_u32 s15, s15, (.LBB2_18577-.Lpost_getpc23624)>>32
	s_setpc_b64 s[14:15]
.LBB2_4241:
	s_or_saveexec_b64 s[6:7], s[6:7]
	v_mov_b32_e32 v12, s10
	s_xor_b64 exec, exec, s[6:7]
	s_cbranch_execz .LBB2_4242
; %bb.40083:
	s_getpc_b64 s[14:15]
.Lpost_getpc23625:
	s_add_u32 s14, s14, (.LBB2_18580-.Lpost_getpc23625)&4294967295
	s_addc_u32 s15, s15, (.LBB2_18580-.Lpost_getpc23625)>>32
	s_setpc_b64 s[14:15]
.LBB2_4242:
	s_or_b64 exec, exec, s[6:7]
	s_and_saveexec_b64 s[6:7], s[4:5]
	s_cbranch_execz .LBB2_4244
.LBB2_4243:
	v_bfe_u32 v12, v6, 16, 3
	v_ffbh_u32_e32 v15, v12
	v_min_u32_e32 v15, 32, v15
	v_lshrrev_b32_e32 v13, 19, v6
	v_subrev_u32_e32 v16, 28, v15
	v_and_b32_e32 v13, 15, v13
	v_lshlrev_b32_sdwa v16, v16, v6 dst_sel:DWORD dst_unused:UNUSED_PAD src0_sel:DWORD src1_sel:WORD_1
	v_bfe_u32 v14, v6, 19, 4
	v_sub_u32_e32 v15, 29, v15
	v_and_b32_e32 v16, 7, v16
	v_cmp_eq_u16_e32 vcc, 0, v13
	v_cndmask_b32_e32 v12, v12, v16, vcc
	v_cndmask_b32_e32 v13, v14, v15, vcc
	v_lshlrev_b32_e32 v14, 8, v6
	v_mov_b32_e32 v15, 0x3b800000
	v_lshlrev_b32_e32 v12, 20, v12
	v_and_b32_e32 v14, 0x80000000, v14
	v_lshl_add_u32 v13, v13, 23, v15
	v_or3_b32 v12, v14, v13, v12
.LBB2_4244:
	s_or_b64 exec, exec, s[6:7]
	s_movk_i32 s4, 0xff
	v_and_b32_sdwa v13, v2, s4 dst_sel:DWORD dst_unused:UNUSED_PAD src0_sel:WORD_1 src1_sel:DWORD
	s_movk_i32 s4, 0x7f
	v_cmp_lt_i16_e32 vcc, s4, v13
	s_mov_b64 s[4:5], 0
                                        ; implicit-def: $sgpr10
	s_and_saveexec_b64 s[6:7], vcc
	s_xor_b64 s[6:7], exec, s[6:7]
	s_cbranch_execz .LBB2_4245
; %bb.40085:
	s_getpc_b64 s[14:15]
.Lpost_getpc23626:
	s_add_u32 s14, s14, (.LBB2_18581-.Lpost_getpc23626)&4294967295
	s_addc_u32 s15, s15, (.LBB2_18581-.Lpost_getpc23626)>>32
	s_setpc_b64 s[14:15]
.LBB2_4245:
	s_or_saveexec_b64 s[6:7], s[6:7]
	v_mov_b32_e32 v14, s10
	s_xor_b64 exec, exec, s[6:7]
	s_cbranch_execz .LBB2_4246
; %bb.40087:
	s_getpc_b64 s[14:15]
.Lpost_getpc23627:
	s_add_u32 s14, s14, (.LBB2_18584-.Lpost_getpc23627)&4294967295
	s_addc_u32 s15, s15, (.LBB2_18584-.Lpost_getpc23627)>>32
	s_setpc_b64 s[14:15]
.LBB2_4246:
	s_or_b64 exec, exec, s[6:7]
	s_and_saveexec_b64 s[6:7], s[4:5]
	s_cbranch_execz .LBB2_4248
.LBB2_4247:
	v_bfe_u32 v13, v2, 16, 3
	v_ffbh_u32_e32 v16, v13
	v_min_u32_e32 v16, 32, v16
	v_lshrrev_b32_e32 v14, 19, v2
	v_subrev_u32_e32 v17, 28, v16
	v_and_b32_e32 v14, 15, v14
	v_lshlrev_b32_sdwa v17, v17, v2 dst_sel:DWORD dst_unused:UNUSED_PAD src0_sel:DWORD src1_sel:WORD_1
	v_bfe_u32 v15, v2, 19, 4
	v_sub_u32_e32 v16, 29, v16
	v_and_b32_e32 v17, 7, v17
	v_cmp_eq_u16_e32 vcc, 0, v14
	v_cndmask_b32_e32 v13, v13, v17, vcc
	v_cndmask_b32_e32 v14, v15, v16, vcc
	v_lshlrev_b32_e32 v15, 8, v2
	v_mov_b32_e32 v16, 0x3b800000
	v_lshlrev_b32_e32 v13, 20, v13
	v_and_b32_e32 v15, 0x80000000, v15
	v_lshl_add_u32 v14, v14, 23, v16
	v_or3_b32 v14, v15, v14, v13
.LBB2_4248:
	s_or_b64 exec, exec, s[6:7]
	s_nop 0
	v_mfma_f32_16x16x4f32 a[0:3], v12, v14, a[0:3]
	s_movk_i32 s4, 0x7f
	v_cmp_gt_i16_sdwa s[6:7], v6, s4 src0_sel:BYTE_3 src1_sel:DWORD
	s_mov_b64 s[4:5], 0
                                        ; implicit-def: $sgpr10
	s_and_saveexec_b64 s[8:9], s[6:7]
	s_xor_b64 s[6:7], exec, s[8:9]
	s_cbranch_execz .LBB2_4249
; %bb.40089:
	s_getpc_b64 s[14:15]
.Lpost_getpc23628:
	s_add_u32 s14, s14, (.LBB2_18585-.Lpost_getpc23628)&4294967295
	s_addc_u32 s15, s15, (.LBB2_18585-.Lpost_getpc23628)>>32
	s_setpc_b64 s[14:15]
.LBB2_4249:
	s_or_saveexec_b64 s[6:7], s[6:7]
	v_mov_b32_e32 v12, s10
	s_xor_b64 exec, exec, s[6:7]
	s_cbranch_execz .LBB2_4250
; %bb.40091:
	s_getpc_b64 s[14:15]
.Lpost_getpc23629:
	s_add_u32 s14, s14, (.LBB2_18588-.Lpost_getpc23629)&4294967295
	s_addc_u32 s15, s15, (.LBB2_18588-.Lpost_getpc23629)>>32
	s_setpc_b64 s[14:15]
.LBB2_4250:
	s_or_b64 exec, exec, s[6:7]
	s_and_saveexec_b64 s[6:7], s[4:5]
	s_cbranch_execz .LBB2_4252
.LBB2_4251:
	v_bfe_u32 v12, v6, 24, 3
	v_ffbh_u32_e32 v16, v12
	v_min_u32_e32 v16, 32, v16
	v_lshrrev_b32_e32 v14, 27, v6
	v_subrev_u32_e32 v17, 28, v16
	v_and_b32_e32 v13, 0x80000000, v6
	v_and_b32_e32 v14, 15, v14
	v_bfe_u32 v15, v6, 27, 4
	v_lshlrev_b32_sdwa v6, v17, v6 dst_sel:DWORD dst_unused:UNUSED_PAD src0_sel:DWORD src1_sel:BYTE_3
	v_sub_u32_e32 v16, 29, v16
	v_and_b32_e32 v6, 7, v6
	v_cmp_eq_u16_e32 vcc, 0, v14
	v_cndmask_b32_e32 v6, v12, v6, vcc
	v_cndmask_b32_e32 v12, v15, v16, vcc
	v_mov_b32_e32 v14, 0x3b800000
	v_lshlrev_b32_e32 v6, 20, v6
	v_lshl_add_u32 v12, v12, 23, v14
	v_or3_b32 v12, v13, v12, v6
.LBB2_4252:
	s_or_b64 exec, exec, s[6:7]
	s_movk_i32 s4, 0x7f
	v_cmp_gt_i16_sdwa s[6:7], v2, s4 src0_sel:BYTE_3 src1_sel:DWORD
	s_mov_b64 s[4:5], 0
                                        ; implicit-def: $sgpr10
	s_and_saveexec_b64 s[8:9], s[6:7]
	s_xor_b64 s[6:7], exec, s[8:9]
	s_cbranch_execz .LBB2_4253
; %bb.40093:
	s_getpc_b64 s[14:15]
.Lpost_getpc23630:
	s_add_u32 s14, s14, (.LBB2_18589-.Lpost_getpc23630)&4294967295
	s_addc_u32 s15, s15, (.LBB2_18589-.Lpost_getpc23630)>>32
	s_setpc_b64 s[14:15]
.LBB2_4253:
	s_or_saveexec_b64 s[6:7], s[6:7]
	v_mov_b32_e32 v6, s10
	s_xor_b64 exec, exec, s[6:7]
	s_cbranch_execz .LBB2_4254
; %bb.40095:
	s_getpc_b64 s[14:15]
.Lpost_getpc23631:
	s_add_u32 s14, s14, (.LBB2_18592-.Lpost_getpc23631)&4294967295
	s_addc_u32 s15, s15, (.LBB2_18592-.Lpost_getpc23631)>>32
	s_setpc_b64 s[14:15]
.LBB2_4254:
	s_or_b64 exec, exec, s[6:7]
	s_and_saveexec_b64 s[6:7], s[4:5]
	s_cbranch_execz .LBB2_4256
.LBB2_4255:
	v_bfe_u32 v6, v2, 24, 3
	v_ffbh_u32_e32 v16, v6
	v_min_u32_e32 v16, 32, v16
	v_lshrrev_b32_e32 v14, 27, v2
	v_subrev_u32_e32 v17, 28, v16
	v_and_b32_e32 v13, 0x80000000, v2
	v_and_b32_e32 v14, 15, v14
	v_bfe_u32 v15, v2, 27, 4
	v_lshlrev_b32_sdwa v2, v17, v2 dst_sel:DWORD dst_unused:UNUSED_PAD src0_sel:DWORD src1_sel:BYTE_3
	v_sub_u32_e32 v16, 29, v16
	v_and_b32_e32 v2, 7, v2
	v_cmp_eq_u16_e32 vcc, 0, v14
	v_cndmask_b32_e32 v2, v6, v2, vcc
	v_cndmask_b32_e32 v6, v15, v16, vcc
	v_mov_b32_e32 v14, 0x3b800000
	v_lshlrev_b32_e32 v2, 20, v2
	v_lshl_add_u32 v6, v6, 23, v14
	v_or3_b32 v6, v13, v6, v2
.LBB2_4256:
	s_or_b64 exec, exec, s[6:7]
	s_nop 0
	v_mfma_f32_16x16x4f32 a[0:3], v12, v6, a[0:3]
	s_movk_i32 s4, 0x7f
	v_cmp_gt_i16_sdwa s[6:7], v7, s4 src0_sel:BYTE_0 src1_sel:DWORD
	s_mov_b64 s[4:5], 0
                                        ; implicit-def: $sgpr10
	s_and_saveexec_b64 s[8:9], s[6:7]
	s_xor_b64 s[6:7], exec, s[8:9]
	s_cbranch_execz .LBB2_4257
; %bb.40097:
	s_getpc_b64 s[14:15]
.Lpost_getpc23632:
	s_add_u32 s14, s14, (.LBB2_18593-.Lpost_getpc23632)&4294967295
	s_addc_u32 s15, s15, (.LBB2_18593-.Lpost_getpc23632)>>32
	s_setpc_b64 s[14:15]
.LBB2_4257:
	s_or_saveexec_b64 s[6:7], s[6:7]
	v_mov_b32_e32 v2, s10
	s_xor_b64 exec, exec, s[6:7]
	s_cbranch_execz .LBB2_4258
; %bb.40099:
	s_getpc_b64 s[14:15]
.Lpost_getpc23633:
	s_add_u32 s14, s14, (.LBB2_18596-.Lpost_getpc23633)&4294967295
	s_addc_u32 s15, s15, (.LBB2_18596-.Lpost_getpc23633)>>32
	s_setpc_b64 s[14:15]
.LBB2_4258:
	s_or_b64 exec, exec, s[6:7]
	s_and_saveexec_b64 s[6:7], s[4:5]
	s_cbranch_execz .LBB2_4260
.LBB2_4259:
	v_and_b32_e32 v2, 7, v7
	v_ffbh_u32_e32 v12, v2
	v_min_u32_e32 v12, 32, v12
	v_lshrrev_b16_e32 v6, 3, v7
	v_subrev_u32_e32 v13, 28, v12
	v_and_b32_e32 v6, 15, v6
	v_lshlrev_b32_e32 v13, v13, v7
	v_sub_u32_e32 v12, 29, v12
	v_and_b32_e32 v13, 7, v13
	v_cmp_eq_u16_e32 vcc, 0, v6
	v_cndmask_b32_e32 v2, v2, v13, vcc
	v_cndmask_b32_e32 v6, v6, v12, vcc
	v_lshlrev_b32_e32 v12, 24, v7
	v_mov_b32_e32 v13, 0x3b800000
	v_lshlrev_b32_e32 v2, 20, v2
	v_and_b32_e32 v12, 0x80000000, v12
	v_lshl_add_u32 v6, v6, 23, v13
	v_or3_b32 v2, v12, v6, v2
.LBB2_4260:
	s_or_b64 exec, exec, s[6:7]
	s_movk_i32 s4, 0x7f
	v_cmp_gt_i16_sdwa s[6:7], v3, s4 src0_sel:BYTE_0 src1_sel:DWORD
	s_mov_b64 s[4:5], 0
                                        ; implicit-def: $sgpr10
	s_and_saveexec_b64 s[8:9], s[6:7]
	s_xor_b64 s[6:7], exec, s[8:9]
	s_cbranch_execz .LBB2_4261
; %bb.40101:
	s_getpc_b64 s[14:15]
.Lpost_getpc23634:
	s_add_u32 s14, s14, (.LBB2_18597-.Lpost_getpc23634)&4294967295
	s_addc_u32 s15, s15, (.LBB2_18597-.Lpost_getpc23634)>>32
	s_setpc_b64 s[14:15]
.LBB2_4261:
	s_or_saveexec_b64 s[6:7], s[6:7]
	v_mov_b32_e32 v6, s10
	s_xor_b64 exec, exec, s[6:7]
	s_cbranch_execz .LBB2_4262
; %bb.40103:
	s_getpc_b64 s[14:15]
.Lpost_getpc23635:
	s_add_u32 s14, s14, (.LBB2_18600-.Lpost_getpc23635)&4294967295
	s_addc_u32 s15, s15, (.LBB2_18600-.Lpost_getpc23635)>>32
	s_setpc_b64 s[14:15]
.LBB2_4262:
	s_or_b64 exec, exec, s[6:7]
	s_and_saveexec_b64 s[6:7], s[4:5]
	s_cbranch_execz .LBB2_4264
.LBB2_4263:
	v_and_b32_e32 v6, 7, v3
	v_ffbh_u32_e32 v13, v6
	v_min_u32_e32 v13, 32, v13
	v_lshrrev_b16_e32 v12, 3, v3
	v_subrev_u32_e32 v14, 28, v13
	v_and_b32_e32 v12, 15, v12
	v_lshlrev_b32_e32 v14, v14, v3
	v_sub_u32_e32 v13, 29, v13
	v_and_b32_e32 v14, 7, v14
	v_cmp_eq_u16_e32 vcc, 0, v12
	v_cndmask_b32_e32 v6, v6, v14, vcc
	v_cndmask_b32_e32 v12, v12, v13, vcc
	v_lshlrev_b32_e32 v13, 24, v3
	v_mov_b32_e32 v14, 0x3b800000
	v_lshlrev_b32_e32 v6, 20, v6
	v_and_b32_e32 v13, 0x80000000, v13
	v_lshl_add_u32 v12, v12, 23, v14
	v_or3_b32 v6, v13, v12, v6
.LBB2_4264:
	s_or_b64 exec, exec, s[6:7]
	s_nop 0
	v_mfma_f32_16x16x4f32 a[0:3], v2, v6, a[0:3]
	v_lshrrev_b32_e32 v6, 8, v7
	s_movk_i32 s4, 0x7f
	v_cmp_gt_i16_sdwa s[6:7], v6, s4 src0_sel:BYTE_0 src1_sel:DWORD
	s_mov_b64 s[4:5], 0
                                        ; implicit-def: $sgpr10
	s_and_saveexec_b64 s[8:9], s[6:7]
	s_xor_b64 s[6:7], exec, s[8:9]
	s_cbranch_execz .LBB2_4265
; %bb.40105:
	s_getpc_b64 s[14:15]
.Lpost_getpc23636:
	s_add_u32 s14, s14, (.LBB2_18601-.Lpost_getpc23636)&4294967295
	s_addc_u32 s15, s15, (.LBB2_18601-.Lpost_getpc23636)>>32
	s_setpc_b64 s[14:15]
.LBB2_4265:
	s_or_saveexec_b64 s[6:7], s[6:7]
	v_mov_b32_e32 v2, s10
	s_xor_b64 exec, exec, s[6:7]
	s_cbranch_execz .LBB2_4266
; %bb.40107:
	s_getpc_b64 s[14:15]
.Lpost_getpc23637:
	s_add_u32 s14, s14, (.LBB2_18604-.Lpost_getpc23637)&4294967295
	s_addc_u32 s15, s15, (.LBB2_18604-.Lpost_getpc23637)>>32
	s_setpc_b64 s[14:15]
.LBB2_4266:
	s_or_b64 exec, exec, s[6:7]
	s_and_saveexec_b64 s[6:7], s[4:5]
	s_cbranch_execz .LBB2_4268
.LBB2_4267:
	v_bfe_u32 v2, v7, 8, 3
	v_ffbh_u32_e32 v13, v2
	v_min_u32_e32 v13, 32, v13
	v_lshrrev_b16_e32 v12, 3, v6
	v_subrev_u32_e32 v14, 28, v13
	v_and_b32_e32 v12, 15, v12
	v_lshlrev_b32_e32 v6, v14, v6
	v_sub_u32_e32 v13, 29, v13
	v_and_b32_e32 v6, 7, v6
	v_cmp_eq_u16_e32 vcc, 0, v12
	v_cndmask_b32_e32 v2, v2, v6, vcc
	v_cndmask_b32_e32 v6, v12, v13, vcc
	v_lshlrev_b32_e32 v12, 16, v7
	v_mov_b32_e32 v13, 0x3b800000
	v_lshlrev_b32_e32 v2, 20, v2
	v_and_b32_e32 v12, 0x80000000, v12
	v_lshl_add_u32 v6, v6, 23, v13
	v_or3_b32 v2, v12, v6, v2
.LBB2_4268:
	s_or_b64 exec, exec, s[6:7]
	v_lshrrev_b32_e32 v6, 8, v3
	s_movk_i32 s4, 0x7f
	v_cmp_gt_i16_sdwa s[6:7], v6, s4 src0_sel:BYTE_0 src1_sel:DWORD
	s_mov_b64 s[4:5], 0
                                        ; implicit-def: $sgpr10
	s_and_saveexec_b64 s[8:9], s[6:7]
	s_xor_b64 s[6:7], exec, s[8:9]
	s_cbranch_execz .LBB2_4269
; %bb.40109:
	s_getpc_b64 s[14:15]
.Lpost_getpc23638:
	s_add_u32 s14, s14, (.LBB2_18605-.Lpost_getpc23638)&4294967295
	s_addc_u32 s15, s15, (.LBB2_18605-.Lpost_getpc23638)>>32
	s_setpc_b64 s[14:15]
.LBB2_4269:
	s_or_saveexec_b64 s[6:7], s[6:7]
	v_mov_b32_e32 v12, s10
	s_xor_b64 exec, exec, s[6:7]
	s_cbranch_execz .LBB2_4270
; %bb.40111:
	s_getpc_b64 s[14:15]
.Lpost_getpc23639:
	s_add_u32 s14, s14, (.LBB2_18608-.Lpost_getpc23639)&4294967295
	s_addc_u32 s15, s15, (.LBB2_18608-.Lpost_getpc23639)>>32
	s_setpc_b64 s[14:15]
.LBB2_4270:
	s_or_b64 exec, exec, s[6:7]
	s_and_saveexec_b64 s[6:7], s[4:5]
	s_cbranch_execz .LBB2_4272
.LBB2_4271:
	v_bfe_u32 v12, v3, 8, 3
	v_ffbh_u32_e32 v14, v12
	v_min_u32_e32 v14, 32, v14
	v_lshrrev_b16_e32 v13, 3, v6
	v_subrev_u32_e32 v15, 28, v14
	v_and_b32_e32 v13, 15, v13
	v_lshlrev_b32_e32 v6, v15, v6
	v_sub_u32_e32 v14, 29, v14
	v_and_b32_e32 v6, 7, v6
	v_cmp_eq_u16_e32 vcc, 0, v13
	v_cndmask_b32_e32 v6, v12, v6, vcc
	v_cndmask_b32_e32 v12, v13, v14, vcc
	v_lshlrev_b32_e32 v13, 16, v3
	v_mov_b32_e32 v14, 0x3b800000
	v_lshlrev_b32_e32 v6, 20, v6
	v_and_b32_e32 v13, 0x80000000, v13
	v_lshl_add_u32 v12, v12, 23, v14
	v_or3_b32 v12, v13, v12, v6
.LBB2_4272:
	s_or_b64 exec, exec, s[6:7]
	s_nop 0
	v_mfma_f32_16x16x4f32 a[0:3], v2, v12, a[0:3]
	s_movk_i32 s4, 0xff
	v_and_b32_sdwa v6, v7, s4 dst_sel:DWORD dst_unused:UNUSED_PAD src0_sel:WORD_1 src1_sel:DWORD
	s_movk_i32 s4, 0x7f
	v_cmp_lt_i16_e32 vcc, s4, v6
	s_mov_b64 s[4:5], 0
                                        ; implicit-def: $sgpr10
	s_and_saveexec_b64 s[6:7], vcc
	s_xor_b64 s[6:7], exec, s[6:7]
	s_cbranch_execz .LBB2_4273
; %bb.40113:
	s_getpc_b64 s[14:15]
.Lpost_getpc23640:
	s_add_u32 s14, s14, (.LBB2_18609-.Lpost_getpc23640)&4294967295
	s_addc_u32 s15, s15, (.LBB2_18609-.Lpost_getpc23640)>>32
	s_setpc_b64 s[14:15]
.LBB2_4273:
	s_or_saveexec_b64 s[6:7], s[6:7]
	v_mov_b32_e32 v2, s10
	s_xor_b64 exec, exec, s[6:7]
	s_cbranch_execz .LBB2_4274
; %bb.40115:
	s_getpc_b64 s[14:15]
.Lpost_getpc23641:
	s_add_u32 s14, s14, (.LBB2_18612-.Lpost_getpc23641)&4294967295
	s_addc_u32 s15, s15, (.LBB2_18612-.Lpost_getpc23641)>>32
	s_setpc_b64 s[14:15]
.LBB2_4274:
	s_or_b64 exec, exec, s[6:7]
	s_and_saveexec_b64 s[6:7], s[4:5]
	s_cbranch_execz .LBB2_4276
.LBB2_4275:
	v_bfe_u32 v2, v7, 16, 3
	v_ffbh_u32_e32 v13, v2
	v_min_u32_e32 v13, 32, v13
	v_lshrrev_b32_e32 v6, 19, v7
	v_subrev_u32_e32 v14, 28, v13
	v_and_b32_e32 v6, 15, v6
	v_lshlrev_b32_sdwa v14, v14, v7 dst_sel:DWORD dst_unused:UNUSED_PAD src0_sel:DWORD src1_sel:WORD_1
	v_bfe_u32 v12, v7, 19, 4
	v_sub_u32_e32 v13, 29, v13
	v_and_b32_e32 v14, 7, v14
	v_cmp_eq_u16_e32 vcc, 0, v6
	v_cndmask_b32_e32 v2, v2, v14, vcc
	v_cndmask_b32_e32 v6, v12, v13, vcc
	v_lshlrev_b32_e32 v12, 8, v7
	v_mov_b32_e32 v13, 0x3b800000
	v_lshlrev_b32_e32 v2, 20, v2
	v_and_b32_e32 v12, 0x80000000, v12
	v_lshl_add_u32 v6, v6, 23, v13
	v_or3_b32 v2, v12, v6, v2
.LBB2_4276:
	s_or_b64 exec, exec, s[6:7]
	s_movk_i32 s4, 0xff
	v_and_b32_sdwa v6, v3, s4 dst_sel:DWORD dst_unused:UNUSED_PAD src0_sel:WORD_1 src1_sel:DWORD
	s_movk_i32 s4, 0x7f
	v_cmp_lt_i16_e32 vcc, s4, v6
	s_mov_b64 s[4:5], 0
                                        ; implicit-def: $sgpr10
	s_and_saveexec_b64 s[6:7], vcc
	s_xor_b64 s[6:7], exec, s[6:7]
	s_cbranch_execz .LBB2_4277
; %bb.40117:
	s_getpc_b64 s[14:15]
.Lpost_getpc23642:
	s_add_u32 s14, s14, (.LBB2_18613-.Lpost_getpc23642)&4294967295
	s_addc_u32 s15, s15, (.LBB2_18613-.Lpost_getpc23642)>>32
	s_setpc_b64 s[14:15]
.LBB2_4277:
	s_or_saveexec_b64 s[6:7], s[6:7]
	v_mov_b32_e32 v12, s10
	s_xor_b64 exec, exec, s[6:7]
	s_cbranch_execz .LBB2_4278
; %bb.40119:
	s_getpc_b64 s[14:15]
.Lpost_getpc23643:
	s_add_u32 s14, s14, (.LBB2_18616-.Lpost_getpc23643)&4294967295
	s_addc_u32 s15, s15, (.LBB2_18616-.Lpost_getpc23643)>>32
	s_setpc_b64 s[14:15]
.LBB2_4278:
	s_or_b64 exec, exec, s[6:7]
	s_and_saveexec_b64 s[6:7], s[4:5]
	s_cbranch_execz .LBB2_4280
.LBB2_4279:
	v_bfe_u32 v6, v3, 16, 3
	v_ffbh_u32_e32 v14, v6
	v_min_u32_e32 v14, 32, v14
	v_lshrrev_b32_e32 v12, 19, v3
	v_subrev_u32_e32 v15, 28, v14
	v_and_b32_e32 v12, 15, v12
	v_lshlrev_b32_sdwa v15, v15, v3 dst_sel:DWORD dst_unused:UNUSED_PAD src0_sel:DWORD src1_sel:WORD_1
	v_bfe_u32 v13, v3, 19, 4
	v_sub_u32_e32 v14, 29, v14
	v_and_b32_e32 v15, 7, v15
	v_cmp_eq_u16_e32 vcc, 0, v12
	v_cndmask_b32_e32 v6, v6, v15, vcc
	v_cndmask_b32_e32 v12, v13, v14, vcc
	v_lshlrev_b32_e32 v13, 8, v3
	v_mov_b32_e32 v14, 0x3b800000
	v_lshlrev_b32_e32 v6, 20, v6
	v_and_b32_e32 v13, 0x80000000, v13
	v_lshl_add_u32 v12, v12, 23, v14
	v_or3_b32 v12, v13, v12, v6
.LBB2_4280:
	s_or_b64 exec, exec, s[6:7]
	s_nop 0
	v_mfma_f32_16x16x4f32 a[0:3], v2, v12, a[0:3]
	s_movk_i32 s4, 0x7f
	v_cmp_gt_i16_sdwa s[6:7], v7, s4 src0_sel:BYTE_3 src1_sel:DWORD
	s_mov_b64 s[4:5], 0
                                        ; implicit-def: $sgpr10
	s_and_saveexec_b64 s[8:9], s[6:7]
	s_xor_b64 s[6:7], exec, s[8:9]
	s_cbranch_execz .LBB2_4281
; %bb.40121:
	s_getpc_b64 s[14:15]
.Lpost_getpc23644:
	s_add_u32 s14, s14, (.LBB2_18617-.Lpost_getpc23644)&4294967295
	s_addc_u32 s15, s15, (.LBB2_18617-.Lpost_getpc23644)>>32
	s_setpc_b64 s[14:15]
.LBB2_4281:
	s_or_saveexec_b64 s[6:7], s[6:7]
	v_mov_b32_e32 v2, s10
	s_xor_b64 exec, exec, s[6:7]
	s_cbranch_execz .LBB2_4282
; %bb.40123:
	s_getpc_b64 s[14:15]
.Lpost_getpc23645:
	s_add_u32 s14, s14, (.LBB2_18620-.Lpost_getpc23645)&4294967295
	s_addc_u32 s15, s15, (.LBB2_18620-.Lpost_getpc23645)>>32
	s_setpc_b64 s[14:15]
.LBB2_4282:
	s_or_b64 exec, exec, s[6:7]
	s_and_saveexec_b64 s[6:7], s[4:5]
	s_cbranch_execz .LBB2_4284
.LBB2_4283:
	v_bfe_u32 v2, v7, 24, 3
	v_ffbh_u32_e32 v14, v2
	v_min_u32_e32 v14, 32, v14
	v_lshrrev_b32_e32 v12, 27, v7
	v_subrev_u32_e32 v15, 28, v14
	v_and_b32_e32 v6, 0x80000000, v7
	v_and_b32_e32 v12, 15, v12
	v_bfe_u32 v13, v7, 27, 4
	v_lshlrev_b32_sdwa v7, v15, v7 dst_sel:DWORD dst_unused:UNUSED_PAD src0_sel:DWORD src1_sel:BYTE_3
	v_sub_u32_e32 v14, 29, v14
	v_and_b32_e32 v7, 7, v7
	v_cmp_eq_u16_e32 vcc, 0, v12
	v_cndmask_b32_e32 v2, v2, v7, vcc
	v_cndmask_b32_e32 v7, v13, v14, vcc
	v_mov_b32_e32 v12, 0x3b800000
	v_lshlrev_b32_e32 v2, 20, v2
	v_lshl_add_u32 v7, v7, 23, v12
	v_or3_b32 v2, v6, v7, v2
.LBB2_4284:
	s_or_b64 exec, exec, s[6:7]
	s_movk_i32 s4, 0x7f
	v_cmp_gt_i16_sdwa s[6:7], v3, s4 src0_sel:BYTE_3 src1_sel:DWORD
	s_mov_b64 s[4:5], 0
                                        ; implicit-def: $sgpr10
	s_and_saveexec_b64 s[8:9], s[6:7]
	s_xor_b64 s[6:7], exec, s[8:9]
	s_cbranch_execz .LBB2_4285
; %bb.40125:
	s_getpc_b64 s[14:15]
.Lpost_getpc23646:
	s_add_u32 s14, s14, (.LBB2_18621-.Lpost_getpc23646)&4294967295
	s_addc_u32 s15, s15, (.LBB2_18621-.Lpost_getpc23646)>>32
	s_setpc_b64 s[14:15]
.LBB2_4285:
	s_or_saveexec_b64 s[6:7], s[6:7]
	v_mov_b32_e32 v6, s10
	s_xor_b64 exec, exec, s[6:7]
	s_cbranch_execz .LBB2_4286
; %bb.40127:
	s_getpc_b64 s[14:15]
.Lpost_getpc23647:
	s_add_u32 s14, s14, (.LBB2_18624-.Lpost_getpc23647)&4294967295
	s_addc_u32 s15, s15, (.LBB2_18624-.Lpost_getpc23647)>>32
	s_setpc_b64 s[14:15]
.LBB2_4286:
	s_or_b64 exec, exec, s[6:7]
	s_and_saveexec_b64 s[6:7], s[4:5]
	s_cbranch_execz .LBB2_4288
.LBB2_4287:
	v_bfe_u32 v6, v3, 24, 3
	v_ffbh_u32_e32 v14, v6
	v_min_u32_e32 v14, 32, v14
	v_lshrrev_b32_e32 v12, 27, v3
	v_subrev_u32_e32 v15, 28, v14
	v_and_b32_e32 v7, 0x80000000, v3
	v_and_b32_e32 v12, 15, v12
	v_bfe_u32 v13, v3, 27, 4
	v_lshlrev_b32_sdwa v3, v15, v3 dst_sel:DWORD dst_unused:UNUSED_PAD src0_sel:DWORD src1_sel:BYTE_3
	v_sub_u32_e32 v14, 29, v14
	v_and_b32_e32 v3, 7, v3
	v_cmp_eq_u16_e32 vcc, 0, v12
	v_cndmask_b32_e32 v3, v6, v3, vcc
	v_cndmask_b32_e32 v6, v13, v14, vcc
	v_mov_b32_e32 v12, 0x3b800000
	v_lshlrev_b32_e32 v3, 20, v3
	v_lshl_add_u32 v6, v6, 23, v12
	v_or3_b32 v6, v7, v6, v3
.LBB2_4288:
	s_or_b64 exec, exec, s[6:7]
	s_nop 0
	v_mfma_f32_16x16x4f32 a[0:3], v2, v6, a[0:3]
	s_movk_i32 s4, 0x7f
	v_cmp_gt_i16_sdwa s[6:7], v8, s4 src0_sel:BYTE_0 src1_sel:DWORD
	s_mov_b64 s[4:5], 0
                                        ; implicit-def: $sgpr10
	s_and_saveexec_b64 s[8:9], s[6:7]
	s_xor_b64 s[6:7], exec, s[8:9]
	s_cbranch_execz .LBB2_4289
; %bb.40129:
	s_getpc_b64 s[14:15]
.Lpost_getpc23648:
	s_add_u32 s14, s14, (.LBB2_18625-.Lpost_getpc23648)&4294967295
	s_addc_u32 s15, s15, (.LBB2_18625-.Lpost_getpc23648)>>32
	s_setpc_b64 s[14:15]
.LBB2_4289:
	s_or_saveexec_b64 s[6:7], s[6:7]
	v_mov_b32_e32 v2, s10
	s_xor_b64 exec, exec, s[6:7]
	s_cbranch_execz .LBB2_4290
; %bb.40131:
	s_getpc_b64 s[14:15]
.Lpost_getpc23649:
	s_add_u32 s14, s14, (.LBB2_18628-.Lpost_getpc23649)&4294967295
	s_addc_u32 s15, s15, (.LBB2_18628-.Lpost_getpc23649)>>32
	s_setpc_b64 s[14:15]
.LBB2_4290:
	s_or_b64 exec, exec, s[6:7]
	s_and_saveexec_b64 s[6:7], s[4:5]
	s_cbranch_execz .LBB2_4292
.LBB2_4291:
	v_and_b32_e32 v2, 7, v8
	v_ffbh_u32_e32 v6, v2
	v_min_u32_e32 v6, 32, v6
	v_lshrrev_b16_e32 v3, 3, v8
	v_subrev_u32_e32 v7, 28, v6
	v_and_b32_e32 v3, 15, v3
	v_lshlrev_b32_e32 v7, v7, v8
	v_sub_u32_e32 v6, 29, v6
	v_and_b32_e32 v7, 7, v7
	v_cmp_eq_u16_e32 vcc, 0, v3
	v_cndmask_b32_e32 v2, v2, v7, vcc
	v_cndmask_b32_e32 v3, v3, v6, vcc
	v_lshlrev_b32_e32 v6, 24, v8
	v_mov_b32_e32 v7, 0x3b800000
	v_lshlrev_b32_e32 v2, 20, v2
	v_and_b32_e32 v6, 0x80000000, v6
	v_lshl_add_u32 v3, v3, 23, v7
	v_or3_b32 v2, v6, v3, v2
.LBB2_4292:
	s_or_b64 exec, exec, s[6:7]
	s_movk_i32 s4, 0x7f
	v_cmp_gt_i16_sdwa s[6:7], v4, s4 src0_sel:BYTE_0 src1_sel:DWORD
	s_mov_b64 s[4:5], 0
                                        ; implicit-def: $sgpr10
	s_and_saveexec_b64 s[8:9], s[6:7]
	s_xor_b64 s[6:7], exec, s[8:9]
	s_cbranch_execz .LBB2_4293
; %bb.40133:
	s_getpc_b64 s[14:15]
.Lpost_getpc23650:
	s_add_u32 s14, s14, (.LBB2_18629-.Lpost_getpc23650)&4294967295
	s_addc_u32 s15, s15, (.LBB2_18629-.Lpost_getpc23650)>>32
	s_setpc_b64 s[14:15]
.LBB2_4293:
	s_or_saveexec_b64 s[6:7], s[6:7]
	v_mov_b32_e32 v3, s10
	s_xor_b64 exec, exec, s[6:7]
	s_cbranch_execz .LBB2_4294
; %bb.40135:
	s_getpc_b64 s[14:15]
.Lpost_getpc23651:
	s_add_u32 s14, s14, (.LBB2_18632-.Lpost_getpc23651)&4294967295
	s_addc_u32 s15, s15, (.LBB2_18632-.Lpost_getpc23651)>>32
	s_setpc_b64 s[14:15]
.LBB2_4294:
	s_or_b64 exec, exec, s[6:7]
	s_and_saveexec_b64 s[6:7], s[4:5]
	s_cbranch_execz .LBB2_4296
.LBB2_4295:
	v_and_b32_e32 v3, 7, v4
	v_ffbh_u32_e32 v7, v3
	v_min_u32_e32 v7, 32, v7
	v_lshrrev_b16_e32 v6, 3, v4
	v_subrev_u32_e32 v12, 28, v7
	v_and_b32_e32 v6, 15, v6
	v_lshlrev_b32_e32 v12, v12, v4
	v_sub_u32_e32 v7, 29, v7
	v_and_b32_e32 v12, 7, v12
	v_cmp_eq_u16_e32 vcc, 0, v6
	v_cndmask_b32_e32 v3, v3, v12, vcc
	v_cndmask_b32_e32 v6, v6, v7, vcc
	v_lshlrev_b32_e32 v7, 24, v4
	v_mov_b32_e32 v12, 0x3b800000
	v_lshlrev_b32_e32 v3, 20, v3
	v_and_b32_e32 v7, 0x80000000, v7
	v_lshl_add_u32 v6, v6, 23, v12
	v_or3_b32 v3, v7, v6, v3
.LBB2_4296:
	s_or_b64 exec, exec, s[6:7]
	s_nop 0
	v_mfma_f32_16x16x4f32 a[0:3], v2, v3, a[0:3]
	v_lshrrev_b32_e32 v3, 8, v8
	s_movk_i32 s4, 0x7f
	v_cmp_gt_i16_sdwa s[6:7], v3, s4 src0_sel:BYTE_0 src1_sel:DWORD
	s_mov_b64 s[4:5], 0
                                        ; implicit-def: $sgpr10
	s_and_saveexec_b64 s[8:9], s[6:7]
	s_xor_b64 s[6:7], exec, s[8:9]
	s_cbranch_execz .LBB2_4297
; %bb.40137:
	s_getpc_b64 s[14:15]
.Lpost_getpc23652:
	s_add_u32 s14, s14, (.LBB2_18633-.Lpost_getpc23652)&4294967295
	s_addc_u32 s15, s15, (.LBB2_18633-.Lpost_getpc23652)>>32
	s_setpc_b64 s[14:15]
.LBB2_4297:
	s_or_saveexec_b64 s[6:7], s[6:7]
	v_mov_b32_e32 v2, s10
	s_xor_b64 exec, exec, s[6:7]
	s_cbranch_execz .LBB2_4298
; %bb.40139:
	s_getpc_b64 s[14:15]
.Lpost_getpc23653:
	s_add_u32 s14, s14, (.LBB2_18636-.Lpost_getpc23653)&4294967295
	s_addc_u32 s15, s15, (.LBB2_18636-.Lpost_getpc23653)>>32
	s_setpc_b64 s[14:15]
.LBB2_4298:
	s_or_b64 exec, exec, s[6:7]
	s_and_saveexec_b64 s[6:7], s[4:5]
	s_cbranch_execz .LBB2_4300
.LBB2_4299:
	v_bfe_u32 v2, v8, 8, 3
	v_ffbh_u32_e32 v7, v2
	v_min_u32_e32 v7, 32, v7
	v_lshrrev_b16_e32 v6, 3, v3
	v_subrev_u32_e32 v12, 28, v7
	v_and_b32_e32 v6, 15, v6
	v_lshlrev_b32_e32 v3, v12, v3
	v_sub_u32_e32 v7, 29, v7
	v_and_b32_e32 v3, 7, v3
	v_cmp_eq_u16_e32 vcc, 0, v6
	v_cndmask_b32_e32 v2, v2, v3, vcc
	v_cndmask_b32_e32 v3, v6, v7, vcc
	v_lshlrev_b32_e32 v6, 16, v8
	v_mov_b32_e32 v7, 0x3b800000
	v_lshlrev_b32_e32 v2, 20, v2
	v_and_b32_e32 v6, 0x80000000, v6
	v_lshl_add_u32 v3, v3, 23, v7
	v_or3_b32 v2, v6, v3, v2
.LBB2_4300:
	s_or_b64 exec, exec, s[6:7]
	v_lshrrev_b32_e32 v3, 8, v4
	s_movk_i32 s4, 0x7f
	v_cmp_gt_i16_sdwa s[6:7], v3, s4 src0_sel:BYTE_0 src1_sel:DWORD
	s_mov_b64 s[4:5], 0
                                        ; implicit-def: $sgpr10
	s_and_saveexec_b64 s[8:9], s[6:7]
	s_xor_b64 s[6:7], exec, s[8:9]
	s_cbranch_execz .LBB2_4301
; %bb.40141:
	s_getpc_b64 s[14:15]
.Lpost_getpc23654:
	s_add_u32 s14, s14, (.LBB2_18637-.Lpost_getpc23654)&4294967295
	s_addc_u32 s15, s15, (.LBB2_18637-.Lpost_getpc23654)>>32
	s_setpc_b64 s[14:15]
.LBB2_4301:
	s_or_saveexec_b64 s[6:7], s[6:7]
	v_mov_b32_e32 v6, s10
	s_xor_b64 exec, exec, s[6:7]
	s_cbranch_execz .LBB2_4302
; %bb.40143:
	s_getpc_b64 s[14:15]
.Lpost_getpc23655:
	s_add_u32 s14, s14, (.LBB2_18640-.Lpost_getpc23655)&4294967295
	s_addc_u32 s15, s15, (.LBB2_18640-.Lpost_getpc23655)>>32
	s_setpc_b64 s[14:15]
.LBB2_4302:
	s_or_b64 exec, exec, s[6:7]
	s_and_saveexec_b64 s[6:7], s[4:5]
	s_cbranch_execz .LBB2_4304
.LBB2_4303:
	v_bfe_u32 v6, v4, 8, 3
	v_ffbh_u32_e32 v12, v6
	v_min_u32_e32 v12, 32, v12
	v_lshrrev_b16_e32 v7, 3, v3
	v_subrev_u32_e32 v13, 28, v12
	v_and_b32_e32 v7, 15, v7
	v_lshlrev_b32_e32 v3, v13, v3
	v_sub_u32_e32 v12, 29, v12
	v_and_b32_e32 v3, 7, v3
	v_cmp_eq_u16_e32 vcc, 0, v7
	v_cndmask_b32_e32 v3, v6, v3, vcc
	v_cndmask_b32_e32 v6, v7, v12, vcc
	v_lshlrev_b32_e32 v7, 16, v4
	v_mov_b32_e32 v12, 0x3b800000
	v_lshlrev_b32_e32 v3, 20, v3
	v_and_b32_e32 v7, 0x80000000, v7
	v_lshl_add_u32 v6, v6, 23, v12
	v_or3_b32 v6, v7, v6, v3
.LBB2_4304:
	s_or_b64 exec, exec, s[6:7]
	s_nop 0
	v_mfma_f32_16x16x4f32 a[0:3], v2, v6, a[0:3]
	s_movk_i32 s4, 0xff
	v_and_b32_sdwa v3, v8, s4 dst_sel:DWORD dst_unused:UNUSED_PAD src0_sel:WORD_1 src1_sel:DWORD
	s_movk_i32 s4, 0x7f
	v_cmp_lt_i16_e32 vcc, s4, v3
	s_mov_b64 s[4:5], 0
                                        ; implicit-def: $sgpr10
	s_and_saveexec_b64 s[6:7], vcc
	s_xor_b64 s[6:7], exec, s[6:7]
	s_cbranch_execz .LBB2_4305
; %bb.40145:
	s_getpc_b64 s[14:15]
.Lpost_getpc23656:
	s_add_u32 s14, s14, (.LBB2_18641-.Lpost_getpc23656)&4294967295
	s_addc_u32 s15, s15, (.LBB2_18641-.Lpost_getpc23656)>>32
	s_setpc_b64 s[14:15]
.LBB2_4305:
	s_or_saveexec_b64 s[6:7], s[6:7]
	v_mov_b32_e32 v2, s10
	s_xor_b64 exec, exec, s[6:7]
	s_cbranch_execz .LBB2_4306
; %bb.40147:
	s_getpc_b64 s[14:15]
.Lpost_getpc23657:
	s_add_u32 s14, s14, (.LBB2_18644-.Lpost_getpc23657)&4294967295
	s_addc_u32 s15, s15, (.LBB2_18644-.Lpost_getpc23657)>>32
	s_setpc_b64 s[14:15]
.LBB2_4306:
	s_or_b64 exec, exec, s[6:7]
	s_and_saveexec_b64 s[6:7], s[4:5]
	s_cbranch_execz .LBB2_4308
.LBB2_4307:
	v_bfe_u32 v2, v8, 16, 3
	v_ffbh_u32_e32 v7, v2
	v_min_u32_e32 v7, 32, v7
	v_lshrrev_b32_e32 v3, 19, v8
	v_subrev_u32_e32 v12, 28, v7
	v_and_b32_e32 v3, 15, v3
	v_lshlrev_b32_sdwa v12, v12, v8 dst_sel:DWORD dst_unused:UNUSED_PAD src0_sel:DWORD src1_sel:WORD_1
	v_bfe_u32 v6, v8, 19, 4
	v_sub_u32_e32 v7, 29, v7
	v_and_b32_e32 v12, 7, v12
	v_cmp_eq_u16_e32 vcc, 0, v3
	v_cndmask_b32_e32 v2, v2, v12, vcc
	v_cndmask_b32_e32 v3, v6, v7, vcc
	v_lshlrev_b32_e32 v6, 8, v8
	v_mov_b32_e32 v7, 0x3b800000
	v_lshlrev_b32_e32 v2, 20, v2
	v_and_b32_e32 v6, 0x80000000, v6
	v_lshl_add_u32 v3, v3, 23, v7
	v_or3_b32 v2, v6, v3, v2
.LBB2_4308:
	s_or_b64 exec, exec, s[6:7]
	s_movk_i32 s4, 0xff
	v_and_b32_sdwa v3, v4, s4 dst_sel:DWORD dst_unused:UNUSED_PAD src0_sel:WORD_1 src1_sel:DWORD
	s_movk_i32 s4, 0x7f
	v_cmp_lt_i16_e32 vcc, s4, v3
	s_mov_b64 s[4:5], 0
                                        ; implicit-def: $sgpr10
	s_and_saveexec_b64 s[6:7], vcc
	s_xor_b64 s[6:7], exec, s[6:7]
	s_cbranch_execz .LBB2_4309
; %bb.40149:
	s_getpc_b64 s[14:15]
.Lpost_getpc23658:
	s_add_u32 s14, s14, (.LBB2_18645-.Lpost_getpc23658)&4294967295
	s_addc_u32 s15, s15, (.LBB2_18645-.Lpost_getpc23658)>>32
	s_setpc_b64 s[14:15]
.LBB2_4309:
	s_or_saveexec_b64 s[6:7], s[6:7]
	v_mov_b32_e32 v6, s10
	s_xor_b64 exec, exec, s[6:7]
	s_cbranch_execz .LBB2_4310
; %bb.40151:
	s_getpc_b64 s[14:15]
.Lpost_getpc23659:
	s_add_u32 s14, s14, (.LBB2_18648-.Lpost_getpc23659)&4294967295
	s_addc_u32 s15, s15, (.LBB2_18648-.Lpost_getpc23659)>>32
	s_setpc_b64 s[14:15]
.LBB2_4310:
	s_or_b64 exec, exec, s[6:7]
	s_and_saveexec_b64 s[6:7], s[4:5]
	s_cbranch_execz .LBB2_4312
.LBB2_4311:
	v_bfe_u32 v3, v4, 16, 3
	v_ffbh_u32_e32 v12, v3
	v_min_u32_e32 v12, 32, v12
	v_lshrrev_b32_e32 v6, 19, v4
	v_subrev_u32_e32 v13, 28, v12
	v_and_b32_e32 v6, 15, v6
	v_lshlrev_b32_sdwa v13, v13, v4 dst_sel:DWORD dst_unused:UNUSED_PAD src0_sel:DWORD src1_sel:WORD_1
	v_bfe_u32 v7, v4, 19, 4
	v_sub_u32_e32 v12, 29, v12
	v_and_b32_e32 v13, 7, v13
	v_cmp_eq_u16_e32 vcc, 0, v6
	v_cndmask_b32_e32 v3, v3, v13, vcc
	v_cndmask_b32_e32 v6, v7, v12, vcc
	v_lshlrev_b32_e32 v7, 8, v4
	v_mov_b32_e32 v12, 0x3b800000
	v_lshlrev_b32_e32 v3, 20, v3
	v_and_b32_e32 v7, 0x80000000, v7
	v_lshl_add_u32 v6, v6, 23, v12
	v_or3_b32 v6, v7, v6, v3
.LBB2_4312:
	s_or_b64 exec, exec, s[6:7]
	s_nop 0
	v_mfma_f32_16x16x4f32 a[0:3], v2, v6, a[0:3]
	s_movk_i32 s4, 0x7f
	v_cmp_gt_i16_sdwa s[6:7], v8, s4 src0_sel:BYTE_3 src1_sel:DWORD
	s_mov_b64 s[4:5], 0
                                        ; implicit-def: $sgpr10
	s_and_saveexec_b64 s[8:9], s[6:7]
	s_xor_b64 s[6:7], exec, s[8:9]
	s_cbranch_execz .LBB2_4313
; %bb.40153:
	s_getpc_b64 s[14:15]
.Lpost_getpc23660:
	s_add_u32 s14, s14, (.LBB2_18649-.Lpost_getpc23660)&4294967295
	s_addc_u32 s15, s15, (.LBB2_18649-.Lpost_getpc23660)>>32
	s_setpc_b64 s[14:15]
.LBB2_4313:
	s_or_saveexec_b64 s[6:7], s[6:7]
	v_mov_b32_e32 v2, s10
	s_xor_b64 exec, exec, s[6:7]
	s_cbranch_execz .LBB2_4314
; %bb.40155:
	s_getpc_b64 s[14:15]
.Lpost_getpc23661:
	s_add_u32 s14, s14, (.LBB2_18652-.Lpost_getpc23661)&4294967295
	s_addc_u32 s15, s15, (.LBB2_18652-.Lpost_getpc23661)>>32
	s_setpc_b64 s[14:15]
.LBB2_4314:
	s_or_b64 exec, exec, s[6:7]
	s_and_saveexec_b64 s[6:7], s[4:5]
	s_cbranch_execz .LBB2_4316
.LBB2_4315:
	v_bfe_u32 v2, v8, 24, 3
	v_ffbh_u32_e32 v12, v2
	v_min_u32_e32 v12, 32, v12
	v_lshrrev_b32_e32 v6, 27, v8
	v_subrev_u32_e32 v13, 28, v12
	v_and_b32_e32 v3, 0x80000000, v8
	v_and_b32_e32 v6, 15, v6
	v_bfe_u32 v7, v8, 27, 4
	v_lshlrev_b32_sdwa v8, v13, v8 dst_sel:DWORD dst_unused:UNUSED_PAD src0_sel:DWORD src1_sel:BYTE_3
	v_sub_u32_e32 v12, 29, v12
	v_and_b32_e32 v8, 7, v8
	v_cmp_eq_u16_e32 vcc, 0, v6
	v_cndmask_b32_e32 v2, v2, v8, vcc
	v_cndmask_b32_e32 v6, v7, v12, vcc
	v_mov_b32_e32 v7, 0x3b800000
	v_lshlrev_b32_e32 v2, 20, v2
	v_lshl_add_u32 v6, v6, 23, v7
	v_or3_b32 v2, v3, v6, v2
.LBB2_4316:
	s_or_b64 exec, exec, s[6:7]
	s_movk_i32 s4, 0x7f
	v_cmp_gt_i16_sdwa s[6:7], v4, s4 src0_sel:BYTE_3 src1_sel:DWORD
	s_mov_b64 s[4:5], 0
                                        ; implicit-def: $sgpr10
	s_and_saveexec_b64 s[8:9], s[6:7]
	s_xor_b64 s[6:7], exec, s[8:9]
	s_cbranch_execz .LBB2_4317
; %bb.40157:
	s_getpc_b64 s[14:15]
.Lpost_getpc23662:
	s_add_u32 s14, s14, (.LBB2_18653-.Lpost_getpc23662)&4294967295
	s_addc_u32 s15, s15, (.LBB2_18653-.Lpost_getpc23662)>>32
	s_setpc_b64 s[14:15]
.LBB2_4317:
	s_or_saveexec_b64 s[6:7], s[6:7]
	v_mov_b32_e32 v3, s10
	s_xor_b64 exec, exec, s[6:7]
	s_cbranch_execz .LBB2_4318
; %bb.40159:
	s_getpc_b64 s[14:15]
.Lpost_getpc23663:
	s_add_u32 s14, s14, (.LBB2_18656-.Lpost_getpc23663)&4294967295
	s_addc_u32 s15, s15, (.LBB2_18656-.Lpost_getpc23663)>>32
	s_setpc_b64 s[14:15]
.LBB2_4318:
	s_or_b64 exec, exec, s[6:7]
	s_and_saveexec_b64 s[6:7], s[4:5]
	s_cbranch_execz .LBB2_4320
.LBB2_4319:
	v_bfe_u32 v3, v4, 24, 3
	v_ffbh_u32_e32 v12, v3
	v_min_u32_e32 v12, 32, v12
	v_lshrrev_b32_e32 v7, 27, v4
	v_subrev_u32_e32 v13, 28, v12
	v_and_b32_e32 v6, 0x80000000, v4
	v_and_b32_e32 v7, 15, v7
	v_bfe_u32 v8, v4, 27, 4
	v_lshlrev_b32_sdwa v4, v13, v4 dst_sel:DWORD dst_unused:UNUSED_PAD src0_sel:DWORD src1_sel:BYTE_3
	v_sub_u32_e32 v12, 29, v12
	v_and_b32_e32 v4, 7, v4
	v_cmp_eq_u16_e32 vcc, 0, v7
	v_cndmask_b32_e32 v3, v3, v4, vcc
	v_cndmask_b32_e32 v4, v8, v12, vcc
	v_mov_b32_e32 v7, 0x3b800000
	v_lshlrev_b32_e32 v3, 20, v3
	v_lshl_add_u32 v4, v4, 23, v7
	v_or3_b32 v3, v6, v4, v3
.LBB2_4320:
	s_or_b64 exec, exec, s[6:7]
	s_nop 0
	v_mfma_f32_16x16x4f32 a[0:3], v2, v3, a[0:3]
	s_movk_i32 s4, 0x7f
	v_cmp_gt_i16_sdwa s[6:7], v9, s4 src0_sel:BYTE_0 src1_sel:DWORD
	s_mov_b64 s[4:5], 0
                                        ; implicit-def: $sgpr10
	s_and_saveexec_b64 s[8:9], s[6:7]
	s_xor_b64 s[6:7], exec, s[8:9]
	s_cbranch_execz .LBB2_4321
; %bb.40161:
	s_getpc_b64 s[14:15]
.Lpost_getpc23664:
	s_add_u32 s14, s14, (.LBB2_18657-.Lpost_getpc23664)&4294967295
	s_addc_u32 s15, s15, (.LBB2_18657-.Lpost_getpc23664)>>32
	s_setpc_b64 s[14:15]
.LBB2_4321:
	s_or_saveexec_b64 s[6:7], s[6:7]
	v_mov_b32_e32 v2, s10
	s_xor_b64 exec, exec, s[6:7]
	s_cbranch_execz .LBB2_4322
; %bb.40163:
	s_getpc_b64 s[14:15]
.Lpost_getpc23665:
	s_add_u32 s14, s14, (.LBB2_18660-.Lpost_getpc23665)&4294967295
	s_addc_u32 s15, s15, (.LBB2_18660-.Lpost_getpc23665)>>32
	s_setpc_b64 s[14:15]
.LBB2_4322:
	s_or_b64 exec, exec, s[6:7]
	s_and_saveexec_b64 s[6:7], s[4:5]
	s_cbranch_execz .LBB2_4324
.LBB2_4323:
	v_mov_b32_e32 v2, 8
	v_and_b32_e32 v3, 7, v9
	v_lshrrev_b32_sdwa v2, v2, v9 dst_sel:BYTE_1 dst_unused:UNUSED_PAD src0_sel:DWORD src1_sel:DWORD
	v_ffbh_u32_e32 v4, v3
	v_or_b32_sdwa v2, v9, v2 dst_sel:DWORD dst_unused:UNUSED_PAD src0_sel:BYTE_0 src1_sel:DWORD
	v_min_u32_e32 v4, 32, v4
	v_lshrrev_b16_e32 v2, 3, v2
	v_subrev_u32_e32 v6, 28, v4
	v_and_b32_e32 v2, 15, v2
	v_lshlrev_b32_e32 v6, v6, v9
	v_sub_u32_e32 v4, 29, v4
	v_and_b32_e32 v6, 7, v6
	v_cmp_eq_u16_e32 vcc, 0, v2
	v_cndmask_b32_e32 v3, v3, v6, vcc
	v_cndmask_b32_e32 v2, v2, v4, vcc
	v_lshlrev_b32_e32 v4, 24, v9
	v_mov_b32_e32 v6, 0x3b800000
	v_lshlrev_b32_e32 v3, 20, v3
	v_and_b32_e32 v4, 0x80000000, v4
	v_lshl_add_u32 v2, v2, 23, v6
	v_or3_b32 v2, v4, v2, v3
.LBB2_4324:
	s_or_b64 exec, exec, s[6:7]
	s_movk_i32 s4, 0x7f
	v_cmp_gt_i16_sdwa s[6:7], v5, s4 src0_sel:BYTE_0 src1_sel:DWORD
	s_mov_b64 s[4:5], 0
                                        ; implicit-def: $sgpr10
	s_and_saveexec_b64 s[8:9], s[6:7]
	s_xor_b64 s[6:7], exec, s[8:9]
	s_cbranch_execz .LBB2_4325
; %bb.40165:
	s_getpc_b64 s[14:15]
.Lpost_getpc23666:
	s_add_u32 s14, s14, (.LBB2_18661-.Lpost_getpc23666)&4294967295
	s_addc_u32 s15, s15, (.LBB2_18661-.Lpost_getpc23666)>>32
	s_setpc_b64 s[14:15]
.LBB2_4325:
	s_or_saveexec_b64 s[6:7], s[6:7]
	v_mov_b32_e32 v3, s10
	s_xor_b64 exec, exec, s[6:7]
	s_cbranch_execz .LBB2_4326
; %bb.40167:
	s_getpc_b64 s[14:15]
.Lpost_getpc23667:
	s_add_u32 s14, s14, (.LBB2_18664-.Lpost_getpc23667)&4294967295
	s_addc_u32 s15, s15, (.LBB2_18664-.Lpost_getpc23667)>>32
	s_setpc_b64 s[14:15]
.LBB2_4326:
	s_or_b64 exec, exec, s[6:7]
	s_and_saveexec_b64 s[6:7], s[4:5]
	s_cbranch_execz .LBB2_4328
.LBB2_4327:
	v_mov_b32_e32 v3, 8
	v_and_b32_e32 v4, 7, v5
	v_lshrrev_b32_sdwa v3, v3, v5 dst_sel:BYTE_1 dst_unused:UNUSED_PAD src0_sel:DWORD src1_sel:DWORD
	v_ffbh_u32_e32 v6, v4
	v_or_b32_sdwa v3, v5, v3 dst_sel:DWORD dst_unused:UNUSED_PAD src0_sel:BYTE_0 src1_sel:DWORD
	v_min_u32_e32 v6, 32, v6
	v_lshrrev_b16_e32 v3, 3, v3
	v_subrev_u32_e32 v7, 28, v6
	v_and_b32_e32 v3, 15, v3
	v_lshlrev_b32_e32 v7, v7, v5
	v_sub_u32_e32 v6, 29, v6
	v_and_b32_e32 v7, 7, v7
	v_cmp_eq_u16_e32 vcc, 0, v3
	v_cndmask_b32_e32 v4, v4, v7, vcc
	v_cndmask_b32_e32 v3, v3, v6, vcc
	v_lshlrev_b32_e32 v6, 24, v5
	v_mov_b32_e32 v7, 0x3b800000
	v_lshlrev_b32_e32 v4, 20, v4
	v_and_b32_e32 v6, 0x80000000, v6
	v_lshl_add_u32 v3, v3, 23, v7
	v_or3_b32 v3, v6, v3, v4
.LBB2_4328:
	s_or_b64 exec, exec, s[6:7]
	s_nop 0
	v_mfma_f32_16x16x4f32 a[0:3], v2, v3, a[0:3]
	v_lshrrev_b32_e32 v3, 8, v9
	s_movk_i32 s4, 0x7f
	v_cmp_gt_i16_sdwa s[6:7], v3, s4 src0_sel:BYTE_0 src1_sel:DWORD
	s_mov_b64 s[4:5], 0
                                        ; implicit-def: $sgpr10
	s_and_saveexec_b64 s[8:9], s[6:7]
	s_xor_b64 s[6:7], exec, s[8:9]
	s_cbranch_execz .LBB2_4329
; %bb.40169:
	s_getpc_b64 s[14:15]
.Lpost_getpc23668:
	s_add_u32 s14, s14, (.LBB2_18665-.Lpost_getpc23668)&4294967295
	s_addc_u32 s15, s15, (.LBB2_18665-.Lpost_getpc23668)>>32
	s_setpc_b64 s[14:15]
.LBB2_4329:
	s_or_saveexec_b64 s[6:7], s[6:7]
	v_mov_b32_e32 v2, s10
	s_xor_b64 exec, exec, s[6:7]
	s_cbranch_execz .LBB2_4330
; %bb.40171:
	s_getpc_b64 s[14:15]
.Lpost_getpc23669:
	s_add_u32 s14, s14, (.LBB2_18668-.Lpost_getpc23669)&4294967295
	s_addc_u32 s15, s15, (.LBB2_18668-.Lpost_getpc23669)>>32
	s_setpc_b64 s[14:15]
.LBB2_4330:
	s_or_b64 exec, exec, s[6:7]
	s_and_saveexec_b64 s[6:7], s[4:5]
	s_cbranch_execz .LBB2_4332
.LBB2_4331:
	v_bfe_u32 v2, v9, 8, 3
	v_ffbh_u32_e32 v6, v2
	v_min_u32_e32 v6, 32, v6
	v_lshrrev_b16_e32 v4, 3, v3
	v_subrev_u32_e32 v7, 28, v6
	v_and_b32_e32 v4, 15, v4
	v_lshlrev_b32_e32 v3, v7, v3
	v_sub_u32_e32 v6, 29, v6
	v_and_b32_e32 v3, 7, v3
	v_cmp_eq_u16_e32 vcc, 0, v4
	v_cndmask_b32_e32 v2, v2, v3, vcc
	v_cndmask_b32_e32 v3, v4, v6, vcc
	v_lshlrev_b32_e32 v4, 16, v9
	v_mov_b32_e32 v6, 0x3b800000
	v_lshlrev_b32_e32 v2, 20, v2
	v_and_b32_e32 v4, 0x80000000, v4
	v_lshl_add_u32 v3, v3, 23, v6
	v_or3_b32 v2, v4, v3, v2
.LBB2_4332:
	s_or_b64 exec, exec, s[6:7]
	v_lshrrev_b32_e32 v3, 8, v5
	s_movk_i32 s4, 0x7f
	v_cmp_gt_i16_sdwa s[6:7], v3, s4 src0_sel:BYTE_0 src1_sel:DWORD
	s_mov_b64 s[4:5], 0
                                        ; implicit-def: $sgpr10
	s_and_saveexec_b64 s[8:9], s[6:7]
	s_xor_b64 s[6:7], exec, s[8:9]
	s_cbranch_execz .LBB2_4333
; %bb.40173:
	s_getpc_b64 s[14:15]
.Lpost_getpc23670:
	s_add_u32 s14, s14, (.LBB2_18669-.Lpost_getpc23670)&4294967295
	s_addc_u32 s15, s15, (.LBB2_18669-.Lpost_getpc23670)>>32
	s_setpc_b64 s[14:15]
.LBB2_4333:
	s_or_saveexec_b64 s[6:7], s[6:7]
	v_mov_b32_e32 v4, s10
	s_xor_b64 exec, exec, s[6:7]
	s_cbranch_execz .LBB2_4334
; %bb.40175:
	s_getpc_b64 s[14:15]
.Lpost_getpc23671:
	s_add_u32 s14, s14, (.LBB2_18672-.Lpost_getpc23671)&4294967295
	s_addc_u32 s15, s15, (.LBB2_18672-.Lpost_getpc23671)>>32
	s_setpc_b64 s[14:15]
.LBB2_4334:
	s_or_b64 exec, exec, s[6:7]
	s_and_saveexec_b64 s[6:7], s[4:5]
	s_cbranch_execz .LBB2_4336
.LBB2_4335:
	v_bfe_u32 v4, v5, 8, 3
	v_ffbh_u32_e32 v7, v4
	v_min_u32_e32 v7, 32, v7
	v_lshrrev_b16_e32 v6, 3, v3
	v_subrev_u32_e32 v8, 28, v7
	v_and_b32_e32 v6, 15, v6
	v_lshlrev_b32_e32 v3, v8, v3
	v_sub_u32_e32 v7, 29, v7
	v_and_b32_e32 v3, 7, v3
	v_cmp_eq_u16_e32 vcc, 0, v6
	v_cndmask_b32_e32 v3, v4, v3, vcc
	v_cndmask_b32_e32 v4, v6, v7, vcc
	v_lshlrev_b32_e32 v6, 16, v5
	v_mov_b32_e32 v7, 0x3b800000
	v_lshlrev_b32_e32 v3, 20, v3
	v_and_b32_e32 v6, 0x80000000, v6
	v_lshl_add_u32 v4, v4, 23, v7
	v_or3_b32 v4, v6, v4, v3
.LBB2_4336:
	s_or_b64 exec, exec, s[6:7]
	s_nop 0
	v_mfma_f32_16x16x4f32 a[0:3], v2, v4, a[0:3]
	s_movk_i32 s4, 0xff
	v_and_b32_sdwa v3, v9, s4 dst_sel:DWORD dst_unused:UNUSED_PAD src0_sel:WORD_1 src1_sel:DWORD
	s_movk_i32 s4, 0x7f
	v_cmp_lt_i16_e32 vcc, s4, v3
	s_mov_b64 s[4:5], 0
                                        ; implicit-def: $sgpr10
	s_and_saveexec_b64 s[6:7], vcc
	s_xor_b64 s[6:7], exec, s[6:7]
	s_cbranch_execz .LBB2_4337
; %bb.40177:
	s_getpc_b64 s[14:15]
.Lpost_getpc23672:
	s_add_u32 s14, s14, (.LBB2_18673-.Lpost_getpc23672)&4294967295
	s_addc_u32 s15, s15, (.LBB2_18673-.Lpost_getpc23672)>>32
	s_setpc_b64 s[14:15]
.LBB2_4337:
	s_or_saveexec_b64 s[6:7], s[6:7]
	v_mov_b32_e32 v2, s10
	s_xor_b64 exec, exec, s[6:7]
	s_cbranch_execz .LBB2_4338
; %bb.40179:
	s_getpc_b64 s[14:15]
.Lpost_getpc23673:
	s_add_u32 s14, s14, (.LBB2_18676-.Lpost_getpc23673)&4294967295
	s_addc_u32 s15, s15, (.LBB2_18676-.Lpost_getpc23673)>>32
	s_setpc_b64 s[14:15]
.LBB2_4338:
	s_or_b64 exec, exec, s[6:7]
	s_and_saveexec_b64 s[6:7], s[4:5]
	s_cbranch_execz .LBB2_4340
.LBB2_4339:
	v_bfe_u32 v2, v9, 16, 3
	v_ffbh_u32_e32 v6, v2
	v_min_u32_e32 v6, 32, v6
	v_lshrrev_b32_e32 v3, 19, v9
	v_subrev_u32_e32 v7, 28, v6
	v_and_b32_e32 v3, 15, v3
	v_lshlrev_b32_sdwa v7, v7, v9 dst_sel:DWORD dst_unused:UNUSED_PAD src0_sel:DWORD src1_sel:WORD_1
	v_bfe_u32 v4, v9, 19, 4
	v_sub_u32_e32 v6, 29, v6
	v_and_b32_e32 v7, 7, v7
	v_cmp_eq_u16_e32 vcc, 0, v3
	v_cndmask_b32_e32 v2, v2, v7, vcc
	v_cndmask_b32_e32 v3, v4, v6, vcc
	v_lshlrev_b32_e32 v4, 8, v9
	v_mov_b32_e32 v6, 0x3b800000
	v_lshlrev_b32_e32 v2, 20, v2
	v_and_b32_e32 v4, 0x80000000, v4
	v_lshl_add_u32 v3, v3, 23, v6
	v_or3_b32 v2, v4, v3, v2
.LBB2_4340:
	s_or_b64 exec, exec, s[6:7]
	s_movk_i32 s4, 0xff
	v_and_b32_sdwa v3, v5, s4 dst_sel:DWORD dst_unused:UNUSED_PAD src0_sel:WORD_1 src1_sel:DWORD
	s_movk_i32 s4, 0x7f
	v_cmp_lt_i16_e32 vcc, s4, v3
	s_mov_b64 s[4:5], 0
                                        ; implicit-def: $sgpr10
	s_and_saveexec_b64 s[6:7], vcc
	s_xor_b64 s[6:7], exec, s[6:7]
	s_cbranch_execz .LBB2_4341
; %bb.40181:
	s_getpc_b64 s[14:15]
.Lpost_getpc23674:
	s_add_u32 s14, s14, (.LBB2_18677-.Lpost_getpc23674)&4294967295
	s_addc_u32 s15, s15, (.LBB2_18677-.Lpost_getpc23674)>>32
	s_setpc_b64 s[14:15]
.LBB2_4341:
	s_or_saveexec_b64 s[6:7], s[6:7]
	v_mov_b32_e32 v4, s10
	s_xor_b64 exec, exec, s[6:7]
	s_cbranch_execz .LBB2_4342
; %bb.40183:
	s_getpc_b64 s[14:15]
.Lpost_getpc23675:
	s_add_u32 s14, s14, (.LBB2_18680-.Lpost_getpc23675)&4294967295
	s_addc_u32 s15, s15, (.LBB2_18680-.Lpost_getpc23675)>>32
	s_setpc_b64 s[14:15]
.LBB2_4342:
	s_or_b64 exec, exec, s[6:7]
	s_and_saveexec_b64 s[6:7], s[4:5]
	s_cbranch_execz .LBB2_4344
.LBB2_4343:
	v_bfe_u32 v3, v5, 16, 3
	v_ffbh_u32_e32 v7, v3
	v_min_u32_e32 v7, 32, v7
	v_lshrrev_b32_e32 v4, 19, v5
	v_subrev_u32_e32 v8, 28, v7
	v_and_b32_e32 v4, 15, v4
	v_lshlrev_b32_sdwa v8, v8, v5 dst_sel:DWORD dst_unused:UNUSED_PAD src0_sel:DWORD src1_sel:WORD_1
	v_bfe_u32 v6, v5, 19, 4
	v_sub_u32_e32 v7, 29, v7
	v_and_b32_e32 v8, 7, v8
	v_cmp_eq_u16_e32 vcc, 0, v4
	v_cndmask_b32_e32 v3, v3, v8, vcc
	v_cndmask_b32_e32 v4, v6, v7, vcc
	v_lshlrev_b32_e32 v6, 8, v5
	v_mov_b32_e32 v7, 0x3b800000
	v_lshlrev_b32_e32 v3, 20, v3
	v_and_b32_e32 v6, 0x80000000, v6
	v_lshl_add_u32 v4, v4, 23, v7
	v_or3_b32 v4, v6, v4, v3
.LBB2_4344:
	s_or_b64 exec, exec, s[6:7]
	s_nop 0
	v_mfma_f32_16x16x4f32 a[0:3], v2, v4, a[0:3]
	s_movk_i32 s4, 0x7f
	v_cmp_gt_i16_sdwa s[6:7], v9, s4 src0_sel:BYTE_3 src1_sel:DWORD
	s_mov_b64 s[4:5], 0
                                        ; implicit-def: $sgpr10
	s_and_saveexec_b64 s[8:9], s[6:7]
	s_xor_b64 s[6:7], exec, s[8:9]
	s_cbranch_execz .LBB2_4345
; %bb.40185:
	s_getpc_b64 s[14:15]
.Lpost_getpc23676:
	s_add_u32 s14, s14, (.LBB2_18681-.Lpost_getpc23676)&4294967295
	s_addc_u32 s15, s15, (.LBB2_18681-.Lpost_getpc23676)>>32
	s_setpc_b64 s[14:15]
.LBB2_4345:
	s_or_saveexec_b64 s[6:7], s[6:7]
	v_mov_b32_e32 v2, s10
	s_xor_b64 exec, exec, s[6:7]
	s_cbranch_execz .LBB2_4346
; %bb.40187:
	s_getpc_b64 s[14:15]
.Lpost_getpc23677:
	s_add_u32 s14, s14, (.LBB2_18684-.Lpost_getpc23677)&4294967295
	s_addc_u32 s15, s15, (.LBB2_18684-.Lpost_getpc23677)>>32
	s_setpc_b64 s[14:15]
.LBB2_4346:
	s_or_b64 exec, exec, s[6:7]
	s_and_saveexec_b64 s[6:7], s[4:5]
	s_cbranch_execz .LBB2_4348
.LBB2_4347:
	v_bfe_u32 v2, v9, 24, 3
	v_ffbh_u32_e32 v7, v2
	v_min_u32_e32 v7, 32, v7
	v_lshrrev_b32_e32 v4, 27, v9
	v_subrev_u32_e32 v8, 28, v7
	v_and_b32_e32 v4, 15, v4
	v_lshlrev_b32_sdwa v8, v8, v9 dst_sel:DWORD dst_unused:UNUSED_PAD src0_sel:DWORD src1_sel:BYTE_3
	v_bfe_u32 v6, v9, 27, 4
	v_sub_u32_e32 v7, 29, v7
	v_and_b32_e32 v8, 7, v8
	v_cmp_eq_u16_e32 vcc, 0, v4
	v_cndmask_b32_e32 v2, v2, v8, vcc
	v_cndmask_b32_e32 v4, v6, v7, vcc
	v_mov_b32_e32 v6, 0x3b800000
	v_and_b32_e32 v3, 0x80000000, v9
	v_lshlrev_b32_e32 v2, 20, v2
	v_lshl_add_u32 v4, v4, 23, v6
	v_or3_b32 v2, v3, v4, v2
.LBB2_4348:
	s_or_b64 exec, exec, s[6:7]
	s_movk_i32 s4, 0x7f
	v_cmp_gt_i16_sdwa s[6:7], v5, s4 src0_sel:BYTE_3 src1_sel:DWORD
	s_mov_b64 s[4:5], 0
                                        ; implicit-def: $sgpr10
	s_and_saveexec_b64 s[8:9], s[6:7]
	s_xor_b64 s[6:7], exec, s[8:9]
	s_cbranch_execz .LBB2_4349
; %bb.40189:
	s_getpc_b64 s[14:15]
.Lpost_getpc23678:
	s_add_u32 s14, s14, (.LBB2_18685-.Lpost_getpc23678)&4294967295
	s_addc_u32 s15, s15, (.LBB2_18685-.Lpost_getpc23678)>>32
	s_setpc_b64 s[14:15]
.LBB2_4349:
	s_or_saveexec_b64 s[6:7], s[6:7]
	v_mov_b32_e32 v3, s10
	s_xor_b64 exec, exec, s[6:7]
	s_cbranch_execz .LBB2_4350
; %bb.40191:
	s_getpc_b64 s[14:15]
.Lpost_getpc23679:
	s_add_u32 s14, s14, (.LBB2_18688-.Lpost_getpc23679)&4294967295
	s_addc_u32 s15, s15, (.LBB2_18688-.Lpost_getpc23679)>>32
	s_setpc_b64 s[14:15]
.LBB2_4350:
	s_or_b64 exec, exec, s[6:7]
	s_and_saveexec_b64 s[6:7], s[4:5]
	s_cbranch_execz .LBB2_4352
.LBB2_4351:
	v_bfe_u32 v3, v5, 24, 3
	v_ffbh_u32_e32 v8, v3
	v_min_u32_e32 v8, 32, v8
	v_lshrrev_b32_e32 v6, 27, v5
	v_subrev_u32_e32 v9, 28, v8
	v_and_b32_e32 v4, 0x80000000, v5
	v_and_b32_e32 v6, 15, v6
	v_bfe_u32 v7, v5, 27, 4
	v_lshlrev_b32_sdwa v5, v9, v5 dst_sel:DWORD dst_unused:UNUSED_PAD src0_sel:DWORD src1_sel:BYTE_3
	v_sub_u32_e32 v8, 29, v8
	v_and_b32_e32 v5, 7, v5
	v_cmp_eq_u16_e32 vcc, 0, v6
	v_cndmask_b32_e32 v3, v3, v5, vcc
	v_cndmask_b32_e32 v5, v7, v8, vcc
	v_mov_b32_e32 v6, 0x3b800000
	v_lshlrev_b32_e32 v3, 20, v3
	v_lshl_add_u32 v5, v5, 23, v6
	v_or3_b32 v3, v4, v5, v3
.LBB2_4352:
	s_or_b64 exec, exec, s[6:7]
	s_nop 0
	v_mfma_f32_16x16x4f32 a[0:3], v2, v3, a[0:3]
	s_movk_i32 s4, 0x7f
                                        ; implicit-def: $sgpr10
	s_nop 7
	s_nop 1
	flat_store_dwordx4 v[10:11], a[0:3] offset:528
	flat_load_dwordx4 v[12:15], v[0:1]
	s_nop 0
	flat_load_dwordx2 v[10:11], v[0:1] offset:16
	s_waitcnt vmcnt(0) lgkmcnt(0)
	flat_load_dwordx4 v[6:9], v[12:13] offset:64
	flat_load_dwordx4 v[2:5], v[14:15] offset:32
	s_waitcnt vmcnt(0) lgkmcnt(0)
	v_cmp_gt_i16_sdwa s[6:7], v6, s4 src0_sel:BYTE_0 src1_sel:DWORD
	s_mov_b64 s[4:5], 0
	s_and_saveexec_b64 s[8:9], s[6:7]
	s_xor_b64 s[6:7], exec, s[8:9]
	s_cbranch_execz .LBB2_4353
; %bb.40193:
	s_getpc_b64 s[14:15]
.Lpost_getpc23680:
	s_add_u32 s14, s14, (.LBB2_18689-.Lpost_getpc23680)&4294967295
	s_addc_u32 s15, s15, (.LBB2_18689-.Lpost_getpc23680)>>32
	s_setpc_b64 s[14:15]
.LBB2_4353:
	s_or_saveexec_b64 s[6:7], s[6:7]
	v_mov_b32_e32 v12, s10
	s_xor_b64 exec, exec, s[6:7]
	s_cbranch_execz .LBB2_4354
; %bb.40195:
	s_getpc_b64 s[14:15]
.Lpost_getpc23681:
	s_add_u32 s14, s14, (.LBB2_18692-.Lpost_getpc23681)&4294967295
	s_addc_u32 s15, s15, (.LBB2_18692-.Lpost_getpc23681)>>32
	s_setpc_b64 s[14:15]
.LBB2_4354:
	s_or_b64 exec, exec, s[6:7]
	s_and_saveexec_b64 s[6:7], s[4:5]
	s_cbranch_execz .LBB2_4356
.LBB2_4355:
	v_and_b32_e32 v12, 7, v6
	v_ffbh_u32_e32 v14, v12
	v_min_u32_e32 v14, 32, v14
	v_lshrrev_b16_e32 v13, 3, v6
	v_subrev_u32_e32 v15, 28, v14
	v_and_b32_e32 v13, 15, v13
	v_lshlrev_b32_e32 v15, v15, v6
	v_sub_u32_e32 v14, 29, v14
	v_and_b32_e32 v15, 7, v15
	v_cmp_eq_u16_e32 vcc, 0, v13
	v_cndmask_b32_e32 v12, v12, v15, vcc
	v_cndmask_b32_e32 v13, v13, v14, vcc
	v_lshlrev_b32_e32 v14, 24, v6
	v_mov_b32_e32 v15, 0x3b800000
	v_lshlrev_b32_e32 v12, 20, v12
	v_and_b32_e32 v14, 0x80000000, v14
	v_lshl_add_u32 v13, v13, 23, v15
	v_or3_b32 v12, v14, v13, v12
.LBB2_4356:
	s_or_b64 exec, exec, s[6:7]
	s_movk_i32 s4, 0x7f
	v_cmp_gt_i16_sdwa s[6:7], v2, s4 src0_sel:BYTE_0 src1_sel:DWORD
	s_mov_b64 s[4:5], 0
                                        ; implicit-def: $sgpr10
	s_and_saveexec_b64 s[8:9], s[6:7]
	s_xor_b64 s[6:7], exec, s[8:9]
	s_cbranch_execz .LBB2_4357
; %bb.40197:
	s_getpc_b64 s[14:15]
.Lpost_getpc23682:
	s_add_u32 s14, s14, (.LBB2_18693-.Lpost_getpc23682)&4294967295
	s_addc_u32 s15, s15, (.LBB2_18693-.Lpost_getpc23682)>>32
	s_setpc_b64 s[14:15]
.LBB2_4357:
	s_or_saveexec_b64 s[6:7], s[6:7]
	v_mov_b32_e32 v13, s10
	s_xor_b64 exec, exec, s[6:7]
	s_cbranch_execz .LBB2_4358
; %bb.40199:
	s_getpc_b64 s[14:15]
.Lpost_getpc23683:
	s_add_u32 s14, s14, (.LBB2_18696-.Lpost_getpc23683)&4294967295
	s_addc_u32 s15, s15, (.LBB2_18696-.Lpost_getpc23683)>>32
	s_setpc_b64 s[14:15]
.LBB2_4358:
	s_or_b64 exec, exec, s[6:7]
	s_and_saveexec_b64 s[6:7], s[4:5]
	s_cbranch_execz .LBB2_4360
.LBB2_4359:
	v_and_b32_e32 v13, 7, v2
	v_ffbh_u32_e32 v15, v13
	v_min_u32_e32 v15, 32, v15
	v_lshrrev_b16_e32 v14, 3, v2
	v_subrev_u32_e32 v16, 28, v15
	v_and_b32_e32 v14, 15, v14
	v_lshlrev_b32_e32 v16, v16, v2
	v_sub_u32_e32 v15, 29, v15
	v_and_b32_e32 v16, 7, v16
	v_cmp_eq_u16_e32 vcc, 0, v14
	v_cndmask_b32_e32 v13, v13, v16, vcc
	v_cndmask_b32_e32 v14, v14, v15, vcc
	v_lshlrev_b32_e32 v15, 24, v2
	v_mov_b32_e32 v16, 0x3b800000
	v_lshlrev_b32_e32 v13, 20, v13
	v_and_b32_e32 v15, 0x80000000, v15
	v_lshl_add_u32 v14, v14, 23, v16
	v_or3_b32 v13, v15, v14, v13
.LBB2_4360:
	s_or_b64 exec, exec, s[6:7]
	flat_load_dwordx4 a[0:3], v[10:11] offset:544
	s_movk_i32 s4, 0x7f
                                        ; implicit-def: $sgpr10
	s_waitcnt vmcnt(0) lgkmcnt(0)
	v_mfma_f32_16x16x4f32 a[0:3], v12, v13, a[0:3]
	v_lshrrev_b32_e32 v13, 8, v6
	v_cmp_gt_i16_sdwa s[6:7], v13, s4 src0_sel:BYTE_0 src1_sel:DWORD
	s_mov_b64 s[4:5], 0
	s_and_saveexec_b64 s[8:9], s[6:7]
	s_xor_b64 s[6:7], exec, s[8:9]
	s_cbranch_execz .LBB2_4361
; %bb.40201:
	s_getpc_b64 s[14:15]
.Lpost_getpc23684:
	s_add_u32 s14, s14, (.LBB2_18697-.Lpost_getpc23684)&4294967295
	s_addc_u32 s15, s15, (.LBB2_18697-.Lpost_getpc23684)>>32
	s_setpc_b64 s[14:15]
.LBB2_4361:
	s_or_saveexec_b64 s[6:7], s[6:7]
	v_mov_b32_e32 v12, s10
	s_xor_b64 exec, exec, s[6:7]
	s_cbranch_execz .LBB2_4362
; %bb.40203:
	s_getpc_b64 s[14:15]
.Lpost_getpc23685:
	s_add_u32 s14, s14, (.LBB2_18700-.Lpost_getpc23685)&4294967295
	s_addc_u32 s15, s15, (.LBB2_18700-.Lpost_getpc23685)>>32
	s_setpc_b64 s[14:15]
.LBB2_4362:
	s_or_b64 exec, exec, s[6:7]
	s_and_saveexec_b64 s[6:7], s[4:5]
	s_cbranch_execz .LBB2_4364
.LBB2_4363:
	v_bfe_u32 v12, v6, 8, 3
	v_ffbh_u32_e32 v15, v12
	v_min_u32_e32 v15, 32, v15
	v_lshrrev_b16_e32 v14, 3, v13
	v_subrev_u32_e32 v16, 28, v15
	v_and_b32_e32 v14, 15, v14
	v_lshlrev_b32_e32 v13, v16, v13
	v_sub_u32_e32 v15, 29, v15
	v_and_b32_e32 v13, 7, v13
	v_cmp_eq_u16_e32 vcc, 0, v14
	v_cndmask_b32_e32 v12, v12, v13, vcc
	v_cndmask_b32_e32 v13, v14, v15, vcc
	v_lshlrev_b32_e32 v14, 16, v6
	v_mov_b32_e32 v15, 0x3b800000
	v_lshlrev_b32_e32 v12, 20, v12
	v_and_b32_e32 v14, 0x80000000, v14
	v_lshl_add_u32 v13, v13, 23, v15
	v_or3_b32 v12, v14, v13, v12
.LBB2_4364:
	s_or_b64 exec, exec, s[6:7]
	v_lshrrev_b32_e32 v13, 8, v2
	s_movk_i32 s4, 0x7f
	v_cmp_gt_i16_sdwa s[6:7], v13, s4 src0_sel:BYTE_0 src1_sel:DWORD
	s_mov_b64 s[4:5], 0
                                        ; implicit-def: $sgpr10
	s_and_saveexec_b64 s[8:9], s[6:7]
	s_xor_b64 s[6:7], exec, s[8:9]
	s_cbranch_execz .LBB2_4365
; %bb.40205:
	s_getpc_b64 s[14:15]
.Lpost_getpc23686:
	s_add_u32 s14, s14, (.LBB2_18701-.Lpost_getpc23686)&4294967295
	s_addc_u32 s15, s15, (.LBB2_18701-.Lpost_getpc23686)>>32
	s_setpc_b64 s[14:15]
.LBB2_4365:
	s_or_saveexec_b64 s[6:7], s[6:7]
	v_mov_b32_e32 v14, s10
	s_xor_b64 exec, exec, s[6:7]
	s_cbranch_execz .LBB2_4366
; %bb.40207:
	s_getpc_b64 s[14:15]
.Lpost_getpc23687:
	s_add_u32 s14, s14, (.LBB2_18704-.Lpost_getpc23687)&4294967295
	s_addc_u32 s15, s15, (.LBB2_18704-.Lpost_getpc23687)>>32
	s_setpc_b64 s[14:15]
.LBB2_4366:
	s_or_b64 exec, exec, s[6:7]
	s_and_saveexec_b64 s[6:7], s[4:5]
	s_cbranch_execz .LBB2_4368
.LBB2_4367:
	v_bfe_u32 v14, v2, 8, 3
	v_ffbh_u32_e32 v16, v14
	v_min_u32_e32 v16, 32, v16
	v_lshrrev_b16_e32 v15, 3, v13
	v_subrev_u32_e32 v17, 28, v16
	v_and_b32_e32 v15, 15, v15
	v_lshlrev_b32_e32 v13, v17, v13
	v_sub_u32_e32 v16, 29, v16
	v_and_b32_e32 v13, 7, v13
	v_cmp_eq_u16_e32 vcc, 0, v15
	v_cndmask_b32_e32 v13, v14, v13, vcc
	v_cndmask_b32_e32 v14, v15, v16, vcc
	v_lshlrev_b32_e32 v15, 16, v2
	v_mov_b32_e32 v16, 0x3b800000
	v_lshlrev_b32_e32 v13, 20, v13
	v_and_b32_e32 v15, 0x80000000, v15
	v_lshl_add_u32 v14, v14, 23, v16
	v_or3_b32 v14, v15, v14, v13
.LBB2_4368:
	s_or_b64 exec, exec, s[6:7]
	s_nop 0
	v_mfma_f32_16x16x4f32 a[0:3], v12, v14, a[0:3]
	s_movk_i32 s4, 0xff
	v_and_b32_sdwa v13, v6, s4 dst_sel:DWORD dst_unused:UNUSED_PAD src0_sel:WORD_1 src1_sel:DWORD
	s_movk_i32 s4, 0x7f
	v_cmp_lt_i16_e32 vcc, s4, v13
	s_mov_b64 s[4:5], 0
                                        ; implicit-def: $sgpr10
	s_and_saveexec_b64 s[6:7], vcc
	s_xor_b64 s[6:7], exec, s[6:7]
	s_cbranch_execz .LBB2_4369
; %bb.40209:
	s_getpc_b64 s[14:15]
.Lpost_getpc23688:
	s_add_u32 s14, s14, (.LBB2_18705-.Lpost_getpc23688)&4294967295
	s_addc_u32 s15, s15, (.LBB2_18705-.Lpost_getpc23688)>>32
	s_setpc_b64 s[14:15]
.LBB2_4369:
	s_or_saveexec_b64 s[6:7], s[6:7]
	v_mov_b32_e32 v12, s10
	s_xor_b64 exec, exec, s[6:7]
	s_cbranch_execz .LBB2_4370
; %bb.40211:
	s_getpc_b64 s[14:15]
.Lpost_getpc23689:
	s_add_u32 s14, s14, (.LBB2_18708-.Lpost_getpc23689)&4294967295
	s_addc_u32 s15, s15, (.LBB2_18708-.Lpost_getpc23689)>>32
	s_setpc_b64 s[14:15]
.LBB2_4370:
	s_or_b64 exec, exec, s[6:7]
	s_and_saveexec_b64 s[6:7], s[4:5]
	s_cbranch_execz .LBB2_4372
.LBB2_4371:
	v_bfe_u32 v12, v6, 16, 3
	v_ffbh_u32_e32 v15, v12
	v_min_u32_e32 v15, 32, v15
	v_lshrrev_b32_e32 v13, 19, v6
	v_subrev_u32_e32 v16, 28, v15
	v_and_b32_e32 v13, 15, v13
	v_lshlrev_b32_sdwa v16, v16, v6 dst_sel:DWORD dst_unused:UNUSED_PAD src0_sel:DWORD src1_sel:WORD_1
	v_bfe_u32 v14, v6, 19, 4
	v_sub_u32_e32 v15, 29, v15
	v_and_b32_e32 v16, 7, v16
	v_cmp_eq_u16_e32 vcc, 0, v13
	v_cndmask_b32_e32 v12, v12, v16, vcc
	v_cndmask_b32_e32 v13, v14, v15, vcc
	v_lshlrev_b32_e32 v14, 8, v6
	v_mov_b32_e32 v15, 0x3b800000
	v_lshlrev_b32_e32 v12, 20, v12
	v_and_b32_e32 v14, 0x80000000, v14
	v_lshl_add_u32 v13, v13, 23, v15
	v_or3_b32 v12, v14, v13, v12
.LBB2_4372:
	s_or_b64 exec, exec, s[6:7]
	s_movk_i32 s4, 0xff
	v_and_b32_sdwa v13, v2, s4 dst_sel:DWORD dst_unused:UNUSED_PAD src0_sel:WORD_1 src1_sel:DWORD
	s_movk_i32 s4, 0x7f
	v_cmp_lt_i16_e32 vcc, s4, v13
	s_mov_b64 s[4:5], 0
                                        ; implicit-def: $sgpr10
	s_and_saveexec_b64 s[6:7], vcc
	s_xor_b64 s[6:7], exec, s[6:7]
	s_cbranch_execz .LBB2_4373
; %bb.40213:
	s_getpc_b64 s[14:15]
.Lpost_getpc23690:
	s_add_u32 s14, s14, (.LBB2_18709-.Lpost_getpc23690)&4294967295
	s_addc_u32 s15, s15, (.LBB2_18709-.Lpost_getpc23690)>>32
	s_setpc_b64 s[14:15]
.LBB2_4373:
	s_or_saveexec_b64 s[6:7], s[6:7]
	v_mov_b32_e32 v14, s10
	s_xor_b64 exec, exec, s[6:7]
	s_cbranch_execz .LBB2_4374
; %bb.40215:
	s_getpc_b64 s[14:15]
.Lpost_getpc23691:
	s_add_u32 s14, s14, (.LBB2_18712-.Lpost_getpc23691)&4294967295
	s_addc_u32 s15, s15, (.LBB2_18712-.Lpost_getpc23691)>>32
	s_setpc_b64 s[14:15]
.LBB2_4374:
	s_or_b64 exec, exec, s[6:7]
	s_and_saveexec_b64 s[6:7], s[4:5]
	s_cbranch_execz .LBB2_4376
.LBB2_4375:
	v_bfe_u32 v13, v2, 16, 3
	v_ffbh_u32_e32 v16, v13
	v_min_u32_e32 v16, 32, v16
	v_lshrrev_b32_e32 v14, 19, v2
	v_subrev_u32_e32 v17, 28, v16
	v_and_b32_e32 v14, 15, v14
	v_lshlrev_b32_sdwa v17, v17, v2 dst_sel:DWORD dst_unused:UNUSED_PAD src0_sel:DWORD src1_sel:WORD_1
	v_bfe_u32 v15, v2, 19, 4
	v_sub_u32_e32 v16, 29, v16
	v_and_b32_e32 v17, 7, v17
	v_cmp_eq_u16_e32 vcc, 0, v14
	v_cndmask_b32_e32 v13, v13, v17, vcc
	v_cndmask_b32_e32 v14, v15, v16, vcc
	v_lshlrev_b32_e32 v15, 8, v2
	v_mov_b32_e32 v16, 0x3b800000
	v_lshlrev_b32_e32 v13, 20, v13
	v_and_b32_e32 v15, 0x80000000, v15
	v_lshl_add_u32 v14, v14, 23, v16
	v_or3_b32 v14, v15, v14, v13
.LBB2_4376:
	s_or_b64 exec, exec, s[6:7]
	s_nop 0
	v_mfma_f32_16x16x4f32 a[0:3], v12, v14, a[0:3]
	s_movk_i32 s4, 0x7f
	v_cmp_gt_i16_sdwa s[6:7], v6, s4 src0_sel:BYTE_3 src1_sel:DWORD
	s_mov_b64 s[4:5], 0
                                        ; implicit-def: $sgpr10
	s_and_saveexec_b64 s[8:9], s[6:7]
	s_xor_b64 s[6:7], exec, s[8:9]
	s_cbranch_execz .LBB2_4377
; %bb.40217:
	s_getpc_b64 s[14:15]
.Lpost_getpc23692:
	s_add_u32 s14, s14, (.LBB2_18713-.Lpost_getpc23692)&4294967295
	s_addc_u32 s15, s15, (.LBB2_18713-.Lpost_getpc23692)>>32
	s_setpc_b64 s[14:15]
.LBB2_4377:
	s_or_saveexec_b64 s[6:7], s[6:7]
	v_mov_b32_e32 v12, s10
	s_xor_b64 exec, exec, s[6:7]
	s_cbranch_execz .LBB2_4378
; %bb.40219:
	s_getpc_b64 s[14:15]
.Lpost_getpc23693:
	s_add_u32 s14, s14, (.LBB2_18716-.Lpost_getpc23693)&4294967295
	s_addc_u32 s15, s15, (.LBB2_18716-.Lpost_getpc23693)>>32
	s_setpc_b64 s[14:15]
.LBB2_4378:
	s_or_b64 exec, exec, s[6:7]
	s_and_saveexec_b64 s[6:7], s[4:5]
	s_cbranch_execz .LBB2_4380
.LBB2_4379:
	v_bfe_u32 v12, v6, 24, 3
	v_ffbh_u32_e32 v16, v12
	v_min_u32_e32 v16, 32, v16
	v_lshrrev_b32_e32 v14, 27, v6
	v_subrev_u32_e32 v17, 28, v16
	v_and_b32_e32 v13, 0x80000000, v6
	v_and_b32_e32 v14, 15, v14
	v_bfe_u32 v15, v6, 27, 4
	v_lshlrev_b32_sdwa v6, v17, v6 dst_sel:DWORD dst_unused:UNUSED_PAD src0_sel:DWORD src1_sel:BYTE_3
	v_sub_u32_e32 v16, 29, v16
	v_and_b32_e32 v6, 7, v6
	v_cmp_eq_u16_e32 vcc, 0, v14
	v_cndmask_b32_e32 v6, v12, v6, vcc
	v_cndmask_b32_e32 v12, v15, v16, vcc
	v_mov_b32_e32 v14, 0x3b800000
	v_lshlrev_b32_e32 v6, 20, v6
	v_lshl_add_u32 v12, v12, 23, v14
	v_or3_b32 v12, v13, v12, v6
.LBB2_4380:
	s_or_b64 exec, exec, s[6:7]
	s_movk_i32 s4, 0x7f
	v_cmp_gt_i16_sdwa s[6:7], v2, s4 src0_sel:BYTE_3 src1_sel:DWORD
	s_mov_b64 s[4:5], 0
                                        ; implicit-def: $sgpr10
	s_and_saveexec_b64 s[8:9], s[6:7]
	s_xor_b64 s[6:7], exec, s[8:9]
	s_cbranch_execz .LBB2_4381
; %bb.40221:
	s_getpc_b64 s[14:15]
.Lpost_getpc23694:
	s_add_u32 s14, s14, (.LBB2_18717-.Lpost_getpc23694)&4294967295
	s_addc_u32 s15, s15, (.LBB2_18717-.Lpost_getpc23694)>>32
	s_setpc_b64 s[14:15]
.LBB2_4381:
	s_or_saveexec_b64 s[6:7], s[6:7]
	v_mov_b32_e32 v6, s10
	s_xor_b64 exec, exec, s[6:7]
	s_cbranch_execz .LBB2_4382
; %bb.40223:
	s_getpc_b64 s[14:15]
.Lpost_getpc23695:
	s_add_u32 s14, s14, (.LBB2_18720-.Lpost_getpc23695)&4294967295
	s_addc_u32 s15, s15, (.LBB2_18720-.Lpost_getpc23695)>>32
	s_setpc_b64 s[14:15]
.LBB2_4382:
	s_or_b64 exec, exec, s[6:7]
	s_and_saveexec_b64 s[6:7], s[4:5]
	s_cbranch_execz .LBB2_4384
.LBB2_4383:
	v_bfe_u32 v6, v2, 24, 3
	v_ffbh_u32_e32 v16, v6
	v_min_u32_e32 v16, 32, v16
	v_lshrrev_b32_e32 v14, 27, v2
	v_subrev_u32_e32 v17, 28, v16
	v_and_b32_e32 v13, 0x80000000, v2
	v_and_b32_e32 v14, 15, v14
	v_bfe_u32 v15, v2, 27, 4
	v_lshlrev_b32_sdwa v2, v17, v2 dst_sel:DWORD dst_unused:UNUSED_PAD src0_sel:DWORD src1_sel:BYTE_3
	v_sub_u32_e32 v16, 29, v16
	v_and_b32_e32 v2, 7, v2
	v_cmp_eq_u16_e32 vcc, 0, v14
	v_cndmask_b32_e32 v2, v6, v2, vcc
	v_cndmask_b32_e32 v6, v15, v16, vcc
	v_mov_b32_e32 v14, 0x3b800000
	v_lshlrev_b32_e32 v2, 20, v2
	v_lshl_add_u32 v6, v6, 23, v14
	v_or3_b32 v6, v13, v6, v2
.LBB2_4384:
	s_or_b64 exec, exec, s[6:7]
	s_nop 0
	v_mfma_f32_16x16x4f32 a[0:3], v12, v6, a[0:3]
	s_movk_i32 s4, 0x7f
	v_cmp_gt_i16_sdwa s[6:7], v7, s4 src0_sel:BYTE_0 src1_sel:DWORD
	s_mov_b64 s[4:5], 0
                                        ; implicit-def: $sgpr10
	s_and_saveexec_b64 s[8:9], s[6:7]
	s_xor_b64 s[6:7], exec, s[8:9]
	s_cbranch_execz .LBB2_4385
; %bb.40225:
	s_getpc_b64 s[14:15]
.Lpost_getpc23696:
	s_add_u32 s14, s14, (.LBB2_18721-.Lpost_getpc23696)&4294967295
	s_addc_u32 s15, s15, (.LBB2_18721-.Lpost_getpc23696)>>32
	s_setpc_b64 s[14:15]
.LBB2_4385:
	s_or_saveexec_b64 s[6:7], s[6:7]
	v_mov_b32_e32 v2, s10
	s_xor_b64 exec, exec, s[6:7]
	s_cbranch_execz .LBB2_4386
; %bb.40227:
	s_getpc_b64 s[14:15]
.Lpost_getpc23697:
	s_add_u32 s14, s14, (.LBB2_18724-.Lpost_getpc23697)&4294967295
	s_addc_u32 s15, s15, (.LBB2_18724-.Lpost_getpc23697)>>32
	s_setpc_b64 s[14:15]
.LBB2_4386:
	s_or_b64 exec, exec, s[6:7]
	s_and_saveexec_b64 s[6:7], s[4:5]
	s_cbranch_execz .LBB2_4388
.LBB2_4387:
	v_and_b32_e32 v2, 7, v7
	v_ffbh_u32_e32 v12, v2
	v_min_u32_e32 v12, 32, v12
	v_lshrrev_b16_e32 v6, 3, v7
	v_subrev_u32_e32 v13, 28, v12
	v_and_b32_e32 v6, 15, v6
	v_lshlrev_b32_e32 v13, v13, v7
	v_sub_u32_e32 v12, 29, v12
	v_and_b32_e32 v13, 7, v13
	v_cmp_eq_u16_e32 vcc, 0, v6
	v_cndmask_b32_e32 v2, v2, v13, vcc
	v_cndmask_b32_e32 v6, v6, v12, vcc
	v_lshlrev_b32_e32 v12, 24, v7
	v_mov_b32_e32 v13, 0x3b800000
	v_lshlrev_b32_e32 v2, 20, v2
	v_and_b32_e32 v12, 0x80000000, v12
	v_lshl_add_u32 v6, v6, 23, v13
	v_or3_b32 v2, v12, v6, v2
.LBB2_4388:
	s_or_b64 exec, exec, s[6:7]
	s_movk_i32 s4, 0x7f
	v_cmp_gt_i16_sdwa s[6:7], v3, s4 src0_sel:BYTE_0 src1_sel:DWORD
	s_mov_b64 s[4:5], 0
                                        ; implicit-def: $sgpr10
	s_and_saveexec_b64 s[8:9], s[6:7]
	s_xor_b64 s[6:7], exec, s[8:9]
	s_cbranch_execz .LBB2_4389
; %bb.40229:
	s_getpc_b64 s[14:15]
.Lpost_getpc23698:
	s_add_u32 s14, s14, (.LBB2_18725-.Lpost_getpc23698)&4294967295
	s_addc_u32 s15, s15, (.LBB2_18725-.Lpost_getpc23698)>>32
	s_setpc_b64 s[14:15]
.LBB2_4389:
	s_or_saveexec_b64 s[6:7], s[6:7]
	v_mov_b32_e32 v6, s10
	s_xor_b64 exec, exec, s[6:7]
	s_cbranch_execz .LBB2_4390
; %bb.40231:
	s_getpc_b64 s[14:15]
.Lpost_getpc23699:
	s_add_u32 s14, s14, (.LBB2_18728-.Lpost_getpc23699)&4294967295
	s_addc_u32 s15, s15, (.LBB2_18728-.Lpost_getpc23699)>>32
	s_setpc_b64 s[14:15]
.LBB2_4390:
	s_or_b64 exec, exec, s[6:7]
	s_and_saveexec_b64 s[6:7], s[4:5]
	s_cbranch_execz .LBB2_4392
.LBB2_4391:
	v_and_b32_e32 v6, 7, v3
	v_ffbh_u32_e32 v13, v6
	v_min_u32_e32 v13, 32, v13
	v_lshrrev_b16_e32 v12, 3, v3
	v_subrev_u32_e32 v14, 28, v13
	v_and_b32_e32 v12, 15, v12
	v_lshlrev_b32_e32 v14, v14, v3
	v_sub_u32_e32 v13, 29, v13
	v_and_b32_e32 v14, 7, v14
	v_cmp_eq_u16_e32 vcc, 0, v12
	v_cndmask_b32_e32 v6, v6, v14, vcc
	v_cndmask_b32_e32 v12, v12, v13, vcc
	v_lshlrev_b32_e32 v13, 24, v3
	v_mov_b32_e32 v14, 0x3b800000
	v_lshlrev_b32_e32 v6, 20, v6
	v_and_b32_e32 v13, 0x80000000, v13
	v_lshl_add_u32 v12, v12, 23, v14
	v_or3_b32 v6, v13, v12, v6
.LBB2_4392:
	s_or_b64 exec, exec, s[6:7]
	s_nop 0
	v_mfma_f32_16x16x4f32 a[0:3], v2, v6, a[0:3]
	v_lshrrev_b32_e32 v6, 8, v7
	s_movk_i32 s4, 0x7f
	v_cmp_gt_i16_sdwa s[6:7], v6, s4 src0_sel:BYTE_0 src1_sel:DWORD
	s_mov_b64 s[4:5], 0
                                        ; implicit-def: $sgpr10
	s_and_saveexec_b64 s[8:9], s[6:7]
	s_xor_b64 s[6:7], exec, s[8:9]
	s_cbranch_execz .LBB2_4393
; %bb.40233:
	s_getpc_b64 s[14:15]
.Lpost_getpc23700:
	s_add_u32 s14, s14, (.LBB2_18729-.Lpost_getpc23700)&4294967295
	s_addc_u32 s15, s15, (.LBB2_18729-.Lpost_getpc23700)>>32
	s_setpc_b64 s[14:15]
.LBB2_4393:
	s_or_saveexec_b64 s[6:7], s[6:7]
	v_mov_b32_e32 v2, s10
	s_xor_b64 exec, exec, s[6:7]
	s_cbranch_execz .LBB2_4394
; %bb.40235:
	s_getpc_b64 s[14:15]
.Lpost_getpc23701:
	s_add_u32 s14, s14, (.LBB2_18732-.Lpost_getpc23701)&4294967295
	s_addc_u32 s15, s15, (.LBB2_18732-.Lpost_getpc23701)>>32
	s_setpc_b64 s[14:15]
.LBB2_4394:
	s_or_b64 exec, exec, s[6:7]
	s_and_saveexec_b64 s[6:7], s[4:5]
	s_cbranch_execz .LBB2_4396
.LBB2_4395:
	v_bfe_u32 v2, v7, 8, 3
	v_ffbh_u32_e32 v13, v2
	v_min_u32_e32 v13, 32, v13
	v_lshrrev_b16_e32 v12, 3, v6
	v_subrev_u32_e32 v14, 28, v13
	v_and_b32_e32 v12, 15, v12
	v_lshlrev_b32_e32 v6, v14, v6
	v_sub_u32_e32 v13, 29, v13
	v_and_b32_e32 v6, 7, v6
	v_cmp_eq_u16_e32 vcc, 0, v12
	v_cndmask_b32_e32 v2, v2, v6, vcc
	v_cndmask_b32_e32 v6, v12, v13, vcc
	v_lshlrev_b32_e32 v12, 16, v7
	v_mov_b32_e32 v13, 0x3b800000
	v_lshlrev_b32_e32 v2, 20, v2
	v_and_b32_e32 v12, 0x80000000, v12
	v_lshl_add_u32 v6, v6, 23, v13
	v_or3_b32 v2, v12, v6, v2
.LBB2_4396:
	s_or_b64 exec, exec, s[6:7]
	v_lshrrev_b32_e32 v6, 8, v3
	s_movk_i32 s4, 0x7f
	v_cmp_gt_i16_sdwa s[6:7], v6, s4 src0_sel:BYTE_0 src1_sel:DWORD
	s_mov_b64 s[4:5], 0
                                        ; implicit-def: $sgpr10
	s_and_saveexec_b64 s[8:9], s[6:7]
	s_xor_b64 s[6:7], exec, s[8:9]
	s_cbranch_execz .LBB2_4397
; %bb.40237:
	s_getpc_b64 s[14:15]
.Lpost_getpc23702:
	s_add_u32 s14, s14, (.LBB2_18733-.Lpost_getpc23702)&4294967295
	s_addc_u32 s15, s15, (.LBB2_18733-.Lpost_getpc23702)>>32
	s_setpc_b64 s[14:15]
.LBB2_4397:
	s_or_saveexec_b64 s[6:7], s[6:7]
	v_mov_b32_e32 v12, s10
	s_xor_b64 exec, exec, s[6:7]
	s_cbranch_execz .LBB2_4398
; %bb.40239:
	s_getpc_b64 s[14:15]
.Lpost_getpc23703:
	s_add_u32 s14, s14, (.LBB2_18736-.Lpost_getpc23703)&4294967295
	s_addc_u32 s15, s15, (.LBB2_18736-.Lpost_getpc23703)>>32
	s_setpc_b64 s[14:15]
.LBB2_4398:
	s_or_b64 exec, exec, s[6:7]
	s_and_saveexec_b64 s[6:7], s[4:5]
	s_cbranch_execz .LBB2_4400
.LBB2_4399:
	v_bfe_u32 v12, v3, 8, 3
	v_ffbh_u32_e32 v14, v12
	v_min_u32_e32 v14, 32, v14
	v_lshrrev_b16_e32 v13, 3, v6
	v_subrev_u32_e32 v15, 28, v14
	v_and_b32_e32 v13, 15, v13
	v_lshlrev_b32_e32 v6, v15, v6
	v_sub_u32_e32 v14, 29, v14
	v_and_b32_e32 v6, 7, v6
	v_cmp_eq_u16_e32 vcc, 0, v13
	v_cndmask_b32_e32 v6, v12, v6, vcc
	v_cndmask_b32_e32 v12, v13, v14, vcc
	v_lshlrev_b32_e32 v13, 16, v3
	v_mov_b32_e32 v14, 0x3b800000
	v_lshlrev_b32_e32 v6, 20, v6
	v_and_b32_e32 v13, 0x80000000, v13
	v_lshl_add_u32 v12, v12, 23, v14
	v_or3_b32 v12, v13, v12, v6
.LBB2_4400:
	s_or_b64 exec, exec, s[6:7]
	s_nop 0
	v_mfma_f32_16x16x4f32 a[0:3], v2, v12, a[0:3]
	s_movk_i32 s4, 0xff
	v_and_b32_sdwa v6, v7, s4 dst_sel:DWORD dst_unused:UNUSED_PAD src0_sel:WORD_1 src1_sel:DWORD
	s_movk_i32 s4, 0x7f
	v_cmp_lt_i16_e32 vcc, s4, v6
	s_mov_b64 s[4:5], 0
                                        ; implicit-def: $sgpr10
	s_and_saveexec_b64 s[6:7], vcc
	s_xor_b64 s[6:7], exec, s[6:7]
	s_cbranch_execz .LBB2_4401
; %bb.40241:
	s_getpc_b64 s[14:15]
.Lpost_getpc23704:
	s_add_u32 s14, s14, (.LBB2_18737-.Lpost_getpc23704)&4294967295
	s_addc_u32 s15, s15, (.LBB2_18737-.Lpost_getpc23704)>>32
	s_setpc_b64 s[14:15]
.LBB2_4401:
	s_or_saveexec_b64 s[6:7], s[6:7]
	v_mov_b32_e32 v2, s10
	s_xor_b64 exec, exec, s[6:7]
	s_cbranch_execz .LBB2_4402
; %bb.40243:
	s_getpc_b64 s[14:15]
.Lpost_getpc23705:
	s_add_u32 s14, s14, (.LBB2_18740-.Lpost_getpc23705)&4294967295
	s_addc_u32 s15, s15, (.LBB2_18740-.Lpost_getpc23705)>>32
	s_setpc_b64 s[14:15]
.LBB2_4402:
	s_or_b64 exec, exec, s[6:7]
	s_and_saveexec_b64 s[6:7], s[4:5]
	s_cbranch_execz .LBB2_4404
.LBB2_4403:
	v_bfe_u32 v2, v7, 16, 3
	v_ffbh_u32_e32 v13, v2
	v_min_u32_e32 v13, 32, v13
	v_lshrrev_b32_e32 v6, 19, v7
	v_subrev_u32_e32 v14, 28, v13
	v_and_b32_e32 v6, 15, v6
	v_lshlrev_b32_sdwa v14, v14, v7 dst_sel:DWORD dst_unused:UNUSED_PAD src0_sel:DWORD src1_sel:WORD_1
	v_bfe_u32 v12, v7, 19, 4
	v_sub_u32_e32 v13, 29, v13
	v_and_b32_e32 v14, 7, v14
	v_cmp_eq_u16_e32 vcc, 0, v6
	v_cndmask_b32_e32 v2, v2, v14, vcc
	v_cndmask_b32_e32 v6, v12, v13, vcc
	v_lshlrev_b32_e32 v12, 8, v7
	v_mov_b32_e32 v13, 0x3b800000
	v_lshlrev_b32_e32 v2, 20, v2
	v_and_b32_e32 v12, 0x80000000, v12
	v_lshl_add_u32 v6, v6, 23, v13
	v_or3_b32 v2, v12, v6, v2
.LBB2_4404:
	s_or_b64 exec, exec, s[6:7]
	s_movk_i32 s4, 0xff
	v_and_b32_sdwa v6, v3, s4 dst_sel:DWORD dst_unused:UNUSED_PAD src0_sel:WORD_1 src1_sel:DWORD
	s_movk_i32 s4, 0x7f
	v_cmp_lt_i16_e32 vcc, s4, v6
	s_mov_b64 s[4:5], 0
                                        ; implicit-def: $sgpr10
	s_and_saveexec_b64 s[6:7], vcc
	s_xor_b64 s[6:7], exec, s[6:7]
	s_cbranch_execz .LBB2_4405
; %bb.40245:
	s_getpc_b64 s[14:15]
.Lpost_getpc23706:
	s_add_u32 s14, s14, (.LBB2_18741-.Lpost_getpc23706)&4294967295
	s_addc_u32 s15, s15, (.LBB2_18741-.Lpost_getpc23706)>>32
	s_setpc_b64 s[14:15]
.LBB2_4405:
	s_or_saveexec_b64 s[6:7], s[6:7]
	v_mov_b32_e32 v12, s10
	s_xor_b64 exec, exec, s[6:7]
	s_cbranch_execz .LBB2_4406
; %bb.40247:
	s_getpc_b64 s[14:15]
.Lpost_getpc23707:
	s_add_u32 s14, s14, (.LBB2_18744-.Lpost_getpc23707)&4294967295
	s_addc_u32 s15, s15, (.LBB2_18744-.Lpost_getpc23707)>>32
	s_setpc_b64 s[14:15]
.LBB2_4406:
	s_or_b64 exec, exec, s[6:7]
	s_and_saveexec_b64 s[6:7], s[4:5]
	s_cbranch_execz .LBB2_4408
.LBB2_4407:
	v_bfe_u32 v6, v3, 16, 3
	v_ffbh_u32_e32 v14, v6
	v_min_u32_e32 v14, 32, v14
	v_lshrrev_b32_e32 v12, 19, v3
	v_subrev_u32_e32 v15, 28, v14
	v_and_b32_e32 v12, 15, v12
	v_lshlrev_b32_sdwa v15, v15, v3 dst_sel:DWORD dst_unused:UNUSED_PAD src0_sel:DWORD src1_sel:WORD_1
	v_bfe_u32 v13, v3, 19, 4
	v_sub_u32_e32 v14, 29, v14
	v_and_b32_e32 v15, 7, v15
	v_cmp_eq_u16_e32 vcc, 0, v12
	v_cndmask_b32_e32 v6, v6, v15, vcc
	v_cndmask_b32_e32 v12, v13, v14, vcc
	v_lshlrev_b32_e32 v13, 8, v3
	v_mov_b32_e32 v14, 0x3b800000
	v_lshlrev_b32_e32 v6, 20, v6
	v_and_b32_e32 v13, 0x80000000, v13
	v_lshl_add_u32 v12, v12, 23, v14
	v_or3_b32 v12, v13, v12, v6
.LBB2_4408:
	s_or_b64 exec, exec, s[6:7]
	s_nop 0
	v_mfma_f32_16x16x4f32 a[0:3], v2, v12, a[0:3]
	s_movk_i32 s4, 0x7f
	v_cmp_gt_i16_sdwa s[6:7], v7, s4 src0_sel:BYTE_3 src1_sel:DWORD
	s_mov_b64 s[4:5], 0
                                        ; implicit-def: $sgpr10
	s_and_saveexec_b64 s[8:9], s[6:7]
	s_xor_b64 s[6:7], exec, s[8:9]
	s_cbranch_execz .LBB2_4409
; %bb.40249:
	s_getpc_b64 s[14:15]
.Lpost_getpc23708:
	s_add_u32 s14, s14, (.LBB2_18745-.Lpost_getpc23708)&4294967295
	s_addc_u32 s15, s15, (.LBB2_18745-.Lpost_getpc23708)>>32
	s_setpc_b64 s[14:15]
.LBB2_4409:
	s_or_saveexec_b64 s[6:7], s[6:7]
	v_mov_b32_e32 v2, s10
	s_xor_b64 exec, exec, s[6:7]
	s_cbranch_execz .LBB2_4410
; %bb.40251:
	s_getpc_b64 s[14:15]
.Lpost_getpc23709:
	s_add_u32 s14, s14, (.LBB2_18748-.Lpost_getpc23709)&4294967295
	s_addc_u32 s15, s15, (.LBB2_18748-.Lpost_getpc23709)>>32
	s_setpc_b64 s[14:15]
.LBB2_4410:
	s_or_b64 exec, exec, s[6:7]
	s_and_saveexec_b64 s[6:7], s[4:5]
	s_cbranch_execz .LBB2_4412
.LBB2_4411:
	v_bfe_u32 v2, v7, 24, 3
	v_ffbh_u32_e32 v14, v2
	v_min_u32_e32 v14, 32, v14
	v_lshrrev_b32_e32 v12, 27, v7
	v_subrev_u32_e32 v15, 28, v14
	v_and_b32_e32 v6, 0x80000000, v7
	v_and_b32_e32 v12, 15, v12
	v_bfe_u32 v13, v7, 27, 4
	v_lshlrev_b32_sdwa v7, v15, v7 dst_sel:DWORD dst_unused:UNUSED_PAD src0_sel:DWORD src1_sel:BYTE_3
	v_sub_u32_e32 v14, 29, v14
	v_and_b32_e32 v7, 7, v7
	v_cmp_eq_u16_e32 vcc, 0, v12
	v_cndmask_b32_e32 v2, v2, v7, vcc
	v_cndmask_b32_e32 v7, v13, v14, vcc
	v_mov_b32_e32 v12, 0x3b800000
	v_lshlrev_b32_e32 v2, 20, v2
	v_lshl_add_u32 v7, v7, 23, v12
	v_or3_b32 v2, v6, v7, v2
.LBB2_4412:
	s_or_b64 exec, exec, s[6:7]
	s_movk_i32 s4, 0x7f
	v_cmp_gt_i16_sdwa s[6:7], v3, s4 src0_sel:BYTE_3 src1_sel:DWORD
	s_mov_b64 s[4:5], 0
                                        ; implicit-def: $sgpr10
	s_and_saveexec_b64 s[8:9], s[6:7]
	s_xor_b64 s[6:7], exec, s[8:9]
	s_cbranch_execz .LBB2_4413
; %bb.40253:
	s_getpc_b64 s[14:15]
.Lpost_getpc23710:
	s_add_u32 s14, s14, (.LBB2_18749-.Lpost_getpc23710)&4294967295
	s_addc_u32 s15, s15, (.LBB2_18749-.Lpost_getpc23710)>>32
	s_setpc_b64 s[14:15]
.LBB2_4413:
	s_or_saveexec_b64 s[6:7], s[6:7]
	v_mov_b32_e32 v6, s10
	s_xor_b64 exec, exec, s[6:7]
	s_cbranch_execz .LBB2_4414
; %bb.40255:
	s_getpc_b64 s[14:15]
.Lpost_getpc23711:
	s_add_u32 s14, s14, (.LBB2_18752-.Lpost_getpc23711)&4294967295
	s_addc_u32 s15, s15, (.LBB2_18752-.Lpost_getpc23711)>>32
	s_setpc_b64 s[14:15]
.LBB2_4414:
	s_or_b64 exec, exec, s[6:7]
	s_and_saveexec_b64 s[6:7], s[4:5]
	s_cbranch_execz .LBB2_4416
.LBB2_4415:
	v_bfe_u32 v6, v3, 24, 3
	v_ffbh_u32_e32 v14, v6
	v_min_u32_e32 v14, 32, v14
	v_lshrrev_b32_e32 v12, 27, v3
	v_subrev_u32_e32 v15, 28, v14
	v_and_b32_e32 v7, 0x80000000, v3
	v_and_b32_e32 v12, 15, v12
	v_bfe_u32 v13, v3, 27, 4
	v_lshlrev_b32_sdwa v3, v15, v3 dst_sel:DWORD dst_unused:UNUSED_PAD src0_sel:DWORD src1_sel:BYTE_3
	v_sub_u32_e32 v14, 29, v14
	v_and_b32_e32 v3, 7, v3
	v_cmp_eq_u16_e32 vcc, 0, v12
	v_cndmask_b32_e32 v3, v6, v3, vcc
	v_cndmask_b32_e32 v6, v13, v14, vcc
	v_mov_b32_e32 v12, 0x3b800000
	v_lshlrev_b32_e32 v3, 20, v3
	v_lshl_add_u32 v6, v6, 23, v12
	v_or3_b32 v6, v7, v6, v3
.LBB2_4416:
	s_or_b64 exec, exec, s[6:7]
	s_nop 0
	v_mfma_f32_16x16x4f32 a[0:3], v2, v6, a[0:3]
	s_movk_i32 s4, 0x7f
	v_cmp_gt_i16_sdwa s[6:7], v8, s4 src0_sel:BYTE_0 src1_sel:DWORD
	s_mov_b64 s[4:5], 0
                                        ; implicit-def: $sgpr10
	s_and_saveexec_b64 s[8:9], s[6:7]
	s_xor_b64 s[6:7], exec, s[8:9]
	s_cbranch_execz .LBB2_4417
; %bb.40257:
	s_getpc_b64 s[14:15]
.Lpost_getpc23712:
	s_add_u32 s14, s14, (.LBB2_18753-.Lpost_getpc23712)&4294967295
	s_addc_u32 s15, s15, (.LBB2_18753-.Lpost_getpc23712)>>32
	s_setpc_b64 s[14:15]
.LBB2_4417:
	s_or_saveexec_b64 s[6:7], s[6:7]
	v_mov_b32_e32 v2, s10
	s_xor_b64 exec, exec, s[6:7]
	s_cbranch_execz .LBB2_4418
; %bb.40259:
	s_getpc_b64 s[14:15]
.Lpost_getpc23713:
	s_add_u32 s14, s14, (.LBB2_18756-.Lpost_getpc23713)&4294967295
	s_addc_u32 s15, s15, (.LBB2_18756-.Lpost_getpc23713)>>32
	s_setpc_b64 s[14:15]
.LBB2_4418:
	s_or_b64 exec, exec, s[6:7]
	s_and_saveexec_b64 s[6:7], s[4:5]
	s_cbranch_execz .LBB2_4420
.LBB2_4419:
	v_and_b32_e32 v2, 7, v8
	v_ffbh_u32_e32 v6, v2
	v_min_u32_e32 v6, 32, v6
	v_lshrrev_b16_e32 v3, 3, v8
	v_subrev_u32_e32 v7, 28, v6
	v_and_b32_e32 v3, 15, v3
	v_lshlrev_b32_e32 v7, v7, v8
	v_sub_u32_e32 v6, 29, v6
	v_and_b32_e32 v7, 7, v7
	v_cmp_eq_u16_e32 vcc, 0, v3
	v_cndmask_b32_e32 v2, v2, v7, vcc
	v_cndmask_b32_e32 v3, v3, v6, vcc
	v_lshlrev_b32_e32 v6, 24, v8
	v_mov_b32_e32 v7, 0x3b800000
	v_lshlrev_b32_e32 v2, 20, v2
	v_and_b32_e32 v6, 0x80000000, v6
	v_lshl_add_u32 v3, v3, 23, v7
	v_or3_b32 v2, v6, v3, v2
.LBB2_4420:
	s_or_b64 exec, exec, s[6:7]
	s_movk_i32 s4, 0x7f
	v_cmp_gt_i16_sdwa s[6:7], v4, s4 src0_sel:BYTE_0 src1_sel:DWORD
	s_mov_b64 s[4:5], 0
                                        ; implicit-def: $sgpr10
	s_and_saveexec_b64 s[8:9], s[6:7]
	s_xor_b64 s[6:7], exec, s[8:9]
	s_cbranch_execz .LBB2_4421
; %bb.40261:
	s_getpc_b64 s[14:15]
.Lpost_getpc23714:
	s_add_u32 s14, s14, (.LBB2_18757-.Lpost_getpc23714)&4294967295
	s_addc_u32 s15, s15, (.LBB2_18757-.Lpost_getpc23714)>>32
	s_setpc_b64 s[14:15]
.LBB2_4421:
	s_or_saveexec_b64 s[6:7], s[6:7]
	v_mov_b32_e32 v3, s10
	s_xor_b64 exec, exec, s[6:7]
	s_cbranch_execz .LBB2_4422
; %bb.40263:
	s_getpc_b64 s[14:15]
.Lpost_getpc23715:
	s_add_u32 s14, s14, (.LBB2_18760-.Lpost_getpc23715)&4294967295
	s_addc_u32 s15, s15, (.LBB2_18760-.Lpost_getpc23715)>>32
	s_setpc_b64 s[14:15]
.LBB2_4422:
	s_or_b64 exec, exec, s[6:7]
	s_and_saveexec_b64 s[6:7], s[4:5]
	s_cbranch_execz .LBB2_4424
.LBB2_4423:
	v_and_b32_e32 v3, 7, v4
	v_ffbh_u32_e32 v7, v3
	v_min_u32_e32 v7, 32, v7
	v_lshrrev_b16_e32 v6, 3, v4
	v_subrev_u32_e32 v12, 28, v7
	v_and_b32_e32 v6, 15, v6
	v_lshlrev_b32_e32 v12, v12, v4
	v_sub_u32_e32 v7, 29, v7
	v_and_b32_e32 v12, 7, v12
	v_cmp_eq_u16_e32 vcc, 0, v6
	v_cndmask_b32_e32 v3, v3, v12, vcc
	v_cndmask_b32_e32 v6, v6, v7, vcc
	v_lshlrev_b32_e32 v7, 24, v4
	v_mov_b32_e32 v12, 0x3b800000
	v_lshlrev_b32_e32 v3, 20, v3
	v_and_b32_e32 v7, 0x80000000, v7
	v_lshl_add_u32 v6, v6, 23, v12
	v_or3_b32 v3, v7, v6, v3
.LBB2_4424:
	s_or_b64 exec, exec, s[6:7]
	s_nop 0
	v_mfma_f32_16x16x4f32 a[0:3], v2, v3, a[0:3]
	v_lshrrev_b32_e32 v3, 8, v8
	s_movk_i32 s4, 0x7f
	v_cmp_gt_i16_sdwa s[6:7], v3, s4 src0_sel:BYTE_0 src1_sel:DWORD
	s_mov_b64 s[4:5], 0
                                        ; implicit-def: $sgpr10
	s_and_saveexec_b64 s[8:9], s[6:7]
	s_xor_b64 s[6:7], exec, s[8:9]
	s_cbranch_execz .LBB2_4425
; %bb.40265:
	s_getpc_b64 s[14:15]
.Lpost_getpc23716:
	s_add_u32 s14, s14, (.LBB2_18761-.Lpost_getpc23716)&4294967295
	s_addc_u32 s15, s15, (.LBB2_18761-.Lpost_getpc23716)>>32
	s_setpc_b64 s[14:15]
.LBB2_4425:
	s_or_saveexec_b64 s[6:7], s[6:7]
	v_mov_b32_e32 v2, s10
	s_xor_b64 exec, exec, s[6:7]
	s_cbranch_execz .LBB2_4426
; %bb.40267:
	s_getpc_b64 s[14:15]
.Lpost_getpc23717:
	s_add_u32 s14, s14, (.LBB2_18764-.Lpost_getpc23717)&4294967295
	s_addc_u32 s15, s15, (.LBB2_18764-.Lpost_getpc23717)>>32
	s_setpc_b64 s[14:15]
.LBB2_4426:
	s_or_b64 exec, exec, s[6:7]
	s_and_saveexec_b64 s[6:7], s[4:5]
	s_cbranch_execz .LBB2_4428
.LBB2_4427:
	v_bfe_u32 v2, v8, 8, 3
	v_ffbh_u32_e32 v7, v2
	v_min_u32_e32 v7, 32, v7
	v_lshrrev_b16_e32 v6, 3, v3
	v_subrev_u32_e32 v12, 28, v7
	v_and_b32_e32 v6, 15, v6
	v_lshlrev_b32_e32 v3, v12, v3
	v_sub_u32_e32 v7, 29, v7
	v_and_b32_e32 v3, 7, v3
	v_cmp_eq_u16_e32 vcc, 0, v6
	v_cndmask_b32_e32 v2, v2, v3, vcc
	v_cndmask_b32_e32 v3, v6, v7, vcc
	v_lshlrev_b32_e32 v6, 16, v8
	v_mov_b32_e32 v7, 0x3b800000
	v_lshlrev_b32_e32 v2, 20, v2
	v_and_b32_e32 v6, 0x80000000, v6
	v_lshl_add_u32 v3, v3, 23, v7
	v_or3_b32 v2, v6, v3, v2
.LBB2_4428:
	s_or_b64 exec, exec, s[6:7]
	v_lshrrev_b32_e32 v3, 8, v4
	s_movk_i32 s4, 0x7f
	v_cmp_gt_i16_sdwa s[6:7], v3, s4 src0_sel:BYTE_0 src1_sel:DWORD
	s_mov_b64 s[4:5], 0
                                        ; implicit-def: $sgpr10
	s_and_saveexec_b64 s[8:9], s[6:7]
	s_xor_b64 s[6:7], exec, s[8:9]
	s_cbranch_execz .LBB2_4429
; %bb.40269:
	s_getpc_b64 s[14:15]
.Lpost_getpc23718:
	s_add_u32 s14, s14, (.LBB2_18765-.Lpost_getpc23718)&4294967295
	s_addc_u32 s15, s15, (.LBB2_18765-.Lpost_getpc23718)>>32
	s_setpc_b64 s[14:15]
.LBB2_4429:
	s_or_saveexec_b64 s[6:7], s[6:7]
	v_mov_b32_e32 v6, s10
	s_xor_b64 exec, exec, s[6:7]
	s_cbranch_execz .LBB2_4430
; %bb.40271:
	s_getpc_b64 s[14:15]
.Lpost_getpc23719:
	s_add_u32 s14, s14, (.LBB2_18768-.Lpost_getpc23719)&4294967295
	s_addc_u32 s15, s15, (.LBB2_18768-.Lpost_getpc23719)>>32
	s_setpc_b64 s[14:15]
.LBB2_4430:
	s_or_b64 exec, exec, s[6:7]
	s_and_saveexec_b64 s[6:7], s[4:5]
	s_cbranch_execz .LBB2_4432
.LBB2_4431:
	v_bfe_u32 v6, v4, 8, 3
	v_ffbh_u32_e32 v12, v6
	v_min_u32_e32 v12, 32, v12
	v_lshrrev_b16_e32 v7, 3, v3
	v_subrev_u32_e32 v13, 28, v12
	v_and_b32_e32 v7, 15, v7
	v_lshlrev_b32_e32 v3, v13, v3
	v_sub_u32_e32 v12, 29, v12
	v_and_b32_e32 v3, 7, v3
	v_cmp_eq_u16_e32 vcc, 0, v7
	v_cndmask_b32_e32 v3, v6, v3, vcc
	v_cndmask_b32_e32 v6, v7, v12, vcc
	v_lshlrev_b32_e32 v7, 16, v4
	v_mov_b32_e32 v12, 0x3b800000
	v_lshlrev_b32_e32 v3, 20, v3
	v_and_b32_e32 v7, 0x80000000, v7
	v_lshl_add_u32 v6, v6, 23, v12
	v_or3_b32 v6, v7, v6, v3
.LBB2_4432:
	s_or_b64 exec, exec, s[6:7]
	s_nop 0
	v_mfma_f32_16x16x4f32 a[0:3], v2, v6, a[0:3]
	s_movk_i32 s4, 0xff
	v_and_b32_sdwa v3, v8, s4 dst_sel:DWORD dst_unused:UNUSED_PAD src0_sel:WORD_1 src1_sel:DWORD
	s_movk_i32 s4, 0x7f
	v_cmp_lt_i16_e32 vcc, s4, v3
	s_mov_b64 s[4:5], 0
                                        ; implicit-def: $sgpr10
	s_and_saveexec_b64 s[6:7], vcc
	s_xor_b64 s[6:7], exec, s[6:7]
	s_cbranch_execz .LBB2_4433
; %bb.40273:
	s_getpc_b64 s[14:15]
.Lpost_getpc23720:
	s_add_u32 s14, s14, (.LBB2_18769-.Lpost_getpc23720)&4294967295
	s_addc_u32 s15, s15, (.LBB2_18769-.Lpost_getpc23720)>>32
	s_setpc_b64 s[14:15]
.LBB2_4433:
	s_or_saveexec_b64 s[6:7], s[6:7]
	v_mov_b32_e32 v2, s10
	s_xor_b64 exec, exec, s[6:7]
	s_cbranch_execz .LBB2_4434
; %bb.40275:
	s_getpc_b64 s[14:15]
.Lpost_getpc23721:
	s_add_u32 s14, s14, (.LBB2_18772-.Lpost_getpc23721)&4294967295
	s_addc_u32 s15, s15, (.LBB2_18772-.Lpost_getpc23721)>>32
	s_setpc_b64 s[14:15]
.LBB2_4434:
	s_or_b64 exec, exec, s[6:7]
	s_and_saveexec_b64 s[6:7], s[4:5]
	s_cbranch_execz .LBB2_4436
.LBB2_4435:
	v_bfe_u32 v2, v8, 16, 3
	v_ffbh_u32_e32 v7, v2
	v_min_u32_e32 v7, 32, v7
	v_lshrrev_b32_e32 v3, 19, v8
	v_subrev_u32_e32 v12, 28, v7
	v_and_b32_e32 v3, 15, v3
	v_lshlrev_b32_sdwa v12, v12, v8 dst_sel:DWORD dst_unused:UNUSED_PAD src0_sel:DWORD src1_sel:WORD_1
	v_bfe_u32 v6, v8, 19, 4
	v_sub_u32_e32 v7, 29, v7
	v_and_b32_e32 v12, 7, v12
	v_cmp_eq_u16_e32 vcc, 0, v3
	v_cndmask_b32_e32 v2, v2, v12, vcc
	v_cndmask_b32_e32 v3, v6, v7, vcc
	v_lshlrev_b32_e32 v6, 8, v8
	v_mov_b32_e32 v7, 0x3b800000
	v_lshlrev_b32_e32 v2, 20, v2
	v_and_b32_e32 v6, 0x80000000, v6
	v_lshl_add_u32 v3, v3, 23, v7
	v_or3_b32 v2, v6, v3, v2
.LBB2_4436:
	s_or_b64 exec, exec, s[6:7]
	s_movk_i32 s4, 0xff
	v_and_b32_sdwa v3, v4, s4 dst_sel:DWORD dst_unused:UNUSED_PAD src0_sel:WORD_1 src1_sel:DWORD
	s_movk_i32 s4, 0x7f
	v_cmp_lt_i16_e32 vcc, s4, v3
	s_mov_b64 s[4:5], 0
                                        ; implicit-def: $sgpr10
	s_and_saveexec_b64 s[6:7], vcc
	s_xor_b64 s[6:7], exec, s[6:7]
	s_cbranch_execz .LBB2_4437
; %bb.40277:
	s_getpc_b64 s[14:15]
.Lpost_getpc23722:
	s_add_u32 s14, s14, (.LBB2_18773-.Lpost_getpc23722)&4294967295
	s_addc_u32 s15, s15, (.LBB2_18773-.Lpost_getpc23722)>>32
	s_setpc_b64 s[14:15]
.LBB2_4437:
	s_or_saveexec_b64 s[6:7], s[6:7]
	v_mov_b32_e32 v6, s10
	s_xor_b64 exec, exec, s[6:7]
	s_cbranch_execz .LBB2_4438
; %bb.40279:
	s_getpc_b64 s[14:15]
.Lpost_getpc23723:
	s_add_u32 s14, s14, (.LBB2_18776-.Lpost_getpc23723)&4294967295
	s_addc_u32 s15, s15, (.LBB2_18776-.Lpost_getpc23723)>>32
	s_setpc_b64 s[14:15]
.LBB2_4438:
	s_or_b64 exec, exec, s[6:7]
	s_and_saveexec_b64 s[6:7], s[4:5]
	s_cbranch_execz .LBB2_4440
.LBB2_4439:
	v_bfe_u32 v3, v4, 16, 3
	v_ffbh_u32_e32 v12, v3
	v_min_u32_e32 v12, 32, v12
	v_lshrrev_b32_e32 v6, 19, v4
	v_subrev_u32_e32 v13, 28, v12
	v_and_b32_e32 v6, 15, v6
	v_lshlrev_b32_sdwa v13, v13, v4 dst_sel:DWORD dst_unused:UNUSED_PAD src0_sel:DWORD src1_sel:WORD_1
	v_bfe_u32 v7, v4, 19, 4
	v_sub_u32_e32 v12, 29, v12
	v_and_b32_e32 v13, 7, v13
	v_cmp_eq_u16_e32 vcc, 0, v6
	v_cndmask_b32_e32 v3, v3, v13, vcc
	v_cndmask_b32_e32 v6, v7, v12, vcc
	v_lshlrev_b32_e32 v7, 8, v4
	v_mov_b32_e32 v12, 0x3b800000
	v_lshlrev_b32_e32 v3, 20, v3
	v_and_b32_e32 v7, 0x80000000, v7
	v_lshl_add_u32 v6, v6, 23, v12
	v_or3_b32 v6, v7, v6, v3
.LBB2_4440:
	s_or_b64 exec, exec, s[6:7]
	s_nop 0
	v_mfma_f32_16x16x4f32 a[0:3], v2, v6, a[0:3]
	s_movk_i32 s4, 0x7f
	v_cmp_gt_i16_sdwa s[6:7], v8, s4 src0_sel:BYTE_3 src1_sel:DWORD
	s_mov_b64 s[4:5], 0
                                        ; implicit-def: $sgpr10
	s_and_saveexec_b64 s[8:9], s[6:7]
	s_xor_b64 s[6:7], exec, s[8:9]
	s_cbranch_execz .LBB2_4441
; %bb.40281:
	s_getpc_b64 s[14:15]
.Lpost_getpc23724:
	s_add_u32 s14, s14, (.LBB2_18777-.Lpost_getpc23724)&4294967295
	s_addc_u32 s15, s15, (.LBB2_18777-.Lpost_getpc23724)>>32
	s_setpc_b64 s[14:15]
.LBB2_4441:
	s_or_saveexec_b64 s[6:7], s[6:7]
	v_mov_b32_e32 v2, s10
	s_xor_b64 exec, exec, s[6:7]
	s_cbranch_execz .LBB2_4442
; %bb.40283:
	s_getpc_b64 s[14:15]
.Lpost_getpc23725:
	s_add_u32 s14, s14, (.LBB2_18780-.Lpost_getpc23725)&4294967295
	s_addc_u32 s15, s15, (.LBB2_18780-.Lpost_getpc23725)>>32
	s_setpc_b64 s[14:15]
.LBB2_4442:
	s_or_b64 exec, exec, s[6:7]
	s_and_saveexec_b64 s[6:7], s[4:5]
	s_cbranch_execz .LBB2_4444
.LBB2_4443:
	v_bfe_u32 v2, v8, 24, 3
	v_ffbh_u32_e32 v12, v2
	v_min_u32_e32 v12, 32, v12
	v_lshrrev_b32_e32 v6, 27, v8
	v_subrev_u32_e32 v13, 28, v12
	v_and_b32_e32 v3, 0x80000000, v8
	v_and_b32_e32 v6, 15, v6
	v_bfe_u32 v7, v8, 27, 4
	v_lshlrev_b32_sdwa v8, v13, v8 dst_sel:DWORD dst_unused:UNUSED_PAD src0_sel:DWORD src1_sel:BYTE_3
	v_sub_u32_e32 v12, 29, v12
	v_and_b32_e32 v8, 7, v8
	v_cmp_eq_u16_e32 vcc, 0, v6
	v_cndmask_b32_e32 v2, v2, v8, vcc
	v_cndmask_b32_e32 v6, v7, v12, vcc
	v_mov_b32_e32 v7, 0x3b800000
	v_lshlrev_b32_e32 v2, 20, v2
	v_lshl_add_u32 v6, v6, 23, v7
	v_or3_b32 v2, v3, v6, v2
.LBB2_4444:
	s_or_b64 exec, exec, s[6:7]
	s_movk_i32 s4, 0x7f
	v_cmp_gt_i16_sdwa s[6:7], v4, s4 src0_sel:BYTE_3 src1_sel:DWORD
	s_mov_b64 s[4:5], 0
                                        ; implicit-def: $sgpr10
	s_and_saveexec_b64 s[8:9], s[6:7]
	s_xor_b64 s[6:7], exec, s[8:9]
	s_cbranch_execz .LBB2_4445
; %bb.40285:
	s_getpc_b64 s[14:15]
.Lpost_getpc23726:
	s_add_u32 s14, s14, (.LBB2_18781-.Lpost_getpc23726)&4294967295
	s_addc_u32 s15, s15, (.LBB2_18781-.Lpost_getpc23726)>>32
	s_setpc_b64 s[14:15]
.LBB2_4445:
	s_or_saveexec_b64 s[6:7], s[6:7]
	v_mov_b32_e32 v3, s10
	s_xor_b64 exec, exec, s[6:7]
	s_cbranch_execz .LBB2_4446
; %bb.40287:
	s_getpc_b64 s[14:15]
.Lpost_getpc23727:
	s_add_u32 s14, s14, (.LBB2_18784-.Lpost_getpc23727)&4294967295
	s_addc_u32 s15, s15, (.LBB2_18784-.Lpost_getpc23727)>>32
	s_setpc_b64 s[14:15]
.LBB2_4446:
	s_or_b64 exec, exec, s[6:7]
	s_and_saveexec_b64 s[6:7], s[4:5]
	s_cbranch_execz .LBB2_4448
.LBB2_4447:
	v_bfe_u32 v3, v4, 24, 3
	v_ffbh_u32_e32 v12, v3
	v_min_u32_e32 v12, 32, v12
	v_lshrrev_b32_e32 v7, 27, v4
	v_subrev_u32_e32 v13, 28, v12
	v_and_b32_e32 v6, 0x80000000, v4
	v_and_b32_e32 v7, 15, v7
	v_bfe_u32 v8, v4, 27, 4
	v_lshlrev_b32_sdwa v4, v13, v4 dst_sel:DWORD dst_unused:UNUSED_PAD src0_sel:DWORD src1_sel:BYTE_3
	v_sub_u32_e32 v12, 29, v12
	v_and_b32_e32 v4, 7, v4
	v_cmp_eq_u16_e32 vcc, 0, v7
	v_cndmask_b32_e32 v3, v3, v4, vcc
	v_cndmask_b32_e32 v4, v8, v12, vcc
	v_mov_b32_e32 v7, 0x3b800000
	v_lshlrev_b32_e32 v3, 20, v3
	v_lshl_add_u32 v4, v4, 23, v7
	v_or3_b32 v3, v6, v4, v3
.LBB2_4448:
	s_or_b64 exec, exec, s[6:7]
	s_nop 0
	v_mfma_f32_16x16x4f32 a[0:3], v2, v3, a[0:3]
	s_movk_i32 s4, 0x7f
	v_cmp_gt_i16_sdwa s[6:7], v9, s4 src0_sel:BYTE_0 src1_sel:DWORD
	s_mov_b64 s[4:5], 0
                                        ; implicit-def: $sgpr10
	s_and_saveexec_b64 s[8:9], s[6:7]
	s_xor_b64 s[6:7], exec, s[8:9]
	s_cbranch_execz .LBB2_4449
; %bb.40289:
	s_getpc_b64 s[14:15]
.Lpost_getpc23728:
	s_add_u32 s14, s14, (.LBB2_18785-.Lpost_getpc23728)&4294967295
	s_addc_u32 s15, s15, (.LBB2_18785-.Lpost_getpc23728)>>32
	s_setpc_b64 s[14:15]
.LBB2_4449:
	s_or_saveexec_b64 s[6:7], s[6:7]
	v_mov_b32_e32 v2, s10
	s_xor_b64 exec, exec, s[6:7]
	s_cbranch_execz .LBB2_4450
; %bb.40291:
	s_getpc_b64 s[14:15]
.Lpost_getpc23729:
	s_add_u32 s14, s14, (.LBB2_18788-.Lpost_getpc23729)&4294967295
	s_addc_u32 s15, s15, (.LBB2_18788-.Lpost_getpc23729)>>32
	s_setpc_b64 s[14:15]
.LBB2_4450:
	s_or_b64 exec, exec, s[6:7]
	s_and_saveexec_b64 s[6:7], s[4:5]
	s_cbranch_execz .LBB2_4452
.LBB2_4451:
	v_mov_b32_e32 v2, 8
	v_and_b32_e32 v3, 7, v9
	v_lshrrev_b32_sdwa v2, v2, v9 dst_sel:BYTE_1 dst_unused:UNUSED_PAD src0_sel:DWORD src1_sel:DWORD
	v_ffbh_u32_e32 v4, v3
	v_or_b32_sdwa v2, v9, v2 dst_sel:DWORD dst_unused:UNUSED_PAD src0_sel:BYTE_0 src1_sel:DWORD
	v_min_u32_e32 v4, 32, v4
	v_lshrrev_b16_e32 v2, 3, v2
	v_subrev_u32_e32 v6, 28, v4
	v_and_b32_e32 v2, 15, v2
	v_lshlrev_b32_e32 v6, v6, v9
	v_sub_u32_e32 v4, 29, v4
	v_and_b32_e32 v6, 7, v6
	v_cmp_eq_u16_e32 vcc, 0, v2
	v_cndmask_b32_e32 v3, v3, v6, vcc
	v_cndmask_b32_e32 v2, v2, v4, vcc
	v_lshlrev_b32_e32 v4, 24, v9
	v_mov_b32_e32 v6, 0x3b800000
	v_lshlrev_b32_e32 v3, 20, v3
	v_and_b32_e32 v4, 0x80000000, v4
	v_lshl_add_u32 v2, v2, 23, v6
	v_or3_b32 v2, v4, v2, v3
.LBB2_4452:
	s_or_b64 exec, exec, s[6:7]
	s_movk_i32 s4, 0x7f
	v_cmp_gt_i16_sdwa s[6:7], v5, s4 src0_sel:BYTE_0 src1_sel:DWORD
	s_mov_b64 s[4:5], 0
                                        ; implicit-def: $sgpr10
	s_and_saveexec_b64 s[8:9], s[6:7]
	s_xor_b64 s[6:7], exec, s[8:9]
	s_cbranch_execz .LBB2_4453
; %bb.40293:
	s_getpc_b64 s[14:15]
.Lpost_getpc23730:
	s_add_u32 s14, s14, (.LBB2_18789-.Lpost_getpc23730)&4294967295
	s_addc_u32 s15, s15, (.LBB2_18789-.Lpost_getpc23730)>>32
	s_setpc_b64 s[14:15]
.LBB2_4453:
	s_or_saveexec_b64 s[6:7], s[6:7]
	v_mov_b32_e32 v3, s10
	s_xor_b64 exec, exec, s[6:7]
	s_cbranch_execz .LBB2_4454
; %bb.40295:
	s_getpc_b64 s[14:15]
.Lpost_getpc23731:
	s_add_u32 s14, s14, (.LBB2_18792-.Lpost_getpc23731)&4294967295
	s_addc_u32 s15, s15, (.LBB2_18792-.Lpost_getpc23731)>>32
	s_setpc_b64 s[14:15]
.LBB2_4454:
	s_or_b64 exec, exec, s[6:7]
	s_and_saveexec_b64 s[6:7], s[4:5]
	s_cbranch_execz .LBB2_4456
.LBB2_4455:
	v_mov_b32_e32 v3, 8
	v_and_b32_e32 v4, 7, v5
	v_lshrrev_b32_sdwa v3, v3, v5 dst_sel:BYTE_1 dst_unused:UNUSED_PAD src0_sel:DWORD src1_sel:DWORD
	v_ffbh_u32_e32 v6, v4
	v_or_b32_sdwa v3, v5, v3 dst_sel:DWORD dst_unused:UNUSED_PAD src0_sel:BYTE_0 src1_sel:DWORD
	v_min_u32_e32 v6, 32, v6
	v_lshrrev_b16_e32 v3, 3, v3
	v_subrev_u32_e32 v7, 28, v6
	v_and_b32_e32 v3, 15, v3
	v_lshlrev_b32_e32 v7, v7, v5
	v_sub_u32_e32 v6, 29, v6
	v_and_b32_e32 v7, 7, v7
	v_cmp_eq_u16_e32 vcc, 0, v3
	v_cndmask_b32_e32 v4, v4, v7, vcc
	v_cndmask_b32_e32 v3, v3, v6, vcc
	v_lshlrev_b32_e32 v6, 24, v5
	v_mov_b32_e32 v7, 0x3b800000
	v_lshlrev_b32_e32 v4, 20, v4
	v_and_b32_e32 v6, 0x80000000, v6
	v_lshl_add_u32 v3, v3, 23, v7
	v_or3_b32 v3, v6, v3, v4
.LBB2_4456:
	s_or_b64 exec, exec, s[6:7]
	s_nop 0
	v_mfma_f32_16x16x4f32 a[0:3], v2, v3, a[0:3]
	v_lshrrev_b32_e32 v3, 8, v9
	s_movk_i32 s4, 0x7f
	v_cmp_gt_i16_sdwa s[6:7], v3, s4 src0_sel:BYTE_0 src1_sel:DWORD
	s_mov_b64 s[4:5], 0
                                        ; implicit-def: $sgpr10
	s_and_saveexec_b64 s[8:9], s[6:7]
	s_xor_b64 s[6:7], exec, s[8:9]
	s_cbranch_execz .LBB2_4457
; %bb.40297:
	s_getpc_b64 s[14:15]
.Lpost_getpc23732:
	s_add_u32 s14, s14, (.LBB2_18793-.Lpost_getpc23732)&4294967295
	s_addc_u32 s15, s15, (.LBB2_18793-.Lpost_getpc23732)>>32
	s_setpc_b64 s[14:15]
.LBB2_4457:
	s_or_saveexec_b64 s[6:7], s[6:7]
	v_mov_b32_e32 v2, s10
	s_xor_b64 exec, exec, s[6:7]
	s_cbranch_execz .LBB2_4458
; %bb.40299:
	s_getpc_b64 s[14:15]
.Lpost_getpc23733:
	s_add_u32 s14, s14, (.LBB2_18796-.Lpost_getpc23733)&4294967295
	s_addc_u32 s15, s15, (.LBB2_18796-.Lpost_getpc23733)>>32
	s_setpc_b64 s[14:15]
.LBB2_4458:
	s_or_b64 exec, exec, s[6:7]
	s_and_saveexec_b64 s[6:7], s[4:5]
	s_cbranch_execz .LBB2_4460
.LBB2_4459:
	v_bfe_u32 v2, v9, 8, 3
	v_ffbh_u32_e32 v6, v2
	v_min_u32_e32 v6, 32, v6
	v_lshrrev_b16_e32 v4, 3, v3
	v_subrev_u32_e32 v7, 28, v6
	v_and_b32_e32 v4, 15, v4
	v_lshlrev_b32_e32 v3, v7, v3
	v_sub_u32_e32 v6, 29, v6
	v_and_b32_e32 v3, 7, v3
	v_cmp_eq_u16_e32 vcc, 0, v4
	v_cndmask_b32_e32 v2, v2, v3, vcc
	v_cndmask_b32_e32 v3, v4, v6, vcc
	v_lshlrev_b32_e32 v4, 16, v9
	v_mov_b32_e32 v6, 0x3b800000
	v_lshlrev_b32_e32 v2, 20, v2
	v_and_b32_e32 v4, 0x80000000, v4
	v_lshl_add_u32 v3, v3, 23, v6
	v_or3_b32 v2, v4, v3, v2
.LBB2_4460:
	s_or_b64 exec, exec, s[6:7]
	v_lshrrev_b32_e32 v3, 8, v5
	s_movk_i32 s4, 0x7f
	v_cmp_gt_i16_sdwa s[6:7], v3, s4 src0_sel:BYTE_0 src1_sel:DWORD
	s_mov_b64 s[4:5], 0
                                        ; implicit-def: $sgpr10
	s_and_saveexec_b64 s[8:9], s[6:7]
	s_xor_b64 s[6:7], exec, s[8:9]
	s_cbranch_execz .LBB2_4461
; %bb.40301:
	s_getpc_b64 s[14:15]
.Lpost_getpc23734:
	s_add_u32 s14, s14, (.LBB2_18797-.Lpost_getpc23734)&4294967295
	s_addc_u32 s15, s15, (.LBB2_18797-.Lpost_getpc23734)>>32
	s_setpc_b64 s[14:15]
.LBB2_4461:
	s_or_saveexec_b64 s[6:7], s[6:7]
	v_mov_b32_e32 v4, s10
	s_xor_b64 exec, exec, s[6:7]
	s_cbranch_execz .LBB2_4462
; %bb.40303:
	s_getpc_b64 s[14:15]
.Lpost_getpc23735:
	s_add_u32 s14, s14, (.LBB2_18800-.Lpost_getpc23735)&4294967295
	s_addc_u32 s15, s15, (.LBB2_18800-.Lpost_getpc23735)>>32
	s_setpc_b64 s[14:15]
.LBB2_4462:
	s_or_b64 exec, exec, s[6:7]
	s_and_saveexec_b64 s[6:7], s[4:5]
	s_cbranch_execz .LBB2_4464
.LBB2_4463:
	v_bfe_u32 v4, v5, 8, 3
	v_ffbh_u32_e32 v7, v4
	v_min_u32_e32 v7, 32, v7
	v_lshrrev_b16_e32 v6, 3, v3
	v_subrev_u32_e32 v8, 28, v7
	v_and_b32_e32 v6, 15, v6
	v_lshlrev_b32_e32 v3, v8, v3
	v_sub_u32_e32 v7, 29, v7
	v_and_b32_e32 v3, 7, v3
	v_cmp_eq_u16_e32 vcc, 0, v6
	v_cndmask_b32_e32 v3, v4, v3, vcc
	v_cndmask_b32_e32 v4, v6, v7, vcc
	v_lshlrev_b32_e32 v6, 16, v5
	v_mov_b32_e32 v7, 0x3b800000
	v_lshlrev_b32_e32 v3, 20, v3
	v_and_b32_e32 v6, 0x80000000, v6
	v_lshl_add_u32 v4, v4, 23, v7
	v_or3_b32 v4, v6, v4, v3
.LBB2_4464:
	s_or_b64 exec, exec, s[6:7]
	s_nop 0
	v_mfma_f32_16x16x4f32 a[0:3], v2, v4, a[0:3]
	s_movk_i32 s4, 0xff
	v_and_b32_sdwa v3, v9, s4 dst_sel:DWORD dst_unused:UNUSED_PAD src0_sel:WORD_1 src1_sel:DWORD
	s_movk_i32 s4, 0x7f
	v_cmp_lt_i16_e32 vcc, s4, v3
	s_mov_b64 s[4:5], 0
                                        ; implicit-def: $sgpr10
	s_and_saveexec_b64 s[6:7], vcc
	s_xor_b64 s[6:7], exec, s[6:7]
	s_cbranch_execz .LBB2_4465
; %bb.40305:
	s_getpc_b64 s[14:15]
.Lpost_getpc23736:
	s_add_u32 s14, s14, (.LBB2_18801-.Lpost_getpc23736)&4294967295
	s_addc_u32 s15, s15, (.LBB2_18801-.Lpost_getpc23736)>>32
	s_setpc_b64 s[14:15]
.LBB2_4465:
	s_or_saveexec_b64 s[6:7], s[6:7]
	v_mov_b32_e32 v2, s10
	s_xor_b64 exec, exec, s[6:7]
	s_cbranch_execz .LBB2_4466
; %bb.40307:
	s_getpc_b64 s[14:15]
.Lpost_getpc23737:
	s_add_u32 s14, s14, (.LBB2_18804-.Lpost_getpc23737)&4294967295
	s_addc_u32 s15, s15, (.LBB2_18804-.Lpost_getpc23737)>>32
	s_setpc_b64 s[14:15]
.LBB2_4466:
	s_or_b64 exec, exec, s[6:7]
	s_and_saveexec_b64 s[6:7], s[4:5]
	s_cbranch_execz .LBB2_4468
.LBB2_4467:
	v_bfe_u32 v2, v9, 16, 3
	v_ffbh_u32_e32 v6, v2
	v_min_u32_e32 v6, 32, v6
	v_lshrrev_b32_e32 v3, 19, v9
	v_subrev_u32_e32 v7, 28, v6
	v_and_b32_e32 v3, 15, v3
	v_lshlrev_b32_sdwa v7, v7, v9 dst_sel:DWORD dst_unused:UNUSED_PAD src0_sel:DWORD src1_sel:WORD_1
	v_bfe_u32 v4, v9, 19, 4
	v_sub_u32_e32 v6, 29, v6
	v_and_b32_e32 v7, 7, v7
	v_cmp_eq_u16_e32 vcc, 0, v3
	v_cndmask_b32_e32 v2, v2, v7, vcc
	v_cndmask_b32_e32 v3, v4, v6, vcc
	v_lshlrev_b32_e32 v4, 8, v9
	v_mov_b32_e32 v6, 0x3b800000
	v_lshlrev_b32_e32 v2, 20, v2
	v_and_b32_e32 v4, 0x80000000, v4
	v_lshl_add_u32 v3, v3, 23, v6
	v_or3_b32 v2, v4, v3, v2
.LBB2_4468:
	s_or_b64 exec, exec, s[6:7]
	s_movk_i32 s4, 0xff
	v_and_b32_sdwa v3, v5, s4 dst_sel:DWORD dst_unused:UNUSED_PAD src0_sel:WORD_1 src1_sel:DWORD
	s_movk_i32 s4, 0x7f
	v_cmp_lt_i16_e32 vcc, s4, v3
	s_mov_b64 s[4:5], 0
                                        ; implicit-def: $sgpr10
	s_and_saveexec_b64 s[6:7], vcc
	s_xor_b64 s[6:7], exec, s[6:7]
	s_cbranch_execz .LBB2_4469
; %bb.40309:
	s_getpc_b64 s[14:15]
.Lpost_getpc23738:
	s_add_u32 s14, s14, (.LBB2_18805-.Lpost_getpc23738)&4294967295
	s_addc_u32 s15, s15, (.LBB2_18805-.Lpost_getpc23738)>>32
	s_setpc_b64 s[14:15]
.LBB2_4469:
	s_or_saveexec_b64 s[6:7], s[6:7]
	v_mov_b32_e32 v4, s10
	s_xor_b64 exec, exec, s[6:7]
	s_cbranch_execz .LBB2_4470
; %bb.40311:
	s_getpc_b64 s[14:15]
.Lpost_getpc23739:
	s_add_u32 s14, s14, (.LBB2_18808-.Lpost_getpc23739)&4294967295
	s_addc_u32 s15, s15, (.LBB2_18808-.Lpost_getpc23739)>>32
	s_setpc_b64 s[14:15]
.LBB2_4470:
	s_or_b64 exec, exec, s[6:7]
	s_and_saveexec_b64 s[6:7], s[4:5]
	s_cbranch_execz .LBB2_4472
.LBB2_4471:
	v_bfe_u32 v3, v5, 16, 3
	v_ffbh_u32_e32 v7, v3
	v_min_u32_e32 v7, 32, v7
	v_lshrrev_b32_e32 v4, 19, v5
	v_subrev_u32_e32 v8, 28, v7
	v_and_b32_e32 v4, 15, v4
	v_lshlrev_b32_sdwa v8, v8, v5 dst_sel:DWORD dst_unused:UNUSED_PAD src0_sel:DWORD src1_sel:WORD_1
	v_bfe_u32 v6, v5, 19, 4
	v_sub_u32_e32 v7, 29, v7
	v_and_b32_e32 v8, 7, v8
	v_cmp_eq_u16_e32 vcc, 0, v4
	v_cndmask_b32_e32 v3, v3, v8, vcc
	v_cndmask_b32_e32 v4, v6, v7, vcc
	v_lshlrev_b32_e32 v6, 8, v5
	v_mov_b32_e32 v7, 0x3b800000
	v_lshlrev_b32_e32 v3, 20, v3
	v_and_b32_e32 v6, 0x80000000, v6
	v_lshl_add_u32 v4, v4, 23, v7
	v_or3_b32 v4, v6, v4, v3
.LBB2_4472:
	s_or_b64 exec, exec, s[6:7]
	s_nop 0
	v_mfma_f32_16x16x4f32 a[0:3], v2, v4, a[0:3]
	s_movk_i32 s4, 0x7f
	v_cmp_gt_i16_sdwa s[6:7], v9, s4 src0_sel:BYTE_3 src1_sel:DWORD
	s_mov_b64 s[4:5], 0
                                        ; implicit-def: $sgpr10
	s_and_saveexec_b64 s[8:9], s[6:7]
	s_xor_b64 s[6:7], exec, s[8:9]
	s_cbranch_execz .LBB2_4473
; %bb.40313:
	s_getpc_b64 s[14:15]
.Lpost_getpc23740:
	s_add_u32 s14, s14, (.LBB2_18809-.Lpost_getpc23740)&4294967295
	s_addc_u32 s15, s15, (.LBB2_18809-.Lpost_getpc23740)>>32
	s_setpc_b64 s[14:15]
.LBB2_4473:
	s_or_saveexec_b64 s[6:7], s[6:7]
	v_mov_b32_e32 v2, s10
	s_xor_b64 exec, exec, s[6:7]
	s_cbranch_execz .LBB2_4474
; %bb.40315:
	s_getpc_b64 s[14:15]
.Lpost_getpc23741:
	s_add_u32 s14, s14, (.LBB2_18812-.Lpost_getpc23741)&4294967295
	s_addc_u32 s15, s15, (.LBB2_18812-.Lpost_getpc23741)>>32
	s_setpc_b64 s[14:15]
.LBB2_4474:
	s_or_b64 exec, exec, s[6:7]
	s_and_saveexec_b64 s[6:7], s[4:5]
	s_cbranch_execz .LBB2_4476
.LBB2_4475:
	v_bfe_u32 v2, v9, 24, 3
	v_ffbh_u32_e32 v7, v2
	v_min_u32_e32 v7, 32, v7
	v_lshrrev_b32_e32 v4, 27, v9
	v_subrev_u32_e32 v8, 28, v7
	v_and_b32_e32 v4, 15, v4
	v_lshlrev_b32_sdwa v8, v8, v9 dst_sel:DWORD dst_unused:UNUSED_PAD src0_sel:DWORD src1_sel:BYTE_3
	v_bfe_u32 v6, v9, 27, 4
	v_sub_u32_e32 v7, 29, v7
	v_and_b32_e32 v8, 7, v8
	v_cmp_eq_u16_e32 vcc, 0, v4
	v_cndmask_b32_e32 v2, v2, v8, vcc
	v_cndmask_b32_e32 v4, v6, v7, vcc
	v_mov_b32_e32 v6, 0x3b800000
	v_and_b32_e32 v3, 0x80000000, v9
	v_lshlrev_b32_e32 v2, 20, v2
	v_lshl_add_u32 v4, v4, 23, v6
	v_or3_b32 v2, v3, v4, v2
.LBB2_4476:
	s_or_b64 exec, exec, s[6:7]
	s_movk_i32 s4, 0x7f
	v_cmp_gt_i16_sdwa s[6:7], v5, s4 src0_sel:BYTE_3 src1_sel:DWORD
	s_mov_b64 s[4:5], 0
                                        ; implicit-def: $sgpr10
	s_and_saveexec_b64 s[8:9], s[6:7]
	s_xor_b64 s[6:7], exec, s[8:9]
	s_cbranch_execz .LBB2_4477
; %bb.40317:
	s_getpc_b64 s[14:15]
.Lpost_getpc23742:
	s_add_u32 s14, s14, (.LBB2_18813-.Lpost_getpc23742)&4294967295
	s_addc_u32 s15, s15, (.LBB2_18813-.Lpost_getpc23742)>>32
	s_setpc_b64 s[14:15]
.LBB2_4477:
	s_or_saveexec_b64 s[6:7], s[6:7]
	v_mov_b32_e32 v3, s10
	s_xor_b64 exec, exec, s[6:7]
	s_cbranch_execz .LBB2_4478
; %bb.40319:
	s_getpc_b64 s[14:15]
.Lpost_getpc23743:
	s_add_u32 s14, s14, (.LBB2_18816-.Lpost_getpc23743)&4294967295
	s_addc_u32 s15, s15, (.LBB2_18816-.Lpost_getpc23743)>>32
	s_setpc_b64 s[14:15]
.LBB2_4478:
	s_or_b64 exec, exec, s[6:7]
	s_and_saveexec_b64 s[6:7], s[4:5]
	s_cbranch_execz .LBB2_4480
.LBB2_4479:
	v_bfe_u32 v3, v5, 24, 3
	v_ffbh_u32_e32 v8, v3
	v_min_u32_e32 v8, 32, v8
	v_lshrrev_b32_e32 v6, 27, v5
	v_subrev_u32_e32 v9, 28, v8
	v_and_b32_e32 v4, 0x80000000, v5
	v_and_b32_e32 v6, 15, v6
	v_bfe_u32 v7, v5, 27, 4
	v_lshlrev_b32_sdwa v5, v9, v5 dst_sel:DWORD dst_unused:UNUSED_PAD src0_sel:DWORD src1_sel:BYTE_3
	v_sub_u32_e32 v8, 29, v8
	v_and_b32_e32 v5, 7, v5
	v_cmp_eq_u16_e32 vcc, 0, v6
	v_cndmask_b32_e32 v3, v3, v5, vcc
	v_cndmask_b32_e32 v5, v7, v8, vcc
	v_mov_b32_e32 v6, 0x3b800000
	v_lshlrev_b32_e32 v3, 20, v3
	v_lshl_add_u32 v5, v5, 23, v6
	v_or3_b32 v3, v4, v5, v3
.LBB2_4480:
	s_or_b64 exec, exec, s[6:7]
	s_nop 0
	v_mfma_f32_16x16x4f32 a[0:3], v2, v3, a[0:3]
	s_movk_i32 s4, 0x7f
                                        ; implicit-def: $sgpr10
	s_nop 7
	s_nop 1
	flat_store_dwordx4 v[10:11], a[0:3] offset:544
	flat_load_dwordx4 v[12:15], v[0:1]
	s_nop 0
	flat_load_dwordx2 v[10:11], v[0:1] offset:16
	s_waitcnt vmcnt(0) lgkmcnt(0)
	flat_load_dwordx4 v[6:9], v[12:13] offset:64
	flat_load_dwordx4 v[2:5], v[14:15] offset:48
	s_waitcnt vmcnt(0) lgkmcnt(0)
	v_cmp_gt_i16_sdwa s[6:7], v6, s4 src0_sel:BYTE_0 src1_sel:DWORD
	s_mov_b64 s[4:5], 0
	s_and_saveexec_b64 s[8:9], s[6:7]
	s_xor_b64 s[6:7], exec, s[8:9]
	s_cbranch_execz .LBB2_4481
; %bb.40321:
	s_getpc_b64 s[14:15]
.Lpost_getpc23744:
	s_add_u32 s14, s14, (.LBB2_18817-.Lpost_getpc23744)&4294967295
	s_addc_u32 s15, s15, (.LBB2_18817-.Lpost_getpc23744)>>32
	s_setpc_b64 s[14:15]
.LBB2_4481:
	s_or_saveexec_b64 s[6:7], s[6:7]
	v_mov_b32_e32 v12, s10
	s_xor_b64 exec, exec, s[6:7]
	s_cbranch_execz .LBB2_4482
; %bb.40323:
	s_getpc_b64 s[14:15]
.Lpost_getpc23745:
	s_add_u32 s14, s14, (.LBB2_18820-.Lpost_getpc23745)&4294967295
	s_addc_u32 s15, s15, (.LBB2_18820-.Lpost_getpc23745)>>32
	s_setpc_b64 s[14:15]
.LBB2_4482:
	s_or_b64 exec, exec, s[6:7]
	s_and_saveexec_b64 s[6:7], s[4:5]
	s_cbranch_execz .LBB2_4484
.LBB2_4483:
	v_and_b32_e32 v12, 7, v6
	v_ffbh_u32_e32 v14, v12
	v_min_u32_e32 v14, 32, v14
	v_lshrrev_b16_e32 v13, 3, v6
	v_subrev_u32_e32 v15, 28, v14
	v_and_b32_e32 v13, 15, v13
	v_lshlrev_b32_e32 v15, v15, v6
	v_sub_u32_e32 v14, 29, v14
	v_and_b32_e32 v15, 7, v15
	v_cmp_eq_u16_e32 vcc, 0, v13
	v_cndmask_b32_e32 v12, v12, v15, vcc
	v_cndmask_b32_e32 v13, v13, v14, vcc
	v_lshlrev_b32_e32 v14, 24, v6
	v_mov_b32_e32 v15, 0x3b800000
	v_lshlrev_b32_e32 v12, 20, v12
	v_and_b32_e32 v14, 0x80000000, v14
	v_lshl_add_u32 v13, v13, 23, v15
	v_or3_b32 v12, v14, v13, v12
.LBB2_4484:
	s_or_b64 exec, exec, s[6:7]
	s_movk_i32 s4, 0x7f
	v_cmp_gt_i16_sdwa s[6:7], v2, s4 src0_sel:BYTE_0 src1_sel:DWORD
	s_mov_b64 s[4:5], 0
                                        ; implicit-def: $sgpr10
	s_and_saveexec_b64 s[8:9], s[6:7]
	s_xor_b64 s[6:7], exec, s[8:9]
	s_cbranch_execz .LBB2_4485
; %bb.40325:
	s_getpc_b64 s[14:15]
.Lpost_getpc23746:
	s_add_u32 s14, s14, (.LBB2_18821-.Lpost_getpc23746)&4294967295
	s_addc_u32 s15, s15, (.LBB2_18821-.Lpost_getpc23746)>>32
	s_setpc_b64 s[14:15]
.LBB2_4485:
	s_or_saveexec_b64 s[6:7], s[6:7]
	v_mov_b32_e32 v13, s10
	s_xor_b64 exec, exec, s[6:7]
	s_cbranch_execz .LBB2_4486
; %bb.40327:
	s_getpc_b64 s[14:15]
.Lpost_getpc23747:
	s_add_u32 s14, s14, (.LBB2_18824-.Lpost_getpc23747)&4294967295
	s_addc_u32 s15, s15, (.LBB2_18824-.Lpost_getpc23747)>>32
	s_setpc_b64 s[14:15]
.LBB2_4486:
	s_or_b64 exec, exec, s[6:7]
	s_and_saveexec_b64 s[6:7], s[4:5]
	s_cbranch_execz .LBB2_4488
.LBB2_4487:
	v_and_b32_e32 v13, 7, v2
	v_ffbh_u32_e32 v15, v13
	v_min_u32_e32 v15, 32, v15
	v_lshrrev_b16_e32 v14, 3, v2
	v_subrev_u32_e32 v16, 28, v15
	v_and_b32_e32 v14, 15, v14
	v_lshlrev_b32_e32 v16, v16, v2
	v_sub_u32_e32 v15, 29, v15
	v_and_b32_e32 v16, 7, v16
	v_cmp_eq_u16_e32 vcc, 0, v14
	v_cndmask_b32_e32 v13, v13, v16, vcc
	v_cndmask_b32_e32 v14, v14, v15, vcc
	v_lshlrev_b32_e32 v15, 24, v2
	v_mov_b32_e32 v16, 0x3b800000
	v_lshlrev_b32_e32 v13, 20, v13
	v_and_b32_e32 v15, 0x80000000, v15
	v_lshl_add_u32 v14, v14, 23, v16
	v_or3_b32 v13, v15, v14, v13
.LBB2_4488:
	s_or_b64 exec, exec, s[6:7]
	flat_load_dwordx4 a[0:3], v[10:11] offset:560
	s_movk_i32 s4, 0x7f
                                        ; implicit-def: $sgpr10
	s_waitcnt vmcnt(0) lgkmcnt(0)
	v_mfma_f32_16x16x4f32 a[0:3], v12, v13, a[0:3]
	v_lshrrev_b32_e32 v13, 8, v6
	v_cmp_gt_i16_sdwa s[6:7], v13, s4 src0_sel:BYTE_0 src1_sel:DWORD
	s_mov_b64 s[4:5], 0
	s_and_saveexec_b64 s[8:9], s[6:7]
	s_xor_b64 s[6:7], exec, s[8:9]
	s_cbranch_execz .LBB2_4489
; %bb.40329:
	s_getpc_b64 s[14:15]
.Lpost_getpc23748:
	s_add_u32 s14, s14, (.LBB2_18825-.Lpost_getpc23748)&4294967295
	s_addc_u32 s15, s15, (.LBB2_18825-.Lpost_getpc23748)>>32
	s_setpc_b64 s[14:15]
.LBB2_4489:
	s_or_saveexec_b64 s[6:7], s[6:7]
	v_mov_b32_e32 v12, s10
	s_xor_b64 exec, exec, s[6:7]
	s_cbranch_execz .LBB2_4490
; %bb.40331:
	s_getpc_b64 s[14:15]
.Lpost_getpc23749:
	s_add_u32 s14, s14, (.LBB2_18828-.Lpost_getpc23749)&4294967295
	s_addc_u32 s15, s15, (.LBB2_18828-.Lpost_getpc23749)>>32
	s_setpc_b64 s[14:15]
.LBB2_4490:
	s_or_b64 exec, exec, s[6:7]
	s_and_saveexec_b64 s[6:7], s[4:5]
	s_cbranch_execz .LBB2_4492
.LBB2_4491:
	v_bfe_u32 v12, v6, 8, 3
	v_ffbh_u32_e32 v15, v12
	v_min_u32_e32 v15, 32, v15
	v_lshrrev_b16_e32 v14, 3, v13
	v_subrev_u32_e32 v16, 28, v15
	v_and_b32_e32 v14, 15, v14
	v_lshlrev_b32_e32 v13, v16, v13
	v_sub_u32_e32 v15, 29, v15
	v_and_b32_e32 v13, 7, v13
	v_cmp_eq_u16_e32 vcc, 0, v14
	v_cndmask_b32_e32 v12, v12, v13, vcc
	v_cndmask_b32_e32 v13, v14, v15, vcc
	v_lshlrev_b32_e32 v14, 16, v6
	v_mov_b32_e32 v15, 0x3b800000
	v_lshlrev_b32_e32 v12, 20, v12
	v_and_b32_e32 v14, 0x80000000, v14
	v_lshl_add_u32 v13, v13, 23, v15
	v_or3_b32 v12, v14, v13, v12
.LBB2_4492:
	s_or_b64 exec, exec, s[6:7]
	v_lshrrev_b32_e32 v13, 8, v2
	s_movk_i32 s4, 0x7f
	v_cmp_gt_i16_sdwa s[6:7], v13, s4 src0_sel:BYTE_0 src1_sel:DWORD
	s_mov_b64 s[4:5], 0
                                        ; implicit-def: $sgpr10
	s_and_saveexec_b64 s[8:9], s[6:7]
	s_xor_b64 s[6:7], exec, s[8:9]
	s_cbranch_execz .LBB2_4493
; %bb.40333:
	s_getpc_b64 s[14:15]
.Lpost_getpc23750:
	s_add_u32 s14, s14, (.LBB2_18829-.Lpost_getpc23750)&4294967295
	s_addc_u32 s15, s15, (.LBB2_18829-.Lpost_getpc23750)>>32
	s_setpc_b64 s[14:15]
.LBB2_4493:
	s_or_saveexec_b64 s[6:7], s[6:7]
	v_mov_b32_e32 v14, s10
	s_xor_b64 exec, exec, s[6:7]
	s_cbranch_execz .LBB2_4494
; %bb.40335:
	s_getpc_b64 s[14:15]
.Lpost_getpc23751:
	s_add_u32 s14, s14, (.LBB2_18832-.Lpost_getpc23751)&4294967295
	s_addc_u32 s15, s15, (.LBB2_18832-.Lpost_getpc23751)>>32
	s_setpc_b64 s[14:15]
.LBB2_4494:
	s_or_b64 exec, exec, s[6:7]
	s_and_saveexec_b64 s[6:7], s[4:5]
	s_cbranch_execz .LBB2_4496
.LBB2_4495:
	v_bfe_u32 v14, v2, 8, 3
	v_ffbh_u32_e32 v16, v14
	v_min_u32_e32 v16, 32, v16
	v_lshrrev_b16_e32 v15, 3, v13
	v_subrev_u32_e32 v17, 28, v16
	v_and_b32_e32 v15, 15, v15
	v_lshlrev_b32_e32 v13, v17, v13
	v_sub_u32_e32 v16, 29, v16
	v_and_b32_e32 v13, 7, v13
	v_cmp_eq_u16_e32 vcc, 0, v15
	v_cndmask_b32_e32 v13, v14, v13, vcc
	v_cndmask_b32_e32 v14, v15, v16, vcc
	v_lshlrev_b32_e32 v15, 16, v2
	v_mov_b32_e32 v16, 0x3b800000
	v_lshlrev_b32_e32 v13, 20, v13
	v_and_b32_e32 v15, 0x80000000, v15
	v_lshl_add_u32 v14, v14, 23, v16
	v_or3_b32 v14, v15, v14, v13
.LBB2_4496:
	s_or_b64 exec, exec, s[6:7]
	s_nop 0
	v_mfma_f32_16x16x4f32 a[0:3], v12, v14, a[0:3]
	s_movk_i32 s4, 0xff
	v_and_b32_sdwa v13, v6, s4 dst_sel:DWORD dst_unused:UNUSED_PAD src0_sel:WORD_1 src1_sel:DWORD
	s_movk_i32 s4, 0x7f
	v_cmp_lt_i16_e32 vcc, s4, v13
	s_mov_b64 s[4:5], 0
                                        ; implicit-def: $sgpr10
	s_and_saveexec_b64 s[6:7], vcc
	s_xor_b64 s[6:7], exec, s[6:7]
	s_cbranch_execz .LBB2_4497
; %bb.40337:
	s_getpc_b64 s[14:15]
.Lpost_getpc23752:
	s_add_u32 s14, s14, (.LBB2_18833-.Lpost_getpc23752)&4294967295
	s_addc_u32 s15, s15, (.LBB2_18833-.Lpost_getpc23752)>>32
	s_setpc_b64 s[14:15]
.LBB2_4497:
	s_or_saveexec_b64 s[6:7], s[6:7]
	v_mov_b32_e32 v12, s10
	s_xor_b64 exec, exec, s[6:7]
	s_cbranch_execz .LBB2_4498
; %bb.40339:
	s_getpc_b64 s[14:15]
.Lpost_getpc23753:
	s_add_u32 s14, s14, (.LBB2_18836-.Lpost_getpc23753)&4294967295
	s_addc_u32 s15, s15, (.LBB2_18836-.Lpost_getpc23753)>>32
	s_setpc_b64 s[14:15]
.LBB2_4498:
	s_or_b64 exec, exec, s[6:7]
	s_and_saveexec_b64 s[6:7], s[4:5]
	s_cbranch_execz .LBB2_4500
.LBB2_4499:
	v_bfe_u32 v12, v6, 16, 3
	v_ffbh_u32_e32 v15, v12
	v_min_u32_e32 v15, 32, v15
	v_lshrrev_b32_e32 v13, 19, v6
	v_subrev_u32_e32 v16, 28, v15
	v_and_b32_e32 v13, 15, v13
	v_lshlrev_b32_sdwa v16, v16, v6 dst_sel:DWORD dst_unused:UNUSED_PAD src0_sel:DWORD src1_sel:WORD_1
	v_bfe_u32 v14, v6, 19, 4
	v_sub_u32_e32 v15, 29, v15
	v_and_b32_e32 v16, 7, v16
	v_cmp_eq_u16_e32 vcc, 0, v13
	v_cndmask_b32_e32 v12, v12, v16, vcc
	v_cndmask_b32_e32 v13, v14, v15, vcc
	v_lshlrev_b32_e32 v14, 8, v6
	v_mov_b32_e32 v15, 0x3b800000
	v_lshlrev_b32_e32 v12, 20, v12
	v_and_b32_e32 v14, 0x80000000, v14
	v_lshl_add_u32 v13, v13, 23, v15
	v_or3_b32 v12, v14, v13, v12
.LBB2_4500:
	s_or_b64 exec, exec, s[6:7]
	s_movk_i32 s4, 0xff
	v_and_b32_sdwa v13, v2, s4 dst_sel:DWORD dst_unused:UNUSED_PAD src0_sel:WORD_1 src1_sel:DWORD
	s_movk_i32 s4, 0x7f
	v_cmp_lt_i16_e32 vcc, s4, v13
	s_mov_b64 s[4:5], 0
                                        ; implicit-def: $sgpr10
	s_and_saveexec_b64 s[6:7], vcc
	s_xor_b64 s[6:7], exec, s[6:7]
	s_cbranch_execz .LBB2_4501
; %bb.40341:
	s_getpc_b64 s[14:15]
.Lpost_getpc23754:
	s_add_u32 s14, s14, (.LBB2_18837-.Lpost_getpc23754)&4294967295
	s_addc_u32 s15, s15, (.LBB2_18837-.Lpost_getpc23754)>>32
	s_setpc_b64 s[14:15]
.LBB2_4501:
	s_or_saveexec_b64 s[6:7], s[6:7]
	v_mov_b32_e32 v14, s10
	s_xor_b64 exec, exec, s[6:7]
	s_cbranch_execz .LBB2_4502
; %bb.40343:
	s_getpc_b64 s[14:15]
.Lpost_getpc23755:
	s_add_u32 s14, s14, (.LBB2_18840-.Lpost_getpc23755)&4294967295
	s_addc_u32 s15, s15, (.LBB2_18840-.Lpost_getpc23755)>>32
	s_setpc_b64 s[14:15]
.LBB2_4502:
	s_or_b64 exec, exec, s[6:7]
	s_and_saveexec_b64 s[6:7], s[4:5]
	s_cbranch_execz .LBB2_4504
.LBB2_4503:
	v_bfe_u32 v13, v2, 16, 3
	v_ffbh_u32_e32 v16, v13
	v_min_u32_e32 v16, 32, v16
	v_lshrrev_b32_e32 v14, 19, v2
	v_subrev_u32_e32 v17, 28, v16
	v_and_b32_e32 v14, 15, v14
	v_lshlrev_b32_sdwa v17, v17, v2 dst_sel:DWORD dst_unused:UNUSED_PAD src0_sel:DWORD src1_sel:WORD_1
	v_bfe_u32 v15, v2, 19, 4
	v_sub_u32_e32 v16, 29, v16
	v_and_b32_e32 v17, 7, v17
	v_cmp_eq_u16_e32 vcc, 0, v14
	v_cndmask_b32_e32 v13, v13, v17, vcc
	v_cndmask_b32_e32 v14, v15, v16, vcc
	v_lshlrev_b32_e32 v15, 8, v2
	v_mov_b32_e32 v16, 0x3b800000
	v_lshlrev_b32_e32 v13, 20, v13
	v_and_b32_e32 v15, 0x80000000, v15
	v_lshl_add_u32 v14, v14, 23, v16
	v_or3_b32 v14, v15, v14, v13
.LBB2_4504:
	s_or_b64 exec, exec, s[6:7]
	s_nop 0
	v_mfma_f32_16x16x4f32 a[0:3], v12, v14, a[0:3]
	s_movk_i32 s4, 0x7f
	v_cmp_gt_i16_sdwa s[6:7], v6, s4 src0_sel:BYTE_3 src1_sel:DWORD
	s_mov_b64 s[4:5], 0
                                        ; implicit-def: $sgpr10
	s_and_saveexec_b64 s[8:9], s[6:7]
	s_xor_b64 s[6:7], exec, s[8:9]
	s_cbranch_execz .LBB2_4505
; %bb.40345:
	s_getpc_b64 s[14:15]
.Lpost_getpc23756:
	s_add_u32 s14, s14, (.LBB2_18841-.Lpost_getpc23756)&4294967295
	s_addc_u32 s15, s15, (.LBB2_18841-.Lpost_getpc23756)>>32
	s_setpc_b64 s[14:15]
.LBB2_4505:
	s_or_saveexec_b64 s[6:7], s[6:7]
	v_mov_b32_e32 v12, s10
	s_xor_b64 exec, exec, s[6:7]
	s_cbranch_execz .LBB2_4506
; %bb.40347:
	s_getpc_b64 s[14:15]
.Lpost_getpc23757:
	s_add_u32 s14, s14, (.LBB2_18844-.Lpost_getpc23757)&4294967295
	s_addc_u32 s15, s15, (.LBB2_18844-.Lpost_getpc23757)>>32
	s_setpc_b64 s[14:15]
.LBB2_4506:
	s_or_b64 exec, exec, s[6:7]
	s_and_saveexec_b64 s[6:7], s[4:5]
	s_cbranch_execz .LBB2_4508
.LBB2_4507:
	v_bfe_u32 v12, v6, 24, 3
	v_ffbh_u32_e32 v16, v12
	v_min_u32_e32 v16, 32, v16
	v_lshrrev_b32_e32 v14, 27, v6
	v_subrev_u32_e32 v17, 28, v16
	v_and_b32_e32 v13, 0x80000000, v6
	v_and_b32_e32 v14, 15, v14
	v_bfe_u32 v15, v6, 27, 4
	v_lshlrev_b32_sdwa v6, v17, v6 dst_sel:DWORD dst_unused:UNUSED_PAD src0_sel:DWORD src1_sel:BYTE_3
	v_sub_u32_e32 v16, 29, v16
	v_and_b32_e32 v6, 7, v6
	v_cmp_eq_u16_e32 vcc, 0, v14
	v_cndmask_b32_e32 v6, v12, v6, vcc
	v_cndmask_b32_e32 v12, v15, v16, vcc
	v_mov_b32_e32 v14, 0x3b800000
	v_lshlrev_b32_e32 v6, 20, v6
	v_lshl_add_u32 v12, v12, 23, v14
	v_or3_b32 v12, v13, v12, v6
.LBB2_4508:
	s_or_b64 exec, exec, s[6:7]
	s_movk_i32 s4, 0x7f
	v_cmp_gt_i16_sdwa s[6:7], v2, s4 src0_sel:BYTE_3 src1_sel:DWORD
	s_mov_b64 s[4:5], 0
                                        ; implicit-def: $sgpr10
	s_and_saveexec_b64 s[8:9], s[6:7]
	s_xor_b64 s[6:7], exec, s[8:9]
	s_cbranch_execz .LBB2_4509
; %bb.40349:
	s_getpc_b64 s[14:15]
.Lpost_getpc23758:
	s_add_u32 s14, s14, (.LBB2_18845-.Lpost_getpc23758)&4294967295
	s_addc_u32 s15, s15, (.LBB2_18845-.Lpost_getpc23758)>>32
	s_setpc_b64 s[14:15]
.LBB2_4509:
	s_or_saveexec_b64 s[6:7], s[6:7]
	v_mov_b32_e32 v6, s10
	s_xor_b64 exec, exec, s[6:7]
	s_cbranch_execz .LBB2_4510
; %bb.40351:
	s_getpc_b64 s[14:15]
.Lpost_getpc23759:
	s_add_u32 s14, s14, (.LBB2_18848-.Lpost_getpc23759)&4294967295
	s_addc_u32 s15, s15, (.LBB2_18848-.Lpost_getpc23759)>>32
	s_setpc_b64 s[14:15]
.LBB2_4510:
	s_or_b64 exec, exec, s[6:7]
	s_and_saveexec_b64 s[6:7], s[4:5]
	s_cbranch_execz .LBB2_4512
.LBB2_4511:
	v_bfe_u32 v6, v2, 24, 3
	v_ffbh_u32_e32 v16, v6
	v_min_u32_e32 v16, 32, v16
	v_lshrrev_b32_e32 v14, 27, v2
	v_subrev_u32_e32 v17, 28, v16
	v_and_b32_e32 v13, 0x80000000, v2
	v_and_b32_e32 v14, 15, v14
	v_bfe_u32 v15, v2, 27, 4
	v_lshlrev_b32_sdwa v2, v17, v2 dst_sel:DWORD dst_unused:UNUSED_PAD src0_sel:DWORD src1_sel:BYTE_3
	v_sub_u32_e32 v16, 29, v16
	v_and_b32_e32 v2, 7, v2
	v_cmp_eq_u16_e32 vcc, 0, v14
	v_cndmask_b32_e32 v2, v6, v2, vcc
	v_cndmask_b32_e32 v6, v15, v16, vcc
	v_mov_b32_e32 v14, 0x3b800000
	v_lshlrev_b32_e32 v2, 20, v2
	v_lshl_add_u32 v6, v6, 23, v14
	v_or3_b32 v6, v13, v6, v2
.LBB2_4512:
	s_or_b64 exec, exec, s[6:7]
	s_nop 0
	v_mfma_f32_16x16x4f32 a[0:3], v12, v6, a[0:3]
	s_movk_i32 s4, 0x7f
	v_cmp_gt_i16_sdwa s[6:7], v7, s4 src0_sel:BYTE_0 src1_sel:DWORD
	s_mov_b64 s[4:5], 0
                                        ; implicit-def: $sgpr10
	s_and_saveexec_b64 s[8:9], s[6:7]
	s_xor_b64 s[6:7], exec, s[8:9]
	s_cbranch_execz .LBB2_4513
; %bb.40353:
	s_getpc_b64 s[14:15]
.Lpost_getpc23760:
	s_add_u32 s14, s14, (.LBB2_18849-.Lpost_getpc23760)&4294967295
	s_addc_u32 s15, s15, (.LBB2_18849-.Lpost_getpc23760)>>32
	s_setpc_b64 s[14:15]
.LBB2_4513:
	s_or_saveexec_b64 s[6:7], s[6:7]
	v_mov_b32_e32 v2, s10
	s_xor_b64 exec, exec, s[6:7]
	s_cbranch_execz .LBB2_4514
; %bb.40355:
	s_getpc_b64 s[14:15]
.Lpost_getpc23761:
	s_add_u32 s14, s14, (.LBB2_18852-.Lpost_getpc23761)&4294967295
	s_addc_u32 s15, s15, (.LBB2_18852-.Lpost_getpc23761)>>32
	s_setpc_b64 s[14:15]
.LBB2_4514:
	s_or_b64 exec, exec, s[6:7]
	s_and_saveexec_b64 s[6:7], s[4:5]
	s_cbranch_execz .LBB2_4516
.LBB2_4515:
	v_and_b32_e32 v2, 7, v7
	v_ffbh_u32_e32 v12, v2
	v_min_u32_e32 v12, 32, v12
	v_lshrrev_b16_e32 v6, 3, v7
	v_subrev_u32_e32 v13, 28, v12
	v_and_b32_e32 v6, 15, v6
	v_lshlrev_b32_e32 v13, v13, v7
	v_sub_u32_e32 v12, 29, v12
	v_and_b32_e32 v13, 7, v13
	v_cmp_eq_u16_e32 vcc, 0, v6
	v_cndmask_b32_e32 v2, v2, v13, vcc
	v_cndmask_b32_e32 v6, v6, v12, vcc
	v_lshlrev_b32_e32 v12, 24, v7
	v_mov_b32_e32 v13, 0x3b800000
	v_lshlrev_b32_e32 v2, 20, v2
	v_and_b32_e32 v12, 0x80000000, v12
	v_lshl_add_u32 v6, v6, 23, v13
	v_or3_b32 v2, v12, v6, v2
.LBB2_4516:
	s_or_b64 exec, exec, s[6:7]
	s_movk_i32 s4, 0x7f
	v_cmp_gt_i16_sdwa s[6:7], v3, s4 src0_sel:BYTE_0 src1_sel:DWORD
	s_mov_b64 s[4:5], 0
                                        ; implicit-def: $sgpr10
	s_and_saveexec_b64 s[8:9], s[6:7]
	s_xor_b64 s[6:7], exec, s[8:9]
	s_cbranch_execz .LBB2_4517
; %bb.40357:
	s_getpc_b64 s[14:15]
.Lpost_getpc23762:
	s_add_u32 s14, s14, (.LBB2_18853-.Lpost_getpc23762)&4294967295
	s_addc_u32 s15, s15, (.LBB2_18853-.Lpost_getpc23762)>>32
	s_setpc_b64 s[14:15]
.LBB2_4517:
	s_or_saveexec_b64 s[6:7], s[6:7]
	v_mov_b32_e32 v6, s10
	s_xor_b64 exec, exec, s[6:7]
	s_cbranch_execz .LBB2_4518
; %bb.40359:
	s_getpc_b64 s[14:15]
.Lpost_getpc23763:
	s_add_u32 s14, s14, (.LBB2_18856-.Lpost_getpc23763)&4294967295
	s_addc_u32 s15, s15, (.LBB2_18856-.Lpost_getpc23763)>>32
	s_setpc_b64 s[14:15]
.LBB2_4518:
	s_or_b64 exec, exec, s[6:7]
	s_and_saveexec_b64 s[6:7], s[4:5]
	s_cbranch_execz .LBB2_4520
.LBB2_4519:
	v_and_b32_e32 v6, 7, v3
	v_ffbh_u32_e32 v13, v6
	v_min_u32_e32 v13, 32, v13
	v_lshrrev_b16_e32 v12, 3, v3
	v_subrev_u32_e32 v14, 28, v13
	v_and_b32_e32 v12, 15, v12
	v_lshlrev_b32_e32 v14, v14, v3
	v_sub_u32_e32 v13, 29, v13
	v_and_b32_e32 v14, 7, v14
	v_cmp_eq_u16_e32 vcc, 0, v12
	v_cndmask_b32_e32 v6, v6, v14, vcc
	v_cndmask_b32_e32 v12, v12, v13, vcc
	v_lshlrev_b32_e32 v13, 24, v3
	v_mov_b32_e32 v14, 0x3b800000
	v_lshlrev_b32_e32 v6, 20, v6
	v_and_b32_e32 v13, 0x80000000, v13
	v_lshl_add_u32 v12, v12, 23, v14
	v_or3_b32 v6, v13, v12, v6
.LBB2_4520:
	s_or_b64 exec, exec, s[6:7]
	s_nop 0
	v_mfma_f32_16x16x4f32 a[0:3], v2, v6, a[0:3]
	v_lshrrev_b32_e32 v6, 8, v7
	s_movk_i32 s4, 0x7f
	v_cmp_gt_i16_sdwa s[6:7], v6, s4 src0_sel:BYTE_0 src1_sel:DWORD
	s_mov_b64 s[4:5], 0
                                        ; implicit-def: $sgpr10
	s_and_saveexec_b64 s[8:9], s[6:7]
	s_xor_b64 s[6:7], exec, s[8:9]
	s_cbranch_execz .LBB2_4521
; %bb.40361:
	s_getpc_b64 s[14:15]
.Lpost_getpc23764:
	s_add_u32 s14, s14, (.LBB2_18857-.Lpost_getpc23764)&4294967295
	s_addc_u32 s15, s15, (.LBB2_18857-.Lpost_getpc23764)>>32
	s_setpc_b64 s[14:15]
.LBB2_4521:
	s_or_saveexec_b64 s[6:7], s[6:7]
	v_mov_b32_e32 v2, s10
	s_xor_b64 exec, exec, s[6:7]
	s_cbranch_execz .LBB2_4522
; %bb.40363:
	s_getpc_b64 s[14:15]
.Lpost_getpc23765:
	s_add_u32 s14, s14, (.LBB2_18860-.Lpost_getpc23765)&4294967295
	s_addc_u32 s15, s15, (.LBB2_18860-.Lpost_getpc23765)>>32
	s_setpc_b64 s[14:15]
.LBB2_4522:
	s_or_b64 exec, exec, s[6:7]
	s_and_saveexec_b64 s[6:7], s[4:5]
	s_cbranch_execz .LBB2_4524
.LBB2_4523:
	v_bfe_u32 v2, v7, 8, 3
	v_ffbh_u32_e32 v13, v2
	v_min_u32_e32 v13, 32, v13
	v_lshrrev_b16_e32 v12, 3, v6
	v_subrev_u32_e32 v14, 28, v13
	v_and_b32_e32 v12, 15, v12
	v_lshlrev_b32_e32 v6, v14, v6
	v_sub_u32_e32 v13, 29, v13
	v_and_b32_e32 v6, 7, v6
	v_cmp_eq_u16_e32 vcc, 0, v12
	v_cndmask_b32_e32 v2, v2, v6, vcc
	v_cndmask_b32_e32 v6, v12, v13, vcc
	v_lshlrev_b32_e32 v12, 16, v7
	v_mov_b32_e32 v13, 0x3b800000
	v_lshlrev_b32_e32 v2, 20, v2
	v_and_b32_e32 v12, 0x80000000, v12
	v_lshl_add_u32 v6, v6, 23, v13
	v_or3_b32 v2, v12, v6, v2
.LBB2_4524:
	s_or_b64 exec, exec, s[6:7]
	v_lshrrev_b32_e32 v6, 8, v3
	s_movk_i32 s4, 0x7f
	v_cmp_gt_i16_sdwa s[6:7], v6, s4 src0_sel:BYTE_0 src1_sel:DWORD
	s_mov_b64 s[4:5], 0
                                        ; implicit-def: $sgpr10
	s_and_saveexec_b64 s[8:9], s[6:7]
	s_xor_b64 s[6:7], exec, s[8:9]
	s_cbranch_execz .LBB2_4525
; %bb.40365:
	s_getpc_b64 s[14:15]
.Lpost_getpc23766:
	s_add_u32 s14, s14, (.LBB2_18861-.Lpost_getpc23766)&4294967295
	s_addc_u32 s15, s15, (.LBB2_18861-.Lpost_getpc23766)>>32
	s_setpc_b64 s[14:15]
.LBB2_4525:
	s_or_saveexec_b64 s[6:7], s[6:7]
	v_mov_b32_e32 v12, s10
	s_xor_b64 exec, exec, s[6:7]
	s_cbranch_execz .LBB2_4526
; %bb.40367:
	s_getpc_b64 s[14:15]
.Lpost_getpc23767:
	s_add_u32 s14, s14, (.LBB2_18864-.Lpost_getpc23767)&4294967295
	s_addc_u32 s15, s15, (.LBB2_18864-.Lpost_getpc23767)>>32
	s_setpc_b64 s[14:15]
.LBB2_4526:
	s_or_b64 exec, exec, s[6:7]
	s_and_saveexec_b64 s[6:7], s[4:5]
	s_cbranch_execz .LBB2_4528
.LBB2_4527:
	v_bfe_u32 v12, v3, 8, 3
	v_ffbh_u32_e32 v14, v12
	v_min_u32_e32 v14, 32, v14
	v_lshrrev_b16_e32 v13, 3, v6
	v_subrev_u32_e32 v15, 28, v14
	v_and_b32_e32 v13, 15, v13
	v_lshlrev_b32_e32 v6, v15, v6
	v_sub_u32_e32 v14, 29, v14
	v_and_b32_e32 v6, 7, v6
	v_cmp_eq_u16_e32 vcc, 0, v13
	v_cndmask_b32_e32 v6, v12, v6, vcc
	v_cndmask_b32_e32 v12, v13, v14, vcc
	v_lshlrev_b32_e32 v13, 16, v3
	v_mov_b32_e32 v14, 0x3b800000
	v_lshlrev_b32_e32 v6, 20, v6
	v_and_b32_e32 v13, 0x80000000, v13
	v_lshl_add_u32 v12, v12, 23, v14
	v_or3_b32 v12, v13, v12, v6
.LBB2_4528:
	s_or_b64 exec, exec, s[6:7]
	s_nop 0
	v_mfma_f32_16x16x4f32 a[0:3], v2, v12, a[0:3]
	s_movk_i32 s4, 0xff
	v_and_b32_sdwa v6, v7, s4 dst_sel:DWORD dst_unused:UNUSED_PAD src0_sel:WORD_1 src1_sel:DWORD
	s_movk_i32 s4, 0x7f
	v_cmp_lt_i16_e32 vcc, s4, v6
	s_mov_b64 s[4:5], 0
                                        ; implicit-def: $sgpr10
	s_and_saveexec_b64 s[6:7], vcc
	s_xor_b64 s[6:7], exec, s[6:7]
	s_cbranch_execz .LBB2_4529
; %bb.40369:
	s_getpc_b64 s[14:15]
.Lpost_getpc23768:
	s_add_u32 s14, s14, (.LBB2_18865-.Lpost_getpc23768)&4294967295
	s_addc_u32 s15, s15, (.LBB2_18865-.Lpost_getpc23768)>>32
	s_setpc_b64 s[14:15]
.LBB2_4529:
	s_or_saveexec_b64 s[6:7], s[6:7]
	v_mov_b32_e32 v2, s10
	s_xor_b64 exec, exec, s[6:7]
	s_cbranch_execz .LBB2_4530
; %bb.40371:
	s_getpc_b64 s[14:15]
.Lpost_getpc23769:
	s_add_u32 s14, s14, (.LBB2_18868-.Lpost_getpc23769)&4294967295
	s_addc_u32 s15, s15, (.LBB2_18868-.Lpost_getpc23769)>>32
	s_setpc_b64 s[14:15]
.LBB2_4530:
	s_or_b64 exec, exec, s[6:7]
	s_and_saveexec_b64 s[6:7], s[4:5]
	s_cbranch_execz .LBB2_4532
.LBB2_4531:
	v_bfe_u32 v2, v7, 16, 3
	v_ffbh_u32_e32 v13, v2
	v_min_u32_e32 v13, 32, v13
	v_lshrrev_b32_e32 v6, 19, v7
	v_subrev_u32_e32 v14, 28, v13
	v_and_b32_e32 v6, 15, v6
	v_lshlrev_b32_sdwa v14, v14, v7 dst_sel:DWORD dst_unused:UNUSED_PAD src0_sel:DWORD src1_sel:WORD_1
	v_bfe_u32 v12, v7, 19, 4
	v_sub_u32_e32 v13, 29, v13
	v_and_b32_e32 v14, 7, v14
	v_cmp_eq_u16_e32 vcc, 0, v6
	v_cndmask_b32_e32 v2, v2, v14, vcc
	v_cndmask_b32_e32 v6, v12, v13, vcc
	v_lshlrev_b32_e32 v12, 8, v7
	v_mov_b32_e32 v13, 0x3b800000
	v_lshlrev_b32_e32 v2, 20, v2
	v_and_b32_e32 v12, 0x80000000, v12
	v_lshl_add_u32 v6, v6, 23, v13
	v_or3_b32 v2, v12, v6, v2
.LBB2_4532:
	s_or_b64 exec, exec, s[6:7]
	s_movk_i32 s4, 0xff
	v_and_b32_sdwa v6, v3, s4 dst_sel:DWORD dst_unused:UNUSED_PAD src0_sel:WORD_1 src1_sel:DWORD
	s_movk_i32 s4, 0x7f
	v_cmp_lt_i16_e32 vcc, s4, v6
	s_mov_b64 s[4:5], 0
                                        ; implicit-def: $sgpr10
	s_and_saveexec_b64 s[6:7], vcc
	s_xor_b64 s[6:7], exec, s[6:7]
	s_cbranch_execz .LBB2_4533
; %bb.40373:
	s_getpc_b64 s[14:15]
.Lpost_getpc23770:
	s_add_u32 s14, s14, (.LBB2_18869-.Lpost_getpc23770)&4294967295
	s_addc_u32 s15, s15, (.LBB2_18869-.Lpost_getpc23770)>>32
	s_setpc_b64 s[14:15]
.LBB2_4533:
	s_or_saveexec_b64 s[6:7], s[6:7]
	v_mov_b32_e32 v12, s10
	s_xor_b64 exec, exec, s[6:7]
	s_cbranch_execz .LBB2_4534
; %bb.40375:
	s_getpc_b64 s[14:15]
.Lpost_getpc23771:
	s_add_u32 s14, s14, (.LBB2_18872-.Lpost_getpc23771)&4294967295
	s_addc_u32 s15, s15, (.LBB2_18872-.Lpost_getpc23771)>>32
	s_setpc_b64 s[14:15]
.LBB2_4534:
	s_or_b64 exec, exec, s[6:7]
	s_and_saveexec_b64 s[6:7], s[4:5]
	s_cbranch_execz .LBB2_4536
.LBB2_4535:
	v_bfe_u32 v6, v3, 16, 3
	v_ffbh_u32_e32 v14, v6
	v_min_u32_e32 v14, 32, v14
	v_lshrrev_b32_e32 v12, 19, v3
	v_subrev_u32_e32 v15, 28, v14
	v_and_b32_e32 v12, 15, v12
	v_lshlrev_b32_sdwa v15, v15, v3 dst_sel:DWORD dst_unused:UNUSED_PAD src0_sel:DWORD src1_sel:WORD_1
	v_bfe_u32 v13, v3, 19, 4
	v_sub_u32_e32 v14, 29, v14
	v_and_b32_e32 v15, 7, v15
	v_cmp_eq_u16_e32 vcc, 0, v12
	v_cndmask_b32_e32 v6, v6, v15, vcc
	v_cndmask_b32_e32 v12, v13, v14, vcc
	v_lshlrev_b32_e32 v13, 8, v3
	v_mov_b32_e32 v14, 0x3b800000
	v_lshlrev_b32_e32 v6, 20, v6
	v_and_b32_e32 v13, 0x80000000, v13
	v_lshl_add_u32 v12, v12, 23, v14
	v_or3_b32 v12, v13, v12, v6
.LBB2_4536:
	s_or_b64 exec, exec, s[6:7]
	s_nop 0
	v_mfma_f32_16x16x4f32 a[0:3], v2, v12, a[0:3]
	s_movk_i32 s4, 0x7f
	v_cmp_gt_i16_sdwa s[6:7], v7, s4 src0_sel:BYTE_3 src1_sel:DWORD
	s_mov_b64 s[4:5], 0
                                        ; implicit-def: $sgpr10
	s_and_saveexec_b64 s[8:9], s[6:7]
	s_xor_b64 s[6:7], exec, s[8:9]
	s_cbranch_execz .LBB2_4537
; %bb.40377:
	s_getpc_b64 s[14:15]
.Lpost_getpc23772:
	s_add_u32 s14, s14, (.LBB2_18873-.Lpost_getpc23772)&4294967295
	s_addc_u32 s15, s15, (.LBB2_18873-.Lpost_getpc23772)>>32
	s_setpc_b64 s[14:15]
.LBB2_4537:
	s_or_saveexec_b64 s[6:7], s[6:7]
	v_mov_b32_e32 v2, s10
	s_xor_b64 exec, exec, s[6:7]
	s_cbranch_execz .LBB2_4538
; %bb.40379:
	s_getpc_b64 s[14:15]
.Lpost_getpc23773:
	s_add_u32 s14, s14, (.LBB2_18876-.Lpost_getpc23773)&4294967295
	s_addc_u32 s15, s15, (.LBB2_18876-.Lpost_getpc23773)>>32
	s_setpc_b64 s[14:15]
.LBB2_4538:
	s_or_b64 exec, exec, s[6:7]
	s_and_saveexec_b64 s[6:7], s[4:5]
	s_cbranch_execz .LBB2_4540
.LBB2_4539:
	v_bfe_u32 v2, v7, 24, 3
	v_ffbh_u32_e32 v14, v2
	v_min_u32_e32 v14, 32, v14
	v_lshrrev_b32_e32 v12, 27, v7
	v_subrev_u32_e32 v15, 28, v14
	v_and_b32_e32 v6, 0x80000000, v7
	v_and_b32_e32 v12, 15, v12
	v_bfe_u32 v13, v7, 27, 4
	v_lshlrev_b32_sdwa v7, v15, v7 dst_sel:DWORD dst_unused:UNUSED_PAD src0_sel:DWORD src1_sel:BYTE_3
	v_sub_u32_e32 v14, 29, v14
	v_and_b32_e32 v7, 7, v7
	v_cmp_eq_u16_e32 vcc, 0, v12
	v_cndmask_b32_e32 v2, v2, v7, vcc
	v_cndmask_b32_e32 v7, v13, v14, vcc
	v_mov_b32_e32 v12, 0x3b800000
	v_lshlrev_b32_e32 v2, 20, v2
	v_lshl_add_u32 v7, v7, 23, v12
	v_or3_b32 v2, v6, v7, v2
.LBB2_4540:
	s_or_b64 exec, exec, s[6:7]
	s_movk_i32 s4, 0x7f
	v_cmp_gt_i16_sdwa s[6:7], v3, s4 src0_sel:BYTE_3 src1_sel:DWORD
	s_mov_b64 s[4:5], 0
                                        ; implicit-def: $sgpr10
	s_and_saveexec_b64 s[8:9], s[6:7]
	s_xor_b64 s[6:7], exec, s[8:9]
	s_cbranch_execz .LBB2_4541
; %bb.40381:
	s_getpc_b64 s[14:15]
.Lpost_getpc23774:
	s_add_u32 s14, s14, (.LBB2_18877-.Lpost_getpc23774)&4294967295
	s_addc_u32 s15, s15, (.LBB2_18877-.Lpost_getpc23774)>>32
	s_setpc_b64 s[14:15]
.LBB2_4541:
	s_or_saveexec_b64 s[6:7], s[6:7]
	v_mov_b32_e32 v6, s10
	s_xor_b64 exec, exec, s[6:7]
	s_cbranch_execz .LBB2_4542
; %bb.40383:
	s_getpc_b64 s[14:15]
.Lpost_getpc23775:
	s_add_u32 s14, s14, (.LBB2_18880-.Lpost_getpc23775)&4294967295
	s_addc_u32 s15, s15, (.LBB2_18880-.Lpost_getpc23775)>>32
	s_setpc_b64 s[14:15]
.LBB2_4542:
	s_or_b64 exec, exec, s[6:7]
	s_and_saveexec_b64 s[6:7], s[4:5]
	s_cbranch_execz .LBB2_4544
.LBB2_4543:
	v_bfe_u32 v6, v3, 24, 3
	v_ffbh_u32_e32 v14, v6
	v_min_u32_e32 v14, 32, v14
	v_lshrrev_b32_e32 v12, 27, v3
	v_subrev_u32_e32 v15, 28, v14
	v_and_b32_e32 v7, 0x80000000, v3
	v_and_b32_e32 v12, 15, v12
	v_bfe_u32 v13, v3, 27, 4
	v_lshlrev_b32_sdwa v3, v15, v3 dst_sel:DWORD dst_unused:UNUSED_PAD src0_sel:DWORD src1_sel:BYTE_3
	v_sub_u32_e32 v14, 29, v14
	v_and_b32_e32 v3, 7, v3
	v_cmp_eq_u16_e32 vcc, 0, v12
	v_cndmask_b32_e32 v3, v6, v3, vcc
	v_cndmask_b32_e32 v6, v13, v14, vcc
	v_mov_b32_e32 v12, 0x3b800000
	v_lshlrev_b32_e32 v3, 20, v3
	v_lshl_add_u32 v6, v6, 23, v12
	v_or3_b32 v6, v7, v6, v3
.LBB2_4544:
	s_or_b64 exec, exec, s[6:7]
	s_nop 0
	v_mfma_f32_16x16x4f32 a[0:3], v2, v6, a[0:3]
	s_movk_i32 s4, 0x7f
	v_cmp_gt_i16_sdwa s[6:7], v8, s4 src0_sel:BYTE_0 src1_sel:DWORD
	s_mov_b64 s[4:5], 0
                                        ; implicit-def: $sgpr10
	s_and_saveexec_b64 s[8:9], s[6:7]
	s_xor_b64 s[6:7], exec, s[8:9]
	s_cbranch_execz .LBB2_4545
; %bb.40385:
	s_getpc_b64 s[14:15]
.Lpost_getpc23776:
	s_add_u32 s14, s14, (.LBB2_18881-.Lpost_getpc23776)&4294967295
	s_addc_u32 s15, s15, (.LBB2_18881-.Lpost_getpc23776)>>32
	s_setpc_b64 s[14:15]
.LBB2_4545:
	s_or_saveexec_b64 s[6:7], s[6:7]
	v_mov_b32_e32 v2, s10
	s_xor_b64 exec, exec, s[6:7]
	s_cbranch_execz .LBB2_4546
; %bb.40387:
	s_getpc_b64 s[14:15]
.Lpost_getpc23777:
	s_add_u32 s14, s14, (.LBB2_18884-.Lpost_getpc23777)&4294967295
	s_addc_u32 s15, s15, (.LBB2_18884-.Lpost_getpc23777)>>32
	s_setpc_b64 s[14:15]
.LBB2_4546:
	s_or_b64 exec, exec, s[6:7]
	s_and_saveexec_b64 s[6:7], s[4:5]
	s_cbranch_execz .LBB2_4548
.LBB2_4547:
	v_and_b32_e32 v2, 7, v8
	v_ffbh_u32_e32 v6, v2
	v_min_u32_e32 v6, 32, v6
	v_lshrrev_b16_e32 v3, 3, v8
	v_subrev_u32_e32 v7, 28, v6
	v_and_b32_e32 v3, 15, v3
	v_lshlrev_b32_e32 v7, v7, v8
	v_sub_u32_e32 v6, 29, v6
	v_and_b32_e32 v7, 7, v7
	v_cmp_eq_u16_e32 vcc, 0, v3
	v_cndmask_b32_e32 v2, v2, v7, vcc
	v_cndmask_b32_e32 v3, v3, v6, vcc
	v_lshlrev_b32_e32 v6, 24, v8
	v_mov_b32_e32 v7, 0x3b800000
	v_lshlrev_b32_e32 v2, 20, v2
	v_and_b32_e32 v6, 0x80000000, v6
	v_lshl_add_u32 v3, v3, 23, v7
	v_or3_b32 v2, v6, v3, v2
.LBB2_4548:
	s_or_b64 exec, exec, s[6:7]
	s_movk_i32 s4, 0x7f
	v_cmp_gt_i16_sdwa s[6:7], v4, s4 src0_sel:BYTE_0 src1_sel:DWORD
	s_mov_b64 s[4:5], 0
                                        ; implicit-def: $sgpr10
	s_and_saveexec_b64 s[8:9], s[6:7]
	s_xor_b64 s[6:7], exec, s[8:9]
	s_cbranch_execz .LBB2_4549
; %bb.40389:
	s_getpc_b64 s[14:15]
.Lpost_getpc23778:
	s_add_u32 s14, s14, (.LBB2_18885-.Lpost_getpc23778)&4294967295
	s_addc_u32 s15, s15, (.LBB2_18885-.Lpost_getpc23778)>>32
	s_setpc_b64 s[14:15]
.LBB2_4549:
	s_or_saveexec_b64 s[6:7], s[6:7]
	v_mov_b32_e32 v3, s10
	s_xor_b64 exec, exec, s[6:7]
	s_cbranch_execz .LBB2_4550
; %bb.40391:
	s_getpc_b64 s[14:15]
.Lpost_getpc23779:
	s_add_u32 s14, s14, (.LBB2_18888-.Lpost_getpc23779)&4294967295
	s_addc_u32 s15, s15, (.LBB2_18888-.Lpost_getpc23779)>>32
	s_setpc_b64 s[14:15]
.LBB2_4550:
	s_or_b64 exec, exec, s[6:7]
	s_and_saveexec_b64 s[6:7], s[4:5]
	s_cbranch_execz .LBB2_4552
.LBB2_4551:
	v_and_b32_e32 v3, 7, v4
	v_ffbh_u32_e32 v7, v3
	v_min_u32_e32 v7, 32, v7
	v_lshrrev_b16_e32 v6, 3, v4
	v_subrev_u32_e32 v12, 28, v7
	v_and_b32_e32 v6, 15, v6
	v_lshlrev_b32_e32 v12, v12, v4
	v_sub_u32_e32 v7, 29, v7
	v_and_b32_e32 v12, 7, v12
	v_cmp_eq_u16_e32 vcc, 0, v6
	v_cndmask_b32_e32 v3, v3, v12, vcc
	v_cndmask_b32_e32 v6, v6, v7, vcc
	v_lshlrev_b32_e32 v7, 24, v4
	v_mov_b32_e32 v12, 0x3b800000
	v_lshlrev_b32_e32 v3, 20, v3
	v_and_b32_e32 v7, 0x80000000, v7
	v_lshl_add_u32 v6, v6, 23, v12
	v_or3_b32 v3, v7, v6, v3
.LBB2_4552:
	s_or_b64 exec, exec, s[6:7]
	s_nop 0
	v_mfma_f32_16x16x4f32 a[0:3], v2, v3, a[0:3]
	v_lshrrev_b32_e32 v3, 8, v8
	s_movk_i32 s4, 0x7f
	v_cmp_gt_i16_sdwa s[6:7], v3, s4 src0_sel:BYTE_0 src1_sel:DWORD
	s_mov_b64 s[4:5], 0
                                        ; implicit-def: $sgpr10
	s_and_saveexec_b64 s[8:9], s[6:7]
	s_xor_b64 s[6:7], exec, s[8:9]
	s_cbranch_execz .LBB2_4553
; %bb.40393:
	s_getpc_b64 s[14:15]
.Lpost_getpc23780:
	s_add_u32 s14, s14, (.LBB2_18889-.Lpost_getpc23780)&4294967295
	s_addc_u32 s15, s15, (.LBB2_18889-.Lpost_getpc23780)>>32
	s_setpc_b64 s[14:15]
.LBB2_4553:
	s_or_saveexec_b64 s[6:7], s[6:7]
	v_mov_b32_e32 v2, s10
	s_xor_b64 exec, exec, s[6:7]
	s_cbranch_execz .LBB2_4554
; %bb.40395:
	s_getpc_b64 s[14:15]
.Lpost_getpc23781:
	s_add_u32 s14, s14, (.LBB2_18892-.Lpost_getpc23781)&4294967295
	s_addc_u32 s15, s15, (.LBB2_18892-.Lpost_getpc23781)>>32
	s_setpc_b64 s[14:15]
.LBB2_4554:
	s_or_b64 exec, exec, s[6:7]
	s_and_saveexec_b64 s[6:7], s[4:5]
	s_cbranch_execz .LBB2_4556
.LBB2_4555:
	v_bfe_u32 v2, v8, 8, 3
	v_ffbh_u32_e32 v7, v2
	v_min_u32_e32 v7, 32, v7
	v_lshrrev_b16_e32 v6, 3, v3
	v_subrev_u32_e32 v12, 28, v7
	v_and_b32_e32 v6, 15, v6
	v_lshlrev_b32_e32 v3, v12, v3
	v_sub_u32_e32 v7, 29, v7
	v_and_b32_e32 v3, 7, v3
	v_cmp_eq_u16_e32 vcc, 0, v6
	v_cndmask_b32_e32 v2, v2, v3, vcc
	v_cndmask_b32_e32 v3, v6, v7, vcc
	v_lshlrev_b32_e32 v6, 16, v8
	v_mov_b32_e32 v7, 0x3b800000
	v_lshlrev_b32_e32 v2, 20, v2
	v_and_b32_e32 v6, 0x80000000, v6
	v_lshl_add_u32 v3, v3, 23, v7
	v_or3_b32 v2, v6, v3, v2
.LBB2_4556:
	s_or_b64 exec, exec, s[6:7]
	v_lshrrev_b32_e32 v3, 8, v4
	s_movk_i32 s4, 0x7f
	v_cmp_gt_i16_sdwa s[6:7], v3, s4 src0_sel:BYTE_0 src1_sel:DWORD
	s_mov_b64 s[4:5], 0
                                        ; implicit-def: $sgpr10
	s_and_saveexec_b64 s[8:9], s[6:7]
	s_xor_b64 s[6:7], exec, s[8:9]
	s_cbranch_execz .LBB2_4557
; %bb.40397:
	s_getpc_b64 s[14:15]
.Lpost_getpc23782:
	s_add_u32 s14, s14, (.LBB2_18893-.Lpost_getpc23782)&4294967295
	s_addc_u32 s15, s15, (.LBB2_18893-.Lpost_getpc23782)>>32
	s_setpc_b64 s[14:15]
.LBB2_4557:
	s_or_saveexec_b64 s[6:7], s[6:7]
	v_mov_b32_e32 v6, s10
	s_xor_b64 exec, exec, s[6:7]
	s_cbranch_execz .LBB2_4558
; %bb.40399:
	s_getpc_b64 s[14:15]
.Lpost_getpc23783:
	s_add_u32 s14, s14, (.LBB2_18896-.Lpost_getpc23783)&4294967295
	s_addc_u32 s15, s15, (.LBB2_18896-.Lpost_getpc23783)>>32
	s_setpc_b64 s[14:15]
.LBB2_4558:
	s_or_b64 exec, exec, s[6:7]
	s_and_saveexec_b64 s[6:7], s[4:5]
	s_cbranch_execz .LBB2_4560
.LBB2_4559:
	v_bfe_u32 v6, v4, 8, 3
	v_ffbh_u32_e32 v12, v6
	v_min_u32_e32 v12, 32, v12
	v_lshrrev_b16_e32 v7, 3, v3
	v_subrev_u32_e32 v13, 28, v12
	v_and_b32_e32 v7, 15, v7
	v_lshlrev_b32_e32 v3, v13, v3
	v_sub_u32_e32 v12, 29, v12
	v_and_b32_e32 v3, 7, v3
	v_cmp_eq_u16_e32 vcc, 0, v7
	v_cndmask_b32_e32 v3, v6, v3, vcc
	v_cndmask_b32_e32 v6, v7, v12, vcc
	v_lshlrev_b32_e32 v7, 16, v4
	v_mov_b32_e32 v12, 0x3b800000
	v_lshlrev_b32_e32 v3, 20, v3
	v_and_b32_e32 v7, 0x80000000, v7
	v_lshl_add_u32 v6, v6, 23, v12
	v_or3_b32 v6, v7, v6, v3
.LBB2_4560:
	s_or_b64 exec, exec, s[6:7]
	s_nop 0
	v_mfma_f32_16x16x4f32 a[0:3], v2, v6, a[0:3]
	s_movk_i32 s4, 0xff
	v_and_b32_sdwa v3, v8, s4 dst_sel:DWORD dst_unused:UNUSED_PAD src0_sel:WORD_1 src1_sel:DWORD
	s_movk_i32 s4, 0x7f
	v_cmp_lt_i16_e32 vcc, s4, v3
	s_mov_b64 s[4:5], 0
                                        ; implicit-def: $sgpr10
	s_and_saveexec_b64 s[6:7], vcc
	s_xor_b64 s[6:7], exec, s[6:7]
	s_cbranch_execz .LBB2_4561
; %bb.40401:
	s_getpc_b64 s[14:15]
.Lpost_getpc23784:
	s_add_u32 s14, s14, (.LBB2_18897-.Lpost_getpc23784)&4294967295
	s_addc_u32 s15, s15, (.LBB2_18897-.Lpost_getpc23784)>>32
	s_setpc_b64 s[14:15]
.LBB2_4561:
	s_or_saveexec_b64 s[6:7], s[6:7]
	v_mov_b32_e32 v2, s10
	s_xor_b64 exec, exec, s[6:7]
	s_cbranch_execz .LBB2_4562
; %bb.40403:
	s_getpc_b64 s[14:15]
.Lpost_getpc23785:
	s_add_u32 s14, s14, (.LBB2_18900-.Lpost_getpc23785)&4294967295
	s_addc_u32 s15, s15, (.LBB2_18900-.Lpost_getpc23785)>>32
	s_setpc_b64 s[14:15]
.LBB2_4562:
	s_or_b64 exec, exec, s[6:7]
	s_and_saveexec_b64 s[6:7], s[4:5]
	s_cbranch_execz .LBB2_4564
.LBB2_4563:
	v_bfe_u32 v2, v8, 16, 3
	v_ffbh_u32_e32 v7, v2
	v_min_u32_e32 v7, 32, v7
	v_lshrrev_b32_e32 v3, 19, v8
	v_subrev_u32_e32 v12, 28, v7
	v_and_b32_e32 v3, 15, v3
	v_lshlrev_b32_sdwa v12, v12, v8 dst_sel:DWORD dst_unused:UNUSED_PAD src0_sel:DWORD src1_sel:WORD_1
	v_bfe_u32 v6, v8, 19, 4
	v_sub_u32_e32 v7, 29, v7
	v_and_b32_e32 v12, 7, v12
	v_cmp_eq_u16_e32 vcc, 0, v3
	v_cndmask_b32_e32 v2, v2, v12, vcc
	v_cndmask_b32_e32 v3, v6, v7, vcc
	v_lshlrev_b32_e32 v6, 8, v8
	v_mov_b32_e32 v7, 0x3b800000
	v_lshlrev_b32_e32 v2, 20, v2
	v_and_b32_e32 v6, 0x80000000, v6
	v_lshl_add_u32 v3, v3, 23, v7
	v_or3_b32 v2, v6, v3, v2
.LBB2_4564:
	s_or_b64 exec, exec, s[6:7]
	s_movk_i32 s4, 0xff
	v_and_b32_sdwa v3, v4, s4 dst_sel:DWORD dst_unused:UNUSED_PAD src0_sel:WORD_1 src1_sel:DWORD
	s_movk_i32 s4, 0x7f
	v_cmp_lt_i16_e32 vcc, s4, v3
	s_mov_b64 s[4:5], 0
                                        ; implicit-def: $sgpr10
	s_and_saveexec_b64 s[6:7], vcc
	s_xor_b64 s[6:7], exec, s[6:7]
	s_cbranch_execz .LBB2_4565
; %bb.40405:
	s_getpc_b64 s[14:15]
.Lpost_getpc23786:
	s_add_u32 s14, s14, (.LBB2_18901-.Lpost_getpc23786)&4294967295
	s_addc_u32 s15, s15, (.LBB2_18901-.Lpost_getpc23786)>>32
	s_setpc_b64 s[14:15]
.LBB2_4565:
	s_or_saveexec_b64 s[6:7], s[6:7]
	v_mov_b32_e32 v6, s10
	s_xor_b64 exec, exec, s[6:7]
	s_cbranch_execz .LBB2_4566
; %bb.40407:
	s_getpc_b64 s[14:15]
.Lpost_getpc23787:
	s_add_u32 s14, s14, (.LBB2_18904-.Lpost_getpc23787)&4294967295
	s_addc_u32 s15, s15, (.LBB2_18904-.Lpost_getpc23787)>>32
	s_setpc_b64 s[14:15]
.LBB2_4566:
	s_or_b64 exec, exec, s[6:7]
	s_and_saveexec_b64 s[6:7], s[4:5]
	s_cbranch_execz .LBB2_4568
.LBB2_4567:
	v_bfe_u32 v3, v4, 16, 3
	v_ffbh_u32_e32 v12, v3
	v_min_u32_e32 v12, 32, v12
	v_lshrrev_b32_e32 v6, 19, v4
	v_subrev_u32_e32 v13, 28, v12
	v_and_b32_e32 v6, 15, v6
	v_lshlrev_b32_sdwa v13, v13, v4 dst_sel:DWORD dst_unused:UNUSED_PAD src0_sel:DWORD src1_sel:WORD_1
	v_bfe_u32 v7, v4, 19, 4
	v_sub_u32_e32 v12, 29, v12
	v_and_b32_e32 v13, 7, v13
	v_cmp_eq_u16_e32 vcc, 0, v6
	v_cndmask_b32_e32 v3, v3, v13, vcc
	v_cndmask_b32_e32 v6, v7, v12, vcc
	v_lshlrev_b32_e32 v7, 8, v4
	v_mov_b32_e32 v12, 0x3b800000
	v_lshlrev_b32_e32 v3, 20, v3
	v_and_b32_e32 v7, 0x80000000, v7
	v_lshl_add_u32 v6, v6, 23, v12
	v_or3_b32 v6, v7, v6, v3
.LBB2_4568:
	s_or_b64 exec, exec, s[6:7]
	s_nop 0
	v_mfma_f32_16x16x4f32 a[0:3], v2, v6, a[0:3]
	s_movk_i32 s4, 0x7f
	v_cmp_gt_i16_sdwa s[6:7], v8, s4 src0_sel:BYTE_3 src1_sel:DWORD
	s_mov_b64 s[4:5], 0
                                        ; implicit-def: $sgpr10
	s_and_saveexec_b64 s[8:9], s[6:7]
	s_xor_b64 s[6:7], exec, s[8:9]
	s_cbranch_execz .LBB2_4569
; %bb.40409:
	s_getpc_b64 s[14:15]
.Lpost_getpc23788:
	s_add_u32 s14, s14, (.LBB2_18905-.Lpost_getpc23788)&4294967295
	s_addc_u32 s15, s15, (.LBB2_18905-.Lpost_getpc23788)>>32
	s_setpc_b64 s[14:15]
.LBB2_4569:
	s_or_saveexec_b64 s[6:7], s[6:7]
	v_mov_b32_e32 v2, s10
	s_xor_b64 exec, exec, s[6:7]
	s_cbranch_execz .LBB2_4570
; %bb.40411:
	s_getpc_b64 s[14:15]
.Lpost_getpc23789:
	s_add_u32 s14, s14, (.LBB2_18908-.Lpost_getpc23789)&4294967295
	s_addc_u32 s15, s15, (.LBB2_18908-.Lpost_getpc23789)>>32
	s_setpc_b64 s[14:15]
.LBB2_4570:
	s_or_b64 exec, exec, s[6:7]
	s_and_saveexec_b64 s[6:7], s[4:5]
	s_cbranch_execz .LBB2_4572
.LBB2_4571:
	v_bfe_u32 v2, v8, 24, 3
	v_ffbh_u32_e32 v12, v2
	v_min_u32_e32 v12, 32, v12
	v_lshrrev_b32_e32 v6, 27, v8
	v_subrev_u32_e32 v13, 28, v12
	v_and_b32_e32 v3, 0x80000000, v8
	v_and_b32_e32 v6, 15, v6
	v_bfe_u32 v7, v8, 27, 4
	v_lshlrev_b32_sdwa v8, v13, v8 dst_sel:DWORD dst_unused:UNUSED_PAD src0_sel:DWORD src1_sel:BYTE_3
	v_sub_u32_e32 v12, 29, v12
	v_and_b32_e32 v8, 7, v8
	v_cmp_eq_u16_e32 vcc, 0, v6
	v_cndmask_b32_e32 v2, v2, v8, vcc
	v_cndmask_b32_e32 v6, v7, v12, vcc
	v_mov_b32_e32 v7, 0x3b800000
	v_lshlrev_b32_e32 v2, 20, v2
	v_lshl_add_u32 v6, v6, 23, v7
	v_or3_b32 v2, v3, v6, v2
.LBB2_4572:
	s_or_b64 exec, exec, s[6:7]
	s_movk_i32 s4, 0x7f
	v_cmp_gt_i16_sdwa s[6:7], v4, s4 src0_sel:BYTE_3 src1_sel:DWORD
	s_mov_b64 s[4:5], 0
                                        ; implicit-def: $sgpr10
	s_and_saveexec_b64 s[8:9], s[6:7]
	s_xor_b64 s[6:7], exec, s[8:9]
	s_cbranch_execz .LBB2_4573
; %bb.40413:
	s_getpc_b64 s[14:15]
.Lpost_getpc23790:
	s_add_u32 s14, s14, (.LBB2_18909-.Lpost_getpc23790)&4294967295
	s_addc_u32 s15, s15, (.LBB2_18909-.Lpost_getpc23790)>>32
	s_setpc_b64 s[14:15]
.LBB2_4573:
	s_or_saveexec_b64 s[6:7], s[6:7]
	v_mov_b32_e32 v3, s10
	s_xor_b64 exec, exec, s[6:7]
	s_cbranch_execz .LBB2_4574
; %bb.40415:
	s_getpc_b64 s[14:15]
.Lpost_getpc23791:
	s_add_u32 s14, s14, (.LBB2_18912-.Lpost_getpc23791)&4294967295
	s_addc_u32 s15, s15, (.LBB2_18912-.Lpost_getpc23791)>>32
	s_setpc_b64 s[14:15]
.LBB2_4574:
	s_or_b64 exec, exec, s[6:7]
	s_and_saveexec_b64 s[6:7], s[4:5]
	s_cbranch_execz .LBB2_4576
.LBB2_4575:
	v_bfe_u32 v3, v4, 24, 3
	v_ffbh_u32_e32 v12, v3
	v_min_u32_e32 v12, 32, v12
	v_lshrrev_b32_e32 v7, 27, v4
	v_subrev_u32_e32 v13, 28, v12
	v_and_b32_e32 v6, 0x80000000, v4
	v_and_b32_e32 v7, 15, v7
	v_bfe_u32 v8, v4, 27, 4
	v_lshlrev_b32_sdwa v4, v13, v4 dst_sel:DWORD dst_unused:UNUSED_PAD src0_sel:DWORD src1_sel:BYTE_3
	v_sub_u32_e32 v12, 29, v12
	v_and_b32_e32 v4, 7, v4
	v_cmp_eq_u16_e32 vcc, 0, v7
	v_cndmask_b32_e32 v3, v3, v4, vcc
	v_cndmask_b32_e32 v4, v8, v12, vcc
	v_mov_b32_e32 v7, 0x3b800000
	v_lshlrev_b32_e32 v3, 20, v3
	v_lshl_add_u32 v4, v4, 23, v7
	v_or3_b32 v3, v6, v4, v3
.LBB2_4576:
	s_or_b64 exec, exec, s[6:7]
	s_nop 0
	v_mfma_f32_16x16x4f32 a[0:3], v2, v3, a[0:3]
	s_movk_i32 s4, 0x7f
	v_cmp_gt_i16_sdwa s[6:7], v9, s4 src0_sel:BYTE_0 src1_sel:DWORD
	s_mov_b64 s[4:5], 0
                                        ; implicit-def: $sgpr10
	s_and_saveexec_b64 s[8:9], s[6:7]
	s_xor_b64 s[6:7], exec, s[8:9]
	s_cbranch_execz .LBB2_4577
; %bb.40417:
	s_getpc_b64 s[14:15]
.Lpost_getpc23792:
	s_add_u32 s14, s14, (.LBB2_18913-.Lpost_getpc23792)&4294967295
	s_addc_u32 s15, s15, (.LBB2_18913-.Lpost_getpc23792)>>32
	s_setpc_b64 s[14:15]
.LBB2_4577:
	s_or_saveexec_b64 s[6:7], s[6:7]
	v_mov_b32_e32 v2, s10
	s_xor_b64 exec, exec, s[6:7]
	s_cbranch_execz .LBB2_4578
; %bb.40419:
	s_getpc_b64 s[14:15]
.Lpost_getpc23793:
	s_add_u32 s14, s14, (.LBB2_18916-.Lpost_getpc23793)&4294967295
	s_addc_u32 s15, s15, (.LBB2_18916-.Lpost_getpc23793)>>32
	s_setpc_b64 s[14:15]
.LBB2_4578:
	s_or_b64 exec, exec, s[6:7]
	s_and_saveexec_b64 s[6:7], s[4:5]
	s_cbranch_execz .LBB2_4580
.LBB2_4579:
	v_mov_b32_e32 v2, 8
	v_and_b32_e32 v3, 7, v9
	v_lshrrev_b32_sdwa v2, v2, v9 dst_sel:BYTE_1 dst_unused:UNUSED_PAD src0_sel:DWORD src1_sel:DWORD
	v_ffbh_u32_e32 v4, v3
	v_or_b32_sdwa v2, v9, v2 dst_sel:DWORD dst_unused:UNUSED_PAD src0_sel:BYTE_0 src1_sel:DWORD
	v_min_u32_e32 v4, 32, v4
	v_lshrrev_b16_e32 v2, 3, v2
	v_subrev_u32_e32 v6, 28, v4
	v_and_b32_e32 v2, 15, v2
	v_lshlrev_b32_e32 v6, v6, v9
	v_sub_u32_e32 v4, 29, v4
	v_and_b32_e32 v6, 7, v6
	v_cmp_eq_u16_e32 vcc, 0, v2
	v_cndmask_b32_e32 v3, v3, v6, vcc
	v_cndmask_b32_e32 v2, v2, v4, vcc
	v_lshlrev_b32_e32 v4, 24, v9
	v_mov_b32_e32 v6, 0x3b800000
	v_lshlrev_b32_e32 v3, 20, v3
	v_and_b32_e32 v4, 0x80000000, v4
	v_lshl_add_u32 v2, v2, 23, v6
	v_or3_b32 v2, v4, v2, v3
.LBB2_4580:
	s_or_b64 exec, exec, s[6:7]
	s_movk_i32 s4, 0x7f
	v_cmp_gt_i16_sdwa s[6:7], v5, s4 src0_sel:BYTE_0 src1_sel:DWORD
	s_mov_b64 s[4:5], 0
                                        ; implicit-def: $sgpr10
	s_and_saveexec_b64 s[8:9], s[6:7]
	s_xor_b64 s[6:7], exec, s[8:9]
	s_cbranch_execz .LBB2_4581
; %bb.40421:
	s_getpc_b64 s[14:15]
.Lpost_getpc23794:
	s_add_u32 s14, s14, (.LBB2_18917-.Lpost_getpc23794)&4294967295
	s_addc_u32 s15, s15, (.LBB2_18917-.Lpost_getpc23794)>>32
	s_setpc_b64 s[14:15]
.LBB2_4581:
	s_or_saveexec_b64 s[6:7], s[6:7]
	v_mov_b32_e32 v3, s10
	s_xor_b64 exec, exec, s[6:7]
	s_cbranch_execz .LBB2_4582
; %bb.40423:
	s_getpc_b64 s[14:15]
.Lpost_getpc23795:
	s_add_u32 s14, s14, (.LBB2_18920-.Lpost_getpc23795)&4294967295
	s_addc_u32 s15, s15, (.LBB2_18920-.Lpost_getpc23795)>>32
	s_setpc_b64 s[14:15]
.LBB2_4582:
	s_or_b64 exec, exec, s[6:7]
	s_and_saveexec_b64 s[6:7], s[4:5]
	s_cbranch_execz .LBB2_4584
.LBB2_4583:
	v_mov_b32_e32 v3, 8
	v_and_b32_e32 v4, 7, v5
	v_lshrrev_b32_sdwa v3, v3, v5 dst_sel:BYTE_1 dst_unused:UNUSED_PAD src0_sel:DWORD src1_sel:DWORD
	v_ffbh_u32_e32 v6, v4
	v_or_b32_sdwa v3, v5, v3 dst_sel:DWORD dst_unused:UNUSED_PAD src0_sel:BYTE_0 src1_sel:DWORD
	v_min_u32_e32 v6, 32, v6
	v_lshrrev_b16_e32 v3, 3, v3
	v_subrev_u32_e32 v7, 28, v6
	v_and_b32_e32 v3, 15, v3
	v_lshlrev_b32_e32 v7, v7, v5
	v_sub_u32_e32 v6, 29, v6
	v_and_b32_e32 v7, 7, v7
	v_cmp_eq_u16_e32 vcc, 0, v3
	v_cndmask_b32_e32 v4, v4, v7, vcc
	v_cndmask_b32_e32 v3, v3, v6, vcc
	v_lshlrev_b32_e32 v6, 24, v5
	v_mov_b32_e32 v7, 0x3b800000
	v_lshlrev_b32_e32 v4, 20, v4
	v_and_b32_e32 v6, 0x80000000, v6
	v_lshl_add_u32 v3, v3, 23, v7
	v_or3_b32 v3, v6, v3, v4
.LBB2_4584:
	s_or_b64 exec, exec, s[6:7]
	s_nop 0
	v_mfma_f32_16x16x4f32 a[0:3], v2, v3, a[0:3]
	v_lshrrev_b32_e32 v3, 8, v9
	s_movk_i32 s4, 0x7f
	v_cmp_gt_i16_sdwa s[6:7], v3, s4 src0_sel:BYTE_0 src1_sel:DWORD
	s_mov_b64 s[4:5], 0
                                        ; implicit-def: $sgpr10
	s_and_saveexec_b64 s[8:9], s[6:7]
	s_xor_b64 s[6:7], exec, s[8:9]
	s_cbranch_execz .LBB2_4585
; %bb.40425:
	s_getpc_b64 s[14:15]
.Lpost_getpc23796:
	s_add_u32 s14, s14, (.LBB2_18921-.Lpost_getpc23796)&4294967295
	s_addc_u32 s15, s15, (.LBB2_18921-.Lpost_getpc23796)>>32
	s_setpc_b64 s[14:15]
.LBB2_4585:
	s_or_saveexec_b64 s[6:7], s[6:7]
	v_mov_b32_e32 v2, s10
	s_xor_b64 exec, exec, s[6:7]
	s_cbranch_execz .LBB2_4586
; %bb.40427:
	s_getpc_b64 s[14:15]
.Lpost_getpc23797:
	s_add_u32 s14, s14, (.LBB2_18924-.Lpost_getpc23797)&4294967295
	s_addc_u32 s15, s15, (.LBB2_18924-.Lpost_getpc23797)>>32
	s_setpc_b64 s[14:15]
.LBB2_4586:
	s_or_b64 exec, exec, s[6:7]
	s_and_saveexec_b64 s[6:7], s[4:5]
	s_cbranch_execz .LBB2_4588
.LBB2_4587:
	v_bfe_u32 v2, v9, 8, 3
	v_ffbh_u32_e32 v6, v2
	v_min_u32_e32 v6, 32, v6
	v_lshrrev_b16_e32 v4, 3, v3
	v_subrev_u32_e32 v7, 28, v6
	v_and_b32_e32 v4, 15, v4
	v_lshlrev_b32_e32 v3, v7, v3
	v_sub_u32_e32 v6, 29, v6
	v_and_b32_e32 v3, 7, v3
	v_cmp_eq_u16_e32 vcc, 0, v4
	v_cndmask_b32_e32 v2, v2, v3, vcc
	v_cndmask_b32_e32 v3, v4, v6, vcc
	v_lshlrev_b32_e32 v4, 16, v9
	v_mov_b32_e32 v6, 0x3b800000
	v_lshlrev_b32_e32 v2, 20, v2
	v_and_b32_e32 v4, 0x80000000, v4
	v_lshl_add_u32 v3, v3, 23, v6
	v_or3_b32 v2, v4, v3, v2
.LBB2_4588:
	s_or_b64 exec, exec, s[6:7]
	v_lshrrev_b32_e32 v3, 8, v5
	s_movk_i32 s4, 0x7f
	v_cmp_gt_i16_sdwa s[6:7], v3, s4 src0_sel:BYTE_0 src1_sel:DWORD
	s_mov_b64 s[4:5], 0
                                        ; implicit-def: $sgpr10
	s_and_saveexec_b64 s[8:9], s[6:7]
	s_xor_b64 s[6:7], exec, s[8:9]
	s_cbranch_execz .LBB2_4589
; %bb.40429:
	s_getpc_b64 s[14:15]
.Lpost_getpc23798:
	s_add_u32 s14, s14, (.LBB2_18925-.Lpost_getpc23798)&4294967295
	s_addc_u32 s15, s15, (.LBB2_18925-.Lpost_getpc23798)>>32
	s_setpc_b64 s[14:15]
.LBB2_4589:
	s_or_saveexec_b64 s[6:7], s[6:7]
	v_mov_b32_e32 v4, s10
	s_xor_b64 exec, exec, s[6:7]
	s_cbranch_execz .LBB2_4590
; %bb.40431:
	s_getpc_b64 s[14:15]
.Lpost_getpc23799:
	s_add_u32 s14, s14, (.LBB2_18928-.Lpost_getpc23799)&4294967295
	s_addc_u32 s15, s15, (.LBB2_18928-.Lpost_getpc23799)>>32
	s_setpc_b64 s[14:15]
.LBB2_4590:
	s_or_b64 exec, exec, s[6:7]
	s_and_saveexec_b64 s[6:7], s[4:5]
	s_cbranch_execz .LBB2_4592
.LBB2_4591:
	v_bfe_u32 v4, v5, 8, 3
	v_ffbh_u32_e32 v7, v4
	v_min_u32_e32 v7, 32, v7
	v_lshrrev_b16_e32 v6, 3, v3
	v_subrev_u32_e32 v8, 28, v7
	v_and_b32_e32 v6, 15, v6
	v_lshlrev_b32_e32 v3, v8, v3
	v_sub_u32_e32 v7, 29, v7
	v_and_b32_e32 v3, 7, v3
	v_cmp_eq_u16_e32 vcc, 0, v6
	v_cndmask_b32_e32 v3, v4, v3, vcc
	v_cndmask_b32_e32 v4, v6, v7, vcc
	v_lshlrev_b32_e32 v6, 16, v5
	v_mov_b32_e32 v7, 0x3b800000
	v_lshlrev_b32_e32 v3, 20, v3
	v_and_b32_e32 v6, 0x80000000, v6
	v_lshl_add_u32 v4, v4, 23, v7
	v_or3_b32 v4, v6, v4, v3
.LBB2_4592:
	s_or_b64 exec, exec, s[6:7]
	s_nop 0
	v_mfma_f32_16x16x4f32 a[0:3], v2, v4, a[0:3]
	s_movk_i32 s4, 0xff
	v_and_b32_sdwa v3, v9, s4 dst_sel:DWORD dst_unused:UNUSED_PAD src0_sel:WORD_1 src1_sel:DWORD
	s_movk_i32 s4, 0x7f
	v_cmp_lt_i16_e32 vcc, s4, v3
	s_mov_b64 s[4:5], 0
                                        ; implicit-def: $sgpr10
	s_and_saveexec_b64 s[6:7], vcc
	s_xor_b64 s[6:7], exec, s[6:7]
	s_cbranch_execz .LBB2_4593
; %bb.40433:
	s_getpc_b64 s[14:15]
.Lpost_getpc23800:
	s_add_u32 s14, s14, (.LBB2_18929-.Lpost_getpc23800)&4294967295
	s_addc_u32 s15, s15, (.LBB2_18929-.Lpost_getpc23800)>>32
	s_setpc_b64 s[14:15]
.LBB2_4593:
	s_or_saveexec_b64 s[6:7], s[6:7]
	v_mov_b32_e32 v2, s10
	s_xor_b64 exec, exec, s[6:7]
	s_cbranch_execz .LBB2_4594
; %bb.40435:
	s_getpc_b64 s[14:15]
.Lpost_getpc23801:
	s_add_u32 s14, s14, (.LBB2_18932-.Lpost_getpc23801)&4294967295
	s_addc_u32 s15, s15, (.LBB2_18932-.Lpost_getpc23801)>>32
	s_setpc_b64 s[14:15]
.LBB2_4594:
	s_or_b64 exec, exec, s[6:7]
	s_and_saveexec_b64 s[6:7], s[4:5]
	s_cbranch_execz .LBB2_4596
.LBB2_4595:
	v_bfe_u32 v2, v9, 16, 3
	v_ffbh_u32_e32 v6, v2
	v_min_u32_e32 v6, 32, v6
	v_lshrrev_b32_e32 v3, 19, v9
	v_subrev_u32_e32 v7, 28, v6
	v_and_b32_e32 v3, 15, v3
	v_lshlrev_b32_sdwa v7, v7, v9 dst_sel:DWORD dst_unused:UNUSED_PAD src0_sel:DWORD src1_sel:WORD_1
	v_bfe_u32 v4, v9, 19, 4
	v_sub_u32_e32 v6, 29, v6
	v_and_b32_e32 v7, 7, v7
	v_cmp_eq_u16_e32 vcc, 0, v3
	v_cndmask_b32_e32 v2, v2, v7, vcc
	v_cndmask_b32_e32 v3, v4, v6, vcc
	v_lshlrev_b32_e32 v4, 8, v9
	v_mov_b32_e32 v6, 0x3b800000
	v_lshlrev_b32_e32 v2, 20, v2
	v_and_b32_e32 v4, 0x80000000, v4
	v_lshl_add_u32 v3, v3, 23, v6
	v_or3_b32 v2, v4, v3, v2
.LBB2_4596:
	s_or_b64 exec, exec, s[6:7]
	s_movk_i32 s4, 0xff
	v_and_b32_sdwa v3, v5, s4 dst_sel:DWORD dst_unused:UNUSED_PAD src0_sel:WORD_1 src1_sel:DWORD
	s_movk_i32 s4, 0x7f
	v_cmp_lt_i16_e32 vcc, s4, v3
	s_mov_b64 s[4:5], 0
                                        ; implicit-def: $sgpr10
	s_and_saveexec_b64 s[6:7], vcc
	s_xor_b64 s[6:7], exec, s[6:7]
	s_cbranch_execz .LBB2_4597
; %bb.40437:
	s_getpc_b64 s[14:15]
.Lpost_getpc23802:
	s_add_u32 s14, s14, (.LBB2_18933-.Lpost_getpc23802)&4294967295
	s_addc_u32 s15, s15, (.LBB2_18933-.Lpost_getpc23802)>>32
	s_setpc_b64 s[14:15]
.LBB2_4597:
	s_or_saveexec_b64 s[6:7], s[6:7]
	v_mov_b32_e32 v4, s10
	s_xor_b64 exec, exec, s[6:7]
	s_cbranch_execz .LBB2_4598
; %bb.40439:
	s_getpc_b64 s[14:15]
.Lpost_getpc23803:
	s_add_u32 s14, s14, (.LBB2_18936-.Lpost_getpc23803)&4294967295
	s_addc_u32 s15, s15, (.LBB2_18936-.Lpost_getpc23803)>>32
	s_setpc_b64 s[14:15]
.LBB2_4598:
	s_or_b64 exec, exec, s[6:7]
	s_and_saveexec_b64 s[6:7], s[4:5]
	s_cbranch_execz .LBB2_4600
.LBB2_4599:
	v_bfe_u32 v3, v5, 16, 3
	v_ffbh_u32_e32 v7, v3
	v_min_u32_e32 v7, 32, v7
	v_lshrrev_b32_e32 v4, 19, v5
	v_subrev_u32_e32 v8, 28, v7
	v_and_b32_e32 v4, 15, v4
	v_lshlrev_b32_sdwa v8, v8, v5 dst_sel:DWORD dst_unused:UNUSED_PAD src0_sel:DWORD src1_sel:WORD_1
	v_bfe_u32 v6, v5, 19, 4
	v_sub_u32_e32 v7, 29, v7
	v_and_b32_e32 v8, 7, v8
	v_cmp_eq_u16_e32 vcc, 0, v4
	v_cndmask_b32_e32 v3, v3, v8, vcc
	v_cndmask_b32_e32 v4, v6, v7, vcc
	v_lshlrev_b32_e32 v6, 8, v5
	v_mov_b32_e32 v7, 0x3b800000
	v_lshlrev_b32_e32 v3, 20, v3
	v_and_b32_e32 v6, 0x80000000, v6
	v_lshl_add_u32 v4, v4, 23, v7
	v_or3_b32 v4, v6, v4, v3
.LBB2_4600:
	s_or_b64 exec, exec, s[6:7]
	s_nop 0
	v_mfma_f32_16x16x4f32 a[0:3], v2, v4, a[0:3]
	s_movk_i32 s4, 0x7f
	v_cmp_gt_i16_sdwa s[6:7], v9, s4 src0_sel:BYTE_3 src1_sel:DWORD
	s_mov_b64 s[4:5], 0
                                        ; implicit-def: $sgpr10
	s_and_saveexec_b64 s[8:9], s[6:7]
	s_xor_b64 s[6:7], exec, s[8:9]
	s_cbranch_execz .LBB2_4601
; %bb.40441:
	s_getpc_b64 s[14:15]
.Lpost_getpc23804:
	s_add_u32 s14, s14, (.LBB2_18937-.Lpost_getpc23804)&4294967295
	s_addc_u32 s15, s15, (.LBB2_18937-.Lpost_getpc23804)>>32
	s_setpc_b64 s[14:15]
.LBB2_4601:
	s_or_saveexec_b64 s[6:7], s[6:7]
	v_mov_b32_e32 v2, s10
	s_xor_b64 exec, exec, s[6:7]
	s_cbranch_execz .LBB2_4602
; %bb.40443:
	s_getpc_b64 s[14:15]
.Lpost_getpc23805:
	s_add_u32 s14, s14, (.LBB2_18940-.Lpost_getpc23805)&4294967295
	s_addc_u32 s15, s15, (.LBB2_18940-.Lpost_getpc23805)>>32
	s_setpc_b64 s[14:15]
.LBB2_4602:
	s_or_b64 exec, exec, s[6:7]
	s_and_saveexec_b64 s[6:7], s[4:5]
	s_cbranch_execz .LBB2_4604
.LBB2_4603:
	v_bfe_u32 v2, v9, 24, 3
	v_ffbh_u32_e32 v7, v2
	v_min_u32_e32 v7, 32, v7
	v_lshrrev_b32_e32 v4, 27, v9
	v_subrev_u32_e32 v8, 28, v7
	v_and_b32_e32 v4, 15, v4
	v_lshlrev_b32_sdwa v8, v8, v9 dst_sel:DWORD dst_unused:UNUSED_PAD src0_sel:DWORD src1_sel:BYTE_3
	v_bfe_u32 v6, v9, 27, 4
	v_sub_u32_e32 v7, 29, v7
	v_and_b32_e32 v8, 7, v8
	v_cmp_eq_u16_e32 vcc, 0, v4
	v_cndmask_b32_e32 v2, v2, v8, vcc
	v_cndmask_b32_e32 v4, v6, v7, vcc
	v_mov_b32_e32 v6, 0x3b800000
	v_and_b32_e32 v3, 0x80000000, v9
	v_lshlrev_b32_e32 v2, 20, v2
	v_lshl_add_u32 v4, v4, 23, v6
	v_or3_b32 v2, v3, v4, v2
.LBB2_4604:
	s_or_b64 exec, exec, s[6:7]
	s_movk_i32 s4, 0x7f
	v_cmp_gt_i16_sdwa s[6:7], v5, s4 src0_sel:BYTE_3 src1_sel:DWORD
	s_mov_b64 s[4:5], 0
                                        ; implicit-def: $sgpr10
	s_and_saveexec_b64 s[8:9], s[6:7]
	s_xor_b64 s[6:7], exec, s[8:9]
	s_cbranch_execz .LBB2_4605
; %bb.40445:
	s_getpc_b64 s[14:15]
.Lpost_getpc23806:
	s_add_u32 s14, s14, (.LBB2_18941-.Lpost_getpc23806)&4294967295
	s_addc_u32 s15, s15, (.LBB2_18941-.Lpost_getpc23806)>>32
	s_setpc_b64 s[14:15]
.LBB2_4605:
	s_or_saveexec_b64 s[6:7], s[6:7]
	v_mov_b32_e32 v3, s10
	s_xor_b64 exec, exec, s[6:7]
	s_cbranch_execz .LBB2_4606
; %bb.40447:
	s_getpc_b64 s[14:15]
.Lpost_getpc23807:
	s_add_u32 s14, s14, (.LBB2_18944-.Lpost_getpc23807)&4294967295
	s_addc_u32 s15, s15, (.LBB2_18944-.Lpost_getpc23807)>>32
	s_setpc_b64 s[14:15]
.LBB2_4606:
	s_or_b64 exec, exec, s[6:7]
	s_and_saveexec_b64 s[6:7], s[4:5]
	s_cbranch_execz .LBB2_4608
.LBB2_4607:
	v_bfe_u32 v3, v5, 24, 3
	v_ffbh_u32_e32 v8, v3
	v_min_u32_e32 v8, 32, v8
	v_lshrrev_b32_e32 v6, 27, v5
	v_subrev_u32_e32 v9, 28, v8
	v_and_b32_e32 v4, 0x80000000, v5
	v_and_b32_e32 v6, 15, v6
	v_bfe_u32 v7, v5, 27, 4
	v_lshlrev_b32_sdwa v5, v9, v5 dst_sel:DWORD dst_unused:UNUSED_PAD src0_sel:DWORD src1_sel:BYTE_3
	v_sub_u32_e32 v8, 29, v8
	v_and_b32_e32 v5, 7, v5
	v_cmp_eq_u16_e32 vcc, 0, v6
	v_cndmask_b32_e32 v3, v3, v5, vcc
	v_cndmask_b32_e32 v5, v7, v8, vcc
	v_mov_b32_e32 v6, 0x3b800000
	v_lshlrev_b32_e32 v3, 20, v3
	v_lshl_add_u32 v5, v5, 23, v6
	v_or3_b32 v3, v4, v5, v3
.LBB2_4608:
	s_or_b64 exec, exec, s[6:7]
	s_nop 0
	v_mfma_f32_16x16x4f32 a[0:3], v2, v3, a[0:3]
	s_movk_i32 s4, 0x7f
                                        ; implicit-def: $sgpr10
	s_nop 7
	s_nop 1
	flat_store_dwordx4 v[10:11], a[0:3] offset:560
	flat_load_dwordx4 v[12:15], v[0:1]
	s_nop 0
	flat_load_dwordx2 v[10:11], v[0:1] offset:16
	s_waitcnt vmcnt(0) lgkmcnt(0)
	flat_load_dwordx4 v[6:9], v[12:13] offset:64
	flat_load_dwordx4 v[2:5], v[14:15] offset:64
	s_waitcnt vmcnt(0) lgkmcnt(0)
	v_cmp_gt_i16_sdwa s[6:7], v6, s4 src0_sel:BYTE_0 src1_sel:DWORD
	s_mov_b64 s[4:5], 0
	s_and_saveexec_b64 s[8:9], s[6:7]
	s_xor_b64 s[6:7], exec, s[8:9]
	s_cbranch_execz .LBB2_4609
; %bb.40449:
	s_getpc_b64 s[14:15]
.Lpost_getpc23808:
	s_add_u32 s14, s14, (.LBB2_18945-.Lpost_getpc23808)&4294967295
	s_addc_u32 s15, s15, (.LBB2_18945-.Lpost_getpc23808)>>32
	s_setpc_b64 s[14:15]
.LBB2_4609:
	s_or_saveexec_b64 s[6:7], s[6:7]
	v_mov_b32_e32 v12, s10
	s_xor_b64 exec, exec, s[6:7]
	s_cbranch_execz .LBB2_4610
; %bb.40451:
	s_getpc_b64 s[14:15]
.Lpost_getpc23809:
	s_add_u32 s14, s14, (.LBB2_18948-.Lpost_getpc23809)&4294967295
	s_addc_u32 s15, s15, (.LBB2_18948-.Lpost_getpc23809)>>32
	s_setpc_b64 s[14:15]
.LBB2_4610:
	s_or_b64 exec, exec, s[6:7]
	s_and_saveexec_b64 s[6:7], s[4:5]
	s_cbranch_execz .LBB2_4612
.LBB2_4611:
	v_and_b32_e32 v12, 7, v6
	v_ffbh_u32_e32 v14, v12
	v_min_u32_e32 v14, 32, v14
	v_lshrrev_b16_e32 v13, 3, v6
	v_subrev_u32_e32 v15, 28, v14
	v_and_b32_e32 v13, 15, v13
	v_lshlrev_b32_e32 v15, v15, v6
	v_sub_u32_e32 v14, 29, v14
	v_and_b32_e32 v15, 7, v15
	v_cmp_eq_u16_e32 vcc, 0, v13
	v_cndmask_b32_e32 v12, v12, v15, vcc
	v_cndmask_b32_e32 v13, v13, v14, vcc
	v_lshlrev_b32_e32 v14, 24, v6
	v_mov_b32_e32 v15, 0x3b800000
	v_lshlrev_b32_e32 v12, 20, v12
	v_and_b32_e32 v14, 0x80000000, v14
	v_lshl_add_u32 v13, v13, 23, v15
	v_or3_b32 v12, v14, v13, v12
.LBB2_4612:
	s_or_b64 exec, exec, s[6:7]
	s_movk_i32 s4, 0x7f
	v_cmp_gt_i16_sdwa s[6:7], v2, s4 src0_sel:BYTE_0 src1_sel:DWORD
	s_mov_b64 s[4:5], 0
                                        ; implicit-def: $sgpr10
	s_and_saveexec_b64 s[8:9], s[6:7]
	s_xor_b64 s[6:7], exec, s[8:9]
	s_cbranch_execz .LBB2_4613
; %bb.40453:
	s_getpc_b64 s[14:15]
.Lpost_getpc23810:
	s_add_u32 s14, s14, (.LBB2_18949-.Lpost_getpc23810)&4294967295
	s_addc_u32 s15, s15, (.LBB2_18949-.Lpost_getpc23810)>>32
	s_setpc_b64 s[14:15]
.LBB2_4613:
	s_or_saveexec_b64 s[6:7], s[6:7]
	v_mov_b32_e32 v13, s10
	s_xor_b64 exec, exec, s[6:7]
	s_cbranch_execz .LBB2_4614
; %bb.40455:
	s_getpc_b64 s[14:15]
.Lpost_getpc23811:
	s_add_u32 s14, s14, (.LBB2_18952-.Lpost_getpc23811)&4294967295
	s_addc_u32 s15, s15, (.LBB2_18952-.Lpost_getpc23811)>>32
	s_setpc_b64 s[14:15]
.LBB2_4614:
	s_or_b64 exec, exec, s[6:7]
	s_and_saveexec_b64 s[6:7], s[4:5]
	s_cbranch_execz .LBB2_4616
.LBB2_4615:
	v_and_b32_e32 v13, 7, v2
	v_ffbh_u32_e32 v15, v13
	v_min_u32_e32 v15, 32, v15
	v_lshrrev_b16_e32 v14, 3, v2
	v_subrev_u32_e32 v16, 28, v15
	v_and_b32_e32 v14, 15, v14
	v_lshlrev_b32_e32 v16, v16, v2
	v_sub_u32_e32 v15, 29, v15
	v_and_b32_e32 v16, 7, v16
	v_cmp_eq_u16_e32 vcc, 0, v14
	v_cndmask_b32_e32 v13, v13, v16, vcc
	v_cndmask_b32_e32 v14, v14, v15, vcc
	v_lshlrev_b32_e32 v15, 24, v2
	v_mov_b32_e32 v16, 0x3b800000
	v_lshlrev_b32_e32 v13, 20, v13
	v_and_b32_e32 v15, 0x80000000, v15
	v_lshl_add_u32 v14, v14, 23, v16
	v_or3_b32 v13, v15, v14, v13
.LBB2_4616:
	s_or_b64 exec, exec, s[6:7]
	flat_load_dwordx4 a[0:3], v[10:11] offset:576
	s_movk_i32 s4, 0x7f
                                        ; implicit-def: $sgpr10
	s_waitcnt vmcnt(0) lgkmcnt(0)
	v_mfma_f32_16x16x4f32 a[0:3], v12, v13, a[0:3]
	v_lshrrev_b32_e32 v13, 8, v6
	v_cmp_gt_i16_sdwa s[6:7], v13, s4 src0_sel:BYTE_0 src1_sel:DWORD
	s_mov_b64 s[4:5], 0
	s_and_saveexec_b64 s[8:9], s[6:7]
	s_xor_b64 s[6:7], exec, s[8:9]
	s_cbranch_execz .LBB2_4617
; %bb.40457:
	s_getpc_b64 s[14:15]
.Lpost_getpc23812:
	s_add_u32 s14, s14, (.LBB2_18953-.Lpost_getpc23812)&4294967295
	s_addc_u32 s15, s15, (.LBB2_18953-.Lpost_getpc23812)>>32
	s_setpc_b64 s[14:15]
.LBB2_4617:
	s_or_saveexec_b64 s[6:7], s[6:7]
	v_mov_b32_e32 v12, s10
	s_xor_b64 exec, exec, s[6:7]
	s_cbranch_execz .LBB2_4618
; %bb.40459:
	s_getpc_b64 s[14:15]
.Lpost_getpc23813:
	s_add_u32 s14, s14, (.LBB2_18956-.Lpost_getpc23813)&4294967295
	s_addc_u32 s15, s15, (.LBB2_18956-.Lpost_getpc23813)>>32
	s_setpc_b64 s[14:15]
.LBB2_4618:
	s_or_b64 exec, exec, s[6:7]
	s_and_saveexec_b64 s[6:7], s[4:5]
	s_cbranch_execz .LBB2_4620
.LBB2_4619:
	v_bfe_u32 v12, v6, 8, 3
	v_ffbh_u32_e32 v15, v12
	v_min_u32_e32 v15, 32, v15
	v_lshrrev_b16_e32 v14, 3, v13
	v_subrev_u32_e32 v16, 28, v15
	v_and_b32_e32 v14, 15, v14
	v_lshlrev_b32_e32 v13, v16, v13
	v_sub_u32_e32 v15, 29, v15
	v_and_b32_e32 v13, 7, v13
	v_cmp_eq_u16_e32 vcc, 0, v14
	v_cndmask_b32_e32 v12, v12, v13, vcc
	v_cndmask_b32_e32 v13, v14, v15, vcc
	v_lshlrev_b32_e32 v14, 16, v6
	v_mov_b32_e32 v15, 0x3b800000
	v_lshlrev_b32_e32 v12, 20, v12
	v_and_b32_e32 v14, 0x80000000, v14
	v_lshl_add_u32 v13, v13, 23, v15
	v_or3_b32 v12, v14, v13, v12
.LBB2_4620:
	s_or_b64 exec, exec, s[6:7]
	v_lshrrev_b32_e32 v13, 8, v2
	s_movk_i32 s4, 0x7f
	v_cmp_gt_i16_sdwa s[6:7], v13, s4 src0_sel:BYTE_0 src1_sel:DWORD
	s_mov_b64 s[4:5], 0
                                        ; implicit-def: $sgpr10
	s_and_saveexec_b64 s[8:9], s[6:7]
	s_xor_b64 s[6:7], exec, s[8:9]
	s_cbranch_execz .LBB2_4621
; %bb.40461:
	s_getpc_b64 s[14:15]
.Lpost_getpc23814:
	s_add_u32 s14, s14, (.LBB2_18957-.Lpost_getpc23814)&4294967295
	s_addc_u32 s15, s15, (.LBB2_18957-.Lpost_getpc23814)>>32
	s_setpc_b64 s[14:15]
.LBB2_4621:
	s_or_saveexec_b64 s[6:7], s[6:7]
	v_mov_b32_e32 v14, s10
	s_xor_b64 exec, exec, s[6:7]
	s_cbranch_execz .LBB2_4622
; %bb.40463:
	s_getpc_b64 s[14:15]
.Lpost_getpc23815:
	s_add_u32 s14, s14, (.LBB2_18960-.Lpost_getpc23815)&4294967295
	s_addc_u32 s15, s15, (.LBB2_18960-.Lpost_getpc23815)>>32
	s_setpc_b64 s[14:15]
.LBB2_4622:
	s_or_b64 exec, exec, s[6:7]
	s_and_saveexec_b64 s[6:7], s[4:5]
	s_cbranch_execz .LBB2_4624
.LBB2_4623:
	v_bfe_u32 v14, v2, 8, 3
	v_ffbh_u32_e32 v16, v14
	v_min_u32_e32 v16, 32, v16
	v_lshrrev_b16_e32 v15, 3, v13
	v_subrev_u32_e32 v17, 28, v16
	v_and_b32_e32 v15, 15, v15
	v_lshlrev_b32_e32 v13, v17, v13
	v_sub_u32_e32 v16, 29, v16
	v_and_b32_e32 v13, 7, v13
	v_cmp_eq_u16_e32 vcc, 0, v15
	v_cndmask_b32_e32 v13, v14, v13, vcc
	v_cndmask_b32_e32 v14, v15, v16, vcc
	v_lshlrev_b32_e32 v15, 16, v2
	v_mov_b32_e32 v16, 0x3b800000
	v_lshlrev_b32_e32 v13, 20, v13
	v_and_b32_e32 v15, 0x80000000, v15
	v_lshl_add_u32 v14, v14, 23, v16
	v_or3_b32 v14, v15, v14, v13
.LBB2_4624:
	s_or_b64 exec, exec, s[6:7]
	s_nop 0
	v_mfma_f32_16x16x4f32 a[0:3], v12, v14, a[0:3]
	s_movk_i32 s4, 0xff
	v_and_b32_sdwa v13, v6, s4 dst_sel:DWORD dst_unused:UNUSED_PAD src0_sel:WORD_1 src1_sel:DWORD
	s_movk_i32 s4, 0x7f
	v_cmp_lt_i16_e32 vcc, s4, v13
	s_mov_b64 s[4:5], 0
                                        ; implicit-def: $sgpr10
	s_and_saveexec_b64 s[6:7], vcc
	s_xor_b64 s[6:7], exec, s[6:7]
	s_cbranch_execz .LBB2_4625
; %bb.40465:
	s_getpc_b64 s[14:15]
.Lpost_getpc23816:
	s_add_u32 s14, s14, (.LBB2_18961-.Lpost_getpc23816)&4294967295
	s_addc_u32 s15, s15, (.LBB2_18961-.Lpost_getpc23816)>>32
	s_setpc_b64 s[14:15]
.LBB2_4625:
	s_or_saveexec_b64 s[6:7], s[6:7]
	v_mov_b32_e32 v12, s10
	s_xor_b64 exec, exec, s[6:7]
	s_cbranch_execz .LBB2_4626
; %bb.40467:
	s_getpc_b64 s[14:15]
.Lpost_getpc23817:
	s_add_u32 s14, s14, (.LBB2_18964-.Lpost_getpc23817)&4294967295
	s_addc_u32 s15, s15, (.LBB2_18964-.Lpost_getpc23817)>>32
	s_setpc_b64 s[14:15]
.LBB2_4626:
	s_or_b64 exec, exec, s[6:7]
	s_and_saveexec_b64 s[6:7], s[4:5]
	s_cbranch_execz .LBB2_4628
.LBB2_4627:
	v_bfe_u32 v12, v6, 16, 3
	v_ffbh_u32_e32 v15, v12
	v_min_u32_e32 v15, 32, v15
	v_lshrrev_b32_e32 v13, 19, v6
	v_subrev_u32_e32 v16, 28, v15
	v_and_b32_e32 v13, 15, v13
	v_lshlrev_b32_sdwa v16, v16, v6 dst_sel:DWORD dst_unused:UNUSED_PAD src0_sel:DWORD src1_sel:WORD_1
	v_bfe_u32 v14, v6, 19, 4
	v_sub_u32_e32 v15, 29, v15
	v_and_b32_e32 v16, 7, v16
	v_cmp_eq_u16_e32 vcc, 0, v13
	v_cndmask_b32_e32 v12, v12, v16, vcc
	v_cndmask_b32_e32 v13, v14, v15, vcc
	v_lshlrev_b32_e32 v14, 8, v6
	v_mov_b32_e32 v15, 0x3b800000
	v_lshlrev_b32_e32 v12, 20, v12
	v_and_b32_e32 v14, 0x80000000, v14
	v_lshl_add_u32 v13, v13, 23, v15
	v_or3_b32 v12, v14, v13, v12
.LBB2_4628:
	s_or_b64 exec, exec, s[6:7]
	s_movk_i32 s4, 0xff
	v_and_b32_sdwa v13, v2, s4 dst_sel:DWORD dst_unused:UNUSED_PAD src0_sel:WORD_1 src1_sel:DWORD
	s_movk_i32 s4, 0x7f
	v_cmp_lt_i16_e32 vcc, s4, v13
	s_mov_b64 s[4:5], 0
                                        ; implicit-def: $sgpr10
	s_and_saveexec_b64 s[6:7], vcc
	s_xor_b64 s[6:7], exec, s[6:7]
	s_cbranch_execz .LBB2_4629
; %bb.40469:
	s_getpc_b64 s[14:15]
.Lpost_getpc23818:
	s_add_u32 s14, s14, (.LBB2_18965-.Lpost_getpc23818)&4294967295
	s_addc_u32 s15, s15, (.LBB2_18965-.Lpost_getpc23818)>>32
	s_setpc_b64 s[14:15]
.LBB2_4629:
	s_or_saveexec_b64 s[6:7], s[6:7]
	v_mov_b32_e32 v14, s10
	s_xor_b64 exec, exec, s[6:7]
	s_cbranch_execz .LBB2_4630
; %bb.40471:
	s_getpc_b64 s[14:15]
.Lpost_getpc23819:
	s_add_u32 s14, s14, (.LBB2_18968-.Lpost_getpc23819)&4294967295
	s_addc_u32 s15, s15, (.LBB2_18968-.Lpost_getpc23819)>>32
	s_setpc_b64 s[14:15]
.LBB2_4630:
	s_or_b64 exec, exec, s[6:7]
	s_and_saveexec_b64 s[6:7], s[4:5]
	s_cbranch_execz .LBB2_4632
.LBB2_4631:
	v_bfe_u32 v13, v2, 16, 3
	v_ffbh_u32_e32 v16, v13
	v_min_u32_e32 v16, 32, v16
	v_lshrrev_b32_e32 v14, 19, v2
	v_subrev_u32_e32 v17, 28, v16
	v_and_b32_e32 v14, 15, v14
	v_lshlrev_b32_sdwa v17, v17, v2 dst_sel:DWORD dst_unused:UNUSED_PAD src0_sel:DWORD src1_sel:WORD_1
	v_bfe_u32 v15, v2, 19, 4
	v_sub_u32_e32 v16, 29, v16
	v_and_b32_e32 v17, 7, v17
	v_cmp_eq_u16_e32 vcc, 0, v14
	v_cndmask_b32_e32 v13, v13, v17, vcc
	v_cndmask_b32_e32 v14, v15, v16, vcc
	v_lshlrev_b32_e32 v15, 8, v2
	v_mov_b32_e32 v16, 0x3b800000
	v_lshlrev_b32_e32 v13, 20, v13
	v_and_b32_e32 v15, 0x80000000, v15
	v_lshl_add_u32 v14, v14, 23, v16
	v_or3_b32 v14, v15, v14, v13
.LBB2_4632:
	s_or_b64 exec, exec, s[6:7]
	s_nop 0
	v_mfma_f32_16x16x4f32 a[0:3], v12, v14, a[0:3]
	s_movk_i32 s4, 0x7f
	v_cmp_gt_i16_sdwa s[6:7], v6, s4 src0_sel:BYTE_3 src1_sel:DWORD
	s_mov_b64 s[4:5], 0
                                        ; implicit-def: $sgpr10
	s_and_saveexec_b64 s[8:9], s[6:7]
	s_xor_b64 s[6:7], exec, s[8:9]
	s_cbranch_execz .LBB2_4633
; %bb.40473:
	s_getpc_b64 s[14:15]
.Lpost_getpc23820:
	s_add_u32 s14, s14, (.LBB2_18969-.Lpost_getpc23820)&4294967295
	s_addc_u32 s15, s15, (.LBB2_18969-.Lpost_getpc23820)>>32
	s_setpc_b64 s[14:15]
.LBB2_4633:
	s_or_saveexec_b64 s[6:7], s[6:7]
	v_mov_b32_e32 v12, s10
	s_xor_b64 exec, exec, s[6:7]
	s_cbranch_execz .LBB2_4634
; %bb.40475:
	s_getpc_b64 s[14:15]
.Lpost_getpc23821:
	s_add_u32 s14, s14, (.LBB2_18972-.Lpost_getpc23821)&4294967295
	s_addc_u32 s15, s15, (.LBB2_18972-.Lpost_getpc23821)>>32
	s_setpc_b64 s[14:15]
.LBB2_4634:
	s_or_b64 exec, exec, s[6:7]
	s_and_saveexec_b64 s[6:7], s[4:5]
	s_cbranch_execz .LBB2_4636
.LBB2_4635:
	v_bfe_u32 v12, v6, 24, 3
	v_ffbh_u32_e32 v16, v12
	v_min_u32_e32 v16, 32, v16
	v_lshrrev_b32_e32 v14, 27, v6
	v_subrev_u32_e32 v17, 28, v16
	v_and_b32_e32 v13, 0x80000000, v6
	v_and_b32_e32 v14, 15, v14
	v_bfe_u32 v15, v6, 27, 4
	v_lshlrev_b32_sdwa v6, v17, v6 dst_sel:DWORD dst_unused:UNUSED_PAD src0_sel:DWORD src1_sel:BYTE_3
	v_sub_u32_e32 v16, 29, v16
	v_and_b32_e32 v6, 7, v6
	v_cmp_eq_u16_e32 vcc, 0, v14
	v_cndmask_b32_e32 v6, v12, v6, vcc
	v_cndmask_b32_e32 v12, v15, v16, vcc
	v_mov_b32_e32 v14, 0x3b800000
	v_lshlrev_b32_e32 v6, 20, v6
	v_lshl_add_u32 v12, v12, 23, v14
	v_or3_b32 v12, v13, v12, v6
.LBB2_4636:
	s_or_b64 exec, exec, s[6:7]
	s_movk_i32 s4, 0x7f
	v_cmp_gt_i16_sdwa s[6:7], v2, s4 src0_sel:BYTE_3 src1_sel:DWORD
	s_mov_b64 s[4:5], 0
                                        ; implicit-def: $sgpr10
	s_and_saveexec_b64 s[8:9], s[6:7]
	s_xor_b64 s[6:7], exec, s[8:9]
	s_cbranch_execz .LBB2_4637
; %bb.40477:
	s_getpc_b64 s[14:15]
.Lpost_getpc23822:
	s_add_u32 s14, s14, (.LBB2_18973-.Lpost_getpc23822)&4294967295
	s_addc_u32 s15, s15, (.LBB2_18973-.Lpost_getpc23822)>>32
	s_setpc_b64 s[14:15]
.LBB2_4637:
	s_or_saveexec_b64 s[6:7], s[6:7]
	v_mov_b32_e32 v6, s10
	s_xor_b64 exec, exec, s[6:7]
	s_cbranch_execz .LBB2_4638
; %bb.40479:
	s_getpc_b64 s[14:15]
.Lpost_getpc23823:
	s_add_u32 s14, s14, (.LBB2_18976-.Lpost_getpc23823)&4294967295
	s_addc_u32 s15, s15, (.LBB2_18976-.Lpost_getpc23823)>>32
	s_setpc_b64 s[14:15]
.LBB2_4638:
	s_or_b64 exec, exec, s[6:7]
	s_and_saveexec_b64 s[6:7], s[4:5]
	s_cbranch_execz .LBB2_4640
.LBB2_4639:
	v_bfe_u32 v6, v2, 24, 3
	v_ffbh_u32_e32 v16, v6
	v_min_u32_e32 v16, 32, v16
	v_lshrrev_b32_e32 v14, 27, v2
	v_subrev_u32_e32 v17, 28, v16
	v_and_b32_e32 v13, 0x80000000, v2
	v_and_b32_e32 v14, 15, v14
	v_bfe_u32 v15, v2, 27, 4
	v_lshlrev_b32_sdwa v2, v17, v2 dst_sel:DWORD dst_unused:UNUSED_PAD src0_sel:DWORD src1_sel:BYTE_3
	v_sub_u32_e32 v16, 29, v16
	v_and_b32_e32 v2, 7, v2
	v_cmp_eq_u16_e32 vcc, 0, v14
	v_cndmask_b32_e32 v2, v6, v2, vcc
	v_cndmask_b32_e32 v6, v15, v16, vcc
	v_mov_b32_e32 v14, 0x3b800000
	v_lshlrev_b32_e32 v2, 20, v2
	v_lshl_add_u32 v6, v6, 23, v14
	v_or3_b32 v6, v13, v6, v2
.LBB2_4640:
	s_or_b64 exec, exec, s[6:7]
	s_nop 0
	v_mfma_f32_16x16x4f32 a[0:3], v12, v6, a[0:3]
	s_movk_i32 s4, 0x7f
	v_cmp_gt_i16_sdwa s[6:7], v7, s4 src0_sel:BYTE_0 src1_sel:DWORD
	s_mov_b64 s[4:5], 0
                                        ; implicit-def: $sgpr10
	s_and_saveexec_b64 s[8:9], s[6:7]
	s_xor_b64 s[6:7], exec, s[8:9]
	s_cbranch_execz .LBB2_4641
; %bb.40481:
	s_getpc_b64 s[14:15]
.Lpost_getpc23824:
	s_add_u32 s14, s14, (.LBB2_18977-.Lpost_getpc23824)&4294967295
	s_addc_u32 s15, s15, (.LBB2_18977-.Lpost_getpc23824)>>32
	s_setpc_b64 s[14:15]
.LBB2_4641:
	s_or_saveexec_b64 s[6:7], s[6:7]
	v_mov_b32_e32 v2, s10
	s_xor_b64 exec, exec, s[6:7]
	s_cbranch_execz .LBB2_4642
; %bb.40483:
	s_getpc_b64 s[14:15]
.Lpost_getpc23825:
	s_add_u32 s14, s14, (.LBB2_18980-.Lpost_getpc23825)&4294967295
	s_addc_u32 s15, s15, (.LBB2_18980-.Lpost_getpc23825)>>32
	s_setpc_b64 s[14:15]
.LBB2_4642:
	s_or_b64 exec, exec, s[6:7]
	s_and_saveexec_b64 s[6:7], s[4:5]
	s_cbranch_execz .LBB2_4644
.LBB2_4643:
	v_and_b32_e32 v2, 7, v7
	v_ffbh_u32_e32 v12, v2
	v_min_u32_e32 v12, 32, v12
	v_lshrrev_b16_e32 v6, 3, v7
	v_subrev_u32_e32 v13, 28, v12
	v_and_b32_e32 v6, 15, v6
	v_lshlrev_b32_e32 v13, v13, v7
	v_sub_u32_e32 v12, 29, v12
	v_and_b32_e32 v13, 7, v13
	v_cmp_eq_u16_e32 vcc, 0, v6
	v_cndmask_b32_e32 v2, v2, v13, vcc
	v_cndmask_b32_e32 v6, v6, v12, vcc
	v_lshlrev_b32_e32 v12, 24, v7
	v_mov_b32_e32 v13, 0x3b800000
	v_lshlrev_b32_e32 v2, 20, v2
	v_and_b32_e32 v12, 0x80000000, v12
	v_lshl_add_u32 v6, v6, 23, v13
	v_or3_b32 v2, v12, v6, v2
.LBB2_4644:
	s_or_b64 exec, exec, s[6:7]
	s_movk_i32 s4, 0x7f
	v_cmp_gt_i16_sdwa s[6:7], v3, s4 src0_sel:BYTE_0 src1_sel:DWORD
	s_mov_b64 s[4:5], 0
                                        ; implicit-def: $sgpr10
	s_and_saveexec_b64 s[8:9], s[6:7]
	s_xor_b64 s[6:7], exec, s[8:9]
	s_cbranch_execz .LBB2_4645
; %bb.40485:
	s_getpc_b64 s[14:15]
.Lpost_getpc23826:
	s_add_u32 s14, s14, (.LBB2_18981-.Lpost_getpc23826)&4294967295
	s_addc_u32 s15, s15, (.LBB2_18981-.Lpost_getpc23826)>>32
	s_setpc_b64 s[14:15]
.LBB2_4645:
	s_or_saveexec_b64 s[6:7], s[6:7]
	v_mov_b32_e32 v6, s10
	s_xor_b64 exec, exec, s[6:7]
	s_cbranch_execz .LBB2_4646
; %bb.40487:
	s_getpc_b64 s[14:15]
.Lpost_getpc23827:
	s_add_u32 s14, s14, (.LBB2_18984-.Lpost_getpc23827)&4294967295
	s_addc_u32 s15, s15, (.LBB2_18984-.Lpost_getpc23827)>>32
	s_setpc_b64 s[14:15]
.LBB2_4646:
	s_or_b64 exec, exec, s[6:7]
	s_and_saveexec_b64 s[6:7], s[4:5]
	s_cbranch_execz .LBB2_4648
.LBB2_4647:
	v_and_b32_e32 v6, 7, v3
	v_ffbh_u32_e32 v13, v6
	v_min_u32_e32 v13, 32, v13
	v_lshrrev_b16_e32 v12, 3, v3
	v_subrev_u32_e32 v14, 28, v13
	v_and_b32_e32 v12, 15, v12
	v_lshlrev_b32_e32 v14, v14, v3
	v_sub_u32_e32 v13, 29, v13
	v_and_b32_e32 v14, 7, v14
	v_cmp_eq_u16_e32 vcc, 0, v12
	v_cndmask_b32_e32 v6, v6, v14, vcc
	v_cndmask_b32_e32 v12, v12, v13, vcc
	v_lshlrev_b32_e32 v13, 24, v3
	v_mov_b32_e32 v14, 0x3b800000
	v_lshlrev_b32_e32 v6, 20, v6
	v_and_b32_e32 v13, 0x80000000, v13
	v_lshl_add_u32 v12, v12, 23, v14
	v_or3_b32 v6, v13, v12, v6
.LBB2_4648:
	s_or_b64 exec, exec, s[6:7]
	s_nop 0
	v_mfma_f32_16x16x4f32 a[0:3], v2, v6, a[0:3]
	v_lshrrev_b32_e32 v6, 8, v7
	s_movk_i32 s4, 0x7f
	v_cmp_gt_i16_sdwa s[6:7], v6, s4 src0_sel:BYTE_0 src1_sel:DWORD
	s_mov_b64 s[4:5], 0
                                        ; implicit-def: $sgpr10
	s_and_saveexec_b64 s[8:9], s[6:7]
	s_xor_b64 s[6:7], exec, s[8:9]
	s_cbranch_execz .LBB2_4649
; %bb.40489:
	s_getpc_b64 s[14:15]
.Lpost_getpc23828:
	s_add_u32 s14, s14, (.LBB2_18985-.Lpost_getpc23828)&4294967295
	s_addc_u32 s15, s15, (.LBB2_18985-.Lpost_getpc23828)>>32
	s_setpc_b64 s[14:15]
.LBB2_4649:
	s_or_saveexec_b64 s[6:7], s[6:7]
	v_mov_b32_e32 v2, s10
	s_xor_b64 exec, exec, s[6:7]
	s_cbranch_execz .LBB2_4650
; %bb.40491:
	s_getpc_b64 s[14:15]
.Lpost_getpc23829:
	s_add_u32 s14, s14, (.LBB2_18988-.Lpost_getpc23829)&4294967295
	s_addc_u32 s15, s15, (.LBB2_18988-.Lpost_getpc23829)>>32
	s_setpc_b64 s[14:15]
.LBB2_4650:
	s_or_b64 exec, exec, s[6:7]
	s_and_saveexec_b64 s[6:7], s[4:5]
	s_cbranch_execz .LBB2_4652
.LBB2_4651:
	v_bfe_u32 v2, v7, 8, 3
	v_ffbh_u32_e32 v13, v2
	v_min_u32_e32 v13, 32, v13
	v_lshrrev_b16_e32 v12, 3, v6
	v_subrev_u32_e32 v14, 28, v13
	v_and_b32_e32 v12, 15, v12
	v_lshlrev_b32_e32 v6, v14, v6
	v_sub_u32_e32 v13, 29, v13
	v_and_b32_e32 v6, 7, v6
	v_cmp_eq_u16_e32 vcc, 0, v12
	v_cndmask_b32_e32 v2, v2, v6, vcc
	v_cndmask_b32_e32 v6, v12, v13, vcc
	v_lshlrev_b32_e32 v12, 16, v7
	v_mov_b32_e32 v13, 0x3b800000
	v_lshlrev_b32_e32 v2, 20, v2
	v_and_b32_e32 v12, 0x80000000, v12
	v_lshl_add_u32 v6, v6, 23, v13
	v_or3_b32 v2, v12, v6, v2
.LBB2_4652:
	s_or_b64 exec, exec, s[6:7]
	v_lshrrev_b32_e32 v6, 8, v3
	s_movk_i32 s4, 0x7f
	v_cmp_gt_i16_sdwa s[6:7], v6, s4 src0_sel:BYTE_0 src1_sel:DWORD
	s_mov_b64 s[4:5], 0
                                        ; implicit-def: $sgpr10
	s_and_saveexec_b64 s[8:9], s[6:7]
	s_xor_b64 s[6:7], exec, s[8:9]
	s_cbranch_execz .LBB2_4653
; %bb.40493:
	s_getpc_b64 s[14:15]
.Lpost_getpc23830:
	s_add_u32 s14, s14, (.LBB2_18989-.Lpost_getpc23830)&4294967295
	s_addc_u32 s15, s15, (.LBB2_18989-.Lpost_getpc23830)>>32
	s_setpc_b64 s[14:15]
.LBB2_4653:
	s_or_saveexec_b64 s[6:7], s[6:7]
	v_mov_b32_e32 v12, s10
	s_xor_b64 exec, exec, s[6:7]
	s_cbranch_execz .LBB2_4654
; %bb.40495:
	s_getpc_b64 s[14:15]
.Lpost_getpc23831:
	s_add_u32 s14, s14, (.LBB2_18992-.Lpost_getpc23831)&4294967295
	s_addc_u32 s15, s15, (.LBB2_18992-.Lpost_getpc23831)>>32
	s_setpc_b64 s[14:15]
.LBB2_4654:
	s_or_b64 exec, exec, s[6:7]
	s_and_saveexec_b64 s[6:7], s[4:5]
	s_cbranch_execz .LBB2_4656
.LBB2_4655:
	v_bfe_u32 v12, v3, 8, 3
	v_ffbh_u32_e32 v14, v12
	v_min_u32_e32 v14, 32, v14
	v_lshrrev_b16_e32 v13, 3, v6
	v_subrev_u32_e32 v15, 28, v14
	v_and_b32_e32 v13, 15, v13
	v_lshlrev_b32_e32 v6, v15, v6
	v_sub_u32_e32 v14, 29, v14
	v_and_b32_e32 v6, 7, v6
	v_cmp_eq_u16_e32 vcc, 0, v13
	v_cndmask_b32_e32 v6, v12, v6, vcc
	v_cndmask_b32_e32 v12, v13, v14, vcc
	v_lshlrev_b32_e32 v13, 16, v3
	v_mov_b32_e32 v14, 0x3b800000
	v_lshlrev_b32_e32 v6, 20, v6
	v_and_b32_e32 v13, 0x80000000, v13
	v_lshl_add_u32 v12, v12, 23, v14
	v_or3_b32 v12, v13, v12, v6
.LBB2_4656:
	s_or_b64 exec, exec, s[6:7]
	s_nop 0
	v_mfma_f32_16x16x4f32 a[0:3], v2, v12, a[0:3]
	s_movk_i32 s4, 0xff
	v_and_b32_sdwa v6, v7, s4 dst_sel:DWORD dst_unused:UNUSED_PAD src0_sel:WORD_1 src1_sel:DWORD
	s_movk_i32 s4, 0x7f
	v_cmp_lt_i16_e32 vcc, s4, v6
	s_mov_b64 s[4:5], 0
                                        ; implicit-def: $sgpr10
	s_and_saveexec_b64 s[6:7], vcc
	s_xor_b64 s[6:7], exec, s[6:7]
	s_cbranch_execz .LBB2_4657
; %bb.40497:
	s_getpc_b64 s[14:15]
.Lpost_getpc23832:
	s_add_u32 s14, s14, (.LBB2_18993-.Lpost_getpc23832)&4294967295
	s_addc_u32 s15, s15, (.LBB2_18993-.Lpost_getpc23832)>>32
	s_setpc_b64 s[14:15]
.LBB2_4657:
	s_or_saveexec_b64 s[6:7], s[6:7]
	v_mov_b32_e32 v2, s10
	s_xor_b64 exec, exec, s[6:7]
	s_cbranch_execz .LBB2_4658
; %bb.40499:
	s_getpc_b64 s[14:15]
.Lpost_getpc23833:
	s_add_u32 s14, s14, (.LBB2_18996-.Lpost_getpc23833)&4294967295
	s_addc_u32 s15, s15, (.LBB2_18996-.Lpost_getpc23833)>>32
	s_setpc_b64 s[14:15]
.LBB2_4658:
	s_or_b64 exec, exec, s[6:7]
	s_and_saveexec_b64 s[6:7], s[4:5]
	s_cbranch_execz .LBB2_4660
.LBB2_4659:
	v_bfe_u32 v2, v7, 16, 3
	v_ffbh_u32_e32 v13, v2
	v_min_u32_e32 v13, 32, v13
	v_lshrrev_b32_e32 v6, 19, v7
	v_subrev_u32_e32 v14, 28, v13
	v_and_b32_e32 v6, 15, v6
	v_lshlrev_b32_sdwa v14, v14, v7 dst_sel:DWORD dst_unused:UNUSED_PAD src0_sel:DWORD src1_sel:WORD_1
	v_bfe_u32 v12, v7, 19, 4
	v_sub_u32_e32 v13, 29, v13
	v_and_b32_e32 v14, 7, v14
	v_cmp_eq_u16_e32 vcc, 0, v6
	v_cndmask_b32_e32 v2, v2, v14, vcc
	v_cndmask_b32_e32 v6, v12, v13, vcc
	v_lshlrev_b32_e32 v12, 8, v7
	v_mov_b32_e32 v13, 0x3b800000
	v_lshlrev_b32_e32 v2, 20, v2
	v_and_b32_e32 v12, 0x80000000, v12
	v_lshl_add_u32 v6, v6, 23, v13
	v_or3_b32 v2, v12, v6, v2
.LBB2_4660:
	s_or_b64 exec, exec, s[6:7]
	s_movk_i32 s4, 0xff
	v_and_b32_sdwa v6, v3, s4 dst_sel:DWORD dst_unused:UNUSED_PAD src0_sel:WORD_1 src1_sel:DWORD
	s_movk_i32 s4, 0x7f
	v_cmp_lt_i16_e32 vcc, s4, v6
	s_mov_b64 s[4:5], 0
                                        ; implicit-def: $sgpr10
	s_and_saveexec_b64 s[6:7], vcc
	s_xor_b64 s[6:7], exec, s[6:7]
	s_cbranch_execz .LBB2_4661
; %bb.40501:
	s_getpc_b64 s[14:15]
.Lpost_getpc23834:
	s_add_u32 s14, s14, (.LBB2_18997-.Lpost_getpc23834)&4294967295
	s_addc_u32 s15, s15, (.LBB2_18997-.Lpost_getpc23834)>>32
	s_setpc_b64 s[14:15]
.LBB2_4661:
	s_or_saveexec_b64 s[6:7], s[6:7]
	v_mov_b32_e32 v12, s10
	s_xor_b64 exec, exec, s[6:7]
	s_cbranch_execz .LBB2_4662
; %bb.40503:
	s_getpc_b64 s[14:15]
.Lpost_getpc23835:
	s_add_u32 s14, s14, (.LBB2_19000-.Lpost_getpc23835)&4294967295
	s_addc_u32 s15, s15, (.LBB2_19000-.Lpost_getpc23835)>>32
	s_setpc_b64 s[14:15]
.LBB2_4662:
	s_or_b64 exec, exec, s[6:7]
	s_and_saveexec_b64 s[6:7], s[4:5]
	s_cbranch_execz .LBB2_4664
.LBB2_4663:
	v_bfe_u32 v6, v3, 16, 3
	v_ffbh_u32_e32 v14, v6
	v_min_u32_e32 v14, 32, v14
	v_lshrrev_b32_e32 v12, 19, v3
	v_subrev_u32_e32 v15, 28, v14
	v_and_b32_e32 v12, 15, v12
	v_lshlrev_b32_sdwa v15, v15, v3 dst_sel:DWORD dst_unused:UNUSED_PAD src0_sel:DWORD src1_sel:WORD_1
	v_bfe_u32 v13, v3, 19, 4
	v_sub_u32_e32 v14, 29, v14
	v_and_b32_e32 v15, 7, v15
	v_cmp_eq_u16_e32 vcc, 0, v12
	v_cndmask_b32_e32 v6, v6, v15, vcc
	v_cndmask_b32_e32 v12, v13, v14, vcc
	v_lshlrev_b32_e32 v13, 8, v3
	v_mov_b32_e32 v14, 0x3b800000
	v_lshlrev_b32_e32 v6, 20, v6
	v_and_b32_e32 v13, 0x80000000, v13
	v_lshl_add_u32 v12, v12, 23, v14
	v_or3_b32 v12, v13, v12, v6
.LBB2_4664:
	s_or_b64 exec, exec, s[6:7]
	s_nop 0
	v_mfma_f32_16x16x4f32 a[0:3], v2, v12, a[0:3]
	s_movk_i32 s4, 0x7f
	v_cmp_gt_i16_sdwa s[6:7], v7, s4 src0_sel:BYTE_3 src1_sel:DWORD
	s_mov_b64 s[4:5], 0
                                        ; implicit-def: $sgpr10
	s_and_saveexec_b64 s[8:9], s[6:7]
	s_xor_b64 s[6:7], exec, s[8:9]
	s_cbranch_execz .LBB2_4665
; %bb.40505:
	s_getpc_b64 s[14:15]
.Lpost_getpc23836:
	s_add_u32 s14, s14, (.LBB2_19001-.Lpost_getpc23836)&4294967295
	s_addc_u32 s15, s15, (.LBB2_19001-.Lpost_getpc23836)>>32
	s_setpc_b64 s[14:15]
.LBB2_4665:
	s_or_saveexec_b64 s[6:7], s[6:7]
	v_mov_b32_e32 v2, s10
	s_xor_b64 exec, exec, s[6:7]
	s_cbranch_execz .LBB2_4666
; %bb.40507:
	s_getpc_b64 s[14:15]
.Lpost_getpc23837:
	s_add_u32 s14, s14, (.LBB2_19004-.Lpost_getpc23837)&4294967295
	s_addc_u32 s15, s15, (.LBB2_19004-.Lpost_getpc23837)>>32
	s_setpc_b64 s[14:15]
.LBB2_4666:
	s_or_b64 exec, exec, s[6:7]
	s_and_saveexec_b64 s[6:7], s[4:5]
	s_cbranch_execz .LBB2_4668
.LBB2_4667:
	v_bfe_u32 v2, v7, 24, 3
	v_ffbh_u32_e32 v14, v2
	v_min_u32_e32 v14, 32, v14
	v_lshrrev_b32_e32 v12, 27, v7
	v_subrev_u32_e32 v15, 28, v14
	v_and_b32_e32 v6, 0x80000000, v7
	v_and_b32_e32 v12, 15, v12
	v_bfe_u32 v13, v7, 27, 4
	v_lshlrev_b32_sdwa v7, v15, v7 dst_sel:DWORD dst_unused:UNUSED_PAD src0_sel:DWORD src1_sel:BYTE_3
	v_sub_u32_e32 v14, 29, v14
	v_and_b32_e32 v7, 7, v7
	v_cmp_eq_u16_e32 vcc, 0, v12
	v_cndmask_b32_e32 v2, v2, v7, vcc
	v_cndmask_b32_e32 v7, v13, v14, vcc
	v_mov_b32_e32 v12, 0x3b800000
	v_lshlrev_b32_e32 v2, 20, v2
	v_lshl_add_u32 v7, v7, 23, v12
	v_or3_b32 v2, v6, v7, v2
.LBB2_4668:
	s_or_b64 exec, exec, s[6:7]
	s_movk_i32 s4, 0x7f
	v_cmp_gt_i16_sdwa s[6:7], v3, s4 src0_sel:BYTE_3 src1_sel:DWORD
	s_mov_b64 s[4:5], 0
                                        ; implicit-def: $sgpr10
	s_and_saveexec_b64 s[8:9], s[6:7]
	s_xor_b64 s[6:7], exec, s[8:9]
	s_cbranch_execz .LBB2_4669
; %bb.40509:
	s_getpc_b64 s[14:15]
.Lpost_getpc23838:
	s_add_u32 s14, s14, (.LBB2_19005-.Lpost_getpc23838)&4294967295
	s_addc_u32 s15, s15, (.LBB2_19005-.Lpost_getpc23838)>>32
	s_setpc_b64 s[14:15]
.LBB2_4669:
	s_or_saveexec_b64 s[6:7], s[6:7]
	v_mov_b32_e32 v6, s10
	s_xor_b64 exec, exec, s[6:7]
	s_cbranch_execz .LBB2_4670
; %bb.40511:
	s_getpc_b64 s[14:15]
.Lpost_getpc23839:
	s_add_u32 s14, s14, (.LBB2_19008-.Lpost_getpc23839)&4294967295
	s_addc_u32 s15, s15, (.LBB2_19008-.Lpost_getpc23839)>>32
	s_setpc_b64 s[14:15]
.LBB2_4670:
	s_or_b64 exec, exec, s[6:7]
	s_and_saveexec_b64 s[6:7], s[4:5]
	s_cbranch_execz .LBB2_4672
.LBB2_4671:
	v_bfe_u32 v6, v3, 24, 3
	v_ffbh_u32_e32 v14, v6
	v_min_u32_e32 v14, 32, v14
	v_lshrrev_b32_e32 v12, 27, v3
	v_subrev_u32_e32 v15, 28, v14
	v_and_b32_e32 v7, 0x80000000, v3
	v_and_b32_e32 v12, 15, v12
	v_bfe_u32 v13, v3, 27, 4
	v_lshlrev_b32_sdwa v3, v15, v3 dst_sel:DWORD dst_unused:UNUSED_PAD src0_sel:DWORD src1_sel:BYTE_3
	v_sub_u32_e32 v14, 29, v14
	v_and_b32_e32 v3, 7, v3
	v_cmp_eq_u16_e32 vcc, 0, v12
	v_cndmask_b32_e32 v3, v6, v3, vcc
	v_cndmask_b32_e32 v6, v13, v14, vcc
	v_mov_b32_e32 v12, 0x3b800000
	v_lshlrev_b32_e32 v3, 20, v3
	v_lshl_add_u32 v6, v6, 23, v12
	v_or3_b32 v6, v7, v6, v3
.LBB2_4672:
	s_or_b64 exec, exec, s[6:7]
	s_nop 0
	v_mfma_f32_16x16x4f32 a[0:3], v2, v6, a[0:3]
	s_movk_i32 s4, 0x7f
	v_cmp_gt_i16_sdwa s[6:7], v8, s4 src0_sel:BYTE_0 src1_sel:DWORD
	s_mov_b64 s[4:5], 0
                                        ; implicit-def: $sgpr10
	s_and_saveexec_b64 s[8:9], s[6:7]
	s_xor_b64 s[6:7], exec, s[8:9]
	s_cbranch_execz .LBB2_4673
; %bb.40513:
	s_getpc_b64 s[14:15]
.Lpost_getpc23840:
	s_add_u32 s14, s14, (.LBB2_19009-.Lpost_getpc23840)&4294967295
	s_addc_u32 s15, s15, (.LBB2_19009-.Lpost_getpc23840)>>32
	s_setpc_b64 s[14:15]
.LBB2_4673:
	s_or_saveexec_b64 s[6:7], s[6:7]
	v_mov_b32_e32 v2, s10
	s_xor_b64 exec, exec, s[6:7]
	s_cbranch_execz .LBB2_4674
; %bb.40515:
	s_getpc_b64 s[14:15]
.Lpost_getpc23841:
	s_add_u32 s14, s14, (.LBB2_19012-.Lpost_getpc23841)&4294967295
	s_addc_u32 s15, s15, (.LBB2_19012-.Lpost_getpc23841)>>32
	s_setpc_b64 s[14:15]
.LBB2_4674:
	s_or_b64 exec, exec, s[6:7]
	s_and_saveexec_b64 s[6:7], s[4:5]
	s_cbranch_execz .LBB2_4676
.LBB2_4675:
	v_and_b32_e32 v2, 7, v8
	v_ffbh_u32_e32 v6, v2
	v_min_u32_e32 v6, 32, v6
	v_lshrrev_b16_e32 v3, 3, v8
	v_subrev_u32_e32 v7, 28, v6
	v_and_b32_e32 v3, 15, v3
	v_lshlrev_b32_e32 v7, v7, v8
	v_sub_u32_e32 v6, 29, v6
	v_and_b32_e32 v7, 7, v7
	v_cmp_eq_u16_e32 vcc, 0, v3
	v_cndmask_b32_e32 v2, v2, v7, vcc
	v_cndmask_b32_e32 v3, v3, v6, vcc
	v_lshlrev_b32_e32 v6, 24, v8
	v_mov_b32_e32 v7, 0x3b800000
	v_lshlrev_b32_e32 v2, 20, v2
	v_and_b32_e32 v6, 0x80000000, v6
	v_lshl_add_u32 v3, v3, 23, v7
	v_or3_b32 v2, v6, v3, v2
.LBB2_4676:
	s_or_b64 exec, exec, s[6:7]
	s_movk_i32 s4, 0x7f
	v_cmp_gt_i16_sdwa s[6:7], v4, s4 src0_sel:BYTE_0 src1_sel:DWORD
	s_mov_b64 s[4:5], 0
                                        ; implicit-def: $sgpr10
	s_and_saveexec_b64 s[8:9], s[6:7]
	s_xor_b64 s[6:7], exec, s[8:9]
	s_cbranch_execz .LBB2_4677
; %bb.40517:
	s_getpc_b64 s[14:15]
.Lpost_getpc23842:
	s_add_u32 s14, s14, (.LBB2_19013-.Lpost_getpc23842)&4294967295
	s_addc_u32 s15, s15, (.LBB2_19013-.Lpost_getpc23842)>>32
	s_setpc_b64 s[14:15]
.LBB2_4677:
	s_or_saveexec_b64 s[6:7], s[6:7]
	v_mov_b32_e32 v3, s10
	s_xor_b64 exec, exec, s[6:7]
	s_cbranch_execz .LBB2_4678
; %bb.40519:
	s_getpc_b64 s[14:15]
.Lpost_getpc23843:
	s_add_u32 s14, s14, (.LBB2_19016-.Lpost_getpc23843)&4294967295
	s_addc_u32 s15, s15, (.LBB2_19016-.Lpost_getpc23843)>>32
	s_setpc_b64 s[14:15]
.LBB2_4678:
	s_or_b64 exec, exec, s[6:7]
	s_and_saveexec_b64 s[6:7], s[4:5]
	s_cbranch_execz .LBB2_4680
.LBB2_4679:
	v_and_b32_e32 v3, 7, v4
	v_ffbh_u32_e32 v7, v3
	v_min_u32_e32 v7, 32, v7
	v_lshrrev_b16_e32 v6, 3, v4
	v_subrev_u32_e32 v12, 28, v7
	v_and_b32_e32 v6, 15, v6
	v_lshlrev_b32_e32 v12, v12, v4
	v_sub_u32_e32 v7, 29, v7
	v_and_b32_e32 v12, 7, v12
	v_cmp_eq_u16_e32 vcc, 0, v6
	v_cndmask_b32_e32 v3, v3, v12, vcc
	v_cndmask_b32_e32 v6, v6, v7, vcc
	v_lshlrev_b32_e32 v7, 24, v4
	v_mov_b32_e32 v12, 0x3b800000
	v_lshlrev_b32_e32 v3, 20, v3
	v_and_b32_e32 v7, 0x80000000, v7
	v_lshl_add_u32 v6, v6, 23, v12
	v_or3_b32 v3, v7, v6, v3
.LBB2_4680:
	s_or_b64 exec, exec, s[6:7]
	s_nop 0
	v_mfma_f32_16x16x4f32 a[0:3], v2, v3, a[0:3]
	v_lshrrev_b32_e32 v3, 8, v8
	s_movk_i32 s4, 0x7f
	v_cmp_gt_i16_sdwa s[6:7], v3, s4 src0_sel:BYTE_0 src1_sel:DWORD
	s_mov_b64 s[4:5], 0
                                        ; implicit-def: $sgpr10
	s_and_saveexec_b64 s[8:9], s[6:7]
	s_xor_b64 s[6:7], exec, s[8:9]
	s_cbranch_execz .LBB2_4681
; %bb.40521:
	s_getpc_b64 s[14:15]
.Lpost_getpc23844:
	s_add_u32 s14, s14, (.LBB2_19017-.Lpost_getpc23844)&4294967295
	s_addc_u32 s15, s15, (.LBB2_19017-.Lpost_getpc23844)>>32
	s_setpc_b64 s[14:15]
.LBB2_4681:
	s_or_saveexec_b64 s[6:7], s[6:7]
	v_mov_b32_e32 v2, s10
	s_xor_b64 exec, exec, s[6:7]
	s_cbranch_execz .LBB2_4682
; %bb.40523:
	s_getpc_b64 s[14:15]
.Lpost_getpc23845:
	s_add_u32 s14, s14, (.LBB2_19020-.Lpost_getpc23845)&4294967295
	s_addc_u32 s15, s15, (.LBB2_19020-.Lpost_getpc23845)>>32
	s_setpc_b64 s[14:15]
.LBB2_4682:
	s_or_b64 exec, exec, s[6:7]
	s_and_saveexec_b64 s[6:7], s[4:5]
	s_cbranch_execz .LBB2_4684
.LBB2_4683:
	v_bfe_u32 v2, v8, 8, 3
	v_ffbh_u32_e32 v7, v2
	v_min_u32_e32 v7, 32, v7
	v_lshrrev_b16_e32 v6, 3, v3
	v_subrev_u32_e32 v12, 28, v7
	v_and_b32_e32 v6, 15, v6
	v_lshlrev_b32_e32 v3, v12, v3
	v_sub_u32_e32 v7, 29, v7
	v_and_b32_e32 v3, 7, v3
	v_cmp_eq_u16_e32 vcc, 0, v6
	v_cndmask_b32_e32 v2, v2, v3, vcc
	v_cndmask_b32_e32 v3, v6, v7, vcc
	v_lshlrev_b32_e32 v6, 16, v8
	v_mov_b32_e32 v7, 0x3b800000
	v_lshlrev_b32_e32 v2, 20, v2
	v_and_b32_e32 v6, 0x80000000, v6
	v_lshl_add_u32 v3, v3, 23, v7
	v_or3_b32 v2, v6, v3, v2
.LBB2_4684:
	s_or_b64 exec, exec, s[6:7]
	v_lshrrev_b32_e32 v3, 8, v4
	s_movk_i32 s4, 0x7f
	v_cmp_gt_i16_sdwa s[6:7], v3, s4 src0_sel:BYTE_0 src1_sel:DWORD
	s_mov_b64 s[4:5], 0
                                        ; implicit-def: $sgpr10
	s_and_saveexec_b64 s[8:9], s[6:7]
	s_xor_b64 s[6:7], exec, s[8:9]
	s_cbranch_execz .LBB2_4685
; %bb.40525:
	s_getpc_b64 s[14:15]
.Lpost_getpc23846:
	s_add_u32 s14, s14, (.LBB2_19021-.Lpost_getpc23846)&4294967295
	s_addc_u32 s15, s15, (.LBB2_19021-.Lpost_getpc23846)>>32
	s_setpc_b64 s[14:15]
.LBB2_4685:
	s_or_saveexec_b64 s[6:7], s[6:7]
	v_mov_b32_e32 v6, s10
	s_xor_b64 exec, exec, s[6:7]
	s_cbranch_execz .LBB2_4686
; %bb.40527:
	s_getpc_b64 s[14:15]
.Lpost_getpc23847:
	s_add_u32 s14, s14, (.LBB2_19024-.Lpost_getpc23847)&4294967295
	s_addc_u32 s15, s15, (.LBB2_19024-.Lpost_getpc23847)>>32
	s_setpc_b64 s[14:15]
.LBB2_4686:
	s_or_b64 exec, exec, s[6:7]
	s_and_saveexec_b64 s[6:7], s[4:5]
	s_cbranch_execz .LBB2_4688
.LBB2_4687:
	v_bfe_u32 v6, v4, 8, 3
	v_ffbh_u32_e32 v12, v6
	v_min_u32_e32 v12, 32, v12
	v_lshrrev_b16_e32 v7, 3, v3
	v_subrev_u32_e32 v13, 28, v12
	v_and_b32_e32 v7, 15, v7
	v_lshlrev_b32_e32 v3, v13, v3
	v_sub_u32_e32 v12, 29, v12
	v_and_b32_e32 v3, 7, v3
	v_cmp_eq_u16_e32 vcc, 0, v7
	v_cndmask_b32_e32 v3, v6, v3, vcc
	v_cndmask_b32_e32 v6, v7, v12, vcc
	v_lshlrev_b32_e32 v7, 16, v4
	v_mov_b32_e32 v12, 0x3b800000
	v_lshlrev_b32_e32 v3, 20, v3
	v_and_b32_e32 v7, 0x80000000, v7
	v_lshl_add_u32 v6, v6, 23, v12
	v_or3_b32 v6, v7, v6, v3
.LBB2_4688:
	s_or_b64 exec, exec, s[6:7]
	s_nop 0
	v_mfma_f32_16x16x4f32 a[0:3], v2, v6, a[0:3]
	s_movk_i32 s4, 0xff
	v_and_b32_sdwa v3, v8, s4 dst_sel:DWORD dst_unused:UNUSED_PAD src0_sel:WORD_1 src1_sel:DWORD
	s_movk_i32 s4, 0x7f
	v_cmp_lt_i16_e32 vcc, s4, v3
	s_mov_b64 s[4:5], 0
                                        ; implicit-def: $sgpr10
	s_and_saveexec_b64 s[6:7], vcc
	s_xor_b64 s[6:7], exec, s[6:7]
	s_cbranch_execz .LBB2_4689
; %bb.40529:
	s_getpc_b64 s[14:15]
.Lpost_getpc23848:
	s_add_u32 s14, s14, (.LBB2_19025-.Lpost_getpc23848)&4294967295
	s_addc_u32 s15, s15, (.LBB2_19025-.Lpost_getpc23848)>>32
	s_setpc_b64 s[14:15]
.LBB2_4689:
	s_or_saveexec_b64 s[6:7], s[6:7]
	v_mov_b32_e32 v2, s10
	s_xor_b64 exec, exec, s[6:7]
	s_cbranch_execz .LBB2_4690
; %bb.40531:
	s_getpc_b64 s[14:15]
.Lpost_getpc23849:
	s_add_u32 s14, s14, (.LBB2_19028-.Lpost_getpc23849)&4294967295
	s_addc_u32 s15, s15, (.LBB2_19028-.Lpost_getpc23849)>>32
	s_setpc_b64 s[14:15]
.LBB2_4690:
	s_or_b64 exec, exec, s[6:7]
	s_and_saveexec_b64 s[6:7], s[4:5]
	s_cbranch_execz .LBB2_4692
.LBB2_4691:
	v_bfe_u32 v2, v8, 16, 3
	v_ffbh_u32_e32 v7, v2
	v_min_u32_e32 v7, 32, v7
	v_lshrrev_b32_e32 v3, 19, v8
	v_subrev_u32_e32 v12, 28, v7
	v_and_b32_e32 v3, 15, v3
	v_lshlrev_b32_sdwa v12, v12, v8 dst_sel:DWORD dst_unused:UNUSED_PAD src0_sel:DWORD src1_sel:WORD_1
	v_bfe_u32 v6, v8, 19, 4
	v_sub_u32_e32 v7, 29, v7
	v_and_b32_e32 v12, 7, v12
	v_cmp_eq_u16_e32 vcc, 0, v3
	v_cndmask_b32_e32 v2, v2, v12, vcc
	v_cndmask_b32_e32 v3, v6, v7, vcc
	v_lshlrev_b32_e32 v6, 8, v8
	v_mov_b32_e32 v7, 0x3b800000
	v_lshlrev_b32_e32 v2, 20, v2
	v_and_b32_e32 v6, 0x80000000, v6
	v_lshl_add_u32 v3, v3, 23, v7
	v_or3_b32 v2, v6, v3, v2
.LBB2_4692:
	s_or_b64 exec, exec, s[6:7]
	s_movk_i32 s4, 0xff
	v_and_b32_sdwa v3, v4, s4 dst_sel:DWORD dst_unused:UNUSED_PAD src0_sel:WORD_1 src1_sel:DWORD
	s_movk_i32 s4, 0x7f
	v_cmp_lt_i16_e32 vcc, s4, v3
	s_mov_b64 s[4:5], 0
                                        ; implicit-def: $sgpr10
	s_and_saveexec_b64 s[6:7], vcc
	s_xor_b64 s[6:7], exec, s[6:7]
	s_cbranch_execz .LBB2_4693
; %bb.40533:
	s_getpc_b64 s[14:15]
.Lpost_getpc23850:
	s_add_u32 s14, s14, (.LBB2_19029-.Lpost_getpc23850)&4294967295
	s_addc_u32 s15, s15, (.LBB2_19029-.Lpost_getpc23850)>>32
	s_setpc_b64 s[14:15]
.LBB2_4693:
	s_or_saveexec_b64 s[6:7], s[6:7]
	v_mov_b32_e32 v6, s10
	s_xor_b64 exec, exec, s[6:7]
	s_cbranch_execz .LBB2_4694
; %bb.40535:
	s_getpc_b64 s[14:15]
.Lpost_getpc23851:
	s_add_u32 s14, s14, (.LBB2_19032-.Lpost_getpc23851)&4294967295
	s_addc_u32 s15, s15, (.LBB2_19032-.Lpost_getpc23851)>>32
	s_setpc_b64 s[14:15]
.LBB2_4694:
	s_or_b64 exec, exec, s[6:7]
	s_and_saveexec_b64 s[6:7], s[4:5]
	s_cbranch_execz .LBB2_4696
.LBB2_4695:
	v_bfe_u32 v3, v4, 16, 3
	v_ffbh_u32_e32 v12, v3
	v_min_u32_e32 v12, 32, v12
	v_lshrrev_b32_e32 v6, 19, v4
	v_subrev_u32_e32 v13, 28, v12
	v_and_b32_e32 v6, 15, v6
	v_lshlrev_b32_sdwa v13, v13, v4 dst_sel:DWORD dst_unused:UNUSED_PAD src0_sel:DWORD src1_sel:WORD_1
	v_bfe_u32 v7, v4, 19, 4
	v_sub_u32_e32 v12, 29, v12
	v_and_b32_e32 v13, 7, v13
	v_cmp_eq_u16_e32 vcc, 0, v6
	v_cndmask_b32_e32 v3, v3, v13, vcc
	v_cndmask_b32_e32 v6, v7, v12, vcc
	v_lshlrev_b32_e32 v7, 8, v4
	v_mov_b32_e32 v12, 0x3b800000
	v_lshlrev_b32_e32 v3, 20, v3
	v_and_b32_e32 v7, 0x80000000, v7
	v_lshl_add_u32 v6, v6, 23, v12
	v_or3_b32 v6, v7, v6, v3
.LBB2_4696:
	s_or_b64 exec, exec, s[6:7]
	s_nop 0
	v_mfma_f32_16x16x4f32 a[0:3], v2, v6, a[0:3]
	s_movk_i32 s4, 0x7f
	v_cmp_gt_i16_sdwa s[6:7], v8, s4 src0_sel:BYTE_3 src1_sel:DWORD
	s_mov_b64 s[4:5], 0
                                        ; implicit-def: $sgpr10
	s_and_saveexec_b64 s[8:9], s[6:7]
	s_xor_b64 s[6:7], exec, s[8:9]
	s_cbranch_execz .LBB2_4697
; %bb.40537:
	s_getpc_b64 s[14:15]
.Lpost_getpc23852:
	s_add_u32 s14, s14, (.LBB2_19033-.Lpost_getpc23852)&4294967295
	s_addc_u32 s15, s15, (.LBB2_19033-.Lpost_getpc23852)>>32
	s_setpc_b64 s[14:15]
.LBB2_4697:
	s_or_saveexec_b64 s[6:7], s[6:7]
	v_mov_b32_e32 v2, s10
	s_xor_b64 exec, exec, s[6:7]
	s_cbranch_execz .LBB2_4698
; %bb.40539:
	s_getpc_b64 s[14:15]
.Lpost_getpc23853:
	s_add_u32 s14, s14, (.LBB2_19036-.Lpost_getpc23853)&4294967295
	s_addc_u32 s15, s15, (.LBB2_19036-.Lpost_getpc23853)>>32
	s_setpc_b64 s[14:15]
.LBB2_4698:
	s_or_b64 exec, exec, s[6:7]
	s_and_saveexec_b64 s[6:7], s[4:5]
	s_cbranch_execz .LBB2_4700
.LBB2_4699:
	v_bfe_u32 v2, v8, 24, 3
	v_ffbh_u32_e32 v12, v2
	v_min_u32_e32 v12, 32, v12
	v_lshrrev_b32_e32 v6, 27, v8
	v_subrev_u32_e32 v13, 28, v12
	v_and_b32_e32 v3, 0x80000000, v8
	v_and_b32_e32 v6, 15, v6
	v_bfe_u32 v7, v8, 27, 4
	v_lshlrev_b32_sdwa v8, v13, v8 dst_sel:DWORD dst_unused:UNUSED_PAD src0_sel:DWORD src1_sel:BYTE_3
	v_sub_u32_e32 v12, 29, v12
	v_and_b32_e32 v8, 7, v8
	v_cmp_eq_u16_e32 vcc, 0, v6
	v_cndmask_b32_e32 v2, v2, v8, vcc
	v_cndmask_b32_e32 v6, v7, v12, vcc
	v_mov_b32_e32 v7, 0x3b800000
	v_lshlrev_b32_e32 v2, 20, v2
	v_lshl_add_u32 v6, v6, 23, v7
	v_or3_b32 v2, v3, v6, v2
.LBB2_4700:
	s_or_b64 exec, exec, s[6:7]
	s_movk_i32 s4, 0x7f
	v_cmp_gt_i16_sdwa s[6:7], v4, s4 src0_sel:BYTE_3 src1_sel:DWORD
	s_mov_b64 s[4:5], 0
                                        ; implicit-def: $sgpr10
	s_and_saveexec_b64 s[8:9], s[6:7]
	s_xor_b64 s[6:7], exec, s[8:9]
	s_cbranch_execz .LBB2_4701
; %bb.40541:
	s_getpc_b64 s[14:15]
.Lpost_getpc23854:
	s_add_u32 s14, s14, (.LBB2_19037-.Lpost_getpc23854)&4294967295
	s_addc_u32 s15, s15, (.LBB2_19037-.Lpost_getpc23854)>>32
	s_setpc_b64 s[14:15]
.LBB2_4701:
	s_or_saveexec_b64 s[6:7], s[6:7]
	v_mov_b32_e32 v3, s10
	s_xor_b64 exec, exec, s[6:7]
	s_cbranch_execz .LBB2_4702
; %bb.40543:
	s_getpc_b64 s[14:15]
.Lpost_getpc23855:
	s_add_u32 s14, s14, (.LBB2_19040-.Lpost_getpc23855)&4294967295
	s_addc_u32 s15, s15, (.LBB2_19040-.Lpost_getpc23855)>>32
	s_setpc_b64 s[14:15]
.LBB2_4702:
	s_or_b64 exec, exec, s[6:7]
	s_and_saveexec_b64 s[6:7], s[4:5]
	s_cbranch_execz .LBB2_4704
.LBB2_4703:
	v_bfe_u32 v3, v4, 24, 3
	v_ffbh_u32_e32 v12, v3
	v_min_u32_e32 v12, 32, v12
	v_lshrrev_b32_e32 v7, 27, v4
	v_subrev_u32_e32 v13, 28, v12
	v_and_b32_e32 v6, 0x80000000, v4
	v_and_b32_e32 v7, 15, v7
	v_bfe_u32 v8, v4, 27, 4
	v_lshlrev_b32_sdwa v4, v13, v4 dst_sel:DWORD dst_unused:UNUSED_PAD src0_sel:DWORD src1_sel:BYTE_3
	v_sub_u32_e32 v12, 29, v12
	v_and_b32_e32 v4, 7, v4
	v_cmp_eq_u16_e32 vcc, 0, v7
	v_cndmask_b32_e32 v3, v3, v4, vcc
	v_cndmask_b32_e32 v4, v8, v12, vcc
	v_mov_b32_e32 v7, 0x3b800000
	v_lshlrev_b32_e32 v3, 20, v3
	v_lshl_add_u32 v4, v4, 23, v7
	v_or3_b32 v3, v6, v4, v3
.LBB2_4704:
	s_or_b64 exec, exec, s[6:7]
	s_nop 0
	v_mfma_f32_16x16x4f32 a[0:3], v2, v3, a[0:3]
	s_movk_i32 s4, 0x7f
	v_cmp_gt_i16_sdwa s[6:7], v9, s4 src0_sel:BYTE_0 src1_sel:DWORD
	s_mov_b64 s[4:5], 0
                                        ; implicit-def: $sgpr10
	s_and_saveexec_b64 s[8:9], s[6:7]
	s_xor_b64 s[6:7], exec, s[8:9]
	s_cbranch_execz .LBB2_4705
; %bb.40545:
	s_getpc_b64 s[14:15]
.Lpost_getpc23856:
	s_add_u32 s14, s14, (.LBB2_19041-.Lpost_getpc23856)&4294967295
	s_addc_u32 s15, s15, (.LBB2_19041-.Lpost_getpc23856)>>32
	s_setpc_b64 s[14:15]
.LBB2_4705:
	s_or_saveexec_b64 s[6:7], s[6:7]
	v_mov_b32_e32 v2, s10
	s_xor_b64 exec, exec, s[6:7]
	s_cbranch_execz .LBB2_4706
; %bb.40547:
	s_getpc_b64 s[14:15]
.Lpost_getpc23857:
	s_add_u32 s14, s14, (.LBB2_19044-.Lpost_getpc23857)&4294967295
	s_addc_u32 s15, s15, (.LBB2_19044-.Lpost_getpc23857)>>32
	s_setpc_b64 s[14:15]
.LBB2_4706:
	s_or_b64 exec, exec, s[6:7]
	s_and_saveexec_b64 s[6:7], s[4:5]
	s_cbranch_execz .LBB2_4708
.LBB2_4707:
	v_mov_b32_e32 v2, 8
	v_and_b32_e32 v3, 7, v9
	v_lshrrev_b32_sdwa v2, v2, v9 dst_sel:BYTE_1 dst_unused:UNUSED_PAD src0_sel:DWORD src1_sel:DWORD
	v_ffbh_u32_e32 v4, v3
	v_or_b32_sdwa v2, v9, v2 dst_sel:DWORD dst_unused:UNUSED_PAD src0_sel:BYTE_0 src1_sel:DWORD
	v_min_u32_e32 v4, 32, v4
	v_lshrrev_b16_e32 v2, 3, v2
	v_subrev_u32_e32 v6, 28, v4
	v_and_b32_e32 v2, 15, v2
	v_lshlrev_b32_e32 v6, v6, v9
	v_sub_u32_e32 v4, 29, v4
	v_and_b32_e32 v6, 7, v6
	v_cmp_eq_u16_e32 vcc, 0, v2
	v_cndmask_b32_e32 v3, v3, v6, vcc
	v_cndmask_b32_e32 v2, v2, v4, vcc
	v_lshlrev_b32_e32 v4, 24, v9
	v_mov_b32_e32 v6, 0x3b800000
	v_lshlrev_b32_e32 v3, 20, v3
	v_and_b32_e32 v4, 0x80000000, v4
	v_lshl_add_u32 v2, v2, 23, v6
	v_or3_b32 v2, v4, v2, v3
.LBB2_4708:
	s_or_b64 exec, exec, s[6:7]
	s_movk_i32 s4, 0x7f
	v_cmp_gt_i16_sdwa s[6:7], v5, s4 src0_sel:BYTE_0 src1_sel:DWORD
	s_mov_b64 s[4:5], 0
                                        ; implicit-def: $sgpr10
	s_and_saveexec_b64 s[8:9], s[6:7]
	s_xor_b64 s[6:7], exec, s[8:9]
	s_cbranch_execz .LBB2_4709
; %bb.40549:
	s_getpc_b64 s[14:15]
.Lpost_getpc23858:
	s_add_u32 s14, s14, (.LBB2_19045-.Lpost_getpc23858)&4294967295
	s_addc_u32 s15, s15, (.LBB2_19045-.Lpost_getpc23858)>>32
	s_setpc_b64 s[14:15]
.LBB2_4709:
	s_or_saveexec_b64 s[6:7], s[6:7]
	v_mov_b32_e32 v3, s10
	s_xor_b64 exec, exec, s[6:7]
	s_cbranch_execz .LBB2_4710
; %bb.40551:
	s_getpc_b64 s[14:15]
.Lpost_getpc23859:
	s_add_u32 s14, s14, (.LBB2_19048-.Lpost_getpc23859)&4294967295
	s_addc_u32 s15, s15, (.LBB2_19048-.Lpost_getpc23859)>>32
	s_setpc_b64 s[14:15]
.LBB2_4710:
	s_or_b64 exec, exec, s[6:7]
	s_and_saveexec_b64 s[6:7], s[4:5]
	s_cbranch_execz .LBB2_4712
.LBB2_4711:
	v_mov_b32_e32 v3, 8
	v_and_b32_e32 v4, 7, v5
	v_lshrrev_b32_sdwa v3, v3, v5 dst_sel:BYTE_1 dst_unused:UNUSED_PAD src0_sel:DWORD src1_sel:DWORD
	v_ffbh_u32_e32 v6, v4
	v_or_b32_sdwa v3, v5, v3 dst_sel:DWORD dst_unused:UNUSED_PAD src0_sel:BYTE_0 src1_sel:DWORD
	v_min_u32_e32 v6, 32, v6
	v_lshrrev_b16_e32 v3, 3, v3
	v_subrev_u32_e32 v7, 28, v6
	v_and_b32_e32 v3, 15, v3
	v_lshlrev_b32_e32 v7, v7, v5
	v_sub_u32_e32 v6, 29, v6
	v_and_b32_e32 v7, 7, v7
	v_cmp_eq_u16_e32 vcc, 0, v3
	v_cndmask_b32_e32 v4, v4, v7, vcc
	v_cndmask_b32_e32 v3, v3, v6, vcc
	v_lshlrev_b32_e32 v6, 24, v5
	v_mov_b32_e32 v7, 0x3b800000
	v_lshlrev_b32_e32 v4, 20, v4
	v_and_b32_e32 v6, 0x80000000, v6
	v_lshl_add_u32 v3, v3, 23, v7
	v_or3_b32 v3, v6, v3, v4
.LBB2_4712:
	s_or_b64 exec, exec, s[6:7]
	s_nop 0
	v_mfma_f32_16x16x4f32 a[0:3], v2, v3, a[0:3]
	v_lshrrev_b32_e32 v3, 8, v9
	s_movk_i32 s4, 0x7f
	v_cmp_gt_i16_sdwa s[6:7], v3, s4 src0_sel:BYTE_0 src1_sel:DWORD
	s_mov_b64 s[4:5], 0
                                        ; implicit-def: $sgpr10
	s_and_saveexec_b64 s[8:9], s[6:7]
	s_xor_b64 s[6:7], exec, s[8:9]
	s_cbranch_execz .LBB2_4713
; %bb.40553:
	s_getpc_b64 s[14:15]
.Lpost_getpc23860:
	s_add_u32 s14, s14, (.LBB2_19049-.Lpost_getpc23860)&4294967295
	s_addc_u32 s15, s15, (.LBB2_19049-.Lpost_getpc23860)>>32
	s_setpc_b64 s[14:15]
.LBB2_4713:
	s_or_saveexec_b64 s[6:7], s[6:7]
	v_mov_b32_e32 v2, s10
	s_xor_b64 exec, exec, s[6:7]
	s_cbranch_execz .LBB2_4714
; %bb.40555:
	s_getpc_b64 s[14:15]
.Lpost_getpc23861:
	s_add_u32 s14, s14, (.LBB2_19052-.Lpost_getpc23861)&4294967295
	s_addc_u32 s15, s15, (.LBB2_19052-.Lpost_getpc23861)>>32
	s_setpc_b64 s[14:15]
.LBB2_4714:
	s_or_b64 exec, exec, s[6:7]
	s_and_saveexec_b64 s[6:7], s[4:5]
	s_cbranch_execz .LBB2_4716
.LBB2_4715:
	v_bfe_u32 v2, v9, 8, 3
	v_ffbh_u32_e32 v6, v2
	v_min_u32_e32 v6, 32, v6
	v_lshrrev_b16_e32 v4, 3, v3
	v_subrev_u32_e32 v7, 28, v6
	v_and_b32_e32 v4, 15, v4
	v_lshlrev_b32_e32 v3, v7, v3
	v_sub_u32_e32 v6, 29, v6
	v_and_b32_e32 v3, 7, v3
	v_cmp_eq_u16_e32 vcc, 0, v4
	v_cndmask_b32_e32 v2, v2, v3, vcc
	v_cndmask_b32_e32 v3, v4, v6, vcc
	v_lshlrev_b32_e32 v4, 16, v9
	v_mov_b32_e32 v6, 0x3b800000
	v_lshlrev_b32_e32 v2, 20, v2
	v_and_b32_e32 v4, 0x80000000, v4
	v_lshl_add_u32 v3, v3, 23, v6
	v_or3_b32 v2, v4, v3, v2
.LBB2_4716:
	s_or_b64 exec, exec, s[6:7]
	v_lshrrev_b32_e32 v3, 8, v5
	s_movk_i32 s4, 0x7f
	v_cmp_gt_i16_sdwa s[6:7], v3, s4 src0_sel:BYTE_0 src1_sel:DWORD
	s_mov_b64 s[4:5], 0
                                        ; implicit-def: $sgpr10
	s_and_saveexec_b64 s[8:9], s[6:7]
	s_xor_b64 s[6:7], exec, s[8:9]
	s_cbranch_execz .LBB2_4717
; %bb.40557:
	s_getpc_b64 s[14:15]
.Lpost_getpc23862:
	s_add_u32 s14, s14, (.LBB2_19053-.Lpost_getpc23862)&4294967295
	s_addc_u32 s15, s15, (.LBB2_19053-.Lpost_getpc23862)>>32
	s_setpc_b64 s[14:15]
.LBB2_4717:
	s_or_saveexec_b64 s[6:7], s[6:7]
	v_mov_b32_e32 v4, s10
	s_xor_b64 exec, exec, s[6:7]
	s_cbranch_execz .LBB2_4718
; %bb.40559:
	s_getpc_b64 s[14:15]
.Lpost_getpc23863:
	s_add_u32 s14, s14, (.LBB2_19056-.Lpost_getpc23863)&4294967295
	s_addc_u32 s15, s15, (.LBB2_19056-.Lpost_getpc23863)>>32
	s_setpc_b64 s[14:15]
.LBB2_4718:
	s_or_b64 exec, exec, s[6:7]
	s_and_saveexec_b64 s[6:7], s[4:5]
	s_cbranch_execz .LBB2_4720
.LBB2_4719:
	v_bfe_u32 v4, v5, 8, 3
	v_ffbh_u32_e32 v7, v4
	v_min_u32_e32 v7, 32, v7
	v_lshrrev_b16_e32 v6, 3, v3
	v_subrev_u32_e32 v8, 28, v7
	v_and_b32_e32 v6, 15, v6
	v_lshlrev_b32_e32 v3, v8, v3
	v_sub_u32_e32 v7, 29, v7
	v_and_b32_e32 v3, 7, v3
	v_cmp_eq_u16_e32 vcc, 0, v6
	v_cndmask_b32_e32 v3, v4, v3, vcc
	v_cndmask_b32_e32 v4, v6, v7, vcc
	v_lshlrev_b32_e32 v6, 16, v5
	v_mov_b32_e32 v7, 0x3b800000
	v_lshlrev_b32_e32 v3, 20, v3
	v_and_b32_e32 v6, 0x80000000, v6
	v_lshl_add_u32 v4, v4, 23, v7
	v_or3_b32 v4, v6, v4, v3
.LBB2_4720:
	s_or_b64 exec, exec, s[6:7]
	s_nop 0
	v_mfma_f32_16x16x4f32 a[0:3], v2, v4, a[0:3]
	s_movk_i32 s4, 0xff
	v_and_b32_sdwa v3, v9, s4 dst_sel:DWORD dst_unused:UNUSED_PAD src0_sel:WORD_1 src1_sel:DWORD
	s_movk_i32 s4, 0x7f
	v_cmp_lt_i16_e32 vcc, s4, v3
	s_mov_b64 s[4:5], 0
                                        ; implicit-def: $sgpr10
	s_and_saveexec_b64 s[6:7], vcc
	s_xor_b64 s[6:7], exec, s[6:7]
	s_cbranch_execz .LBB2_4721
; %bb.40561:
	s_getpc_b64 s[14:15]
.Lpost_getpc23864:
	s_add_u32 s14, s14, (.LBB2_19057-.Lpost_getpc23864)&4294967295
	s_addc_u32 s15, s15, (.LBB2_19057-.Lpost_getpc23864)>>32
	s_setpc_b64 s[14:15]
.LBB2_4721:
	s_or_saveexec_b64 s[6:7], s[6:7]
	v_mov_b32_e32 v2, s10
	s_xor_b64 exec, exec, s[6:7]
	s_cbranch_execz .LBB2_4722
; %bb.40563:
	s_getpc_b64 s[14:15]
.Lpost_getpc23865:
	s_add_u32 s14, s14, (.LBB2_19060-.Lpost_getpc23865)&4294967295
	s_addc_u32 s15, s15, (.LBB2_19060-.Lpost_getpc23865)>>32
	s_setpc_b64 s[14:15]
.LBB2_4722:
	s_or_b64 exec, exec, s[6:7]
	s_and_saveexec_b64 s[6:7], s[4:5]
	s_cbranch_execz .LBB2_4724
.LBB2_4723:
	v_bfe_u32 v2, v9, 16, 3
	v_ffbh_u32_e32 v6, v2
	v_min_u32_e32 v6, 32, v6
	v_lshrrev_b32_e32 v3, 19, v9
	v_subrev_u32_e32 v7, 28, v6
	v_and_b32_e32 v3, 15, v3
	v_lshlrev_b32_sdwa v7, v7, v9 dst_sel:DWORD dst_unused:UNUSED_PAD src0_sel:DWORD src1_sel:WORD_1
	v_bfe_u32 v4, v9, 19, 4
	v_sub_u32_e32 v6, 29, v6
	v_and_b32_e32 v7, 7, v7
	v_cmp_eq_u16_e32 vcc, 0, v3
	v_cndmask_b32_e32 v2, v2, v7, vcc
	v_cndmask_b32_e32 v3, v4, v6, vcc
	v_lshlrev_b32_e32 v4, 8, v9
	v_mov_b32_e32 v6, 0x3b800000
	v_lshlrev_b32_e32 v2, 20, v2
	v_and_b32_e32 v4, 0x80000000, v4
	v_lshl_add_u32 v3, v3, 23, v6
	v_or3_b32 v2, v4, v3, v2
.LBB2_4724:
	s_or_b64 exec, exec, s[6:7]
	s_movk_i32 s4, 0xff
	v_and_b32_sdwa v3, v5, s4 dst_sel:DWORD dst_unused:UNUSED_PAD src0_sel:WORD_1 src1_sel:DWORD
	s_movk_i32 s4, 0x7f
	v_cmp_lt_i16_e32 vcc, s4, v3
	s_mov_b64 s[4:5], 0
                                        ; implicit-def: $sgpr10
	s_and_saveexec_b64 s[6:7], vcc
	s_xor_b64 s[6:7], exec, s[6:7]
	s_cbranch_execz .LBB2_4725
; %bb.40565:
	s_getpc_b64 s[14:15]
.Lpost_getpc23866:
	s_add_u32 s14, s14, (.LBB2_19061-.Lpost_getpc23866)&4294967295
	s_addc_u32 s15, s15, (.LBB2_19061-.Lpost_getpc23866)>>32
	s_setpc_b64 s[14:15]
.LBB2_4725:
	s_or_saveexec_b64 s[6:7], s[6:7]
	v_mov_b32_e32 v4, s10
	s_xor_b64 exec, exec, s[6:7]
	s_cbranch_execz .LBB2_4726
; %bb.40567:
	s_getpc_b64 s[14:15]
.Lpost_getpc23867:
	s_add_u32 s14, s14, (.LBB2_19064-.Lpost_getpc23867)&4294967295
	s_addc_u32 s15, s15, (.LBB2_19064-.Lpost_getpc23867)>>32
	s_setpc_b64 s[14:15]
.LBB2_4726:
	s_or_b64 exec, exec, s[6:7]
	s_and_saveexec_b64 s[6:7], s[4:5]
	s_cbranch_execz .LBB2_4728
.LBB2_4727:
	v_bfe_u32 v3, v5, 16, 3
	v_ffbh_u32_e32 v7, v3
	v_min_u32_e32 v7, 32, v7
	v_lshrrev_b32_e32 v4, 19, v5
	v_subrev_u32_e32 v8, 28, v7
	v_and_b32_e32 v4, 15, v4
	v_lshlrev_b32_sdwa v8, v8, v5 dst_sel:DWORD dst_unused:UNUSED_PAD src0_sel:DWORD src1_sel:WORD_1
	v_bfe_u32 v6, v5, 19, 4
	v_sub_u32_e32 v7, 29, v7
	v_and_b32_e32 v8, 7, v8
	v_cmp_eq_u16_e32 vcc, 0, v4
	v_cndmask_b32_e32 v3, v3, v8, vcc
	v_cndmask_b32_e32 v4, v6, v7, vcc
	v_lshlrev_b32_e32 v6, 8, v5
	v_mov_b32_e32 v7, 0x3b800000
	v_lshlrev_b32_e32 v3, 20, v3
	v_and_b32_e32 v6, 0x80000000, v6
	v_lshl_add_u32 v4, v4, 23, v7
	v_or3_b32 v4, v6, v4, v3
.LBB2_4728:
	s_or_b64 exec, exec, s[6:7]
	s_nop 0
	v_mfma_f32_16x16x4f32 a[0:3], v2, v4, a[0:3]
	s_movk_i32 s4, 0x7f
	v_cmp_gt_i16_sdwa s[6:7], v9, s4 src0_sel:BYTE_3 src1_sel:DWORD
	s_mov_b64 s[4:5], 0
                                        ; implicit-def: $sgpr10
	s_and_saveexec_b64 s[8:9], s[6:7]
	s_xor_b64 s[6:7], exec, s[8:9]
	s_cbranch_execz .LBB2_4729
; %bb.40569:
	s_getpc_b64 s[14:15]
.Lpost_getpc23868:
	s_add_u32 s14, s14, (.LBB2_19065-.Lpost_getpc23868)&4294967295
	s_addc_u32 s15, s15, (.LBB2_19065-.Lpost_getpc23868)>>32
	s_setpc_b64 s[14:15]
.LBB2_4729:
	s_or_saveexec_b64 s[6:7], s[6:7]
	v_mov_b32_e32 v2, s10
	s_xor_b64 exec, exec, s[6:7]
	s_cbranch_execz .LBB2_4730
; %bb.40571:
	s_getpc_b64 s[14:15]
.Lpost_getpc23869:
	s_add_u32 s14, s14, (.LBB2_19068-.Lpost_getpc23869)&4294967295
	s_addc_u32 s15, s15, (.LBB2_19068-.Lpost_getpc23869)>>32
	s_setpc_b64 s[14:15]
.LBB2_4730:
	s_or_b64 exec, exec, s[6:7]
	s_and_saveexec_b64 s[6:7], s[4:5]
	s_cbranch_execz .LBB2_4732
.LBB2_4731:
	v_bfe_u32 v2, v9, 24, 3
	v_ffbh_u32_e32 v7, v2
	v_min_u32_e32 v7, 32, v7
	v_lshrrev_b32_e32 v4, 27, v9
	v_subrev_u32_e32 v8, 28, v7
	v_and_b32_e32 v4, 15, v4
	v_lshlrev_b32_sdwa v8, v8, v9 dst_sel:DWORD dst_unused:UNUSED_PAD src0_sel:DWORD src1_sel:BYTE_3
	v_bfe_u32 v6, v9, 27, 4
	v_sub_u32_e32 v7, 29, v7
	v_and_b32_e32 v8, 7, v8
	v_cmp_eq_u16_e32 vcc, 0, v4
	v_cndmask_b32_e32 v2, v2, v8, vcc
	v_cndmask_b32_e32 v4, v6, v7, vcc
	v_mov_b32_e32 v6, 0x3b800000
	v_and_b32_e32 v3, 0x80000000, v9
	v_lshlrev_b32_e32 v2, 20, v2
	v_lshl_add_u32 v4, v4, 23, v6
	v_or3_b32 v2, v3, v4, v2
.LBB2_4732:
	s_or_b64 exec, exec, s[6:7]
	s_movk_i32 s4, 0x7f
	v_cmp_gt_i16_sdwa s[6:7], v5, s4 src0_sel:BYTE_3 src1_sel:DWORD
	s_mov_b64 s[4:5], 0
                                        ; implicit-def: $sgpr10
	s_and_saveexec_b64 s[8:9], s[6:7]
	s_xor_b64 s[6:7], exec, s[8:9]
	s_cbranch_execz .LBB2_4733
; %bb.40573:
	s_getpc_b64 s[14:15]
.Lpost_getpc23870:
	s_add_u32 s14, s14, (.LBB2_19069-.Lpost_getpc23870)&4294967295
	s_addc_u32 s15, s15, (.LBB2_19069-.Lpost_getpc23870)>>32
	s_setpc_b64 s[14:15]
.LBB2_4733:
	s_or_saveexec_b64 s[6:7], s[6:7]
	v_mov_b32_e32 v3, s10
	s_xor_b64 exec, exec, s[6:7]
	s_cbranch_execz .LBB2_4734
; %bb.40575:
	s_getpc_b64 s[14:15]
.Lpost_getpc23871:
	s_add_u32 s14, s14, (.LBB2_19072-.Lpost_getpc23871)&4294967295
	s_addc_u32 s15, s15, (.LBB2_19072-.Lpost_getpc23871)>>32
	s_setpc_b64 s[14:15]
.LBB2_4734:
	s_or_b64 exec, exec, s[6:7]
	s_and_saveexec_b64 s[6:7], s[4:5]
	s_cbranch_execz .LBB2_4736
.LBB2_4735:
	v_bfe_u32 v3, v5, 24, 3
	v_ffbh_u32_e32 v8, v3
	v_min_u32_e32 v8, 32, v8
	v_lshrrev_b32_e32 v6, 27, v5
	v_subrev_u32_e32 v9, 28, v8
	v_and_b32_e32 v4, 0x80000000, v5
	v_and_b32_e32 v6, 15, v6
	v_bfe_u32 v7, v5, 27, 4
	v_lshlrev_b32_sdwa v5, v9, v5 dst_sel:DWORD dst_unused:UNUSED_PAD src0_sel:DWORD src1_sel:BYTE_3
	v_sub_u32_e32 v8, 29, v8
	v_and_b32_e32 v5, 7, v5
	v_cmp_eq_u16_e32 vcc, 0, v6
	v_cndmask_b32_e32 v3, v3, v5, vcc
	v_cndmask_b32_e32 v5, v7, v8, vcc
	v_mov_b32_e32 v6, 0x3b800000
	v_lshlrev_b32_e32 v3, 20, v3
	v_lshl_add_u32 v5, v5, 23, v6
	v_or3_b32 v3, v4, v5, v3
.LBB2_4736:
	s_or_b64 exec, exec, s[6:7]
	s_nop 0
	v_mfma_f32_16x16x4f32 a[0:3], v2, v3, a[0:3]
	s_movk_i32 s4, 0x7f
                                        ; implicit-def: $sgpr10
	s_nop 7
	s_nop 1
	flat_store_dwordx4 v[10:11], a[0:3] offset:576
	flat_load_dwordx4 v[12:15], v[0:1]
	s_nop 0
	flat_load_dwordx2 v[10:11], v[0:1] offset:16
	s_waitcnt vmcnt(0) lgkmcnt(0)
	flat_load_dwordx4 v[6:9], v[12:13] offset:64
	flat_load_dwordx4 v[2:5], v[14:15] offset:80
	s_waitcnt vmcnt(0) lgkmcnt(0)
	v_cmp_gt_i16_sdwa s[6:7], v6, s4 src0_sel:BYTE_0 src1_sel:DWORD
	s_mov_b64 s[4:5], 0
	s_and_saveexec_b64 s[8:9], s[6:7]
	s_xor_b64 s[6:7], exec, s[8:9]
	s_cbranch_execz .LBB2_4737
; %bb.40577:
	s_getpc_b64 s[14:15]
.Lpost_getpc23872:
	s_add_u32 s14, s14, (.LBB2_19073-.Lpost_getpc23872)&4294967295
	s_addc_u32 s15, s15, (.LBB2_19073-.Lpost_getpc23872)>>32
	s_setpc_b64 s[14:15]
.LBB2_4737:
	s_or_saveexec_b64 s[6:7], s[6:7]
	v_mov_b32_e32 v12, s10
	s_xor_b64 exec, exec, s[6:7]
	s_cbranch_execz .LBB2_4738
; %bb.40579:
	s_getpc_b64 s[14:15]
.Lpost_getpc23873:
	s_add_u32 s14, s14, (.LBB2_19076-.Lpost_getpc23873)&4294967295
	s_addc_u32 s15, s15, (.LBB2_19076-.Lpost_getpc23873)>>32
	s_setpc_b64 s[14:15]
.LBB2_4738:
	s_or_b64 exec, exec, s[6:7]
	s_and_saveexec_b64 s[6:7], s[4:5]
	s_cbranch_execz .LBB2_4740
.LBB2_4739:
	v_and_b32_e32 v12, 7, v6
	v_ffbh_u32_e32 v14, v12
	v_min_u32_e32 v14, 32, v14
	v_lshrrev_b16_e32 v13, 3, v6
	v_subrev_u32_e32 v15, 28, v14
	v_and_b32_e32 v13, 15, v13
	v_lshlrev_b32_e32 v15, v15, v6
	v_sub_u32_e32 v14, 29, v14
	v_and_b32_e32 v15, 7, v15
	v_cmp_eq_u16_e32 vcc, 0, v13
	v_cndmask_b32_e32 v12, v12, v15, vcc
	v_cndmask_b32_e32 v13, v13, v14, vcc
	v_lshlrev_b32_e32 v14, 24, v6
	v_mov_b32_e32 v15, 0x3b800000
	v_lshlrev_b32_e32 v12, 20, v12
	v_and_b32_e32 v14, 0x80000000, v14
	v_lshl_add_u32 v13, v13, 23, v15
	v_or3_b32 v12, v14, v13, v12
.LBB2_4740:
	s_or_b64 exec, exec, s[6:7]
	s_movk_i32 s4, 0x7f
	v_cmp_gt_i16_sdwa s[6:7], v2, s4 src0_sel:BYTE_0 src1_sel:DWORD
	s_mov_b64 s[4:5], 0
                                        ; implicit-def: $sgpr10
	s_and_saveexec_b64 s[8:9], s[6:7]
	s_xor_b64 s[6:7], exec, s[8:9]
	s_cbranch_execz .LBB2_4741
; %bb.40581:
	s_getpc_b64 s[14:15]
.Lpost_getpc23874:
	s_add_u32 s14, s14, (.LBB2_19077-.Lpost_getpc23874)&4294967295
	s_addc_u32 s15, s15, (.LBB2_19077-.Lpost_getpc23874)>>32
	s_setpc_b64 s[14:15]
.LBB2_4741:
	s_or_saveexec_b64 s[6:7], s[6:7]
	v_mov_b32_e32 v13, s10
	s_xor_b64 exec, exec, s[6:7]
	s_cbranch_execz .LBB2_4742
; %bb.40583:
	s_getpc_b64 s[14:15]
.Lpost_getpc23875:
	s_add_u32 s14, s14, (.LBB2_19080-.Lpost_getpc23875)&4294967295
	s_addc_u32 s15, s15, (.LBB2_19080-.Lpost_getpc23875)>>32
	s_setpc_b64 s[14:15]
.LBB2_4742:
	s_or_b64 exec, exec, s[6:7]
	s_and_saveexec_b64 s[6:7], s[4:5]
	s_cbranch_execz .LBB2_4744
.LBB2_4743:
	v_and_b32_e32 v13, 7, v2
	v_ffbh_u32_e32 v15, v13
	v_min_u32_e32 v15, 32, v15
	v_lshrrev_b16_e32 v14, 3, v2
	v_subrev_u32_e32 v16, 28, v15
	v_and_b32_e32 v14, 15, v14
	v_lshlrev_b32_e32 v16, v16, v2
	v_sub_u32_e32 v15, 29, v15
	v_and_b32_e32 v16, 7, v16
	v_cmp_eq_u16_e32 vcc, 0, v14
	v_cndmask_b32_e32 v13, v13, v16, vcc
	v_cndmask_b32_e32 v14, v14, v15, vcc
	v_lshlrev_b32_e32 v15, 24, v2
	v_mov_b32_e32 v16, 0x3b800000
	v_lshlrev_b32_e32 v13, 20, v13
	v_and_b32_e32 v15, 0x80000000, v15
	v_lshl_add_u32 v14, v14, 23, v16
	v_or3_b32 v13, v15, v14, v13
.LBB2_4744:
	s_or_b64 exec, exec, s[6:7]
	flat_load_dwordx4 a[0:3], v[10:11] offset:592
	s_movk_i32 s4, 0x7f
                                        ; implicit-def: $sgpr10
	s_waitcnt vmcnt(0) lgkmcnt(0)
	v_mfma_f32_16x16x4f32 a[0:3], v12, v13, a[0:3]
	v_lshrrev_b32_e32 v13, 8, v6
	v_cmp_gt_i16_sdwa s[6:7], v13, s4 src0_sel:BYTE_0 src1_sel:DWORD
	s_mov_b64 s[4:5], 0
	s_and_saveexec_b64 s[8:9], s[6:7]
	s_xor_b64 s[6:7], exec, s[8:9]
	s_cbranch_execz .LBB2_4745
; %bb.40585:
	s_getpc_b64 s[14:15]
.Lpost_getpc23876:
	s_add_u32 s14, s14, (.LBB2_19081-.Lpost_getpc23876)&4294967295
	s_addc_u32 s15, s15, (.LBB2_19081-.Lpost_getpc23876)>>32
	s_setpc_b64 s[14:15]
.LBB2_4745:
	s_or_saveexec_b64 s[6:7], s[6:7]
	v_mov_b32_e32 v12, s10
	s_xor_b64 exec, exec, s[6:7]
	s_cbranch_execz .LBB2_4746
; %bb.40587:
	s_getpc_b64 s[14:15]
.Lpost_getpc23877:
	s_add_u32 s14, s14, (.LBB2_19084-.Lpost_getpc23877)&4294967295
	s_addc_u32 s15, s15, (.LBB2_19084-.Lpost_getpc23877)>>32
	s_setpc_b64 s[14:15]
.LBB2_4746:
	s_or_b64 exec, exec, s[6:7]
	s_and_saveexec_b64 s[6:7], s[4:5]
	s_cbranch_execz .LBB2_4748
.LBB2_4747:
	v_bfe_u32 v12, v6, 8, 3
	v_ffbh_u32_e32 v15, v12
	v_min_u32_e32 v15, 32, v15
	v_lshrrev_b16_e32 v14, 3, v13
	v_subrev_u32_e32 v16, 28, v15
	v_and_b32_e32 v14, 15, v14
	v_lshlrev_b32_e32 v13, v16, v13
	v_sub_u32_e32 v15, 29, v15
	v_and_b32_e32 v13, 7, v13
	v_cmp_eq_u16_e32 vcc, 0, v14
	v_cndmask_b32_e32 v12, v12, v13, vcc
	v_cndmask_b32_e32 v13, v14, v15, vcc
	v_lshlrev_b32_e32 v14, 16, v6
	v_mov_b32_e32 v15, 0x3b800000
	v_lshlrev_b32_e32 v12, 20, v12
	v_and_b32_e32 v14, 0x80000000, v14
	v_lshl_add_u32 v13, v13, 23, v15
	v_or3_b32 v12, v14, v13, v12
.LBB2_4748:
	s_or_b64 exec, exec, s[6:7]
	v_lshrrev_b32_e32 v13, 8, v2
	s_movk_i32 s4, 0x7f
	v_cmp_gt_i16_sdwa s[6:7], v13, s4 src0_sel:BYTE_0 src1_sel:DWORD
	s_mov_b64 s[4:5], 0
                                        ; implicit-def: $sgpr10
	s_and_saveexec_b64 s[8:9], s[6:7]
	s_xor_b64 s[6:7], exec, s[8:9]
	s_cbranch_execz .LBB2_4749
; %bb.40589:
	s_getpc_b64 s[14:15]
.Lpost_getpc23878:
	s_add_u32 s14, s14, (.LBB2_19085-.Lpost_getpc23878)&4294967295
	s_addc_u32 s15, s15, (.LBB2_19085-.Lpost_getpc23878)>>32
	s_setpc_b64 s[14:15]
.LBB2_4749:
	s_or_saveexec_b64 s[6:7], s[6:7]
	v_mov_b32_e32 v14, s10
	s_xor_b64 exec, exec, s[6:7]
	s_cbranch_execz .LBB2_4750
; %bb.40591:
	s_getpc_b64 s[14:15]
.Lpost_getpc23879:
	s_add_u32 s14, s14, (.LBB2_19088-.Lpost_getpc23879)&4294967295
	s_addc_u32 s15, s15, (.LBB2_19088-.Lpost_getpc23879)>>32
	s_setpc_b64 s[14:15]
.LBB2_4750:
	s_or_b64 exec, exec, s[6:7]
	s_and_saveexec_b64 s[6:7], s[4:5]
	s_cbranch_execz .LBB2_4752
.LBB2_4751:
	v_bfe_u32 v14, v2, 8, 3
	v_ffbh_u32_e32 v16, v14
	v_min_u32_e32 v16, 32, v16
	v_lshrrev_b16_e32 v15, 3, v13
	v_subrev_u32_e32 v17, 28, v16
	v_and_b32_e32 v15, 15, v15
	v_lshlrev_b32_e32 v13, v17, v13
	v_sub_u32_e32 v16, 29, v16
	v_and_b32_e32 v13, 7, v13
	v_cmp_eq_u16_e32 vcc, 0, v15
	v_cndmask_b32_e32 v13, v14, v13, vcc
	v_cndmask_b32_e32 v14, v15, v16, vcc
	v_lshlrev_b32_e32 v15, 16, v2
	v_mov_b32_e32 v16, 0x3b800000
	v_lshlrev_b32_e32 v13, 20, v13
	v_and_b32_e32 v15, 0x80000000, v15
	v_lshl_add_u32 v14, v14, 23, v16
	v_or3_b32 v14, v15, v14, v13
.LBB2_4752:
	s_or_b64 exec, exec, s[6:7]
	s_nop 0
	v_mfma_f32_16x16x4f32 a[0:3], v12, v14, a[0:3]
	s_movk_i32 s4, 0xff
	v_and_b32_sdwa v13, v6, s4 dst_sel:DWORD dst_unused:UNUSED_PAD src0_sel:WORD_1 src1_sel:DWORD
	s_movk_i32 s4, 0x7f
	v_cmp_lt_i16_e32 vcc, s4, v13
	s_mov_b64 s[4:5], 0
                                        ; implicit-def: $sgpr10
	s_and_saveexec_b64 s[6:7], vcc
	s_xor_b64 s[6:7], exec, s[6:7]
	s_cbranch_execz .LBB2_4753
; %bb.40593:
	s_getpc_b64 s[14:15]
.Lpost_getpc23880:
	s_add_u32 s14, s14, (.LBB2_19089-.Lpost_getpc23880)&4294967295
	s_addc_u32 s15, s15, (.LBB2_19089-.Lpost_getpc23880)>>32
	s_setpc_b64 s[14:15]
.LBB2_4753:
	s_or_saveexec_b64 s[6:7], s[6:7]
	v_mov_b32_e32 v12, s10
	s_xor_b64 exec, exec, s[6:7]
	s_cbranch_execz .LBB2_4754
; %bb.40595:
	s_getpc_b64 s[14:15]
.Lpost_getpc23881:
	s_add_u32 s14, s14, (.LBB2_19092-.Lpost_getpc23881)&4294967295
	s_addc_u32 s15, s15, (.LBB2_19092-.Lpost_getpc23881)>>32
	s_setpc_b64 s[14:15]
.LBB2_4754:
	s_or_b64 exec, exec, s[6:7]
	s_and_saveexec_b64 s[6:7], s[4:5]
	s_cbranch_execz .LBB2_4756
.LBB2_4755:
	v_bfe_u32 v12, v6, 16, 3
	v_ffbh_u32_e32 v15, v12
	v_min_u32_e32 v15, 32, v15
	v_lshrrev_b32_e32 v13, 19, v6
	v_subrev_u32_e32 v16, 28, v15
	v_and_b32_e32 v13, 15, v13
	v_lshlrev_b32_sdwa v16, v16, v6 dst_sel:DWORD dst_unused:UNUSED_PAD src0_sel:DWORD src1_sel:WORD_1
	v_bfe_u32 v14, v6, 19, 4
	v_sub_u32_e32 v15, 29, v15
	v_and_b32_e32 v16, 7, v16
	v_cmp_eq_u16_e32 vcc, 0, v13
	v_cndmask_b32_e32 v12, v12, v16, vcc
	v_cndmask_b32_e32 v13, v14, v15, vcc
	v_lshlrev_b32_e32 v14, 8, v6
	v_mov_b32_e32 v15, 0x3b800000
	v_lshlrev_b32_e32 v12, 20, v12
	v_and_b32_e32 v14, 0x80000000, v14
	v_lshl_add_u32 v13, v13, 23, v15
	v_or3_b32 v12, v14, v13, v12
.LBB2_4756:
	s_or_b64 exec, exec, s[6:7]
	s_movk_i32 s4, 0xff
	v_and_b32_sdwa v13, v2, s4 dst_sel:DWORD dst_unused:UNUSED_PAD src0_sel:WORD_1 src1_sel:DWORD
	s_movk_i32 s4, 0x7f
	v_cmp_lt_i16_e32 vcc, s4, v13
	s_mov_b64 s[4:5], 0
                                        ; implicit-def: $sgpr10
	s_and_saveexec_b64 s[6:7], vcc
	s_xor_b64 s[6:7], exec, s[6:7]
	s_cbranch_execz .LBB2_4757
; %bb.40597:
	s_getpc_b64 s[14:15]
.Lpost_getpc23882:
	s_add_u32 s14, s14, (.LBB2_19093-.Lpost_getpc23882)&4294967295
	s_addc_u32 s15, s15, (.LBB2_19093-.Lpost_getpc23882)>>32
	s_setpc_b64 s[14:15]
.LBB2_4757:
	s_or_saveexec_b64 s[6:7], s[6:7]
	v_mov_b32_e32 v14, s10
	s_xor_b64 exec, exec, s[6:7]
	s_cbranch_execz .LBB2_4758
; %bb.40599:
	s_getpc_b64 s[14:15]
.Lpost_getpc23883:
	s_add_u32 s14, s14, (.LBB2_19096-.Lpost_getpc23883)&4294967295
	s_addc_u32 s15, s15, (.LBB2_19096-.Lpost_getpc23883)>>32
	s_setpc_b64 s[14:15]
.LBB2_4758:
	s_or_b64 exec, exec, s[6:7]
	s_and_saveexec_b64 s[6:7], s[4:5]
	s_cbranch_execz .LBB2_4760
.LBB2_4759:
	v_bfe_u32 v13, v2, 16, 3
	v_ffbh_u32_e32 v16, v13
	v_min_u32_e32 v16, 32, v16
	v_lshrrev_b32_e32 v14, 19, v2
	v_subrev_u32_e32 v17, 28, v16
	v_and_b32_e32 v14, 15, v14
	v_lshlrev_b32_sdwa v17, v17, v2 dst_sel:DWORD dst_unused:UNUSED_PAD src0_sel:DWORD src1_sel:WORD_1
	v_bfe_u32 v15, v2, 19, 4
	v_sub_u32_e32 v16, 29, v16
	v_and_b32_e32 v17, 7, v17
	v_cmp_eq_u16_e32 vcc, 0, v14
	v_cndmask_b32_e32 v13, v13, v17, vcc
	v_cndmask_b32_e32 v14, v15, v16, vcc
	v_lshlrev_b32_e32 v15, 8, v2
	v_mov_b32_e32 v16, 0x3b800000
	v_lshlrev_b32_e32 v13, 20, v13
	v_and_b32_e32 v15, 0x80000000, v15
	v_lshl_add_u32 v14, v14, 23, v16
	v_or3_b32 v14, v15, v14, v13
.LBB2_4760:
	s_or_b64 exec, exec, s[6:7]
	s_nop 0
	v_mfma_f32_16x16x4f32 a[0:3], v12, v14, a[0:3]
	s_movk_i32 s4, 0x7f
	v_cmp_gt_i16_sdwa s[6:7], v6, s4 src0_sel:BYTE_3 src1_sel:DWORD
	s_mov_b64 s[4:5], 0
                                        ; implicit-def: $sgpr10
	s_and_saveexec_b64 s[8:9], s[6:7]
	s_xor_b64 s[6:7], exec, s[8:9]
	s_cbranch_execz .LBB2_4761
; %bb.40601:
	s_getpc_b64 s[14:15]
.Lpost_getpc23884:
	s_add_u32 s14, s14, (.LBB2_19097-.Lpost_getpc23884)&4294967295
	s_addc_u32 s15, s15, (.LBB2_19097-.Lpost_getpc23884)>>32
	s_setpc_b64 s[14:15]
.LBB2_4761:
	s_or_saveexec_b64 s[6:7], s[6:7]
	v_mov_b32_e32 v12, s10
	s_xor_b64 exec, exec, s[6:7]
	s_cbranch_execz .LBB2_4762
; %bb.40603:
	s_getpc_b64 s[14:15]
.Lpost_getpc23885:
	s_add_u32 s14, s14, (.LBB2_19100-.Lpost_getpc23885)&4294967295
	s_addc_u32 s15, s15, (.LBB2_19100-.Lpost_getpc23885)>>32
	s_setpc_b64 s[14:15]
.LBB2_4762:
	s_or_b64 exec, exec, s[6:7]
	s_and_saveexec_b64 s[6:7], s[4:5]
	s_cbranch_execz .LBB2_4764
.LBB2_4763:
	v_bfe_u32 v12, v6, 24, 3
	v_ffbh_u32_e32 v16, v12
	v_min_u32_e32 v16, 32, v16
	v_lshrrev_b32_e32 v14, 27, v6
	v_subrev_u32_e32 v17, 28, v16
	v_and_b32_e32 v13, 0x80000000, v6
	v_and_b32_e32 v14, 15, v14
	v_bfe_u32 v15, v6, 27, 4
	v_lshlrev_b32_sdwa v6, v17, v6 dst_sel:DWORD dst_unused:UNUSED_PAD src0_sel:DWORD src1_sel:BYTE_3
	v_sub_u32_e32 v16, 29, v16
	v_and_b32_e32 v6, 7, v6
	v_cmp_eq_u16_e32 vcc, 0, v14
	v_cndmask_b32_e32 v6, v12, v6, vcc
	v_cndmask_b32_e32 v12, v15, v16, vcc
	v_mov_b32_e32 v14, 0x3b800000
	v_lshlrev_b32_e32 v6, 20, v6
	v_lshl_add_u32 v12, v12, 23, v14
	v_or3_b32 v12, v13, v12, v6
.LBB2_4764:
	s_or_b64 exec, exec, s[6:7]
	s_movk_i32 s4, 0x7f
	v_cmp_gt_i16_sdwa s[6:7], v2, s4 src0_sel:BYTE_3 src1_sel:DWORD
	s_mov_b64 s[4:5], 0
                                        ; implicit-def: $sgpr10
	s_and_saveexec_b64 s[8:9], s[6:7]
	s_xor_b64 s[6:7], exec, s[8:9]
	s_cbranch_execz .LBB2_4765
; %bb.40605:
	s_getpc_b64 s[14:15]
.Lpost_getpc23886:
	s_add_u32 s14, s14, (.LBB2_19101-.Lpost_getpc23886)&4294967295
	s_addc_u32 s15, s15, (.LBB2_19101-.Lpost_getpc23886)>>32
	s_setpc_b64 s[14:15]
.LBB2_4765:
	s_or_saveexec_b64 s[6:7], s[6:7]
	v_mov_b32_e32 v6, s10
	s_xor_b64 exec, exec, s[6:7]
	s_cbranch_execz .LBB2_4766
; %bb.40607:
	s_getpc_b64 s[14:15]
.Lpost_getpc23887:
	s_add_u32 s14, s14, (.LBB2_19104-.Lpost_getpc23887)&4294967295
	s_addc_u32 s15, s15, (.LBB2_19104-.Lpost_getpc23887)>>32
	s_setpc_b64 s[14:15]
.LBB2_4766:
	s_or_b64 exec, exec, s[6:7]
	s_and_saveexec_b64 s[6:7], s[4:5]
	s_cbranch_execz .LBB2_4768
.LBB2_4767:
	v_bfe_u32 v6, v2, 24, 3
	v_ffbh_u32_e32 v16, v6
	v_min_u32_e32 v16, 32, v16
	v_lshrrev_b32_e32 v14, 27, v2
	v_subrev_u32_e32 v17, 28, v16
	v_and_b32_e32 v13, 0x80000000, v2
	v_and_b32_e32 v14, 15, v14
	v_bfe_u32 v15, v2, 27, 4
	v_lshlrev_b32_sdwa v2, v17, v2 dst_sel:DWORD dst_unused:UNUSED_PAD src0_sel:DWORD src1_sel:BYTE_3
	v_sub_u32_e32 v16, 29, v16
	v_and_b32_e32 v2, 7, v2
	v_cmp_eq_u16_e32 vcc, 0, v14
	v_cndmask_b32_e32 v2, v6, v2, vcc
	v_cndmask_b32_e32 v6, v15, v16, vcc
	v_mov_b32_e32 v14, 0x3b800000
	v_lshlrev_b32_e32 v2, 20, v2
	v_lshl_add_u32 v6, v6, 23, v14
	v_or3_b32 v6, v13, v6, v2
.LBB2_4768:
	s_or_b64 exec, exec, s[6:7]
	s_nop 0
	v_mfma_f32_16x16x4f32 a[0:3], v12, v6, a[0:3]
	s_movk_i32 s4, 0x7f
	v_cmp_gt_i16_sdwa s[6:7], v7, s4 src0_sel:BYTE_0 src1_sel:DWORD
	s_mov_b64 s[4:5], 0
                                        ; implicit-def: $sgpr10
	s_and_saveexec_b64 s[8:9], s[6:7]
	s_xor_b64 s[6:7], exec, s[8:9]
	s_cbranch_execz .LBB2_4769
; %bb.40609:
	s_getpc_b64 s[14:15]
.Lpost_getpc23888:
	s_add_u32 s14, s14, (.LBB2_19105-.Lpost_getpc23888)&4294967295
	s_addc_u32 s15, s15, (.LBB2_19105-.Lpost_getpc23888)>>32
	s_setpc_b64 s[14:15]
.LBB2_4769:
	s_or_saveexec_b64 s[6:7], s[6:7]
	v_mov_b32_e32 v2, s10
	s_xor_b64 exec, exec, s[6:7]
	s_cbranch_execz .LBB2_4770
; %bb.40611:
	s_getpc_b64 s[14:15]
.Lpost_getpc23889:
	s_add_u32 s14, s14, (.LBB2_19108-.Lpost_getpc23889)&4294967295
	s_addc_u32 s15, s15, (.LBB2_19108-.Lpost_getpc23889)>>32
	s_setpc_b64 s[14:15]
.LBB2_4770:
	s_or_b64 exec, exec, s[6:7]
	s_and_saveexec_b64 s[6:7], s[4:5]
	s_cbranch_execz .LBB2_4772
.LBB2_4771:
	v_and_b32_e32 v2, 7, v7
	v_ffbh_u32_e32 v12, v2
	v_min_u32_e32 v12, 32, v12
	v_lshrrev_b16_e32 v6, 3, v7
	v_subrev_u32_e32 v13, 28, v12
	v_and_b32_e32 v6, 15, v6
	v_lshlrev_b32_e32 v13, v13, v7
	v_sub_u32_e32 v12, 29, v12
	v_and_b32_e32 v13, 7, v13
	v_cmp_eq_u16_e32 vcc, 0, v6
	v_cndmask_b32_e32 v2, v2, v13, vcc
	v_cndmask_b32_e32 v6, v6, v12, vcc
	v_lshlrev_b32_e32 v12, 24, v7
	v_mov_b32_e32 v13, 0x3b800000
	v_lshlrev_b32_e32 v2, 20, v2
	v_and_b32_e32 v12, 0x80000000, v12
	v_lshl_add_u32 v6, v6, 23, v13
	v_or3_b32 v2, v12, v6, v2
.LBB2_4772:
	s_or_b64 exec, exec, s[6:7]
	s_movk_i32 s4, 0x7f
	v_cmp_gt_i16_sdwa s[6:7], v3, s4 src0_sel:BYTE_0 src1_sel:DWORD
	s_mov_b64 s[4:5], 0
                                        ; implicit-def: $sgpr10
	s_and_saveexec_b64 s[8:9], s[6:7]
	s_xor_b64 s[6:7], exec, s[8:9]
	s_cbranch_execz .LBB2_4773
; %bb.40613:
	s_getpc_b64 s[14:15]
.Lpost_getpc23890:
	s_add_u32 s14, s14, (.LBB2_19109-.Lpost_getpc23890)&4294967295
	s_addc_u32 s15, s15, (.LBB2_19109-.Lpost_getpc23890)>>32
	s_setpc_b64 s[14:15]
.LBB2_4773:
	s_or_saveexec_b64 s[6:7], s[6:7]
	v_mov_b32_e32 v6, s10
	s_xor_b64 exec, exec, s[6:7]
	s_cbranch_execz .LBB2_4774
; %bb.40615:
	s_getpc_b64 s[14:15]
.Lpost_getpc23891:
	s_add_u32 s14, s14, (.LBB2_19112-.Lpost_getpc23891)&4294967295
	s_addc_u32 s15, s15, (.LBB2_19112-.Lpost_getpc23891)>>32
	s_setpc_b64 s[14:15]
.LBB2_4774:
	s_or_b64 exec, exec, s[6:7]
	s_and_saveexec_b64 s[6:7], s[4:5]
	s_cbranch_execz .LBB2_4776
.LBB2_4775:
	v_and_b32_e32 v6, 7, v3
	v_ffbh_u32_e32 v13, v6
	v_min_u32_e32 v13, 32, v13
	v_lshrrev_b16_e32 v12, 3, v3
	v_subrev_u32_e32 v14, 28, v13
	v_and_b32_e32 v12, 15, v12
	v_lshlrev_b32_e32 v14, v14, v3
	v_sub_u32_e32 v13, 29, v13
	v_and_b32_e32 v14, 7, v14
	v_cmp_eq_u16_e32 vcc, 0, v12
	v_cndmask_b32_e32 v6, v6, v14, vcc
	v_cndmask_b32_e32 v12, v12, v13, vcc
	v_lshlrev_b32_e32 v13, 24, v3
	v_mov_b32_e32 v14, 0x3b800000
	v_lshlrev_b32_e32 v6, 20, v6
	v_and_b32_e32 v13, 0x80000000, v13
	v_lshl_add_u32 v12, v12, 23, v14
	v_or3_b32 v6, v13, v12, v6
.LBB2_4776:
	s_or_b64 exec, exec, s[6:7]
	s_nop 0
	v_mfma_f32_16x16x4f32 a[0:3], v2, v6, a[0:3]
	v_lshrrev_b32_e32 v6, 8, v7
	s_movk_i32 s4, 0x7f
	v_cmp_gt_i16_sdwa s[6:7], v6, s4 src0_sel:BYTE_0 src1_sel:DWORD
	s_mov_b64 s[4:5], 0
                                        ; implicit-def: $sgpr10
	s_and_saveexec_b64 s[8:9], s[6:7]
	s_xor_b64 s[6:7], exec, s[8:9]
	s_cbranch_execz .LBB2_4777
; %bb.40617:
	s_getpc_b64 s[14:15]
.Lpost_getpc23892:
	s_add_u32 s14, s14, (.LBB2_19113-.Lpost_getpc23892)&4294967295
	s_addc_u32 s15, s15, (.LBB2_19113-.Lpost_getpc23892)>>32
	s_setpc_b64 s[14:15]
.LBB2_4777:
	s_or_saveexec_b64 s[6:7], s[6:7]
	v_mov_b32_e32 v2, s10
	s_xor_b64 exec, exec, s[6:7]
	s_cbranch_execz .LBB2_4778
; %bb.40619:
	s_getpc_b64 s[14:15]
.Lpost_getpc23893:
	s_add_u32 s14, s14, (.LBB2_19116-.Lpost_getpc23893)&4294967295
	s_addc_u32 s15, s15, (.LBB2_19116-.Lpost_getpc23893)>>32
	s_setpc_b64 s[14:15]
.LBB2_4778:
	s_or_b64 exec, exec, s[6:7]
	s_and_saveexec_b64 s[6:7], s[4:5]
	s_cbranch_execz .LBB2_4780
.LBB2_4779:
	v_bfe_u32 v2, v7, 8, 3
	v_ffbh_u32_e32 v13, v2
	v_min_u32_e32 v13, 32, v13
	v_lshrrev_b16_e32 v12, 3, v6
	v_subrev_u32_e32 v14, 28, v13
	v_and_b32_e32 v12, 15, v12
	v_lshlrev_b32_e32 v6, v14, v6
	v_sub_u32_e32 v13, 29, v13
	v_and_b32_e32 v6, 7, v6
	v_cmp_eq_u16_e32 vcc, 0, v12
	v_cndmask_b32_e32 v2, v2, v6, vcc
	v_cndmask_b32_e32 v6, v12, v13, vcc
	v_lshlrev_b32_e32 v12, 16, v7
	v_mov_b32_e32 v13, 0x3b800000
	v_lshlrev_b32_e32 v2, 20, v2
	v_and_b32_e32 v12, 0x80000000, v12
	v_lshl_add_u32 v6, v6, 23, v13
	v_or3_b32 v2, v12, v6, v2
.LBB2_4780:
	s_or_b64 exec, exec, s[6:7]
	v_lshrrev_b32_e32 v6, 8, v3
	s_movk_i32 s4, 0x7f
	v_cmp_gt_i16_sdwa s[6:7], v6, s4 src0_sel:BYTE_0 src1_sel:DWORD
	s_mov_b64 s[4:5], 0
                                        ; implicit-def: $sgpr10
	s_and_saveexec_b64 s[8:9], s[6:7]
	s_xor_b64 s[6:7], exec, s[8:9]
	s_cbranch_execz .LBB2_4781
; %bb.40621:
	s_getpc_b64 s[14:15]
.Lpost_getpc23894:
	s_add_u32 s14, s14, (.LBB2_19117-.Lpost_getpc23894)&4294967295
	s_addc_u32 s15, s15, (.LBB2_19117-.Lpost_getpc23894)>>32
	s_setpc_b64 s[14:15]
.LBB2_4781:
	s_or_saveexec_b64 s[6:7], s[6:7]
	v_mov_b32_e32 v12, s10
	s_xor_b64 exec, exec, s[6:7]
	s_cbranch_execz .LBB2_4782
; %bb.40623:
	s_getpc_b64 s[14:15]
.Lpost_getpc23895:
	s_add_u32 s14, s14, (.LBB2_19120-.Lpost_getpc23895)&4294967295
	s_addc_u32 s15, s15, (.LBB2_19120-.Lpost_getpc23895)>>32
	s_setpc_b64 s[14:15]
.LBB2_4782:
	s_or_b64 exec, exec, s[6:7]
	s_and_saveexec_b64 s[6:7], s[4:5]
	s_cbranch_execz .LBB2_4784
.LBB2_4783:
	v_bfe_u32 v12, v3, 8, 3
	v_ffbh_u32_e32 v14, v12
	v_min_u32_e32 v14, 32, v14
	v_lshrrev_b16_e32 v13, 3, v6
	v_subrev_u32_e32 v15, 28, v14
	v_and_b32_e32 v13, 15, v13
	v_lshlrev_b32_e32 v6, v15, v6
	v_sub_u32_e32 v14, 29, v14
	v_and_b32_e32 v6, 7, v6
	v_cmp_eq_u16_e32 vcc, 0, v13
	v_cndmask_b32_e32 v6, v12, v6, vcc
	v_cndmask_b32_e32 v12, v13, v14, vcc
	v_lshlrev_b32_e32 v13, 16, v3
	v_mov_b32_e32 v14, 0x3b800000
	v_lshlrev_b32_e32 v6, 20, v6
	v_and_b32_e32 v13, 0x80000000, v13
	v_lshl_add_u32 v12, v12, 23, v14
	v_or3_b32 v12, v13, v12, v6
.LBB2_4784:
	s_or_b64 exec, exec, s[6:7]
	s_nop 0
	v_mfma_f32_16x16x4f32 a[0:3], v2, v12, a[0:3]
	s_movk_i32 s4, 0xff
	v_and_b32_sdwa v6, v7, s4 dst_sel:DWORD dst_unused:UNUSED_PAD src0_sel:WORD_1 src1_sel:DWORD
	s_movk_i32 s4, 0x7f
	v_cmp_lt_i16_e32 vcc, s4, v6
	s_mov_b64 s[4:5], 0
                                        ; implicit-def: $sgpr10
	s_and_saveexec_b64 s[6:7], vcc
	s_xor_b64 s[6:7], exec, s[6:7]
	s_cbranch_execz .LBB2_4785
; %bb.40625:
	s_getpc_b64 s[14:15]
.Lpost_getpc23896:
	s_add_u32 s14, s14, (.LBB2_19121-.Lpost_getpc23896)&4294967295
	s_addc_u32 s15, s15, (.LBB2_19121-.Lpost_getpc23896)>>32
	s_setpc_b64 s[14:15]
.LBB2_4785:
	s_or_saveexec_b64 s[6:7], s[6:7]
	v_mov_b32_e32 v2, s10
	s_xor_b64 exec, exec, s[6:7]
	s_cbranch_execz .LBB2_4786
; %bb.40627:
	s_getpc_b64 s[14:15]
.Lpost_getpc23897:
	s_add_u32 s14, s14, (.LBB2_19124-.Lpost_getpc23897)&4294967295
	s_addc_u32 s15, s15, (.LBB2_19124-.Lpost_getpc23897)>>32
	s_setpc_b64 s[14:15]
.LBB2_4786:
	s_or_b64 exec, exec, s[6:7]
	s_and_saveexec_b64 s[6:7], s[4:5]
	s_cbranch_execz .LBB2_4788
.LBB2_4787:
	v_bfe_u32 v2, v7, 16, 3
	v_ffbh_u32_e32 v13, v2
	v_min_u32_e32 v13, 32, v13
	v_lshrrev_b32_e32 v6, 19, v7
	v_subrev_u32_e32 v14, 28, v13
	v_and_b32_e32 v6, 15, v6
	v_lshlrev_b32_sdwa v14, v14, v7 dst_sel:DWORD dst_unused:UNUSED_PAD src0_sel:DWORD src1_sel:WORD_1
	v_bfe_u32 v12, v7, 19, 4
	v_sub_u32_e32 v13, 29, v13
	v_and_b32_e32 v14, 7, v14
	v_cmp_eq_u16_e32 vcc, 0, v6
	v_cndmask_b32_e32 v2, v2, v14, vcc
	v_cndmask_b32_e32 v6, v12, v13, vcc
	v_lshlrev_b32_e32 v12, 8, v7
	v_mov_b32_e32 v13, 0x3b800000
	v_lshlrev_b32_e32 v2, 20, v2
	v_and_b32_e32 v12, 0x80000000, v12
	v_lshl_add_u32 v6, v6, 23, v13
	v_or3_b32 v2, v12, v6, v2
.LBB2_4788:
	s_or_b64 exec, exec, s[6:7]
	s_movk_i32 s4, 0xff
	v_and_b32_sdwa v6, v3, s4 dst_sel:DWORD dst_unused:UNUSED_PAD src0_sel:WORD_1 src1_sel:DWORD
	s_movk_i32 s4, 0x7f
	v_cmp_lt_i16_e32 vcc, s4, v6
	s_mov_b64 s[4:5], 0
                                        ; implicit-def: $sgpr10
	s_and_saveexec_b64 s[6:7], vcc
	s_xor_b64 s[6:7], exec, s[6:7]
	s_cbranch_execz .LBB2_4789
; %bb.40629:
	s_getpc_b64 s[14:15]
.Lpost_getpc23898:
	s_add_u32 s14, s14, (.LBB2_19125-.Lpost_getpc23898)&4294967295
	s_addc_u32 s15, s15, (.LBB2_19125-.Lpost_getpc23898)>>32
	s_setpc_b64 s[14:15]
.LBB2_4789:
	s_or_saveexec_b64 s[6:7], s[6:7]
	v_mov_b32_e32 v12, s10
	s_xor_b64 exec, exec, s[6:7]
	s_cbranch_execz .LBB2_4790
; %bb.40631:
	s_getpc_b64 s[14:15]
.Lpost_getpc23899:
	s_add_u32 s14, s14, (.LBB2_19128-.Lpost_getpc23899)&4294967295
	s_addc_u32 s15, s15, (.LBB2_19128-.Lpost_getpc23899)>>32
	s_setpc_b64 s[14:15]
.LBB2_4790:
	s_or_b64 exec, exec, s[6:7]
	s_and_saveexec_b64 s[6:7], s[4:5]
	s_cbranch_execz .LBB2_4792
.LBB2_4791:
	v_bfe_u32 v6, v3, 16, 3
	v_ffbh_u32_e32 v14, v6
	v_min_u32_e32 v14, 32, v14
	v_lshrrev_b32_e32 v12, 19, v3
	v_subrev_u32_e32 v15, 28, v14
	v_and_b32_e32 v12, 15, v12
	v_lshlrev_b32_sdwa v15, v15, v3 dst_sel:DWORD dst_unused:UNUSED_PAD src0_sel:DWORD src1_sel:WORD_1
	v_bfe_u32 v13, v3, 19, 4
	v_sub_u32_e32 v14, 29, v14
	v_and_b32_e32 v15, 7, v15
	v_cmp_eq_u16_e32 vcc, 0, v12
	v_cndmask_b32_e32 v6, v6, v15, vcc
	v_cndmask_b32_e32 v12, v13, v14, vcc
	v_lshlrev_b32_e32 v13, 8, v3
	v_mov_b32_e32 v14, 0x3b800000
	v_lshlrev_b32_e32 v6, 20, v6
	v_and_b32_e32 v13, 0x80000000, v13
	v_lshl_add_u32 v12, v12, 23, v14
	v_or3_b32 v12, v13, v12, v6
.LBB2_4792:
	s_or_b64 exec, exec, s[6:7]
	s_nop 0
	v_mfma_f32_16x16x4f32 a[0:3], v2, v12, a[0:3]
	s_movk_i32 s4, 0x7f
	v_cmp_gt_i16_sdwa s[6:7], v7, s4 src0_sel:BYTE_3 src1_sel:DWORD
	s_mov_b64 s[4:5], 0
                                        ; implicit-def: $sgpr10
	s_and_saveexec_b64 s[8:9], s[6:7]
	s_xor_b64 s[6:7], exec, s[8:9]
	s_cbranch_execz .LBB2_4793
; %bb.40633:
	s_getpc_b64 s[14:15]
.Lpost_getpc23900:
	s_add_u32 s14, s14, (.LBB2_19129-.Lpost_getpc23900)&4294967295
	s_addc_u32 s15, s15, (.LBB2_19129-.Lpost_getpc23900)>>32
	s_setpc_b64 s[14:15]
.LBB2_4793:
	s_or_saveexec_b64 s[6:7], s[6:7]
	v_mov_b32_e32 v2, s10
	s_xor_b64 exec, exec, s[6:7]
	s_cbranch_execz .LBB2_4794
; %bb.40635:
	s_getpc_b64 s[14:15]
.Lpost_getpc23901:
	s_add_u32 s14, s14, (.LBB2_19132-.Lpost_getpc23901)&4294967295
	s_addc_u32 s15, s15, (.LBB2_19132-.Lpost_getpc23901)>>32
	s_setpc_b64 s[14:15]
.LBB2_4794:
	s_or_b64 exec, exec, s[6:7]
	s_and_saveexec_b64 s[6:7], s[4:5]
	s_cbranch_execz .LBB2_4796
.LBB2_4795:
	v_bfe_u32 v2, v7, 24, 3
	v_ffbh_u32_e32 v14, v2
	v_min_u32_e32 v14, 32, v14
	v_lshrrev_b32_e32 v12, 27, v7
	v_subrev_u32_e32 v15, 28, v14
	v_and_b32_e32 v6, 0x80000000, v7
	v_and_b32_e32 v12, 15, v12
	v_bfe_u32 v13, v7, 27, 4
	v_lshlrev_b32_sdwa v7, v15, v7 dst_sel:DWORD dst_unused:UNUSED_PAD src0_sel:DWORD src1_sel:BYTE_3
	v_sub_u32_e32 v14, 29, v14
	v_and_b32_e32 v7, 7, v7
	v_cmp_eq_u16_e32 vcc, 0, v12
	v_cndmask_b32_e32 v2, v2, v7, vcc
	v_cndmask_b32_e32 v7, v13, v14, vcc
	v_mov_b32_e32 v12, 0x3b800000
	v_lshlrev_b32_e32 v2, 20, v2
	v_lshl_add_u32 v7, v7, 23, v12
	v_or3_b32 v2, v6, v7, v2
.LBB2_4796:
	s_or_b64 exec, exec, s[6:7]
	s_movk_i32 s4, 0x7f
	v_cmp_gt_i16_sdwa s[6:7], v3, s4 src0_sel:BYTE_3 src1_sel:DWORD
	s_mov_b64 s[4:5], 0
                                        ; implicit-def: $sgpr10
	s_and_saveexec_b64 s[8:9], s[6:7]
	s_xor_b64 s[6:7], exec, s[8:9]
	s_cbranch_execz .LBB2_4797
; %bb.40637:
	s_getpc_b64 s[14:15]
.Lpost_getpc23902:
	s_add_u32 s14, s14, (.LBB2_19133-.Lpost_getpc23902)&4294967295
	s_addc_u32 s15, s15, (.LBB2_19133-.Lpost_getpc23902)>>32
	s_setpc_b64 s[14:15]
.LBB2_4797:
	s_or_saveexec_b64 s[6:7], s[6:7]
	v_mov_b32_e32 v6, s10
	s_xor_b64 exec, exec, s[6:7]
	s_cbranch_execz .LBB2_4798
; %bb.40639:
	s_getpc_b64 s[14:15]
.Lpost_getpc23903:
	s_add_u32 s14, s14, (.LBB2_19136-.Lpost_getpc23903)&4294967295
	s_addc_u32 s15, s15, (.LBB2_19136-.Lpost_getpc23903)>>32
	s_setpc_b64 s[14:15]
.LBB2_4798:
	s_or_b64 exec, exec, s[6:7]
	s_and_saveexec_b64 s[6:7], s[4:5]
	s_cbranch_execz .LBB2_4800
.LBB2_4799:
	v_bfe_u32 v6, v3, 24, 3
	v_ffbh_u32_e32 v14, v6
	v_min_u32_e32 v14, 32, v14
	v_lshrrev_b32_e32 v12, 27, v3
	v_subrev_u32_e32 v15, 28, v14
	v_and_b32_e32 v7, 0x80000000, v3
	v_and_b32_e32 v12, 15, v12
	v_bfe_u32 v13, v3, 27, 4
	v_lshlrev_b32_sdwa v3, v15, v3 dst_sel:DWORD dst_unused:UNUSED_PAD src0_sel:DWORD src1_sel:BYTE_3
	v_sub_u32_e32 v14, 29, v14
	v_and_b32_e32 v3, 7, v3
	v_cmp_eq_u16_e32 vcc, 0, v12
	v_cndmask_b32_e32 v3, v6, v3, vcc
	v_cndmask_b32_e32 v6, v13, v14, vcc
	v_mov_b32_e32 v12, 0x3b800000
	v_lshlrev_b32_e32 v3, 20, v3
	v_lshl_add_u32 v6, v6, 23, v12
	v_or3_b32 v6, v7, v6, v3
.LBB2_4800:
	s_or_b64 exec, exec, s[6:7]
	s_nop 0
	v_mfma_f32_16x16x4f32 a[0:3], v2, v6, a[0:3]
	s_movk_i32 s4, 0x7f
	v_cmp_gt_i16_sdwa s[6:7], v8, s4 src0_sel:BYTE_0 src1_sel:DWORD
	s_mov_b64 s[4:5], 0
                                        ; implicit-def: $sgpr10
	s_and_saveexec_b64 s[8:9], s[6:7]
	s_xor_b64 s[6:7], exec, s[8:9]
	s_cbranch_execz .LBB2_4801
; %bb.40641:
	s_getpc_b64 s[14:15]
.Lpost_getpc23904:
	s_add_u32 s14, s14, (.LBB2_19137-.Lpost_getpc23904)&4294967295
	s_addc_u32 s15, s15, (.LBB2_19137-.Lpost_getpc23904)>>32
	s_setpc_b64 s[14:15]
.LBB2_4801:
	s_or_saveexec_b64 s[6:7], s[6:7]
	v_mov_b32_e32 v2, s10
	s_xor_b64 exec, exec, s[6:7]
	s_cbranch_execz .LBB2_4802
; %bb.40643:
	s_getpc_b64 s[14:15]
.Lpost_getpc23905:
	s_add_u32 s14, s14, (.LBB2_19140-.Lpost_getpc23905)&4294967295
	s_addc_u32 s15, s15, (.LBB2_19140-.Lpost_getpc23905)>>32
	s_setpc_b64 s[14:15]
.LBB2_4802:
	s_or_b64 exec, exec, s[6:7]
	s_and_saveexec_b64 s[6:7], s[4:5]
	s_cbranch_execz .LBB2_4804
.LBB2_4803:
	v_and_b32_e32 v2, 7, v8
	v_ffbh_u32_e32 v6, v2
	v_min_u32_e32 v6, 32, v6
	v_lshrrev_b16_e32 v3, 3, v8
	v_subrev_u32_e32 v7, 28, v6
	v_and_b32_e32 v3, 15, v3
	v_lshlrev_b32_e32 v7, v7, v8
	v_sub_u32_e32 v6, 29, v6
	v_and_b32_e32 v7, 7, v7
	v_cmp_eq_u16_e32 vcc, 0, v3
	v_cndmask_b32_e32 v2, v2, v7, vcc
	v_cndmask_b32_e32 v3, v3, v6, vcc
	v_lshlrev_b32_e32 v6, 24, v8
	v_mov_b32_e32 v7, 0x3b800000
	v_lshlrev_b32_e32 v2, 20, v2
	v_and_b32_e32 v6, 0x80000000, v6
	v_lshl_add_u32 v3, v3, 23, v7
	v_or3_b32 v2, v6, v3, v2
.LBB2_4804:
	s_or_b64 exec, exec, s[6:7]
	s_movk_i32 s4, 0x7f
	v_cmp_gt_i16_sdwa s[6:7], v4, s4 src0_sel:BYTE_0 src1_sel:DWORD
	s_mov_b64 s[4:5], 0
                                        ; implicit-def: $sgpr10
	s_and_saveexec_b64 s[8:9], s[6:7]
	s_xor_b64 s[6:7], exec, s[8:9]
	s_cbranch_execz .LBB2_4805
; %bb.40645:
	s_getpc_b64 s[14:15]
.Lpost_getpc23906:
	s_add_u32 s14, s14, (.LBB2_19141-.Lpost_getpc23906)&4294967295
	s_addc_u32 s15, s15, (.LBB2_19141-.Lpost_getpc23906)>>32
	s_setpc_b64 s[14:15]
.LBB2_4805:
	s_or_saveexec_b64 s[6:7], s[6:7]
	v_mov_b32_e32 v3, s10
	s_xor_b64 exec, exec, s[6:7]
	s_cbranch_execz .LBB2_4806
; %bb.40647:
	s_getpc_b64 s[14:15]
.Lpost_getpc23907:
	s_add_u32 s14, s14, (.LBB2_19144-.Lpost_getpc23907)&4294967295
	s_addc_u32 s15, s15, (.LBB2_19144-.Lpost_getpc23907)>>32
	s_setpc_b64 s[14:15]
.LBB2_4806:
	s_or_b64 exec, exec, s[6:7]
	s_and_saveexec_b64 s[6:7], s[4:5]
	s_cbranch_execz .LBB2_4808
.LBB2_4807:
	v_and_b32_e32 v3, 7, v4
	v_ffbh_u32_e32 v7, v3
	v_min_u32_e32 v7, 32, v7
	v_lshrrev_b16_e32 v6, 3, v4
	v_subrev_u32_e32 v12, 28, v7
	v_and_b32_e32 v6, 15, v6
	v_lshlrev_b32_e32 v12, v12, v4
	v_sub_u32_e32 v7, 29, v7
	v_and_b32_e32 v12, 7, v12
	v_cmp_eq_u16_e32 vcc, 0, v6
	v_cndmask_b32_e32 v3, v3, v12, vcc
	v_cndmask_b32_e32 v6, v6, v7, vcc
	v_lshlrev_b32_e32 v7, 24, v4
	v_mov_b32_e32 v12, 0x3b800000
	v_lshlrev_b32_e32 v3, 20, v3
	v_and_b32_e32 v7, 0x80000000, v7
	v_lshl_add_u32 v6, v6, 23, v12
	v_or3_b32 v3, v7, v6, v3
.LBB2_4808:
	s_or_b64 exec, exec, s[6:7]
	s_nop 0
	v_mfma_f32_16x16x4f32 a[0:3], v2, v3, a[0:3]
	v_lshrrev_b32_e32 v3, 8, v8
	s_movk_i32 s4, 0x7f
	v_cmp_gt_i16_sdwa s[6:7], v3, s4 src0_sel:BYTE_0 src1_sel:DWORD
	s_mov_b64 s[4:5], 0
                                        ; implicit-def: $sgpr10
	s_and_saveexec_b64 s[8:9], s[6:7]
	s_xor_b64 s[6:7], exec, s[8:9]
	s_cbranch_execz .LBB2_4809
; %bb.40649:
	s_getpc_b64 s[14:15]
.Lpost_getpc23908:
	s_add_u32 s14, s14, (.LBB2_19145-.Lpost_getpc23908)&4294967295
	s_addc_u32 s15, s15, (.LBB2_19145-.Lpost_getpc23908)>>32
	s_setpc_b64 s[14:15]
.LBB2_4809:
	s_or_saveexec_b64 s[6:7], s[6:7]
	v_mov_b32_e32 v2, s10
	s_xor_b64 exec, exec, s[6:7]
	s_cbranch_execz .LBB2_4810
; %bb.40651:
	s_getpc_b64 s[14:15]
.Lpost_getpc23909:
	s_add_u32 s14, s14, (.LBB2_19148-.Lpost_getpc23909)&4294967295
	s_addc_u32 s15, s15, (.LBB2_19148-.Lpost_getpc23909)>>32
	s_setpc_b64 s[14:15]
.LBB2_4810:
	s_or_b64 exec, exec, s[6:7]
	s_and_saveexec_b64 s[6:7], s[4:5]
	s_cbranch_execz .LBB2_4812
.LBB2_4811:
	v_bfe_u32 v2, v8, 8, 3
	v_ffbh_u32_e32 v7, v2
	v_min_u32_e32 v7, 32, v7
	v_lshrrev_b16_e32 v6, 3, v3
	v_subrev_u32_e32 v12, 28, v7
	v_and_b32_e32 v6, 15, v6
	v_lshlrev_b32_e32 v3, v12, v3
	v_sub_u32_e32 v7, 29, v7
	v_and_b32_e32 v3, 7, v3
	v_cmp_eq_u16_e32 vcc, 0, v6
	v_cndmask_b32_e32 v2, v2, v3, vcc
	v_cndmask_b32_e32 v3, v6, v7, vcc
	v_lshlrev_b32_e32 v6, 16, v8
	v_mov_b32_e32 v7, 0x3b800000
	v_lshlrev_b32_e32 v2, 20, v2
	v_and_b32_e32 v6, 0x80000000, v6
	v_lshl_add_u32 v3, v3, 23, v7
	v_or3_b32 v2, v6, v3, v2
.LBB2_4812:
	s_or_b64 exec, exec, s[6:7]
	v_lshrrev_b32_e32 v3, 8, v4
	s_movk_i32 s4, 0x7f
	v_cmp_gt_i16_sdwa s[6:7], v3, s4 src0_sel:BYTE_0 src1_sel:DWORD
	s_mov_b64 s[4:5], 0
                                        ; implicit-def: $sgpr10
	s_and_saveexec_b64 s[8:9], s[6:7]
	s_xor_b64 s[6:7], exec, s[8:9]
	s_cbranch_execz .LBB2_4813
; %bb.40653:
	s_getpc_b64 s[14:15]
.Lpost_getpc23910:
	s_add_u32 s14, s14, (.LBB2_19149-.Lpost_getpc23910)&4294967295
	s_addc_u32 s15, s15, (.LBB2_19149-.Lpost_getpc23910)>>32
	s_setpc_b64 s[14:15]
.LBB2_4813:
	s_or_saveexec_b64 s[6:7], s[6:7]
	v_mov_b32_e32 v6, s10
	s_xor_b64 exec, exec, s[6:7]
	s_cbranch_execz .LBB2_4814
; %bb.40655:
	s_getpc_b64 s[14:15]
.Lpost_getpc23911:
	s_add_u32 s14, s14, (.LBB2_19152-.Lpost_getpc23911)&4294967295
	s_addc_u32 s15, s15, (.LBB2_19152-.Lpost_getpc23911)>>32
	s_setpc_b64 s[14:15]
.LBB2_4814:
	s_or_b64 exec, exec, s[6:7]
	s_and_saveexec_b64 s[6:7], s[4:5]
	s_cbranch_execz .LBB2_4816
.LBB2_4815:
	v_bfe_u32 v6, v4, 8, 3
	v_ffbh_u32_e32 v12, v6
	v_min_u32_e32 v12, 32, v12
	v_lshrrev_b16_e32 v7, 3, v3
	v_subrev_u32_e32 v13, 28, v12
	v_and_b32_e32 v7, 15, v7
	v_lshlrev_b32_e32 v3, v13, v3
	v_sub_u32_e32 v12, 29, v12
	v_and_b32_e32 v3, 7, v3
	v_cmp_eq_u16_e32 vcc, 0, v7
	v_cndmask_b32_e32 v3, v6, v3, vcc
	v_cndmask_b32_e32 v6, v7, v12, vcc
	v_lshlrev_b32_e32 v7, 16, v4
	v_mov_b32_e32 v12, 0x3b800000
	v_lshlrev_b32_e32 v3, 20, v3
	v_and_b32_e32 v7, 0x80000000, v7
	v_lshl_add_u32 v6, v6, 23, v12
	v_or3_b32 v6, v7, v6, v3
.LBB2_4816:
	s_or_b64 exec, exec, s[6:7]
	s_nop 0
	v_mfma_f32_16x16x4f32 a[0:3], v2, v6, a[0:3]
	s_movk_i32 s4, 0xff
	v_and_b32_sdwa v3, v8, s4 dst_sel:DWORD dst_unused:UNUSED_PAD src0_sel:WORD_1 src1_sel:DWORD
	s_movk_i32 s4, 0x7f
	v_cmp_lt_i16_e32 vcc, s4, v3
	s_mov_b64 s[4:5], 0
                                        ; implicit-def: $sgpr10
	s_and_saveexec_b64 s[6:7], vcc
	s_xor_b64 s[6:7], exec, s[6:7]
	s_cbranch_execz .LBB2_4817
; %bb.40657:
	s_getpc_b64 s[14:15]
.Lpost_getpc23912:
	s_add_u32 s14, s14, (.LBB2_19153-.Lpost_getpc23912)&4294967295
	s_addc_u32 s15, s15, (.LBB2_19153-.Lpost_getpc23912)>>32
	s_setpc_b64 s[14:15]
.LBB2_4817:
	s_or_saveexec_b64 s[6:7], s[6:7]
	v_mov_b32_e32 v2, s10
	s_xor_b64 exec, exec, s[6:7]
	s_cbranch_execz .LBB2_4818
; %bb.40659:
	s_getpc_b64 s[14:15]
.Lpost_getpc23913:
	s_add_u32 s14, s14, (.LBB2_19156-.Lpost_getpc23913)&4294967295
	s_addc_u32 s15, s15, (.LBB2_19156-.Lpost_getpc23913)>>32
	s_setpc_b64 s[14:15]
.LBB2_4818:
	s_or_b64 exec, exec, s[6:7]
	s_and_saveexec_b64 s[6:7], s[4:5]
	s_cbranch_execz .LBB2_4820
.LBB2_4819:
	v_bfe_u32 v2, v8, 16, 3
	v_ffbh_u32_e32 v7, v2
	v_min_u32_e32 v7, 32, v7
	v_lshrrev_b32_e32 v3, 19, v8
	v_subrev_u32_e32 v12, 28, v7
	v_and_b32_e32 v3, 15, v3
	v_lshlrev_b32_sdwa v12, v12, v8 dst_sel:DWORD dst_unused:UNUSED_PAD src0_sel:DWORD src1_sel:WORD_1
	v_bfe_u32 v6, v8, 19, 4
	v_sub_u32_e32 v7, 29, v7
	v_and_b32_e32 v12, 7, v12
	v_cmp_eq_u16_e32 vcc, 0, v3
	v_cndmask_b32_e32 v2, v2, v12, vcc
	v_cndmask_b32_e32 v3, v6, v7, vcc
	v_lshlrev_b32_e32 v6, 8, v8
	v_mov_b32_e32 v7, 0x3b800000
	v_lshlrev_b32_e32 v2, 20, v2
	v_and_b32_e32 v6, 0x80000000, v6
	v_lshl_add_u32 v3, v3, 23, v7
	v_or3_b32 v2, v6, v3, v2
.LBB2_4820:
	s_or_b64 exec, exec, s[6:7]
	s_movk_i32 s4, 0xff
	v_and_b32_sdwa v3, v4, s4 dst_sel:DWORD dst_unused:UNUSED_PAD src0_sel:WORD_1 src1_sel:DWORD
	s_movk_i32 s4, 0x7f
	v_cmp_lt_i16_e32 vcc, s4, v3
	s_mov_b64 s[4:5], 0
                                        ; implicit-def: $sgpr10
	s_and_saveexec_b64 s[6:7], vcc
	s_xor_b64 s[6:7], exec, s[6:7]
	s_cbranch_execz .LBB2_4821
; %bb.40661:
	s_getpc_b64 s[14:15]
.Lpost_getpc23914:
	s_add_u32 s14, s14, (.LBB2_19157-.Lpost_getpc23914)&4294967295
	s_addc_u32 s15, s15, (.LBB2_19157-.Lpost_getpc23914)>>32
	s_setpc_b64 s[14:15]
.LBB2_4821:
	s_or_saveexec_b64 s[6:7], s[6:7]
	v_mov_b32_e32 v6, s10
	s_xor_b64 exec, exec, s[6:7]
	s_cbranch_execz .LBB2_4822
; %bb.40663:
	s_getpc_b64 s[14:15]
.Lpost_getpc23915:
	s_add_u32 s14, s14, (.LBB2_19160-.Lpost_getpc23915)&4294967295
	s_addc_u32 s15, s15, (.LBB2_19160-.Lpost_getpc23915)>>32
	s_setpc_b64 s[14:15]
.LBB2_4822:
	s_or_b64 exec, exec, s[6:7]
	s_and_saveexec_b64 s[6:7], s[4:5]
	s_cbranch_execz .LBB2_4824
.LBB2_4823:
	v_bfe_u32 v3, v4, 16, 3
	v_ffbh_u32_e32 v12, v3
	v_min_u32_e32 v12, 32, v12
	v_lshrrev_b32_e32 v6, 19, v4
	v_subrev_u32_e32 v13, 28, v12
	v_and_b32_e32 v6, 15, v6
	v_lshlrev_b32_sdwa v13, v13, v4 dst_sel:DWORD dst_unused:UNUSED_PAD src0_sel:DWORD src1_sel:WORD_1
	v_bfe_u32 v7, v4, 19, 4
	v_sub_u32_e32 v12, 29, v12
	v_and_b32_e32 v13, 7, v13
	v_cmp_eq_u16_e32 vcc, 0, v6
	v_cndmask_b32_e32 v3, v3, v13, vcc
	v_cndmask_b32_e32 v6, v7, v12, vcc
	v_lshlrev_b32_e32 v7, 8, v4
	v_mov_b32_e32 v12, 0x3b800000
	v_lshlrev_b32_e32 v3, 20, v3
	v_and_b32_e32 v7, 0x80000000, v7
	v_lshl_add_u32 v6, v6, 23, v12
	v_or3_b32 v6, v7, v6, v3
.LBB2_4824:
	s_or_b64 exec, exec, s[6:7]
	s_nop 0
	v_mfma_f32_16x16x4f32 a[0:3], v2, v6, a[0:3]
	s_movk_i32 s4, 0x7f
	v_cmp_gt_i16_sdwa s[6:7], v8, s4 src0_sel:BYTE_3 src1_sel:DWORD
	s_mov_b64 s[4:5], 0
                                        ; implicit-def: $sgpr10
	s_and_saveexec_b64 s[8:9], s[6:7]
	s_xor_b64 s[6:7], exec, s[8:9]
	s_cbranch_execz .LBB2_4825
; %bb.40665:
	s_getpc_b64 s[14:15]
.Lpost_getpc23916:
	s_add_u32 s14, s14, (.LBB2_19161-.Lpost_getpc23916)&4294967295
	s_addc_u32 s15, s15, (.LBB2_19161-.Lpost_getpc23916)>>32
	s_setpc_b64 s[14:15]
.LBB2_4825:
	s_or_saveexec_b64 s[6:7], s[6:7]
	v_mov_b32_e32 v2, s10
	s_xor_b64 exec, exec, s[6:7]
	s_cbranch_execz .LBB2_4826
; %bb.40667:
	s_getpc_b64 s[14:15]
.Lpost_getpc23917:
	s_add_u32 s14, s14, (.LBB2_19164-.Lpost_getpc23917)&4294967295
	s_addc_u32 s15, s15, (.LBB2_19164-.Lpost_getpc23917)>>32
	s_setpc_b64 s[14:15]
.LBB2_4826:
	s_or_b64 exec, exec, s[6:7]
	s_and_saveexec_b64 s[6:7], s[4:5]
	s_cbranch_execz .LBB2_4828
.LBB2_4827:
	v_bfe_u32 v2, v8, 24, 3
	v_ffbh_u32_e32 v12, v2
	v_min_u32_e32 v12, 32, v12
	v_lshrrev_b32_e32 v6, 27, v8
	v_subrev_u32_e32 v13, 28, v12
	v_and_b32_e32 v3, 0x80000000, v8
	v_and_b32_e32 v6, 15, v6
	v_bfe_u32 v7, v8, 27, 4
	v_lshlrev_b32_sdwa v8, v13, v8 dst_sel:DWORD dst_unused:UNUSED_PAD src0_sel:DWORD src1_sel:BYTE_3
	v_sub_u32_e32 v12, 29, v12
	v_and_b32_e32 v8, 7, v8
	v_cmp_eq_u16_e32 vcc, 0, v6
	v_cndmask_b32_e32 v2, v2, v8, vcc
	v_cndmask_b32_e32 v6, v7, v12, vcc
	v_mov_b32_e32 v7, 0x3b800000
	v_lshlrev_b32_e32 v2, 20, v2
	v_lshl_add_u32 v6, v6, 23, v7
	v_or3_b32 v2, v3, v6, v2
.LBB2_4828:
	s_or_b64 exec, exec, s[6:7]
	s_movk_i32 s4, 0x7f
	v_cmp_gt_i16_sdwa s[6:7], v4, s4 src0_sel:BYTE_3 src1_sel:DWORD
	s_mov_b64 s[4:5], 0
                                        ; implicit-def: $sgpr10
	s_and_saveexec_b64 s[8:9], s[6:7]
	s_xor_b64 s[6:7], exec, s[8:9]
	s_cbranch_execz .LBB2_4829
; %bb.40669:
	s_getpc_b64 s[14:15]
.Lpost_getpc23918:
	s_add_u32 s14, s14, (.LBB2_19165-.Lpost_getpc23918)&4294967295
	s_addc_u32 s15, s15, (.LBB2_19165-.Lpost_getpc23918)>>32
	s_setpc_b64 s[14:15]
.LBB2_4829:
	s_or_saveexec_b64 s[6:7], s[6:7]
	v_mov_b32_e32 v3, s10
	s_xor_b64 exec, exec, s[6:7]
	s_cbranch_execz .LBB2_4830
; %bb.40671:
	s_getpc_b64 s[14:15]
.Lpost_getpc23919:
	s_add_u32 s14, s14, (.LBB2_19168-.Lpost_getpc23919)&4294967295
	s_addc_u32 s15, s15, (.LBB2_19168-.Lpost_getpc23919)>>32
	s_setpc_b64 s[14:15]
.LBB2_4830:
	s_or_b64 exec, exec, s[6:7]
	s_and_saveexec_b64 s[6:7], s[4:5]
	s_cbranch_execz .LBB2_4832
.LBB2_4831:
	v_bfe_u32 v3, v4, 24, 3
	v_ffbh_u32_e32 v12, v3
	v_min_u32_e32 v12, 32, v12
	v_lshrrev_b32_e32 v7, 27, v4
	v_subrev_u32_e32 v13, 28, v12
	v_and_b32_e32 v6, 0x80000000, v4
	v_and_b32_e32 v7, 15, v7
	v_bfe_u32 v8, v4, 27, 4
	v_lshlrev_b32_sdwa v4, v13, v4 dst_sel:DWORD dst_unused:UNUSED_PAD src0_sel:DWORD src1_sel:BYTE_3
	v_sub_u32_e32 v12, 29, v12
	v_and_b32_e32 v4, 7, v4
	v_cmp_eq_u16_e32 vcc, 0, v7
	v_cndmask_b32_e32 v3, v3, v4, vcc
	v_cndmask_b32_e32 v4, v8, v12, vcc
	v_mov_b32_e32 v7, 0x3b800000
	v_lshlrev_b32_e32 v3, 20, v3
	v_lshl_add_u32 v4, v4, 23, v7
	v_or3_b32 v3, v6, v4, v3
.LBB2_4832:
	s_or_b64 exec, exec, s[6:7]
	s_nop 0
	v_mfma_f32_16x16x4f32 a[0:3], v2, v3, a[0:3]
	s_movk_i32 s4, 0x7f
	v_cmp_gt_i16_sdwa s[6:7], v9, s4 src0_sel:BYTE_0 src1_sel:DWORD
	s_mov_b64 s[4:5], 0
                                        ; implicit-def: $sgpr10
	s_and_saveexec_b64 s[8:9], s[6:7]
	s_xor_b64 s[6:7], exec, s[8:9]
	s_cbranch_execz .LBB2_4833
; %bb.40673:
	s_getpc_b64 s[14:15]
.Lpost_getpc23920:
	s_add_u32 s14, s14, (.LBB2_19169-.Lpost_getpc23920)&4294967295
	s_addc_u32 s15, s15, (.LBB2_19169-.Lpost_getpc23920)>>32
	s_setpc_b64 s[14:15]
.LBB2_4833:
	s_or_saveexec_b64 s[6:7], s[6:7]
	v_mov_b32_e32 v2, s10
	s_xor_b64 exec, exec, s[6:7]
	s_cbranch_execz .LBB2_4834
; %bb.40675:
	s_getpc_b64 s[14:15]
.Lpost_getpc23921:
	s_add_u32 s14, s14, (.LBB2_19172-.Lpost_getpc23921)&4294967295
	s_addc_u32 s15, s15, (.LBB2_19172-.Lpost_getpc23921)>>32
	s_setpc_b64 s[14:15]
.LBB2_4834:
	s_or_b64 exec, exec, s[6:7]
	s_and_saveexec_b64 s[6:7], s[4:5]
	s_cbranch_execz .LBB2_4836
.LBB2_4835:
	v_mov_b32_e32 v2, 8
	v_and_b32_e32 v3, 7, v9
	v_lshrrev_b32_sdwa v2, v2, v9 dst_sel:BYTE_1 dst_unused:UNUSED_PAD src0_sel:DWORD src1_sel:DWORD
	v_ffbh_u32_e32 v4, v3
	v_or_b32_sdwa v2, v9, v2 dst_sel:DWORD dst_unused:UNUSED_PAD src0_sel:BYTE_0 src1_sel:DWORD
	v_min_u32_e32 v4, 32, v4
	v_lshrrev_b16_e32 v2, 3, v2
	v_subrev_u32_e32 v6, 28, v4
	v_and_b32_e32 v2, 15, v2
	v_lshlrev_b32_e32 v6, v6, v9
	v_sub_u32_e32 v4, 29, v4
	v_and_b32_e32 v6, 7, v6
	v_cmp_eq_u16_e32 vcc, 0, v2
	v_cndmask_b32_e32 v3, v3, v6, vcc
	v_cndmask_b32_e32 v2, v2, v4, vcc
	v_lshlrev_b32_e32 v4, 24, v9
	v_mov_b32_e32 v6, 0x3b800000
	v_lshlrev_b32_e32 v3, 20, v3
	v_and_b32_e32 v4, 0x80000000, v4
	v_lshl_add_u32 v2, v2, 23, v6
	v_or3_b32 v2, v4, v2, v3
.LBB2_4836:
	s_or_b64 exec, exec, s[6:7]
	s_movk_i32 s4, 0x7f
	v_cmp_gt_i16_sdwa s[6:7], v5, s4 src0_sel:BYTE_0 src1_sel:DWORD
	s_mov_b64 s[4:5], 0
                                        ; implicit-def: $sgpr10
	s_and_saveexec_b64 s[8:9], s[6:7]
	s_xor_b64 s[6:7], exec, s[8:9]
	s_cbranch_execz .LBB2_4837
; %bb.40677:
	s_getpc_b64 s[14:15]
.Lpost_getpc23922:
	s_add_u32 s14, s14, (.LBB2_19173-.Lpost_getpc23922)&4294967295
	s_addc_u32 s15, s15, (.LBB2_19173-.Lpost_getpc23922)>>32
	s_setpc_b64 s[14:15]
.LBB2_4837:
	s_or_saveexec_b64 s[6:7], s[6:7]
	v_mov_b32_e32 v3, s10
	s_xor_b64 exec, exec, s[6:7]
	s_cbranch_execz .LBB2_4838
; %bb.40679:
	s_getpc_b64 s[14:15]
.Lpost_getpc23923:
	s_add_u32 s14, s14, (.LBB2_19176-.Lpost_getpc23923)&4294967295
	s_addc_u32 s15, s15, (.LBB2_19176-.Lpost_getpc23923)>>32
	s_setpc_b64 s[14:15]
.LBB2_4838:
	s_or_b64 exec, exec, s[6:7]
	s_and_saveexec_b64 s[6:7], s[4:5]
	s_cbranch_execz .LBB2_4840
.LBB2_4839:
	v_mov_b32_e32 v3, 8
	v_and_b32_e32 v4, 7, v5
	v_lshrrev_b32_sdwa v3, v3, v5 dst_sel:BYTE_1 dst_unused:UNUSED_PAD src0_sel:DWORD src1_sel:DWORD
	v_ffbh_u32_e32 v6, v4
	v_or_b32_sdwa v3, v5, v3 dst_sel:DWORD dst_unused:UNUSED_PAD src0_sel:BYTE_0 src1_sel:DWORD
	v_min_u32_e32 v6, 32, v6
	v_lshrrev_b16_e32 v3, 3, v3
	v_subrev_u32_e32 v7, 28, v6
	v_and_b32_e32 v3, 15, v3
	v_lshlrev_b32_e32 v7, v7, v5
	v_sub_u32_e32 v6, 29, v6
	v_and_b32_e32 v7, 7, v7
	v_cmp_eq_u16_e32 vcc, 0, v3
	v_cndmask_b32_e32 v4, v4, v7, vcc
	v_cndmask_b32_e32 v3, v3, v6, vcc
	v_lshlrev_b32_e32 v6, 24, v5
	v_mov_b32_e32 v7, 0x3b800000
	v_lshlrev_b32_e32 v4, 20, v4
	v_and_b32_e32 v6, 0x80000000, v6
	v_lshl_add_u32 v3, v3, 23, v7
	v_or3_b32 v3, v6, v3, v4
.LBB2_4840:
	s_or_b64 exec, exec, s[6:7]
	s_nop 0
	v_mfma_f32_16x16x4f32 a[0:3], v2, v3, a[0:3]
	v_lshrrev_b32_e32 v3, 8, v9
	s_movk_i32 s4, 0x7f
	v_cmp_gt_i16_sdwa s[6:7], v3, s4 src0_sel:BYTE_0 src1_sel:DWORD
	s_mov_b64 s[4:5], 0
                                        ; implicit-def: $sgpr10
	s_and_saveexec_b64 s[8:9], s[6:7]
	s_xor_b64 s[6:7], exec, s[8:9]
	s_cbranch_execz .LBB2_4841
; %bb.40681:
	s_getpc_b64 s[14:15]
.Lpost_getpc23924:
	s_add_u32 s14, s14, (.LBB2_19177-.Lpost_getpc23924)&4294967295
	s_addc_u32 s15, s15, (.LBB2_19177-.Lpost_getpc23924)>>32
	s_setpc_b64 s[14:15]
.LBB2_4841:
	s_or_saveexec_b64 s[6:7], s[6:7]
	v_mov_b32_e32 v2, s10
	s_xor_b64 exec, exec, s[6:7]
	s_cbranch_execz .LBB2_4842
; %bb.40683:
	s_getpc_b64 s[14:15]
.Lpost_getpc23925:
	s_add_u32 s14, s14, (.LBB2_19180-.Lpost_getpc23925)&4294967295
	s_addc_u32 s15, s15, (.LBB2_19180-.Lpost_getpc23925)>>32
	s_setpc_b64 s[14:15]
.LBB2_4842:
	s_or_b64 exec, exec, s[6:7]
	s_and_saveexec_b64 s[6:7], s[4:5]
	s_cbranch_execz .LBB2_4844
.LBB2_4843:
	v_bfe_u32 v2, v9, 8, 3
	v_ffbh_u32_e32 v6, v2
	v_min_u32_e32 v6, 32, v6
	v_lshrrev_b16_e32 v4, 3, v3
	v_subrev_u32_e32 v7, 28, v6
	v_and_b32_e32 v4, 15, v4
	v_lshlrev_b32_e32 v3, v7, v3
	v_sub_u32_e32 v6, 29, v6
	v_and_b32_e32 v3, 7, v3
	v_cmp_eq_u16_e32 vcc, 0, v4
	v_cndmask_b32_e32 v2, v2, v3, vcc
	v_cndmask_b32_e32 v3, v4, v6, vcc
	v_lshlrev_b32_e32 v4, 16, v9
	v_mov_b32_e32 v6, 0x3b800000
	v_lshlrev_b32_e32 v2, 20, v2
	v_and_b32_e32 v4, 0x80000000, v4
	v_lshl_add_u32 v3, v3, 23, v6
	v_or3_b32 v2, v4, v3, v2
.LBB2_4844:
	s_or_b64 exec, exec, s[6:7]
	v_lshrrev_b32_e32 v3, 8, v5
	s_movk_i32 s4, 0x7f
	v_cmp_gt_i16_sdwa s[6:7], v3, s4 src0_sel:BYTE_0 src1_sel:DWORD
	s_mov_b64 s[4:5], 0
                                        ; implicit-def: $sgpr10
	s_and_saveexec_b64 s[8:9], s[6:7]
	s_xor_b64 s[6:7], exec, s[8:9]
	s_cbranch_execz .LBB2_4845
; %bb.40685:
	s_getpc_b64 s[14:15]
.Lpost_getpc23926:
	s_add_u32 s14, s14, (.LBB2_19181-.Lpost_getpc23926)&4294967295
	s_addc_u32 s15, s15, (.LBB2_19181-.Lpost_getpc23926)>>32
	s_setpc_b64 s[14:15]
.LBB2_4845:
	s_or_saveexec_b64 s[6:7], s[6:7]
	v_mov_b32_e32 v4, s10
	s_xor_b64 exec, exec, s[6:7]
	s_cbranch_execz .LBB2_4846
; %bb.40687:
	s_getpc_b64 s[14:15]
.Lpost_getpc23927:
	s_add_u32 s14, s14, (.LBB2_19184-.Lpost_getpc23927)&4294967295
	s_addc_u32 s15, s15, (.LBB2_19184-.Lpost_getpc23927)>>32
	s_setpc_b64 s[14:15]
.LBB2_4846:
	s_or_b64 exec, exec, s[6:7]
	s_and_saveexec_b64 s[6:7], s[4:5]
	s_cbranch_execz .LBB2_4848
.LBB2_4847:
	v_bfe_u32 v4, v5, 8, 3
	v_ffbh_u32_e32 v7, v4
	v_min_u32_e32 v7, 32, v7
	v_lshrrev_b16_e32 v6, 3, v3
	v_subrev_u32_e32 v8, 28, v7
	v_and_b32_e32 v6, 15, v6
	v_lshlrev_b32_e32 v3, v8, v3
	v_sub_u32_e32 v7, 29, v7
	v_and_b32_e32 v3, 7, v3
	v_cmp_eq_u16_e32 vcc, 0, v6
	v_cndmask_b32_e32 v3, v4, v3, vcc
	v_cndmask_b32_e32 v4, v6, v7, vcc
	v_lshlrev_b32_e32 v6, 16, v5
	v_mov_b32_e32 v7, 0x3b800000
	v_lshlrev_b32_e32 v3, 20, v3
	v_and_b32_e32 v6, 0x80000000, v6
	v_lshl_add_u32 v4, v4, 23, v7
	v_or3_b32 v4, v6, v4, v3
.LBB2_4848:
	s_or_b64 exec, exec, s[6:7]
	s_nop 0
	v_mfma_f32_16x16x4f32 a[0:3], v2, v4, a[0:3]
	s_movk_i32 s4, 0xff
	v_and_b32_sdwa v3, v9, s4 dst_sel:DWORD dst_unused:UNUSED_PAD src0_sel:WORD_1 src1_sel:DWORD
	s_movk_i32 s4, 0x7f
	v_cmp_lt_i16_e32 vcc, s4, v3
	s_mov_b64 s[4:5], 0
                                        ; implicit-def: $sgpr10
	s_and_saveexec_b64 s[6:7], vcc
	s_xor_b64 s[6:7], exec, s[6:7]
	s_cbranch_execz .LBB2_4849
; %bb.40689:
	s_getpc_b64 s[14:15]
.Lpost_getpc23928:
	s_add_u32 s14, s14, (.LBB2_19185-.Lpost_getpc23928)&4294967295
	s_addc_u32 s15, s15, (.LBB2_19185-.Lpost_getpc23928)>>32
	s_setpc_b64 s[14:15]
.LBB2_4849:
	s_or_saveexec_b64 s[6:7], s[6:7]
	v_mov_b32_e32 v2, s10
	s_xor_b64 exec, exec, s[6:7]
	s_cbranch_execz .LBB2_4850
; %bb.40691:
	s_getpc_b64 s[14:15]
.Lpost_getpc23929:
	s_add_u32 s14, s14, (.LBB2_19188-.Lpost_getpc23929)&4294967295
	s_addc_u32 s15, s15, (.LBB2_19188-.Lpost_getpc23929)>>32
	s_setpc_b64 s[14:15]
.LBB2_4850:
	s_or_b64 exec, exec, s[6:7]
	s_and_saveexec_b64 s[6:7], s[4:5]
	s_cbranch_execz .LBB2_4852
.LBB2_4851:
	v_bfe_u32 v2, v9, 16, 3
	v_ffbh_u32_e32 v6, v2
	v_min_u32_e32 v6, 32, v6
	v_lshrrev_b32_e32 v3, 19, v9
	v_subrev_u32_e32 v7, 28, v6
	v_and_b32_e32 v3, 15, v3
	v_lshlrev_b32_sdwa v7, v7, v9 dst_sel:DWORD dst_unused:UNUSED_PAD src0_sel:DWORD src1_sel:WORD_1
	v_bfe_u32 v4, v9, 19, 4
	v_sub_u32_e32 v6, 29, v6
	v_and_b32_e32 v7, 7, v7
	v_cmp_eq_u16_e32 vcc, 0, v3
	v_cndmask_b32_e32 v2, v2, v7, vcc
	v_cndmask_b32_e32 v3, v4, v6, vcc
	v_lshlrev_b32_e32 v4, 8, v9
	v_mov_b32_e32 v6, 0x3b800000
	v_lshlrev_b32_e32 v2, 20, v2
	v_and_b32_e32 v4, 0x80000000, v4
	v_lshl_add_u32 v3, v3, 23, v6
	v_or3_b32 v2, v4, v3, v2
.LBB2_4852:
	s_or_b64 exec, exec, s[6:7]
	s_movk_i32 s4, 0xff
	v_and_b32_sdwa v3, v5, s4 dst_sel:DWORD dst_unused:UNUSED_PAD src0_sel:WORD_1 src1_sel:DWORD
	s_movk_i32 s4, 0x7f
	v_cmp_lt_i16_e32 vcc, s4, v3
	s_mov_b64 s[4:5], 0
                                        ; implicit-def: $sgpr10
	s_and_saveexec_b64 s[6:7], vcc
	s_xor_b64 s[6:7], exec, s[6:7]
	s_cbranch_execz .LBB2_4853
; %bb.40693:
	s_getpc_b64 s[14:15]
.Lpost_getpc23930:
	s_add_u32 s14, s14, (.LBB2_19189-.Lpost_getpc23930)&4294967295
	s_addc_u32 s15, s15, (.LBB2_19189-.Lpost_getpc23930)>>32
	s_setpc_b64 s[14:15]
.LBB2_4853:
	s_or_saveexec_b64 s[6:7], s[6:7]
	v_mov_b32_e32 v4, s10
	s_xor_b64 exec, exec, s[6:7]
	s_cbranch_execz .LBB2_4854
; %bb.40695:
	s_getpc_b64 s[14:15]
.Lpost_getpc23931:
	s_add_u32 s14, s14, (.LBB2_19192-.Lpost_getpc23931)&4294967295
	s_addc_u32 s15, s15, (.LBB2_19192-.Lpost_getpc23931)>>32
	s_setpc_b64 s[14:15]
.LBB2_4854:
	s_or_b64 exec, exec, s[6:7]
	s_and_saveexec_b64 s[6:7], s[4:5]
	s_cbranch_execz .LBB2_4856
.LBB2_4855:
	v_bfe_u32 v3, v5, 16, 3
	v_ffbh_u32_e32 v7, v3
	v_min_u32_e32 v7, 32, v7
	v_lshrrev_b32_e32 v4, 19, v5
	v_subrev_u32_e32 v8, 28, v7
	v_and_b32_e32 v4, 15, v4
	v_lshlrev_b32_sdwa v8, v8, v5 dst_sel:DWORD dst_unused:UNUSED_PAD src0_sel:DWORD src1_sel:WORD_1
	v_bfe_u32 v6, v5, 19, 4
	v_sub_u32_e32 v7, 29, v7
	v_and_b32_e32 v8, 7, v8
	v_cmp_eq_u16_e32 vcc, 0, v4
	v_cndmask_b32_e32 v3, v3, v8, vcc
	v_cndmask_b32_e32 v4, v6, v7, vcc
	v_lshlrev_b32_e32 v6, 8, v5
	v_mov_b32_e32 v7, 0x3b800000
	v_lshlrev_b32_e32 v3, 20, v3
	v_and_b32_e32 v6, 0x80000000, v6
	v_lshl_add_u32 v4, v4, 23, v7
	v_or3_b32 v4, v6, v4, v3
.LBB2_4856:
	s_or_b64 exec, exec, s[6:7]
	s_nop 0
	v_mfma_f32_16x16x4f32 a[0:3], v2, v4, a[0:3]
	s_movk_i32 s4, 0x7f
	v_cmp_gt_i16_sdwa s[6:7], v9, s4 src0_sel:BYTE_3 src1_sel:DWORD
	s_mov_b64 s[4:5], 0
                                        ; implicit-def: $sgpr10
	s_and_saveexec_b64 s[8:9], s[6:7]
	s_xor_b64 s[6:7], exec, s[8:9]
	s_cbranch_execz .LBB2_4857
; %bb.40697:
	s_getpc_b64 s[14:15]
.Lpost_getpc23932:
	s_add_u32 s14, s14, (.LBB2_19193-.Lpost_getpc23932)&4294967295
	s_addc_u32 s15, s15, (.LBB2_19193-.Lpost_getpc23932)>>32
	s_setpc_b64 s[14:15]
.LBB2_4857:
	s_or_saveexec_b64 s[6:7], s[6:7]
	v_mov_b32_e32 v2, s10
	s_xor_b64 exec, exec, s[6:7]
	s_cbranch_execz .LBB2_4858
; %bb.40699:
	s_getpc_b64 s[14:15]
.Lpost_getpc23933:
	s_add_u32 s14, s14, (.LBB2_19196-.Lpost_getpc23933)&4294967295
	s_addc_u32 s15, s15, (.LBB2_19196-.Lpost_getpc23933)>>32
	s_setpc_b64 s[14:15]
.LBB2_4858:
	s_or_b64 exec, exec, s[6:7]
	s_and_saveexec_b64 s[6:7], s[4:5]
	s_cbranch_execz .LBB2_4860
.LBB2_4859:
	v_bfe_u32 v2, v9, 24, 3
	v_ffbh_u32_e32 v7, v2
	v_min_u32_e32 v7, 32, v7
	v_lshrrev_b32_e32 v4, 27, v9
	v_subrev_u32_e32 v8, 28, v7
	v_and_b32_e32 v4, 15, v4
	v_lshlrev_b32_sdwa v8, v8, v9 dst_sel:DWORD dst_unused:UNUSED_PAD src0_sel:DWORD src1_sel:BYTE_3
	v_bfe_u32 v6, v9, 27, 4
	v_sub_u32_e32 v7, 29, v7
	v_and_b32_e32 v8, 7, v8
	v_cmp_eq_u16_e32 vcc, 0, v4
	v_cndmask_b32_e32 v2, v2, v8, vcc
	v_cndmask_b32_e32 v4, v6, v7, vcc
	v_mov_b32_e32 v6, 0x3b800000
	v_and_b32_e32 v3, 0x80000000, v9
	v_lshlrev_b32_e32 v2, 20, v2
	v_lshl_add_u32 v4, v4, 23, v6
	v_or3_b32 v2, v3, v4, v2
.LBB2_4860:
	s_or_b64 exec, exec, s[6:7]
	s_movk_i32 s4, 0x7f
	v_cmp_gt_i16_sdwa s[6:7], v5, s4 src0_sel:BYTE_3 src1_sel:DWORD
	s_mov_b64 s[4:5], 0
                                        ; implicit-def: $sgpr10
	s_and_saveexec_b64 s[8:9], s[6:7]
	s_xor_b64 s[6:7], exec, s[8:9]
	s_cbranch_execz .LBB2_4861
; %bb.40701:
	s_getpc_b64 s[14:15]
.Lpost_getpc23934:
	s_add_u32 s14, s14, (.LBB2_19197-.Lpost_getpc23934)&4294967295
	s_addc_u32 s15, s15, (.LBB2_19197-.Lpost_getpc23934)>>32
	s_setpc_b64 s[14:15]
.LBB2_4861:
	s_or_saveexec_b64 s[6:7], s[6:7]
	v_mov_b32_e32 v3, s10
	s_xor_b64 exec, exec, s[6:7]
	s_cbranch_execz .LBB2_4862
; %bb.40703:
	s_getpc_b64 s[14:15]
.Lpost_getpc23935:
	s_add_u32 s14, s14, (.LBB2_19200-.Lpost_getpc23935)&4294967295
	s_addc_u32 s15, s15, (.LBB2_19200-.Lpost_getpc23935)>>32
	s_setpc_b64 s[14:15]
.LBB2_4862:
	s_or_b64 exec, exec, s[6:7]
	s_and_saveexec_b64 s[6:7], s[4:5]
	s_cbranch_execz .LBB2_4864
.LBB2_4863:
	v_bfe_u32 v3, v5, 24, 3
	v_ffbh_u32_e32 v8, v3
	v_min_u32_e32 v8, 32, v8
	v_lshrrev_b32_e32 v6, 27, v5
	v_subrev_u32_e32 v9, 28, v8
	v_and_b32_e32 v4, 0x80000000, v5
	v_and_b32_e32 v6, 15, v6
	v_bfe_u32 v7, v5, 27, 4
	v_lshlrev_b32_sdwa v5, v9, v5 dst_sel:DWORD dst_unused:UNUSED_PAD src0_sel:DWORD src1_sel:BYTE_3
	v_sub_u32_e32 v8, 29, v8
	v_and_b32_e32 v5, 7, v5
	v_cmp_eq_u16_e32 vcc, 0, v6
	v_cndmask_b32_e32 v3, v3, v5, vcc
	v_cndmask_b32_e32 v5, v7, v8, vcc
	v_mov_b32_e32 v6, 0x3b800000
	v_lshlrev_b32_e32 v3, 20, v3
	v_lshl_add_u32 v5, v5, 23, v6
	v_or3_b32 v3, v4, v5, v3
.LBB2_4864:
	s_or_b64 exec, exec, s[6:7]
	s_nop 0
	v_mfma_f32_16x16x4f32 a[0:3], v2, v3, a[0:3]
	s_movk_i32 s4, 0x7f
                                        ; implicit-def: $sgpr10
	s_nop 7
	s_nop 1
	flat_store_dwordx4 v[10:11], a[0:3] offset:592
	flat_load_dwordx4 v[12:15], v[0:1]
	s_nop 0
	flat_load_dwordx2 v[10:11], v[0:1] offset:16
	s_waitcnt vmcnt(0) lgkmcnt(0)
	flat_load_dwordx4 v[6:9], v[12:13] offset:64
	flat_load_dwordx4 v[2:5], v[14:15] offset:96
	s_waitcnt vmcnt(0) lgkmcnt(0)
	v_cmp_gt_i16_sdwa s[6:7], v6, s4 src0_sel:BYTE_0 src1_sel:DWORD
	s_mov_b64 s[4:5], 0
	s_and_saveexec_b64 s[8:9], s[6:7]
	s_xor_b64 s[6:7], exec, s[8:9]
	s_cbranch_execz .LBB2_4865
; %bb.40705:
	s_getpc_b64 s[14:15]
.Lpost_getpc23936:
	s_add_u32 s14, s14, (.LBB2_19201-.Lpost_getpc23936)&4294967295
	s_addc_u32 s15, s15, (.LBB2_19201-.Lpost_getpc23936)>>32
	s_setpc_b64 s[14:15]
.LBB2_4865:
	s_or_saveexec_b64 s[6:7], s[6:7]
	v_mov_b32_e32 v12, s10
	s_xor_b64 exec, exec, s[6:7]
	s_cbranch_execz .LBB2_4866
; %bb.40707:
	s_getpc_b64 s[14:15]
.Lpost_getpc23937:
	s_add_u32 s14, s14, (.LBB2_19204-.Lpost_getpc23937)&4294967295
	s_addc_u32 s15, s15, (.LBB2_19204-.Lpost_getpc23937)>>32
	s_setpc_b64 s[14:15]
.LBB2_4866:
	s_or_b64 exec, exec, s[6:7]
	s_and_saveexec_b64 s[6:7], s[4:5]
	s_cbranch_execz .LBB2_4868
.LBB2_4867:
	v_and_b32_e32 v12, 7, v6
	v_ffbh_u32_e32 v14, v12
	v_min_u32_e32 v14, 32, v14
	v_lshrrev_b16_e32 v13, 3, v6
	v_subrev_u32_e32 v15, 28, v14
	v_and_b32_e32 v13, 15, v13
	v_lshlrev_b32_e32 v15, v15, v6
	v_sub_u32_e32 v14, 29, v14
	v_and_b32_e32 v15, 7, v15
	v_cmp_eq_u16_e32 vcc, 0, v13
	v_cndmask_b32_e32 v12, v12, v15, vcc
	v_cndmask_b32_e32 v13, v13, v14, vcc
	v_lshlrev_b32_e32 v14, 24, v6
	v_mov_b32_e32 v15, 0x3b800000
	v_lshlrev_b32_e32 v12, 20, v12
	v_and_b32_e32 v14, 0x80000000, v14
	v_lshl_add_u32 v13, v13, 23, v15
	v_or3_b32 v12, v14, v13, v12
.LBB2_4868:
	s_or_b64 exec, exec, s[6:7]
	s_movk_i32 s4, 0x7f
	v_cmp_gt_i16_sdwa s[6:7], v2, s4 src0_sel:BYTE_0 src1_sel:DWORD
	s_mov_b64 s[4:5], 0
                                        ; implicit-def: $sgpr10
	s_and_saveexec_b64 s[8:9], s[6:7]
	s_xor_b64 s[6:7], exec, s[8:9]
	s_cbranch_execz .LBB2_4869
; %bb.40709:
	s_getpc_b64 s[14:15]
.Lpost_getpc23938:
	s_add_u32 s14, s14, (.LBB2_19205-.Lpost_getpc23938)&4294967295
	s_addc_u32 s15, s15, (.LBB2_19205-.Lpost_getpc23938)>>32
	s_setpc_b64 s[14:15]
.LBB2_4869:
	s_or_saveexec_b64 s[6:7], s[6:7]
	v_mov_b32_e32 v13, s10
	s_xor_b64 exec, exec, s[6:7]
	s_cbranch_execz .LBB2_4870
; %bb.40711:
	s_getpc_b64 s[14:15]
.Lpost_getpc23939:
	s_add_u32 s14, s14, (.LBB2_19208-.Lpost_getpc23939)&4294967295
	s_addc_u32 s15, s15, (.LBB2_19208-.Lpost_getpc23939)>>32
	s_setpc_b64 s[14:15]
.LBB2_4870:
	s_or_b64 exec, exec, s[6:7]
	s_and_saveexec_b64 s[6:7], s[4:5]
	s_cbranch_execz .LBB2_4872
.LBB2_4871:
	v_and_b32_e32 v13, 7, v2
	v_ffbh_u32_e32 v15, v13
	v_min_u32_e32 v15, 32, v15
	v_lshrrev_b16_e32 v14, 3, v2
	v_subrev_u32_e32 v16, 28, v15
	v_and_b32_e32 v14, 15, v14
	v_lshlrev_b32_e32 v16, v16, v2
	v_sub_u32_e32 v15, 29, v15
	v_and_b32_e32 v16, 7, v16
	v_cmp_eq_u16_e32 vcc, 0, v14
	v_cndmask_b32_e32 v13, v13, v16, vcc
	v_cndmask_b32_e32 v14, v14, v15, vcc
	v_lshlrev_b32_e32 v15, 24, v2
	v_mov_b32_e32 v16, 0x3b800000
	v_lshlrev_b32_e32 v13, 20, v13
	v_and_b32_e32 v15, 0x80000000, v15
	v_lshl_add_u32 v14, v14, 23, v16
	v_or3_b32 v13, v15, v14, v13
.LBB2_4872:
	s_or_b64 exec, exec, s[6:7]
	flat_load_dwordx4 a[0:3], v[10:11] offset:608
	s_movk_i32 s4, 0x7f
                                        ; implicit-def: $sgpr10
	s_waitcnt vmcnt(0) lgkmcnt(0)
	v_mfma_f32_16x16x4f32 a[0:3], v12, v13, a[0:3]
	v_lshrrev_b32_e32 v13, 8, v6
	v_cmp_gt_i16_sdwa s[6:7], v13, s4 src0_sel:BYTE_0 src1_sel:DWORD
	s_mov_b64 s[4:5], 0
	s_and_saveexec_b64 s[8:9], s[6:7]
	s_xor_b64 s[6:7], exec, s[8:9]
	s_cbranch_execz .LBB2_4873
; %bb.40713:
	s_getpc_b64 s[14:15]
.Lpost_getpc23940:
	s_add_u32 s14, s14, (.LBB2_19209-.Lpost_getpc23940)&4294967295
	s_addc_u32 s15, s15, (.LBB2_19209-.Lpost_getpc23940)>>32
	s_setpc_b64 s[14:15]
.LBB2_4873:
	s_or_saveexec_b64 s[6:7], s[6:7]
	v_mov_b32_e32 v12, s10
	s_xor_b64 exec, exec, s[6:7]
	s_cbranch_execz .LBB2_4874
; %bb.40715:
	s_getpc_b64 s[14:15]
.Lpost_getpc23941:
	s_add_u32 s14, s14, (.LBB2_19212-.Lpost_getpc23941)&4294967295
	s_addc_u32 s15, s15, (.LBB2_19212-.Lpost_getpc23941)>>32
	s_setpc_b64 s[14:15]
.LBB2_4874:
	s_or_b64 exec, exec, s[6:7]
	s_and_saveexec_b64 s[6:7], s[4:5]
	s_cbranch_execz .LBB2_4876
.LBB2_4875:
	v_bfe_u32 v12, v6, 8, 3
	v_ffbh_u32_e32 v15, v12
	v_min_u32_e32 v15, 32, v15
	v_lshrrev_b16_e32 v14, 3, v13
	v_subrev_u32_e32 v16, 28, v15
	v_and_b32_e32 v14, 15, v14
	v_lshlrev_b32_e32 v13, v16, v13
	v_sub_u32_e32 v15, 29, v15
	v_and_b32_e32 v13, 7, v13
	v_cmp_eq_u16_e32 vcc, 0, v14
	v_cndmask_b32_e32 v12, v12, v13, vcc
	v_cndmask_b32_e32 v13, v14, v15, vcc
	v_lshlrev_b32_e32 v14, 16, v6
	v_mov_b32_e32 v15, 0x3b800000
	v_lshlrev_b32_e32 v12, 20, v12
	v_and_b32_e32 v14, 0x80000000, v14
	v_lshl_add_u32 v13, v13, 23, v15
	v_or3_b32 v12, v14, v13, v12
.LBB2_4876:
	s_or_b64 exec, exec, s[6:7]
	v_lshrrev_b32_e32 v13, 8, v2
	s_movk_i32 s4, 0x7f
	v_cmp_gt_i16_sdwa s[6:7], v13, s4 src0_sel:BYTE_0 src1_sel:DWORD
	s_mov_b64 s[4:5], 0
                                        ; implicit-def: $sgpr10
	s_and_saveexec_b64 s[8:9], s[6:7]
	s_xor_b64 s[6:7], exec, s[8:9]
	s_cbranch_execz .LBB2_4877
; %bb.40717:
	s_getpc_b64 s[14:15]
.Lpost_getpc23942:
	s_add_u32 s14, s14, (.LBB2_19213-.Lpost_getpc23942)&4294967295
	s_addc_u32 s15, s15, (.LBB2_19213-.Lpost_getpc23942)>>32
	s_setpc_b64 s[14:15]
.LBB2_4877:
	s_or_saveexec_b64 s[6:7], s[6:7]
	v_mov_b32_e32 v14, s10
	s_xor_b64 exec, exec, s[6:7]
	s_cbranch_execz .LBB2_4878
; %bb.40719:
	s_getpc_b64 s[14:15]
.Lpost_getpc23943:
	s_add_u32 s14, s14, (.LBB2_19216-.Lpost_getpc23943)&4294967295
	s_addc_u32 s15, s15, (.LBB2_19216-.Lpost_getpc23943)>>32
	s_setpc_b64 s[14:15]
.LBB2_4878:
	s_or_b64 exec, exec, s[6:7]
	s_and_saveexec_b64 s[6:7], s[4:5]
	s_cbranch_execz .LBB2_4880
.LBB2_4879:
	v_bfe_u32 v14, v2, 8, 3
	v_ffbh_u32_e32 v16, v14
	v_min_u32_e32 v16, 32, v16
	v_lshrrev_b16_e32 v15, 3, v13
	v_subrev_u32_e32 v17, 28, v16
	v_and_b32_e32 v15, 15, v15
	v_lshlrev_b32_e32 v13, v17, v13
	v_sub_u32_e32 v16, 29, v16
	v_and_b32_e32 v13, 7, v13
	v_cmp_eq_u16_e32 vcc, 0, v15
	v_cndmask_b32_e32 v13, v14, v13, vcc
	v_cndmask_b32_e32 v14, v15, v16, vcc
	v_lshlrev_b32_e32 v15, 16, v2
	v_mov_b32_e32 v16, 0x3b800000
	v_lshlrev_b32_e32 v13, 20, v13
	v_and_b32_e32 v15, 0x80000000, v15
	v_lshl_add_u32 v14, v14, 23, v16
	v_or3_b32 v14, v15, v14, v13
.LBB2_4880:
	s_or_b64 exec, exec, s[6:7]
	s_nop 0
	v_mfma_f32_16x16x4f32 a[0:3], v12, v14, a[0:3]
	s_movk_i32 s4, 0xff
	v_and_b32_sdwa v13, v6, s4 dst_sel:DWORD dst_unused:UNUSED_PAD src0_sel:WORD_1 src1_sel:DWORD
	s_movk_i32 s4, 0x7f
	v_cmp_lt_i16_e32 vcc, s4, v13
	s_mov_b64 s[4:5], 0
                                        ; implicit-def: $sgpr10
	s_and_saveexec_b64 s[6:7], vcc
	s_xor_b64 s[6:7], exec, s[6:7]
	s_cbranch_execz .LBB2_4881
; %bb.40721:
	s_getpc_b64 s[14:15]
.Lpost_getpc23944:
	s_add_u32 s14, s14, (.LBB2_19217-.Lpost_getpc23944)&4294967295
	s_addc_u32 s15, s15, (.LBB2_19217-.Lpost_getpc23944)>>32
	s_setpc_b64 s[14:15]
.LBB2_4881:
	s_or_saveexec_b64 s[6:7], s[6:7]
	v_mov_b32_e32 v12, s10
	s_xor_b64 exec, exec, s[6:7]
	s_cbranch_execz .LBB2_4882
; %bb.40723:
	s_getpc_b64 s[14:15]
.Lpost_getpc23945:
	s_add_u32 s14, s14, (.LBB2_19220-.Lpost_getpc23945)&4294967295
	s_addc_u32 s15, s15, (.LBB2_19220-.Lpost_getpc23945)>>32
	s_setpc_b64 s[14:15]
.LBB2_4882:
	s_or_b64 exec, exec, s[6:7]
	s_and_saveexec_b64 s[6:7], s[4:5]
	s_cbranch_execz .LBB2_4884
.LBB2_4883:
	v_bfe_u32 v12, v6, 16, 3
	v_ffbh_u32_e32 v15, v12
	v_min_u32_e32 v15, 32, v15
	v_lshrrev_b32_e32 v13, 19, v6
	v_subrev_u32_e32 v16, 28, v15
	v_and_b32_e32 v13, 15, v13
	v_lshlrev_b32_sdwa v16, v16, v6 dst_sel:DWORD dst_unused:UNUSED_PAD src0_sel:DWORD src1_sel:WORD_1
	v_bfe_u32 v14, v6, 19, 4
	v_sub_u32_e32 v15, 29, v15
	v_and_b32_e32 v16, 7, v16
	v_cmp_eq_u16_e32 vcc, 0, v13
	v_cndmask_b32_e32 v12, v12, v16, vcc
	v_cndmask_b32_e32 v13, v14, v15, vcc
	v_lshlrev_b32_e32 v14, 8, v6
	v_mov_b32_e32 v15, 0x3b800000
	v_lshlrev_b32_e32 v12, 20, v12
	v_and_b32_e32 v14, 0x80000000, v14
	v_lshl_add_u32 v13, v13, 23, v15
	v_or3_b32 v12, v14, v13, v12
.LBB2_4884:
	s_or_b64 exec, exec, s[6:7]
	s_movk_i32 s4, 0xff
	v_and_b32_sdwa v13, v2, s4 dst_sel:DWORD dst_unused:UNUSED_PAD src0_sel:WORD_1 src1_sel:DWORD
	s_movk_i32 s4, 0x7f
	v_cmp_lt_i16_e32 vcc, s4, v13
	s_mov_b64 s[4:5], 0
                                        ; implicit-def: $sgpr10
	s_and_saveexec_b64 s[6:7], vcc
	s_xor_b64 s[6:7], exec, s[6:7]
	s_cbranch_execz .LBB2_4885
; %bb.40725:
	s_getpc_b64 s[14:15]
.Lpost_getpc23946:
	s_add_u32 s14, s14, (.LBB2_19221-.Lpost_getpc23946)&4294967295
	s_addc_u32 s15, s15, (.LBB2_19221-.Lpost_getpc23946)>>32
	s_setpc_b64 s[14:15]
.LBB2_4885:
	s_or_saveexec_b64 s[6:7], s[6:7]
	v_mov_b32_e32 v14, s10
	s_xor_b64 exec, exec, s[6:7]
	s_cbranch_execz .LBB2_4886
; %bb.40727:
	s_getpc_b64 s[14:15]
.Lpost_getpc23947:
	s_add_u32 s14, s14, (.LBB2_19224-.Lpost_getpc23947)&4294967295
	s_addc_u32 s15, s15, (.LBB2_19224-.Lpost_getpc23947)>>32
	s_setpc_b64 s[14:15]
.LBB2_4886:
	s_or_b64 exec, exec, s[6:7]
	s_and_saveexec_b64 s[6:7], s[4:5]
	s_cbranch_execz .LBB2_4888
.LBB2_4887:
	v_bfe_u32 v13, v2, 16, 3
	v_ffbh_u32_e32 v16, v13
	v_min_u32_e32 v16, 32, v16
	v_lshrrev_b32_e32 v14, 19, v2
	v_subrev_u32_e32 v17, 28, v16
	v_and_b32_e32 v14, 15, v14
	v_lshlrev_b32_sdwa v17, v17, v2 dst_sel:DWORD dst_unused:UNUSED_PAD src0_sel:DWORD src1_sel:WORD_1
	v_bfe_u32 v15, v2, 19, 4
	v_sub_u32_e32 v16, 29, v16
	v_and_b32_e32 v17, 7, v17
	v_cmp_eq_u16_e32 vcc, 0, v14
	v_cndmask_b32_e32 v13, v13, v17, vcc
	v_cndmask_b32_e32 v14, v15, v16, vcc
	v_lshlrev_b32_e32 v15, 8, v2
	v_mov_b32_e32 v16, 0x3b800000
	v_lshlrev_b32_e32 v13, 20, v13
	v_and_b32_e32 v15, 0x80000000, v15
	v_lshl_add_u32 v14, v14, 23, v16
	v_or3_b32 v14, v15, v14, v13
.LBB2_4888:
	s_or_b64 exec, exec, s[6:7]
	s_nop 0
	v_mfma_f32_16x16x4f32 a[0:3], v12, v14, a[0:3]
	s_movk_i32 s4, 0x7f
	v_cmp_gt_i16_sdwa s[6:7], v6, s4 src0_sel:BYTE_3 src1_sel:DWORD
	s_mov_b64 s[4:5], 0
                                        ; implicit-def: $sgpr10
	s_and_saveexec_b64 s[8:9], s[6:7]
	s_xor_b64 s[6:7], exec, s[8:9]
	s_cbranch_execz .LBB2_4889
; %bb.40729:
	s_getpc_b64 s[14:15]
.Lpost_getpc23948:
	s_add_u32 s14, s14, (.LBB2_19225-.Lpost_getpc23948)&4294967295
	s_addc_u32 s15, s15, (.LBB2_19225-.Lpost_getpc23948)>>32
	s_setpc_b64 s[14:15]
.LBB2_4889:
	s_or_saveexec_b64 s[6:7], s[6:7]
	v_mov_b32_e32 v12, s10
	s_xor_b64 exec, exec, s[6:7]
	s_cbranch_execz .LBB2_4890
; %bb.40731:
	s_getpc_b64 s[14:15]
.Lpost_getpc23949:
	s_add_u32 s14, s14, (.LBB2_19228-.Lpost_getpc23949)&4294967295
	s_addc_u32 s15, s15, (.LBB2_19228-.Lpost_getpc23949)>>32
	s_setpc_b64 s[14:15]
.LBB2_4890:
	s_or_b64 exec, exec, s[6:7]
	s_and_saveexec_b64 s[6:7], s[4:5]
	s_cbranch_execz .LBB2_4892
.LBB2_4891:
	v_bfe_u32 v12, v6, 24, 3
	v_ffbh_u32_e32 v16, v12
	v_min_u32_e32 v16, 32, v16
	v_lshrrev_b32_e32 v14, 27, v6
	v_subrev_u32_e32 v17, 28, v16
	v_and_b32_e32 v13, 0x80000000, v6
	v_and_b32_e32 v14, 15, v14
	v_bfe_u32 v15, v6, 27, 4
	v_lshlrev_b32_sdwa v6, v17, v6 dst_sel:DWORD dst_unused:UNUSED_PAD src0_sel:DWORD src1_sel:BYTE_3
	v_sub_u32_e32 v16, 29, v16
	v_and_b32_e32 v6, 7, v6
	v_cmp_eq_u16_e32 vcc, 0, v14
	v_cndmask_b32_e32 v6, v12, v6, vcc
	v_cndmask_b32_e32 v12, v15, v16, vcc
	v_mov_b32_e32 v14, 0x3b800000
	v_lshlrev_b32_e32 v6, 20, v6
	v_lshl_add_u32 v12, v12, 23, v14
	v_or3_b32 v12, v13, v12, v6
.LBB2_4892:
	s_or_b64 exec, exec, s[6:7]
	s_movk_i32 s4, 0x7f
	v_cmp_gt_i16_sdwa s[6:7], v2, s4 src0_sel:BYTE_3 src1_sel:DWORD
	s_mov_b64 s[4:5], 0
                                        ; implicit-def: $sgpr10
	s_and_saveexec_b64 s[8:9], s[6:7]
	s_xor_b64 s[6:7], exec, s[8:9]
	s_cbranch_execz .LBB2_4893
; %bb.40733:
	s_getpc_b64 s[14:15]
.Lpost_getpc23950:
	s_add_u32 s14, s14, (.LBB2_19229-.Lpost_getpc23950)&4294967295
	s_addc_u32 s15, s15, (.LBB2_19229-.Lpost_getpc23950)>>32
	s_setpc_b64 s[14:15]
.LBB2_4893:
	s_or_saveexec_b64 s[6:7], s[6:7]
	v_mov_b32_e32 v6, s10
	s_xor_b64 exec, exec, s[6:7]
	s_cbranch_execz .LBB2_4894
; %bb.40735:
	s_getpc_b64 s[14:15]
.Lpost_getpc23951:
	s_add_u32 s14, s14, (.LBB2_19232-.Lpost_getpc23951)&4294967295
	s_addc_u32 s15, s15, (.LBB2_19232-.Lpost_getpc23951)>>32
	s_setpc_b64 s[14:15]
.LBB2_4894:
	s_or_b64 exec, exec, s[6:7]
	s_and_saveexec_b64 s[6:7], s[4:5]
	s_cbranch_execz .LBB2_4896
.LBB2_4895:
	v_bfe_u32 v6, v2, 24, 3
	v_ffbh_u32_e32 v16, v6
	v_min_u32_e32 v16, 32, v16
	v_lshrrev_b32_e32 v14, 27, v2
	v_subrev_u32_e32 v17, 28, v16
	v_and_b32_e32 v13, 0x80000000, v2
	v_and_b32_e32 v14, 15, v14
	v_bfe_u32 v15, v2, 27, 4
	v_lshlrev_b32_sdwa v2, v17, v2 dst_sel:DWORD dst_unused:UNUSED_PAD src0_sel:DWORD src1_sel:BYTE_3
	v_sub_u32_e32 v16, 29, v16
	v_and_b32_e32 v2, 7, v2
	v_cmp_eq_u16_e32 vcc, 0, v14
	v_cndmask_b32_e32 v2, v6, v2, vcc
	v_cndmask_b32_e32 v6, v15, v16, vcc
	v_mov_b32_e32 v14, 0x3b800000
	v_lshlrev_b32_e32 v2, 20, v2
	v_lshl_add_u32 v6, v6, 23, v14
	v_or3_b32 v6, v13, v6, v2
.LBB2_4896:
	s_or_b64 exec, exec, s[6:7]
	s_nop 0
	v_mfma_f32_16x16x4f32 a[0:3], v12, v6, a[0:3]
	s_movk_i32 s4, 0x7f
	v_cmp_gt_i16_sdwa s[6:7], v7, s4 src0_sel:BYTE_0 src1_sel:DWORD
	s_mov_b64 s[4:5], 0
                                        ; implicit-def: $sgpr10
	s_and_saveexec_b64 s[8:9], s[6:7]
	s_xor_b64 s[6:7], exec, s[8:9]
	s_cbranch_execz .LBB2_4897
; %bb.40737:
	s_getpc_b64 s[14:15]
.Lpost_getpc23952:
	s_add_u32 s14, s14, (.LBB2_19233-.Lpost_getpc23952)&4294967295
	s_addc_u32 s15, s15, (.LBB2_19233-.Lpost_getpc23952)>>32
	s_setpc_b64 s[14:15]
.LBB2_4897:
	s_or_saveexec_b64 s[6:7], s[6:7]
	v_mov_b32_e32 v2, s10
	s_xor_b64 exec, exec, s[6:7]
	s_cbranch_execz .LBB2_4898
; %bb.40739:
	s_getpc_b64 s[14:15]
.Lpost_getpc23953:
	s_add_u32 s14, s14, (.LBB2_19236-.Lpost_getpc23953)&4294967295
	s_addc_u32 s15, s15, (.LBB2_19236-.Lpost_getpc23953)>>32
	s_setpc_b64 s[14:15]
.LBB2_4898:
	s_or_b64 exec, exec, s[6:7]
	s_and_saveexec_b64 s[6:7], s[4:5]
	s_cbranch_execz .LBB2_4900
.LBB2_4899:
	v_and_b32_e32 v2, 7, v7
	v_ffbh_u32_e32 v12, v2
	v_min_u32_e32 v12, 32, v12
	v_lshrrev_b16_e32 v6, 3, v7
	v_subrev_u32_e32 v13, 28, v12
	v_and_b32_e32 v6, 15, v6
	v_lshlrev_b32_e32 v13, v13, v7
	v_sub_u32_e32 v12, 29, v12
	v_and_b32_e32 v13, 7, v13
	v_cmp_eq_u16_e32 vcc, 0, v6
	v_cndmask_b32_e32 v2, v2, v13, vcc
	v_cndmask_b32_e32 v6, v6, v12, vcc
	v_lshlrev_b32_e32 v12, 24, v7
	v_mov_b32_e32 v13, 0x3b800000
	v_lshlrev_b32_e32 v2, 20, v2
	v_and_b32_e32 v12, 0x80000000, v12
	v_lshl_add_u32 v6, v6, 23, v13
	v_or3_b32 v2, v12, v6, v2
.LBB2_4900:
	s_or_b64 exec, exec, s[6:7]
	s_movk_i32 s4, 0x7f
	v_cmp_gt_i16_sdwa s[6:7], v3, s4 src0_sel:BYTE_0 src1_sel:DWORD
	s_mov_b64 s[4:5], 0
                                        ; implicit-def: $sgpr10
	s_and_saveexec_b64 s[8:9], s[6:7]
	s_xor_b64 s[6:7], exec, s[8:9]
	s_cbranch_execz .LBB2_4901
; %bb.40741:
	s_getpc_b64 s[14:15]
.Lpost_getpc23954:
	s_add_u32 s14, s14, (.LBB2_19237-.Lpost_getpc23954)&4294967295
	s_addc_u32 s15, s15, (.LBB2_19237-.Lpost_getpc23954)>>32
	s_setpc_b64 s[14:15]
.LBB2_4901:
	s_or_saveexec_b64 s[6:7], s[6:7]
	v_mov_b32_e32 v6, s10
	s_xor_b64 exec, exec, s[6:7]
	s_cbranch_execz .LBB2_4902
; %bb.40743:
	s_getpc_b64 s[14:15]
.Lpost_getpc23955:
	s_add_u32 s14, s14, (.LBB2_19240-.Lpost_getpc23955)&4294967295
	s_addc_u32 s15, s15, (.LBB2_19240-.Lpost_getpc23955)>>32
	s_setpc_b64 s[14:15]
.LBB2_4902:
	s_or_b64 exec, exec, s[6:7]
	s_and_saveexec_b64 s[6:7], s[4:5]
	s_cbranch_execz .LBB2_4904
.LBB2_4903:
	v_and_b32_e32 v6, 7, v3
	v_ffbh_u32_e32 v13, v6
	v_min_u32_e32 v13, 32, v13
	v_lshrrev_b16_e32 v12, 3, v3
	v_subrev_u32_e32 v14, 28, v13
	v_and_b32_e32 v12, 15, v12
	v_lshlrev_b32_e32 v14, v14, v3
	v_sub_u32_e32 v13, 29, v13
	v_and_b32_e32 v14, 7, v14
	v_cmp_eq_u16_e32 vcc, 0, v12
	v_cndmask_b32_e32 v6, v6, v14, vcc
	v_cndmask_b32_e32 v12, v12, v13, vcc
	v_lshlrev_b32_e32 v13, 24, v3
	v_mov_b32_e32 v14, 0x3b800000
	v_lshlrev_b32_e32 v6, 20, v6
	v_and_b32_e32 v13, 0x80000000, v13
	v_lshl_add_u32 v12, v12, 23, v14
	v_or3_b32 v6, v13, v12, v6
.LBB2_4904:
	s_or_b64 exec, exec, s[6:7]
	s_nop 0
	v_mfma_f32_16x16x4f32 a[0:3], v2, v6, a[0:3]
	v_lshrrev_b32_e32 v6, 8, v7
	s_movk_i32 s4, 0x7f
	v_cmp_gt_i16_sdwa s[6:7], v6, s4 src0_sel:BYTE_0 src1_sel:DWORD
	s_mov_b64 s[4:5], 0
                                        ; implicit-def: $sgpr10
	s_and_saveexec_b64 s[8:9], s[6:7]
	s_xor_b64 s[6:7], exec, s[8:9]
	s_cbranch_execz .LBB2_4905
; %bb.40745:
	s_getpc_b64 s[14:15]
.Lpost_getpc23956:
	s_add_u32 s14, s14, (.LBB2_19241-.Lpost_getpc23956)&4294967295
	s_addc_u32 s15, s15, (.LBB2_19241-.Lpost_getpc23956)>>32
	s_setpc_b64 s[14:15]
.LBB2_4905:
	s_or_saveexec_b64 s[6:7], s[6:7]
	v_mov_b32_e32 v2, s10
	s_xor_b64 exec, exec, s[6:7]
	s_cbranch_execz .LBB2_4906
; %bb.40747:
	s_getpc_b64 s[14:15]
.Lpost_getpc23957:
	s_add_u32 s14, s14, (.LBB2_19244-.Lpost_getpc23957)&4294967295
	s_addc_u32 s15, s15, (.LBB2_19244-.Lpost_getpc23957)>>32
	s_setpc_b64 s[14:15]
.LBB2_4906:
	s_or_b64 exec, exec, s[6:7]
	s_and_saveexec_b64 s[6:7], s[4:5]
	s_cbranch_execz .LBB2_4908
.LBB2_4907:
	v_bfe_u32 v2, v7, 8, 3
	v_ffbh_u32_e32 v13, v2
	v_min_u32_e32 v13, 32, v13
	v_lshrrev_b16_e32 v12, 3, v6
	v_subrev_u32_e32 v14, 28, v13
	v_and_b32_e32 v12, 15, v12
	v_lshlrev_b32_e32 v6, v14, v6
	v_sub_u32_e32 v13, 29, v13
	v_and_b32_e32 v6, 7, v6
	v_cmp_eq_u16_e32 vcc, 0, v12
	v_cndmask_b32_e32 v2, v2, v6, vcc
	v_cndmask_b32_e32 v6, v12, v13, vcc
	v_lshlrev_b32_e32 v12, 16, v7
	v_mov_b32_e32 v13, 0x3b800000
	v_lshlrev_b32_e32 v2, 20, v2
	v_and_b32_e32 v12, 0x80000000, v12
	v_lshl_add_u32 v6, v6, 23, v13
	v_or3_b32 v2, v12, v6, v2
.LBB2_4908:
	s_or_b64 exec, exec, s[6:7]
	v_lshrrev_b32_e32 v6, 8, v3
	s_movk_i32 s4, 0x7f
	v_cmp_gt_i16_sdwa s[6:7], v6, s4 src0_sel:BYTE_0 src1_sel:DWORD
	s_mov_b64 s[4:5], 0
                                        ; implicit-def: $sgpr10
	s_and_saveexec_b64 s[8:9], s[6:7]
	s_xor_b64 s[6:7], exec, s[8:9]
	s_cbranch_execz .LBB2_4909
; %bb.40749:
	s_getpc_b64 s[14:15]
.Lpost_getpc23958:
	s_add_u32 s14, s14, (.LBB2_19245-.Lpost_getpc23958)&4294967295
	s_addc_u32 s15, s15, (.LBB2_19245-.Lpost_getpc23958)>>32
	s_setpc_b64 s[14:15]
.LBB2_4909:
	s_or_saveexec_b64 s[6:7], s[6:7]
	v_mov_b32_e32 v12, s10
	s_xor_b64 exec, exec, s[6:7]
	s_cbranch_execz .LBB2_4910
; %bb.40751:
	s_getpc_b64 s[14:15]
.Lpost_getpc23959:
	s_add_u32 s14, s14, (.LBB2_19248-.Lpost_getpc23959)&4294967295
	s_addc_u32 s15, s15, (.LBB2_19248-.Lpost_getpc23959)>>32
	s_setpc_b64 s[14:15]
.LBB2_4910:
	s_or_b64 exec, exec, s[6:7]
	s_and_saveexec_b64 s[6:7], s[4:5]
	s_cbranch_execz .LBB2_4912
.LBB2_4911:
	v_bfe_u32 v12, v3, 8, 3
	v_ffbh_u32_e32 v14, v12
	v_min_u32_e32 v14, 32, v14
	v_lshrrev_b16_e32 v13, 3, v6
	v_subrev_u32_e32 v15, 28, v14
	v_and_b32_e32 v13, 15, v13
	v_lshlrev_b32_e32 v6, v15, v6
	v_sub_u32_e32 v14, 29, v14
	v_and_b32_e32 v6, 7, v6
	v_cmp_eq_u16_e32 vcc, 0, v13
	v_cndmask_b32_e32 v6, v12, v6, vcc
	v_cndmask_b32_e32 v12, v13, v14, vcc
	v_lshlrev_b32_e32 v13, 16, v3
	v_mov_b32_e32 v14, 0x3b800000
	v_lshlrev_b32_e32 v6, 20, v6
	v_and_b32_e32 v13, 0x80000000, v13
	v_lshl_add_u32 v12, v12, 23, v14
	v_or3_b32 v12, v13, v12, v6
.LBB2_4912:
	s_or_b64 exec, exec, s[6:7]
	s_nop 0
	v_mfma_f32_16x16x4f32 a[0:3], v2, v12, a[0:3]
	s_movk_i32 s4, 0xff
	v_and_b32_sdwa v6, v7, s4 dst_sel:DWORD dst_unused:UNUSED_PAD src0_sel:WORD_1 src1_sel:DWORD
	s_movk_i32 s4, 0x7f
	v_cmp_lt_i16_e32 vcc, s4, v6
	s_mov_b64 s[4:5], 0
                                        ; implicit-def: $sgpr10
	s_and_saveexec_b64 s[6:7], vcc
	s_xor_b64 s[6:7], exec, s[6:7]
	s_cbranch_execz .LBB2_4913
; %bb.40753:
	s_getpc_b64 s[14:15]
.Lpost_getpc23960:
	s_add_u32 s14, s14, (.LBB2_19249-.Lpost_getpc23960)&4294967295
	s_addc_u32 s15, s15, (.LBB2_19249-.Lpost_getpc23960)>>32
	s_setpc_b64 s[14:15]
.LBB2_4913:
	s_or_saveexec_b64 s[6:7], s[6:7]
	v_mov_b32_e32 v2, s10
	s_xor_b64 exec, exec, s[6:7]
	s_cbranch_execz .LBB2_4914
; %bb.40755:
	s_getpc_b64 s[14:15]
.Lpost_getpc23961:
	s_add_u32 s14, s14, (.LBB2_19252-.Lpost_getpc23961)&4294967295
	s_addc_u32 s15, s15, (.LBB2_19252-.Lpost_getpc23961)>>32
	s_setpc_b64 s[14:15]
.LBB2_4914:
	s_or_b64 exec, exec, s[6:7]
	s_and_saveexec_b64 s[6:7], s[4:5]
	s_cbranch_execz .LBB2_4916
.LBB2_4915:
	v_bfe_u32 v2, v7, 16, 3
	v_ffbh_u32_e32 v13, v2
	v_min_u32_e32 v13, 32, v13
	v_lshrrev_b32_e32 v6, 19, v7
	v_subrev_u32_e32 v14, 28, v13
	v_and_b32_e32 v6, 15, v6
	v_lshlrev_b32_sdwa v14, v14, v7 dst_sel:DWORD dst_unused:UNUSED_PAD src0_sel:DWORD src1_sel:WORD_1
	v_bfe_u32 v12, v7, 19, 4
	v_sub_u32_e32 v13, 29, v13
	v_and_b32_e32 v14, 7, v14
	v_cmp_eq_u16_e32 vcc, 0, v6
	v_cndmask_b32_e32 v2, v2, v14, vcc
	v_cndmask_b32_e32 v6, v12, v13, vcc
	v_lshlrev_b32_e32 v12, 8, v7
	v_mov_b32_e32 v13, 0x3b800000
	v_lshlrev_b32_e32 v2, 20, v2
	v_and_b32_e32 v12, 0x80000000, v12
	v_lshl_add_u32 v6, v6, 23, v13
	v_or3_b32 v2, v12, v6, v2
.LBB2_4916:
	s_or_b64 exec, exec, s[6:7]
	s_movk_i32 s4, 0xff
	v_and_b32_sdwa v6, v3, s4 dst_sel:DWORD dst_unused:UNUSED_PAD src0_sel:WORD_1 src1_sel:DWORD
	s_movk_i32 s4, 0x7f
	v_cmp_lt_i16_e32 vcc, s4, v6
	s_mov_b64 s[4:5], 0
                                        ; implicit-def: $sgpr10
	s_and_saveexec_b64 s[6:7], vcc
	s_xor_b64 s[6:7], exec, s[6:7]
	s_cbranch_execz .LBB2_4917
; %bb.40757:
	s_getpc_b64 s[14:15]
.Lpost_getpc23962:
	s_add_u32 s14, s14, (.LBB2_19253-.Lpost_getpc23962)&4294967295
	s_addc_u32 s15, s15, (.LBB2_19253-.Lpost_getpc23962)>>32
	s_setpc_b64 s[14:15]
.LBB2_4917:
	s_or_saveexec_b64 s[6:7], s[6:7]
	v_mov_b32_e32 v12, s10
	s_xor_b64 exec, exec, s[6:7]
	s_cbranch_execz .LBB2_4918
; %bb.40759:
	s_getpc_b64 s[14:15]
.Lpost_getpc23963:
	s_add_u32 s14, s14, (.LBB2_19256-.Lpost_getpc23963)&4294967295
	s_addc_u32 s15, s15, (.LBB2_19256-.Lpost_getpc23963)>>32
	s_setpc_b64 s[14:15]
.LBB2_4918:
	s_or_b64 exec, exec, s[6:7]
	s_and_saveexec_b64 s[6:7], s[4:5]
	s_cbranch_execz .LBB2_4920
.LBB2_4919:
	v_bfe_u32 v6, v3, 16, 3
	v_ffbh_u32_e32 v14, v6
	v_min_u32_e32 v14, 32, v14
	v_lshrrev_b32_e32 v12, 19, v3
	v_subrev_u32_e32 v15, 28, v14
	v_and_b32_e32 v12, 15, v12
	v_lshlrev_b32_sdwa v15, v15, v3 dst_sel:DWORD dst_unused:UNUSED_PAD src0_sel:DWORD src1_sel:WORD_1
	v_bfe_u32 v13, v3, 19, 4
	v_sub_u32_e32 v14, 29, v14
	v_and_b32_e32 v15, 7, v15
	v_cmp_eq_u16_e32 vcc, 0, v12
	v_cndmask_b32_e32 v6, v6, v15, vcc
	v_cndmask_b32_e32 v12, v13, v14, vcc
	v_lshlrev_b32_e32 v13, 8, v3
	v_mov_b32_e32 v14, 0x3b800000
	v_lshlrev_b32_e32 v6, 20, v6
	v_and_b32_e32 v13, 0x80000000, v13
	v_lshl_add_u32 v12, v12, 23, v14
	v_or3_b32 v12, v13, v12, v6
.LBB2_4920:
	s_or_b64 exec, exec, s[6:7]
	s_nop 0
	v_mfma_f32_16x16x4f32 a[0:3], v2, v12, a[0:3]
	s_movk_i32 s4, 0x7f
	v_cmp_gt_i16_sdwa s[6:7], v7, s4 src0_sel:BYTE_3 src1_sel:DWORD
	s_mov_b64 s[4:5], 0
                                        ; implicit-def: $sgpr10
	s_and_saveexec_b64 s[8:9], s[6:7]
	s_xor_b64 s[6:7], exec, s[8:9]
	s_cbranch_execz .LBB2_4921
; %bb.40761:
	s_getpc_b64 s[14:15]
.Lpost_getpc23964:
	s_add_u32 s14, s14, (.LBB2_19257-.Lpost_getpc23964)&4294967295
	s_addc_u32 s15, s15, (.LBB2_19257-.Lpost_getpc23964)>>32
	s_setpc_b64 s[14:15]
.LBB2_4921:
	s_or_saveexec_b64 s[6:7], s[6:7]
	v_mov_b32_e32 v2, s10
	s_xor_b64 exec, exec, s[6:7]
	s_cbranch_execz .LBB2_4922
; %bb.40763:
	s_getpc_b64 s[14:15]
.Lpost_getpc23965:
	s_add_u32 s14, s14, (.LBB2_19260-.Lpost_getpc23965)&4294967295
	s_addc_u32 s15, s15, (.LBB2_19260-.Lpost_getpc23965)>>32
	s_setpc_b64 s[14:15]
.LBB2_4922:
	s_or_b64 exec, exec, s[6:7]
	s_and_saveexec_b64 s[6:7], s[4:5]
	s_cbranch_execz .LBB2_4924
.LBB2_4923:
	v_bfe_u32 v2, v7, 24, 3
	v_ffbh_u32_e32 v14, v2
	v_min_u32_e32 v14, 32, v14
	v_lshrrev_b32_e32 v12, 27, v7
	v_subrev_u32_e32 v15, 28, v14
	v_and_b32_e32 v6, 0x80000000, v7
	v_and_b32_e32 v12, 15, v12
	v_bfe_u32 v13, v7, 27, 4
	v_lshlrev_b32_sdwa v7, v15, v7 dst_sel:DWORD dst_unused:UNUSED_PAD src0_sel:DWORD src1_sel:BYTE_3
	v_sub_u32_e32 v14, 29, v14
	v_and_b32_e32 v7, 7, v7
	v_cmp_eq_u16_e32 vcc, 0, v12
	v_cndmask_b32_e32 v2, v2, v7, vcc
	v_cndmask_b32_e32 v7, v13, v14, vcc
	v_mov_b32_e32 v12, 0x3b800000
	v_lshlrev_b32_e32 v2, 20, v2
	v_lshl_add_u32 v7, v7, 23, v12
	v_or3_b32 v2, v6, v7, v2
.LBB2_4924:
	s_or_b64 exec, exec, s[6:7]
	s_movk_i32 s4, 0x7f
	v_cmp_gt_i16_sdwa s[6:7], v3, s4 src0_sel:BYTE_3 src1_sel:DWORD
	s_mov_b64 s[4:5], 0
                                        ; implicit-def: $sgpr10
	s_and_saveexec_b64 s[8:9], s[6:7]
	s_xor_b64 s[6:7], exec, s[8:9]
	s_cbranch_execz .LBB2_4925
; %bb.40765:
	s_getpc_b64 s[14:15]
.Lpost_getpc23966:
	s_add_u32 s14, s14, (.LBB2_19261-.Lpost_getpc23966)&4294967295
	s_addc_u32 s15, s15, (.LBB2_19261-.Lpost_getpc23966)>>32
	s_setpc_b64 s[14:15]
.LBB2_4925:
	s_or_saveexec_b64 s[6:7], s[6:7]
	v_mov_b32_e32 v6, s10
	s_xor_b64 exec, exec, s[6:7]
	s_cbranch_execz .LBB2_4926
; %bb.40767:
	s_getpc_b64 s[14:15]
.Lpost_getpc23967:
	s_add_u32 s14, s14, (.LBB2_19264-.Lpost_getpc23967)&4294967295
	s_addc_u32 s15, s15, (.LBB2_19264-.Lpost_getpc23967)>>32
	s_setpc_b64 s[14:15]
.LBB2_4926:
	s_or_b64 exec, exec, s[6:7]
	s_and_saveexec_b64 s[6:7], s[4:5]
	s_cbranch_execz .LBB2_4928
.LBB2_4927:
	v_bfe_u32 v6, v3, 24, 3
	v_ffbh_u32_e32 v14, v6
	v_min_u32_e32 v14, 32, v14
	v_lshrrev_b32_e32 v12, 27, v3
	v_subrev_u32_e32 v15, 28, v14
	v_and_b32_e32 v7, 0x80000000, v3
	v_and_b32_e32 v12, 15, v12
	v_bfe_u32 v13, v3, 27, 4
	v_lshlrev_b32_sdwa v3, v15, v3 dst_sel:DWORD dst_unused:UNUSED_PAD src0_sel:DWORD src1_sel:BYTE_3
	v_sub_u32_e32 v14, 29, v14
	v_and_b32_e32 v3, 7, v3
	v_cmp_eq_u16_e32 vcc, 0, v12
	v_cndmask_b32_e32 v3, v6, v3, vcc
	v_cndmask_b32_e32 v6, v13, v14, vcc
	v_mov_b32_e32 v12, 0x3b800000
	v_lshlrev_b32_e32 v3, 20, v3
	v_lshl_add_u32 v6, v6, 23, v12
	v_or3_b32 v6, v7, v6, v3
.LBB2_4928:
	s_or_b64 exec, exec, s[6:7]
	s_nop 0
	v_mfma_f32_16x16x4f32 a[0:3], v2, v6, a[0:3]
	s_movk_i32 s4, 0x7f
	v_cmp_gt_i16_sdwa s[6:7], v8, s4 src0_sel:BYTE_0 src1_sel:DWORD
	s_mov_b64 s[4:5], 0
                                        ; implicit-def: $sgpr10
	s_and_saveexec_b64 s[8:9], s[6:7]
	s_xor_b64 s[6:7], exec, s[8:9]
	s_cbranch_execz .LBB2_4929
; %bb.40769:
	s_getpc_b64 s[14:15]
.Lpost_getpc23968:
	s_add_u32 s14, s14, (.LBB2_19265-.Lpost_getpc23968)&4294967295
	s_addc_u32 s15, s15, (.LBB2_19265-.Lpost_getpc23968)>>32
	s_setpc_b64 s[14:15]
.LBB2_4929:
	s_or_saveexec_b64 s[6:7], s[6:7]
	v_mov_b32_e32 v2, s10
	s_xor_b64 exec, exec, s[6:7]
	s_cbranch_execz .LBB2_4930
; %bb.40771:
	s_getpc_b64 s[14:15]
.Lpost_getpc23969:
	s_add_u32 s14, s14, (.LBB2_19268-.Lpost_getpc23969)&4294967295
	s_addc_u32 s15, s15, (.LBB2_19268-.Lpost_getpc23969)>>32
	s_setpc_b64 s[14:15]
.LBB2_4930:
	s_or_b64 exec, exec, s[6:7]
	s_and_saveexec_b64 s[6:7], s[4:5]
	s_cbranch_execz .LBB2_4932
.LBB2_4931:
	v_and_b32_e32 v2, 7, v8
	v_ffbh_u32_e32 v6, v2
	v_min_u32_e32 v6, 32, v6
	v_lshrrev_b16_e32 v3, 3, v8
	v_subrev_u32_e32 v7, 28, v6
	v_and_b32_e32 v3, 15, v3
	v_lshlrev_b32_e32 v7, v7, v8
	v_sub_u32_e32 v6, 29, v6
	v_and_b32_e32 v7, 7, v7
	v_cmp_eq_u16_e32 vcc, 0, v3
	v_cndmask_b32_e32 v2, v2, v7, vcc
	v_cndmask_b32_e32 v3, v3, v6, vcc
	v_lshlrev_b32_e32 v6, 24, v8
	v_mov_b32_e32 v7, 0x3b800000
	v_lshlrev_b32_e32 v2, 20, v2
	v_and_b32_e32 v6, 0x80000000, v6
	v_lshl_add_u32 v3, v3, 23, v7
	v_or3_b32 v2, v6, v3, v2
.LBB2_4932:
	s_or_b64 exec, exec, s[6:7]
	s_movk_i32 s4, 0x7f
	v_cmp_gt_i16_sdwa s[6:7], v4, s4 src0_sel:BYTE_0 src1_sel:DWORD
	s_mov_b64 s[4:5], 0
                                        ; implicit-def: $sgpr10
	s_and_saveexec_b64 s[8:9], s[6:7]
	s_xor_b64 s[6:7], exec, s[8:9]
	s_cbranch_execz .LBB2_4933
; %bb.40773:
	s_getpc_b64 s[14:15]
.Lpost_getpc23970:
	s_add_u32 s14, s14, (.LBB2_19269-.Lpost_getpc23970)&4294967295
	s_addc_u32 s15, s15, (.LBB2_19269-.Lpost_getpc23970)>>32
	s_setpc_b64 s[14:15]
.LBB2_4933:
	s_or_saveexec_b64 s[6:7], s[6:7]
	v_mov_b32_e32 v3, s10
	s_xor_b64 exec, exec, s[6:7]
	s_cbranch_execz .LBB2_4934
; %bb.40775:
	s_getpc_b64 s[14:15]
.Lpost_getpc23971:
	s_add_u32 s14, s14, (.LBB2_19272-.Lpost_getpc23971)&4294967295
	s_addc_u32 s15, s15, (.LBB2_19272-.Lpost_getpc23971)>>32
	s_setpc_b64 s[14:15]
.LBB2_4934:
	s_or_b64 exec, exec, s[6:7]
	s_and_saveexec_b64 s[6:7], s[4:5]
	s_cbranch_execz .LBB2_4936
.LBB2_4935:
	v_and_b32_e32 v3, 7, v4
	v_ffbh_u32_e32 v7, v3
	v_min_u32_e32 v7, 32, v7
	v_lshrrev_b16_e32 v6, 3, v4
	v_subrev_u32_e32 v12, 28, v7
	v_and_b32_e32 v6, 15, v6
	v_lshlrev_b32_e32 v12, v12, v4
	v_sub_u32_e32 v7, 29, v7
	v_and_b32_e32 v12, 7, v12
	v_cmp_eq_u16_e32 vcc, 0, v6
	v_cndmask_b32_e32 v3, v3, v12, vcc
	v_cndmask_b32_e32 v6, v6, v7, vcc
	v_lshlrev_b32_e32 v7, 24, v4
	v_mov_b32_e32 v12, 0x3b800000
	v_lshlrev_b32_e32 v3, 20, v3
	v_and_b32_e32 v7, 0x80000000, v7
	v_lshl_add_u32 v6, v6, 23, v12
	v_or3_b32 v3, v7, v6, v3
.LBB2_4936:
	s_or_b64 exec, exec, s[6:7]
	s_nop 0
	v_mfma_f32_16x16x4f32 a[0:3], v2, v3, a[0:3]
	v_lshrrev_b32_e32 v3, 8, v8
	s_movk_i32 s4, 0x7f
	v_cmp_gt_i16_sdwa s[6:7], v3, s4 src0_sel:BYTE_0 src1_sel:DWORD
	s_mov_b64 s[4:5], 0
                                        ; implicit-def: $sgpr10
	s_and_saveexec_b64 s[8:9], s[6:7]
	s_xor_b64 s[6:7], exec, s[8:9]
	s_cbranch_execz .LBB2_4937
; %bb.40777:
	s_getpc_b64 s[14:15]
.Lpost_getpc23972:
	s_add_u32 s14, s14, (.LBB2_19273-.Lpost_getpc23972)&4294967295
	s_addc_u32 s15, s15, (.LBB2_19273-.Lpost_getpc23972)>>32
	s_setpc_b64 s[14:15]
.LBB2_4937:
	s_or_saveexec_b64 s[6:7], s[6:7]
	v_mov_b32_e32 v2, s10
	s_xor_b64 exec, exec, s[6:7]
	s_cbranch_execz .LBB2_4938
; %bb.40779:
	s_getpc_b64 s[14:15]
.Lpost_getpc23973:
	s_add_u32 s14, s14, (.LBB2_19276-.Lpost_getpc23973)&4294967295
	s_addc_u32 s15, s15, (.LBB2_19276-.Lpost_getpc23973)>>32
	s_setpc_b64 s[14:15]
.LBB2_4938:
	s_or_b64 exec, exec, s[6:7]
	s_and_saveexec_b64 s[6:7], s[4:5]
	s_cbranch_execz .LBB2_4940
.LBB2_4939:
	v_bfe_u32 v2, v8, 8, 3
	v_ffbh_u32_e32 v7, v2
	v_min_u32_e32 v7, 32, v7
	v_lshrrev_b16_e32 v6, 3, v3
	v_subrev_u32_e32 v12, 28, v7
	v_and_b32_e32 v6, 15, v6
	v_lshlrev_b32_e32 v3, v12, v3
	v_sub_u32_e32 v7, 29, v7
	v_and_b32_e32 v3, 7, v3
	v_cmp_eq_u16_e32 vcc, 0, v6
	v_cndmask_b32_e32 v2, v2, v3, vcc
	v_cndmask_b32_e32 v3, v6, v7, vcc
	v_lshlrev_b32_e32 v6, 16, v8
	v_mov_b32_e32 v7, 0x3b800000
	v_lshlrev_b32_e32 v2, 20, v2
	v_and_b32_e32 v6, 0x80000000, v6
	v_lshl_add_u32 v3, v3, 23, v7
	v_or3_b32 v2, v6, v3, v2
.LBB2_4940:
	s_or_b64 exec, exec, s[6:7]
	v_lshrrev_b32_e32 v3, 8, v4
	s_movk_i32 s4, 0x7f
	v_cmp_gt_i16_sdwa s[6:7], v3, s4 src0_sel:BYTE_0 src1_sel:DWORD
	s_mov_b64 s[4:5], 0
                                        ; implicit-def: $sgpr10
	s_and_saveexec_b64 s[8:9], s[6:7]
	s_xor_b64 s[6:7], exec, s[8:9]
	s_cbranch_execz .LBB2_4941
; %bb.40781:
	s_getpc_b64 s[14:15]
.Lpost_getpc23974:
	s_add_u32 s14, s14, (.LBB2_19277-.Lpost_getpc23974)&4294967295
	s_addc_u32 s15, s15, (.LBB2_19277-.Lpost_getpc23974)>>32
	s_setpc_b64 s[14:15]
.LBB2_4941:
	s_or_saveexec_b64 s[6:7], s[6:7]
	v_mov_b32_e32 v6, s10
	s_xor_b64 exec, exec, s[6:7]
	s_cbranch_execz .LBB2_4942
; %bb.40783:
	s_getpc_b64 s[14:15]
.Lpost_getpc23975:
	s_add_u32 s14, s14, (.LBB2_19280-.Lpost_getpc23975)&4294967295
	s_addc_u32 s15, s15, (.LBB2_19280-.Lpost_getpc23975)>>32
	s_setpc_b64 s[14:15]
.LBB2_4942:
	s_or_b64 exec, exec, s[6:7]
	s_and_saveexec_b64 s[6:7], s[4:5]
	s_cbranch_execz .LBB2_4944
.LBB2_4943:
	v_bfe_u32 v6, v4, 8, 3
	v_ffbh_u32_e32 v12, v6
	v_min_u32_e32 v12, 32, v12
	v_lshrrev_b16_e32 v7, 3, v3
	v_subrev_u32_e32 v13, 28, v12
	v_and_b32_e32 v7, 15, v7
	v_lshlrev_b32_e32 v3, v13, v3
	v_sub_u32_e32 v12, 29, v12
	v_and_b32_e32 v3, 7, v3
	v_cmp_eq_u16_e32 vcc, 0, v7
	v_cndmask_b32_e32 v3, v6, v3, vcc
	v_cndmask_b32_e32 v6, v7, v12, vcc
	v_lshlrev_b32_e32 v7, 16, v4
	v_mov_b32_e32 v12, 0x3b800000
	v_lshlrev_b32_e32 v3, 20, v3
	v_and_b32_e32 v7, 0x80000000, v7
	v_lshl_add_u32 v6, v6, 23, v12
	v_or3_b32 v6, v7, v6, v3
.LBB2_4944:
	s_or_b64 exec, exec, s[6:7]
	s_nop 0
	v_mfma_f32_16x16x4f32 a[0:3], v2, v6, a[0:3]
	s_movk_i32 s4, 0xff
	v_and_b32_sdwa v3, v8, s4 dst_sel:DWORD dst_unused:UNUSED_PAD src0_sel:WORD_1 src1_sel:DWORD
	s_movk_i32 s4, 0x7f
	v_cmp_lt_i16_e32 vcc, s4, v3
	s_mov_b64 s[4:5], 0
                                        ; implicit-def: $sgpr10
	s_and_saveexec_b64 s[6:7], vcc
	s_xor_b64 s[6:7], exec, s[6:7]
	s_cbranch_execz .LBB2_4945
; %bb.40785:
	s_getpc_b64 s[14:15]
.Lpost_getpc23976:
	s_add_u32 s14, s14, (.LBB2_19281-.Lpost_getpc23976)&4294967295
	s_addc_u32 s15, s15, (.LBB2_19281-.Lpost_getpc23976)>>32
	s_setpc_b64 s[14:15]
.LBB2_4945:
	s_or_saveexec_b64 s[6:7], s[6:7]
	v_mov_b32_e32 v2, s10
	s_xor_b64 exec, exec, s[6:7]
	s_cbranch_execz .LBB2_4946
; %bb.40787:
	s_getpc_b64 s[14:15]
.Lpost_getpc23977:
	s_add_u32 s14, s14, (.LBB2_19284-.Lpost_getpc23977)&4294967295
	s_addc_u32 s15, s15, (.LBB2_19284-.Lpost_getpc23977)>>32
	s_setpc_b64 s[14:15]
.LBB2_4946:
	s_or_b64 exec, exec, s[6:7]
	s_and_saveexec_b64 s[6:7], s[4:5]
	s_cbranch_execz .LBB2_4948
.LBB2_4947:
	v_bfe_u32 v2, v8, 16, 3
	v_ffbh_u32_e32 v7, v2
	v_min_u32_e32 v7, 32, v7
	v_lshrrev_b32_e32 v3, 19, v8
	v_subrev_u32_e32 v12, 28, v7
	v_and_b32_e32 v3, 15, v3
	v_lshlrev_b32_sdwa v12, v12, v8 dst_sel:DWORD dst_unused:UNUSED_PAD src0_sel:DWORD src1_sel:WORD_1
	v_bfe_u32 v6, v8, 19, 4
	v_sub_u32_e32 v7, 29, v7
	v_and_b32_e32 v12, 7, v12
	v_cmp_eq_u16_e32 vcc, 0, v3
	v_cndmask_b32_e32 v2, v2, v12, vcc
	v_cndmask_b32_e32 v3, v6, v7, vcc
	v_lshlrev_b32_e32 v6, 8, v8
	v_mov_b32_e32 v7, 0x3b800000
	v_lshlrev_b32_e32 v2, 20, v2
	v_and_b32_e32 v6, 0x80000000, v6
	v_lshl_add_u32 v3, v3, 23, v7
	v_or3_b32 v2, v6, v3, v2
.LBB2_4948:
	s_or_b64 exec, exec, s[6:7]
	s_movk_i32 s4, 0xff
	v_and_b32_sdwa v3, v4, s4 dst_sel:DWORD dst_unused:UNUSED_PAD src0_sel:WORD_1 src1_sel:DWORD
	s_movk_i32 s4, 0x7f
	v_cmp_lt_i16_e32 vcc, s4, v3
	s_mov_b64 s[4:5], 0
                                        ; implicit-def: $sgpr10
	s_and_saveexec_b64 s[6:7], vcc
	s_xor_b64 s[6:7], exec, s[6:7]
	s_cbranch_execz .LBB2_4949
; %bb.40789:
	s_getpc_b64 s[14:15]
.Lpost_getpc23978:
	s_add_u32 s14, s14, (.LBB2_19285-.Lpost_getpc23978)&4294967295
	s_addc_u32 s15, s15, (.LBB2_19285-.Lpost_getpc23978)>>32
	s_setpc_b64 s[14:15]
.LBB2_4949:
	s_or_saveexec_b64 s[6:7], s[6:7]
	v_mov_b32_e32 v6, s10
	s_xor_b64 exec, exec, s[6:7]
	s_cbranch_execz .LBB2_4950
; %bb.40791:
	s_getpc_b64 s[14:15]
.Lpost_getpc23979:
	s_add_u32 s14, s14, (.LBB2_19288-.Lpost_getpc23979)&4294967295
	s_addc_u32 s15, s15, (.LBB2_19288-.Lpost_getpc23979)>>32
	s_setpc_b64 s[14:15]
.LBB2_4950:
	s_or_b64 exec, exec, s[6:7]
	s_and_saveexec_b64 s[6:7], s[4:5]
	s_cbranch_execz .LBB2_4952
.LBB2_4951:
	v_bfe_u32 v3, v4, 16, 3
	v_ffbh_u32_e32 v12, v3
	v_min_u32_e32 v12, 32, v12
	v_lshrrev_b32_e32 v6, 19, v4
	v_subrev_u32_e32 v13, 28, v12
	v_and_b32_e32 v6, 15, v6
	v_lshlrev_b32_sdwa v13, v13, v4 dst_sel:DWORD dst_unused:UNUSED_PAD src0_sel:DWORD src1_sel:WORD_1
	v_bfe_u32 v7, v4, 19, 4
	v_sub_u32_e32 v12, 29, v12
	v_and_b32_e32 v13, 7, v13
	v_cmp_eq_u16_e32 vcc, 0, v6
	v_cndmask_b32_e32 v3, v3, v13, vcc
	v_cndmask_b32_e32 v6, v7, v12, vcc
	v_lshlrev_b32_e32 v7, 8, v4
	v_mov_b32_e32 v12, 0x3b800000
	v_lshlrev_b32_e32 v3, 20, v3
	v_and_b32_e32 v7, 0x80000000, v7
	v_lshl_add_u32 v6, v6, 23, v12
	v_or3_b32 v6, v7, v6, v3
.LBB2_4952:
	s_or_b64 exec, exec, s[6:7]
	s_nop 0
	v_mfma_f32_16x16x4f32 a[0:3], v2, v6, a[0:3]
	s_movk_i32 s4, 0x7f
	v_cmp_gt_i16_sdwa s[6:7], v8, s4 src0_sel:BYTE_3 src1_sel:DWORD
	s_mov_b64 s[4:5], 0
                                        ; implicit-def: $sgpr10
	s_and_saveexec_b64 s[8:9], s[6:7]
	s_xor_b64 s[6:7], exec, s[8:9]
	s_cbranch_execz .LBB2_4953
; %bb.40793:
	s_getpc_b64 s[14:15]
.Lpost_getpc23980:
	s_add_u32 s14, s14, (.LBB2_19289-.Lpost_getpc23980)&4294967295
	s_addc_u32 s15, s15, (.LBB2_19289-.Lpost_getpc23980)>>32
	s_setpc_b64 s[14:15]
.LBB2_4953:
	s_or_saveexec_b64 s[6:7], s[6:7]
	v_mov_b32_e32 v2, s10
	s_xor_b64 exec, exec, s[6:7]
	s_cbranch_execz .LBB2_4954
; %bb.40795:
	s_getpc_b64 s[14:15]
.Lpost_getpc23981:
	s_add_u32 s14, s14, (.LBB2_19292-.Lpost_getpc23981)&4294967295
	s_addc_u32 s15, s15, (.LBB2_19292-.Lpost_getpc23981)>>32
	s_setpc_b64 s[14:15]
.LBB2_4954:
	s_or_b64 exec, exec, s[6:7]
	s_and_saveexec_b64 s[6:7], s[4:5]
	s_cbranch_execz .LBB2_4956
.LBB2_4955:
	v_bfe_u32 v2, v8, 24, 3
	v_ffbh_u32_e32 v12, v2
	v_min_u32_e32 v12, 32, v12
	v_lshrrev_b32_e32 v6, 27, v8
	v_subrev_u32_e32 v13, 28, v12
	v_and_b32_e32 v3, 0x80000000, v8
	v_and_b32_e32 v6, 15, v6
	v_bfe_u32 v7, v8, 27, 4
	v_lshlrev_b32_sdwa v8, v13, v8 dst_sel:DWORD dst_unused:UNUSED_PAD src0_sel:DWORD src1_sel:BYTE_3
	v_sub_u32_e32 v12, 29, v12
	v_and_b32_e32 v8, 7, v8
	v_cmp_eq_u16_e32 vcc, 0, v6
	v_cndmask_b32_e32 v2, v2, v8, vcc
	v_cndmask_b32_e32 v6, v7, v12, vcc
	v_mov_b32_e32 v7, 0x3b800000
	v_lshlrev_b32_e32 v2, 20, v2
	v_lshl_add_u32 v6, v6, 23, v7
	v_or3_b32 v2, v3, v6, v2
.LBB2_4956:
	s_or_b64 exec, exec, s[6:7]
	s_movk_i32 s4, 0x7f
	v_cmp_gt_i16_sdwa s[6:7], v4, s4 src0_sel:BYTE_3 src1_sel:DWORD
	s_mov_b64 s[4:5], 0
                                        ; implicit-def: $sgpr10
	s_and_saveexec_b64 s[8:9], s[6:7]
	s_xor_b64 s[6:7], exec, s[8:9]
	s_cbranch_execz .LBB2_4957
; %bb.40797:
	s_getpc_b64 s[14:15]
.Lpost_getpc23982:
	s_add_u32 s14, s14, (.LBB2_19293-.Lpost_getpc23982)&4294967295
	s_addc_u32 s15, s15, (.LBB2_19293-.Lpost_getpc23982)>>32
	s_setpc_b64 s[14:15]
.LBB2_4957:
	s_or_saveexec_b64 s[6:7], s[6:7]
	v_mov_b32_e32 v3, s10
	s_xor_b64 exec, exec, s[6:7]
	s_cbranch_execz .LBB2_4958
; %bb.40799:
	s_getpc_b64 s[14:15]
.Lpost_getpc23983:
	s_add_u32 s14, s14, (.LBB2_19296-.Lpost_getpc23983)&4294967295
	s_addc_u32 s15, s15, (.LBB2_19296-.Lpost_getpc23983)>>32
	s_setpc_b64 s[14:15]
.LBB2_4958:
	s_or_b64 exec, exec, s[6:7]
	s_and_saveexec_b64 s[6:7], s[4:5]
	s_cbranch_execz .LBB2_4960
.LBB2_4959:
	v_bfe_u32 v3, v4, 24, 3
	v_ffbh_u32_e32 v12, v3
	v_min_u32_e32 v12, 32, v12
	v_lshrrev_b32_e32 v7, 27, v4
	v_subrev_u32_e32 v13, 28, v12
	v_and_b32_e32 v6, 0x80000000, v4
	v_and_b32_e32 v7, 15, v7
	v_bfe_u32 v8, v4, 27, 4
	v_lshlrev_b32_sdwa v4, v13, v4 dst_sel:DWORD dst_unused:UNUSED_PAD src0_sel:DWORD src1_sel:BYTE_3
	v_sub_u32_e32 v12, 29, v12
	v_and_b32_e32 v4, 7, v4
	v_cmp_eq_u16_e32 vcc, 0, v7
	v_cndmask_b32_e32 v3, v3, v4, vcc
	v_cndmask_b32_e32 v4, v8, v12, vcc
	v_mov_b32_e32 v7, 0x3b800000
	v_lshlrev_b32_e32 v3, 20, v3
	v_lshl_add_u32 v4, v4, 23, v7
	v_or3_b32 v3, v6, v4, v3
.LBB2_4960:
	s_or_b64 exec, exec, s[6:7]
	s_nop 0
	v_mfma_f32_16x16x4f32 a[0:3], v2, v3, a[0:3]
	s_movk_i32 s4, 0x7f
	v_cmp_gt_i16_sdwa s[6:7], v9, s4 src0_sel:BYTE_0 src1_sel:DWORD
	s_mov_b64 s[4:5], 0
                                        ; implicit-def: $sgpr10
	s_and_saveexec_b64 s[8:9], s[6:7]
	s_xor_b64 s[6:7], exec, s[8:9]
	s_cbranch_execz .LBB2_4961
; %bb.40801:
	s_getpc_b64 s[14:15]
.Lpost_getpc23984:
	s_add_u32 s14, s14, (.LBB2_19297-.Lpost_getpc23984)&4294967295
	s_addc_u32 s15, s15, (.LBB2_19297-.Lpost_getpc23984)>>32
	s_setpc_b64 s[14:15]
.LBB2_4961:
	s_or_saveexec_b64 s[6:7], s[6:7]
	v_mov_b32_e32 v2, s10
	s_xor_b64 exec, exec, s[6:7]
	s_cbranch_execz .LBB2_4962
; %bb.40803:
	s_getpc_b64 s[14:15]
.Lpost_getpc23985:
	s_add_u32 s14, s14, (.LBB2_19300-.Lpost_getpc23985)&4294967295
	s_addc_u32 s15, s15, (.LBB2_19300-.Lpost_getpc23985)>>32
	s_setpc_b64 s[14:15]
.LBB2_4962:
	s_or_b64 exec, exec, s[6:7]
	s_and_saveexec_b64 s[6:7], s[4:5]
	s_cbranch_execz .LBB2_4964
.LBB2_4963:
	v_mov_b32_e32 v2, 8
	v_and_b32_e32 v3, 7, v9
	v_lshrrev_b32_sdwa v2, v2, v9 dst_sel:BYTE_1 dst_unused:UNUSED_PAD src0_sel:DWORD src1_sel:DWORD
	v_ffbh_u32_e32 v4, v3
	v_or_b32_sdwa v2, v9, v2 dst_sel:DWORD dst_unused:UNUSED_PAD src0_sel:BYTE_0 src1_sel:DWORD
	v_min_u32_e32 v4, 32, v4
	v_lshrrev_b16_e32 v2, 3, v2
	v_subrev_u32_e32 v6, 28, v4
	v_and_b32_e32 v2, 15, v2
	v_lshlrev_b32_e32 v6, v6, v9
	v_sub_u32_e32 v4, 29, v4
	v_and_b32_e32 v6, 7, v6
	v_cmp_eq_u16_e32 vcc, 0, v2
	v_cndmask_b32_e32 v3, v3, v6, vcc
	v_cndmask_b32_e32 v2, v2, v4, vcc
	v_lshlrev_b32_e32 v4, 24, v9
	v_mov_b32_e32 v6, 0x3b800000
	v_lshlrev_b32_e32 v3, 20, v3
	v_and_b32_e32 v4, 0x80000000, v4
	v_lshl_add_u32 v2, v2, 23, v6
	v_or3_b32 v2, v4, v2, v3
.LBB2_4964:
	s_or_b64 exec, exec, s[6:7]
	s_movk_i32 s4, 0x7f
	v_cmp_gt_i16_sdwa s[6:7], v5, s4 src0_sel:BYTE_0 src1_sel:DWORD
	s_mov_b64 s[4:5], 0
                                        ; implicit-def: $sgpr10
	s_and_saveexec_b64 s[8:9], s[6:7]
	s_xor_b64 s[6:7], exec, s[8:9]
	s_cbranch_execz .LBB2_4965
; %bb.40805:
	s_getpc_b64 s[14:15]
.Lpost_getpc23986:
	s_add_u32 s14, s14, (.LBB2_19301-.Lpost_getpc23986)&4294967295
	s_addc_u32 s15, s15, (.LBB2_19301-.Lpost_getpc23986)>>32
	s_setpc_b64 s[14:15]
.LBB2_4965:
	s_or_saveexec_b64 s[6:7], s[6:7]
	v_mov_b32_e32 v3, s10
	s_xor_b64 exec, exec, s[6:7]
	s_cbranch_execz .LBB2_4966
; %bb.40807:
	s_getpc_b64 s[14:15]
.Lpost_getpc23987:
	s_add_u32 s14, s14, (.LBB2_19304-.Lpost_getpc23987)&4294967295
	s_addc_u32 s15, s15, (.LBB2_19304-.Lpost_getpc23987)>>32
	s_setpc_b64 s[14:15]
.LBB2_4966:
	s_or_b64 exec, exec, s[6:7]
	s_and_saveexec_b64 s[6:7], s[4:5]
	s_cbranch_execz .LBB2_4968
.LBB2_4967:
	v_mov_b32_e32 v3, 8
	v_and_b32_e32 v4, 7, v5
	v_lshrrev_b32_sdwa v3, v3, v5 dst_sel:BYTE_1 dst_unused:UNUSED_PAD src0_sel:DWORD src1_sel:DWORD
	v_ffbh_u32_e32 v6, v4
	v_or_b32_sdwa v3, v5, v3 dst_sel:DWORD dst_unused:UNUSED_PAD src0_sel:BYTE_0 src1_sel:DWORD
	v_min_u32_e32 v6, 32, v6
	v_lshrrev_b16_e32 v3, 3, v3
	v_subrev_u32_e32 v7, 28, v6
	v_and_b32_e32 v3, 15, v3
	v_lshlrev_b32_e32 v7, v7, v5
	v_sub_u32_e32 v6, 29, v6
	v_and_b32_e32 v7, 7, v7
	v_cmp_eq_u16_e32 vcc, 0, v3
	v_cndmask_b32_e32 v4, v4, v7, vcc
	v_cndmask_b32_e32 v3, v3, v6, vcc
	v_lshlrev_b32_e32 v6, 24, v5
	v_mov_b32_e32 v7, 0x3b800000
	v_lshlrev_b32_e32 v4, 20, v4
	v_and_b32_e32 v6, 0x80000000, v6
	v_lshl_add_u32 v3, v3, 23, v7
	v_or3_b32 v3, v6, v3, v4
.LBB2_4968:
	s_or_b64 exec, exec, s[6:7]
	s_nop 0
	v_mfma_f32_16x16x4f32 a[0:3], v2, v3, a[0:3]
	v_lshrrev_b32_e32 v3, 8, v9
	s_movk_i32 s4, 0x7f
	v_cmp_gt_i16_sdwa s[6:7], v3, s4 src0_sel:BYTE_0 src1_sel:DWORD
	s_mov_b64 s[4:5], 0
                                        ; implicit-def: $sgpr10
	s_and_saveexec_b64 s[8:9], s[6:7]
	s_xor_b64 s[6:7], exec, s[8:9]
	s_cbranch_execz .LBB2_4969
; %bb.40809:
	s_getpc_b64 s[14:15]
.Lpost_getpc23988:
	s_add_u32 s14, s14, (.LBB2_19305-.Lpost_getpc23988)&4294967295
	s_addc_u32 s15, s15, (.LBB2_19305-.Lpost_getpc23988)>>32
	s_setpc_b64 s[14:15]
.LBB2_4969:
	s_or_saveexec_b64 s[6:7], s[6:7]
	v_mov_b32_e32 v2, s10
	s_xor_b64 exec, exec, s[6:7]
	s_cbranch_execz .LBB2_4970
; %bb.40811:
	s_getpc_b64 s[14:15]
.Lpost_getpc23989:
	s_add_u32 s14, s14, (.LBB2_19308-.Lpost_getpc23989)&4294967295
	s_addc_u32 s15, s15, (.LBB2_19308-.Lpost_getpc23989)>>32
	s_setpc_b64 s[14:15]
.LBB2_4970:
	s_or_b64 exec, exec, s[6:7]
	s_and_saveexec_b64 s[6:7], s[4:5]
	s_cbranch_execz .LBB2_4972
.LBB2_4971:
	v_bfe_u32 v2, v9, 8, 3
	v_ffbh_u32_e32 v6, v2
	v_min_u32_e32 v6, 32, v6
	v_lshrrev_b16_e32 v4, 3, v3
	v_subrev_u32_e32 v7, 28, v6
	v_and_b32_e32 v4, 15, v4
	v_lshlrev_b32_e32 v3, v7, v3
	v_sub_u32_e32 v6, 29, v6
	v_and_b32_e32 v3, 7, v3
	v_cmp_eq_u16_e32 vcc, 0, v4
	v_cndmask_b32_e32 v2, v2, v3, vcc
	v_cndmask_b32_e32 v3, v4, v6, vcc
	v_lshlrev_b32_e32 v4, 16, v9
	v_mov_b32_e32 v6, 0x3b800000
	v_lshlrev_b32_e32 v2, 20, v2
	v_and_b32_e32 v4, 0x80000000, v4
	v_lshl_add_u32 v3, v3, 23, v6
	v_or3_b32 v2, v4, v3, v2
.LBB2_4972:
	s_or_b64 exec, exec, s[6:7]
	v_lshrrev_b32_e32 v3, 8, v5
	s_movk_i32 s4, 0x7f
	v_cmp_gt_i16_sdwa s[6:7], v3, s4 src0_sel:BYTE_0 src1_sel:DWORD
	s_mov_b64 s[4:5], 0
                                        ; implicit-def: $sgpr10
	s_and_saveexec_b64 s[8:9], s[6:7]
	s_xor_b64 s[6:7], exec, s[8:9]
	s_cbranch_execz .LBB2_4973
; %bb.40813:
	s_getpc_b64 s[14:15]
.Lpost_getpc23990:
	s_add_u32 s14, s14, (.LBB2_19309-.Lpost_getpc23990)&4294967295
	s_addc_u32 s15, s15, (.LBB2_19309-.Lpost_getpc23990)>>32
	s_setpc_b64 s[14:15]
.LBB2_4973:
	s_or_saveexec_b64 s[6:7], s[6:7]
	v_mov_b32_e32 v4, s10
	s_xor_b64 exec, exec, s[6:7]
	s_cbranch_execz .LBB2_4974
; %bb.40815:
	s_getpc_b64 s[14:15]
.Lpost_getpc23991:
	s_add_u32 s14, s14, (.LBB2_19312-.Lpost_getpc23991)&4294967295
	s_addc_u32 s15, s15, (.LBB2_19312-.Lpost_getpc23991)>>32
	s_setpc_b64 s[14:15]
.LBB2_4974:
	s_or_b64 exec, exec, s[6:7]
	s_and_saveexec_b64 s[6:7], s[4:5]
	s_cbranch_execz .LBB2_4976
.LBB2_4975:
	v_bfe_u32 v4, v5, 8, 3
	v_ffbh_u32_e32 v7, v4
	v_min_u32_e32 v7, 32, v7
	v_lshrrev_b16_e32 v6, 3, v3
	v_subrev_u32_e32 v8, 28, v7
	v_and_b32_e32 v6, 15, v6
	v_lshlrev_b32_e32 v3, v8, v3
	v_sub_u32_e32 v7, 29, v7
	v_and_b32_e32 v3, 7, v3
	v_cmp_eq_u16_e32 vcc, 0, v6
	v_cndmask_b32_e32 v3, v4, v3, vcc
	v_cndmask_b32_e32 v4, v6, v7, vcc
	v_lshlrev_b32_e32 v6, 16, v5
	v_mov_b32_e32 v7, 0x3b800000
	v_lshlrev_b32_e32 v3, 20, v3
	v_and_b32_e32 v6, 0x80000000, v6
	v_lshl_add_u32 v4, v4, 23, v7
	v_or3_b32 v4, v6, v4, v3
.LBB2_4976:
	s_or_b64 exec, exec, s[6:7]
	s_nop 0
	v_mfma_f32_16x16x4f32 a[0:3], v2, v4, a[0:3]
	s_movk_i32 s4, 0xff
	v_and_b32_sdwa v3, v9, s4 dst_sel:DWORD dst_unused:UNUSED_PAD src0_sel:WORD_1 src1_sel:DWORD
	s_movk_i32 s4, 0x7f
	v_cmp_lt_i16_e32 vcc, s4, v3
	s_mov_b64 s[4:5], 0
                                        ; implicit-def: $sgpr10
	s_and_saveexec_b64 s[6:7], vcc
	s_xor_b64 s[6:7], exec, s[6:7]
	s_cbranch_execz .LBB2_4977
; %bb.40817:
	s_getpc_b64 s[14:15]
.Lpost_getpc23992:
	s_add_u32 s14, s14, (.LBB2_19313-.Lpost_getpc23992)&4294967295
	s_addc_u32 s15, s15, (.LBB2_19313-.Lpost_getpc23992)>>32
	s_setpc_b64 s[14:15]
.LBB2_4977:
	s_or_saveexec_b64 s[6:7], s[6:7]
	v_mov_b32_e32 v2, s10
	s_xor_b64 exec, exec, s[6:7]
	s_cbranch_execz .LBB2_4978
; %bb.40819:
	s_getpc_b64 s[14:15]
.Lpost_getpc23993:
	s_add_u32 s14, s14, (.LBB2_19316-.Lpost_getpc23993)&4294967295
	s_addc_u32 s15, s15, (.LBB2_19316-.Lpost_getpc23993)>>32
	s_setpc_b64 s[14:15]
.LBB2_4978:
	s_or_b64 exec, exec, s[6:7]
	s_and_saveexec_b64 s[6:7], s[4:5]
	s_cbranch_execz .LBB2_4980
.LBB2_4979:
	v_bfe_u32 v2, v9, 16, 3
	v_ffbh_u32_e32 v6, v2
	v_min_u32_e32 v6, 32, v6
	v_lshrrev_b32_e32 v3, 19, v9
	v_subrev_u32_e32 v7, 28, v6
	v_and_b32_e32 v3, 15, v3
	v_lshlrev_b32_sdwa v7, v7, v9 dst_sel:DWORD dst_unused:UNUSED_PAD src0_sel:DWORD src1_sel:WORD_1
	v_bfe_u32 v4, v9, 19, 4
	v_sub_u32_e32 v6, 29, v6
	v_and_b32_e32 v7, 7, v7
	v_cmp_eq_u16_e32 vcc, 0, v3
	v_cndmask_b32_e32 v2, v2, v7, vcc
	v_cndmask_b32_e32 v3, v4, v6, vcc
	v_lshlrev_b32_e32 v4, 8, v9
	v_mov_b32_e32 v6, 0x3b800000
	v_lshlrev_b32_e32 v2, 20, v2
	v_and_b32_e32 v4, 0x80000000, v4
	v_lshl_add_u32 v3, v3, 23, v6
	v_or3_b32 v2, v4, v3, v2
.LBB2_4980:
	s_or_b64 exec, exec, s[6:7]
	s_movk_i32 s4, 0xff
	v_and_b32_sdwa v3, v5, s4 dst_sel:DWORD dst_unused:UNUSED_PAD src0_sel:WORD_1 src1_sel:DWORD
	s_movk_i32 s4, 0x7f
	v_cmp_lt_i16_e32 vcc, s4, v3
	s_mov_b64 s[4:5], 0
                                        ; implicit-def: $sgpr10
	s_and_saveexec_b64 s[6:7], vcc
	s_xor_b64 s[6:7], exec, s[6:7]
	s_cbranch_execz .LBB2_4981
; %bb.40821:
	s_getpc_b64 s[14:15]
.Lpost_getpc23994:
	s_add_u32 s14, s14, (.LBB2_19317-.Lpost_getpc23994)&4294967295
	s_addc_u32 s15, s15, (.LBB2_19317-.Lpost_getpc23994)>>32
	s_setpc_b64 s[14:15]
.LBB2_4981:
	s_or_saveexec_b64 s[6:7], s[6:7]
	v_mov_b32_e32 v4, s10
	s_xor_b64 exec, exec, s[6:7]
	s_cbranch_execz .LBB2_4982
; %bb.40823:
	s_getpc_b64 s[14:15]
.Lpost_getpc23995:
	s_add_u32 s14, s14, (.LBB2_19320-.Lpost_getpc23995)&4294967295
	s_addc_u32 s15, s15, (.LBB2_19320-.Lpost_getpc23995)>>32
	s_setpc_b64 s[14:15]
.LBB2_4982:
	s_or_b64 exec, exec, s[6:7]
	s_and_saveexec_b64 s[6:7], s[4:5]
	s_cbranch_execz .LBB2_4984
.LBB2_4983:
	v_bfe_u32 v3, v5, 16, 3
	v_ffbh_u32_e32 v7, v3
	v_min_u32_e32 v7, 32, v7
	v_lshrrev_b32_e32 v4, 19, v5
	v_subrev_u32_e32 v8, 28, v7
	v_and_b32_e32 v4, 15, v4
	v_lshlrev_b32_sdwa v8, v8, v5 dst_sel:DWORD dst_unused:UNUSED_PAD src0_sel:DWORD src1_sel:WORD_1
	v_bfe_u32 v6, v5, 19, 4
	v_sub_u32_e32 v7, 29, v7
	v_and_b32_e32 v8, 7, v8
	v_cmp_eq_u16_e32 vcc, 0, v4
	v_cndmask_b32_e32 v3, v3, v8, vcc
	v_cndmask_b32_e32 v4, v6, v7, vcc
	v_lshlrev_b32_e32 v6, 8, v5
	v_mov_b32_e32 v7, 0x3b800000
	v_lshlrev_b32_e32 v3, 20, v3
	v_and_b32_e32 v6, 0x80000000, v6
	v_lshl_add_u32 v4, v4, 23, v7
	v_or3_b32 v4, v6, v4, v3
.LBB2_4984:
	s_or_b64 exec, exec, s[6:7]
	s_nop 0
	v_mfma_f32_16x16x4f32 a[0:3], v2, v4, a[0:3]
	s_movk_i32 s4, 0x7f
	v_cmp_gt_i16_sdwa s[6:7], v9, s4 src0_sel:BYTE_3 src1_sel:DWORD
	s_mov_b64 s[4:5], 0
                                        ; implicit-def: $sgpr10
	s_and_saveexec_b64 s[8:9], s[6:7]
	s_xor_b64 s[6:7], exec, s[8:9]
	s_cbranch_execz .LBB2_4985
; %bb.40825:
	s_getpc_b64 s[14:15]
.Lpost_getpc23996:
	s_add_u32 s14, s14, (.LBB2_19321-.Lpost_getpc23996)&4294967295
	s_addc_u32 s15, s15, (.LBB2_19321-.Lpost_getpc23996)>>32
	s_setpc_b64 s[14:15]
.LBB2_4985:
	s_or_saveexec_b64 s[6:7], s[6:7]
	v_mov_b32_e32 v2, s10
	s_xor_b64 exec, exec, s[6:7]
	s_cbranch_execz .LBB2_4986
; %bb.40827:
	s_getpc_b64 s[14:15]
.Lpost_getpc23997:
	s_add_u32 s14, s14, (.LBB2_19324-.Lpost_getpc23997)&4294967295
	s_addc_u32 s15, s15, (.LBB2_19324-.Lpost_getpc23997)>>32
	s_setpc_b64 s[14:15]
.LBB2_4986:
	s_or_b64 exec, exec, s[6:7]
	s_and_saveexec_b64 s[6:7], s[4:5]
	s_cbranch_execz .LBB2_4988
.LBB2_4987:
	v_bfe_u32 v2, v9, 24, 3
	v_ffbh_u32_e32 v7, v2
	v_min_u32_e32 v7, 32, v7
	v_lshrrev_b32_e32 v4, 27, v9
	v_subrev_u32_e32 v8, 28, v7
	v_and_b32_e32 v4, 15, v4
	v_lshlrev_b32_sdwa v8, v8, v9 dst_sel:DWORD dst_unused:UNUSED_PAD src0_sel:DWORD src1_sel:BYTE_3
	v_bfe_u32 v6, v9, 27, 4
	v_sub_u32_e32 v7, 29, v7
	v_and_b32_e32 v8, 7, v8
	v_cmp_eq_u16_e32 vcc, 0, v4
	v_cndmask_b32_e32 v2, v2, v8, vcc
	v_cndmask_b32_e32 v4, v6, v7, vcc
	v_mov_b32_e32 v6, 0x3b800000
	v_and_b32_e32 v3, 0x80000000, v9
	v_lshlrev_b32_e32 v2, 20, v2
	v_lshl_add_u32 v4, v4, 23, v6
	v_or3_b32 v2, v3, v4, v2
.LBB2_4988:
	s_or_b64 exec, exec, s[6:7]
	s_movk_i32 s4, 0x7f
	v_cmp_gt_i16_sdwa s[6:7], v5, s4 src0_sel:BYTE_3 src1_sel:DWORD
	s_mov_b64 s[4:5], 0
                                        ; implicit-def: $sgpr10
	s_and_saveexec_b64 s[8:9], s[6:7]
	s_xor_b64 s[6:7], exec, s[8:9]
	s_cbranch_execz .LBB2_4989
; %bb.40829:
	s_getpc_b64 s[14:15]
.Lpost_getpc23998:
	s_add_u32 s14, s14, (.LBB2_19325-.Lpost_getpc23998)&4294967295
	s_addc_u32 s15, s15, (.LBB2_19325-.Lpost_getpc23998)>>32
	s_setpc_b64 s[14:15]
.LBB2_4989:
	s_or_saveexec_b64 s[6:7], s[6:7]
	v_mov_b32_e32 v3, s10
	s_xor_b64 exec, exec, s[6:7]
	s_cbranch_execz .LBB2_4990
; %bb.40831:
	s_getpc_b64 s[14:15]
.Lpost_getpc23999:
	s_add_u32 s14, s14, (.LBB2_19328-.Lpost_getpc23999)&4294967295
	s_addc_u32 s15, s15, (.LBB2_19328-.Lpost_getpc23999)>>32
	s_setpc_b64 s[14:15]
.LBB2_4990:
	s_or_b64 exec, exec, s[6:7]
	s_and_saveexec_b64 s[6:7], s[4:5]
	s_cbranch_execz .LBB2_4992
.LBB2_4991:
	v_bfe_u32 v3, v5, 24, 3
	v_ffbh_u32_e32 v8, v3
	v_min_u32_e32 v8, 32, v8
	v_lshrrev_b32_e32 v6, 27, v5
	v_subrev_u32_e32 v9, 28, v8
	v_and_b32_e32 v4, 0x80000000, v5
	v_and_b32_e32 v6, 15, v6
	v_bfe_u32 v7, v5, 27, 4
	v_lshlrev_b32_sdwa v5, v9, v5 dst_sel:DWORD dst_unused:UNUSED_PAD src0_sel:DWORD src1_sel:BYTE_3
	v_sub_u32_e32 v8, 29, v8
	v_and_b32_e32 v5, 7, v5
	v_cmp_eq_u16_e32 vcc, 0, v6
	v_cndmask_b32_e32 v3, v3, v5, vcc
	v_cndmask_b32_e32 v5, v7, v8, vcc
	v_mov_b32_e32 v6, 0x3b800000
	v_lshlrev_b32_e32 v3, 20, v3
	v_lshl_add_u32 v5, v5, 23, v6
	v_or3_b32 v3, v4, v5, v3
.LBB2_4992:
	s_or_b64 exec, exec, s[6:7]
	s_nop 0
	v_mfma_f32_16x16x4f32 a[0:3], v2, v3, a[0:3]
	s_movk_i32 s4, 0x7f
                                        ; implicit-def: $sgpr10
	s_nop 7
	s_nop 1
	flat_store_dwordx4 v[10:11], a[0:3] offset:608
	flat_load_dwordx4 v[12:15], v[0:1]
	s_nop 0
	flat_load_dwordx2 v[10:11], v[0:1] offset:16
	s_waitcnt vmcnt(0) lgkmcnt(0)
	flat_load_dwordx4 v[6:9], v[12:13] offset:64
	flat_load_dwordx4 v[2:5], v[14:15] offset:112
	s_waitcnt vmcnt(0) lgkmcnt(0)
	v_cmp_gt_i16_sdwa s[6:7], v6, s4 src0_sel:BYTE_0 src1_sel:DWORD
	s_mov_b64 s[4:5], 0
	s_and_saveexec_b64 s[8:9], s[6:7]
	s_xor_b64 s[6:7], exec, s[8:9]
	s_cbranch_execz .LBB2_4993
; %bb.40833:
	s_getpc_b64 s[14:15]
.Lpost_getpc24000:
	s_add_u32 s14, s14, (.LBB2_19329-.Lpost_getpc24000)&4294967295
	s_addc_u32 s15, s15, (.LBB2_19329-.Lpost_getpc24000)>>32
	s_setpc_b64 s[14:15]
.LBB2_4993:
	s_or_saveexec_b64 s[6:7], s[6:7]
	v_mov_b32_e32 v12, s10
	s_xor_b64 exec, exec, s[6:7]
	s_cbranch_execz .LBB2_4994
; %bb.40835:
	s_getpc_b64 s[14:15]
.Lpost_getpc24001:
	s_add_u32 s14, s14, (.LBB2_19332-.Lpost_getpc24001)&4294967295
	s_addc_u32 s15, s15, (.LBB2_19332-.Lpost_getpc24001)>>32
	s_setpc_b64 s[14:15]
.LBB2_4994:
	s_or_b64 exec, exec, s[6:7]
	s_and_saveexec_b64 s[6:7], s[4:5]
	s_cbranch_execz .LBB2_4996
.LBB2_4995:
	v_and_b32_e32 v12, 7, v6
	v_ffbh_u32_e32 v14, v12
	v_min_u32_e32 v14, 32, v14
	v_lshrrev_b16_e32 v13, 3, v6
	v_subrev_u32_e32 v15, 28, v14
	v_and_b32_e32 v13, 15, v13
	v_lshlrev_b32_e32 v15, v15, v6
	v_sub_u32_e32 v14, 29, v14
	v_and_b32_e32 v15, 7, v15
	v_cmp_eq_u16_e32 vcc, 0, v13
	v_cndmask_b32_e32 v12, v12, v15, vcc
	v_cndmask_b32_e32 v13, v13, v14, vcc
	v_lshlrev_b32_e32 v14, 24, v6
	v_mov_b32_e32 v15, 0x3b800000
	v_lshlrev_b32_e32 v12, 20, v12
	v_and_b32_e32 v14, 0x80000000, v14
	v_lshl_add_u32 v13, v13, 23, v15
	v_or3_b32 v12, v14, v13, v12
.LBB2_4996:
	s_or_b64 exec, exec, s[6:7]
	s_movk_i32 s4, 0x7f
	v_cmp_gt_i16_sdwa s[6:7], v2, s4 src0_sel:BYTE_0 src1_sel:DWORD
	s_mov_b64 s[4:5], 0
                                        ; implicit-def: $sgpr10
	s_and_saveexec_b64 s[8:9], s[6:7]
	s_xor_b64 s[6:7], exec, s[8:9]
	s_cbranch_execz .LBB2_4997
; %bb.40837:
	s_getpc_b64 s[14:15]
.Lpost_getpc24002:
	s_add_u32 s14, s14, (.LBB2_19333-.Lpost_getpc24002)&4294967295
	s_addc_u32 s15, s15, (.LBB2_19333-.Lpost_getpc24002)>>32
	s_setpc_b64 s[14:15]
.LBB2_4997:
	s_or_saveexec_b64 s[6:7], s[6:7]
	v_mov_b32_e32 v13, s10
	s_xor_b64 exec, exec, s[6:7]
	s_cbranch_execz .LBB2_4998
; %bb.40839:
	s_getpc_b64 s[14:15]
.Lpost_getpc24003:
	s_add_u32 s14, s14, (.LBB2_19336-.Lpost_getpc24003)&4294967295
	s_addc_u32 s15, s15, (.LBB2_19336-.Lpost_getpc24003)>>32
	s_setpc_b64 s[14:15]
.LBB2_4998:
	s_or_b64 exec, exec, s[6:7]
	s_and_saveexec_b64 s[6:7], s[4:5]
	s_cbranch_execz .LBB2_5000
.LBB2_4999:
	v_and_b32_e32 v13, 7, v2
	v_ffbh_u32_e32 v15, v13
	v_min_u32_e32 v15, 32, v15
	v_lshrrev_b16_e32 v14, 3, v2
	v_subrev_u32_e32 v16, 28, v15
	v_and_b32_e32 v14, 15, v14
	v_lshlrev_b32_e32 v16, v16, v2
	v_sub_u32_e32 v15, 29, v15
	v_and_b32_e32 v16, 7, v16
	v_cmp_eq_u16_e32 vcc, 0, v14
	v_cndmask_b32_e32 v13, v13, v16, vcc
	v_cndmask_b32_e32 v14, v14, v15, vcc
	v_lshlrev_b32_e32 v15, 24, v2
	v_mov_b32_e32 v16, 0x3b800000
	v_lshlrev_b32_e32 v13, 20, v13
	v_and_b32_e32 v15, 0x80000000, v15
	v_lshl_add_u32 v14, v14, 23, v16
	v_or3_b32 v13, v15, v14, v13
.LBB2_5000:
	s_or_b64 exec, exec, s[6:7]
	flat_load_dwordx4 a[0:3], v[10:11] offset:624
	s_movk_i32 s4, 0x7f
                                        ; implicit-def: $sgpr10
	s_waitcnt vmcnt(0) lgkmcnt(0)
	v_mfma_f32_16x16x4f32 a[0:3], v12, v13, a[0:3]
	v_lshrrev_b32_e32 v13, 8, v6
	v_cmp_gt_i16_sdwa s[6:7], v13, s4 src0_sel:BYTE_0 src1_sel:DWORD
	s_mov_b64 s[4:5], 0
	s_and_saveexec_b64 s[8:9], s[6:7]
	s_xor_b64 s[6:7], exec, s[8:9]
	s_cbranch_execz .LBB2_5001
; %bb.40841:
	s_getpc_b64 s[14:15]
.Lpost_getpc24004:
	s_add_u32 s14, s14, (.LBB2_19337-.Lpost_getpc24004)&4294967295
	s_addc_u32 s15, s15, (.LBB2_19337-.Lpost_getpc24004)>>32
	s_setpc_b64 s[14:15]
.LBB2_5001:
	s_or_saveexec_b64 s[6:7], s[6:7]
	v_mov_b32_e32 v12, s10
	s_xor_b64 exec, exec, s[6:7]
	s_cbranch_execz .LBB2_5002
; %bb.40843:
	s_getpc_b64 s[14:15]
.Lpost_getpc24005:
	s_add_u32 s14, s14, (.LBB2_19340-.Lpost_getpc24005)&4294967295
	s_addc_u32 s15, s15, (.LBB2_19340-.Lpost_getpc24005)>>32
	s_setpc_b64 s[14:15]
.LBB2_5002:
	s_or_b64 exec, exec, s[6:7]
	s_and_saveexec_b64 s[6:7], s[4:5]
	s_cbranch_execz .LBB2_5004
.LBB2_5003:
	v_bfe_u32 v12, v6, 8, 3
	v_ffbh_u32_e32 v15, v12
	v_min_u32_e32 v15, 32, v15
	v_lshrrev_b16_e32 v14, 3, v13
	v_subrev_u32_e32 v16, 28, v15
	v_and_b32_e32 v14, 15, v14
	v_lshlrev_b32_e32 v13, v16, v13
	v_sub_u32_e32 v15, 29, v15
	v_and_b32_e32 v13, 7, v13
	v_cmp_eq_u16_e32 vcc, 0, v14
	v_cndmask_b32_e32 v12, v12, v13, vcc
	v_cndmask_b32_e32 v13, v14, v15, vcc
	v_lshlrev_b32_e32 v14, 16, v6
	v_mov_b32_e32 v15, 0x3b800000
	v_lshlrev_b32_e32 v12, 20, v12
	v_and_b32_e32 v14, 0x80000000, v14
	v_lshl_add_u32 v13, v13, 23, v15
	v_or3_b32 v12, v14, v13, v12
.LBB2_5004:
	s_or_b64 exec, exec, s[6:7]
	v_lshrrev_b32_e32 v13, 8, v2
	s_movk_i32 s4, 0x7f
	v_cmp_gt_i16_sdwa s[6:7], v13, s4 src0_sel:BYTE_0 src1_sel:DWORD
	s_mov_b64 s[4:5], 0
                                        ; implicit-def: $sgpr10
	s_and_saveexec_b64 s[8:9], s[6:7]
	s_xor_b64 s[6:7], exec, s[8:9]
	s_cbranch_execz .LBB2_5005
; %bb.40845:
	s_getpc_b64 s[14:15]
.Lpost_getpc24006:
	s_add_u32 s14, s14, (.LBB2_19341-.Lpost_getpc24006)&4294967295
	s_addc_u32 s15, s15, (.LBB2_19341-.Lpost_getpc24006)>>32
	s_setpc_b64 s[14:15]
.LBB2_5005:
	s_or_saveexec_b64 s[6:7], s[6:7]
	v_mov_b32_e32 v14, s10
	s_xor_b64 exec, exec, s[6:7]
	s_cbranch_execz .LBB2_5006
; %bb.40847:
	s_getpc_b64 s[14:15]
.Lpost_getpc24007:
	s_add_u32 s14, s14, (.LBB2_19344-.Lpost_getpc24007)&4294967295
	s_addc_u32 s15, s15, (.LBB2_19344-.Lpost_getpc24007)>>32
	s_setpc_b64 s[14:15]
.LBB2_5006:
	s_or_b64 exec, exec, s[6:7]
	s_and_saveexec_b64 s[6:7], s[4:5]
	s_cbranch_execz .LBB2_5008
.LBB2_5007:
	v_bfe_u32 v14, v2, 8, 3
	v_ffbh_u32_e32 v16, v14
	v_min_u32_e32 v16, 32, v16
	v_lshrrev_b16_e32 v15, 3, v13
	v_subrev_u32_e32 v17, 28, v16
	v_and_b32_e32 v15, 15, v15
	v_lshlrev_b32_e32 v13, v17, v13
	v_sub_u32_e32 v16, 29, v16
	v_and_b32_e32 v13, 7, v13
	v_cmp_eq_u16_e32 vcc, 0, v15
	v_cndmask_b32_e32 v13, v14, v13, vcc
	v_cndmask_b32_e32 v14, v15, v16, vcc
	v_lshlrev_b32_e32 v15, 16, v2
	v_mov_b32_e32 v16, 0x3b800000
	v_lshlrev_b32_e32 v13, 20, v13
	v_and_b32_e32 v15, 0x80000000, v15
	v_lshl_add_u32 v14, v14, 23, v16
	v_or3_b32 v14, v15, v14, v13
.LBB2_5008:
	s_or_b64 exec, exec, s[6:7]
	s_nop 0
	v_mfma_f32_16x16x4f32 a[0:3], v12, v14, a[0:3]
	s_movk_i32 s4, 0xff
	v_and_b32_sdwa v13, v6, s4 dst_sel:DWORD dst_unused:UNUSED_PAD src0_sel:WORD_1 src1_sel:DWORD
	s_movk_i32 s4, 0x7f
	v_cmp_lt_i16_e32 vcc, s4, v13
	s_mov_b64 s[4:5], 0
                                        ; implicit-def: $sgpr10
	s_and_saveexec_b64 s[6:7], vcc
	s_xor_b64 s[6:7], exec, s[6:7]
	s_cbranch_execz .LBB2_5009
; %bb.40849:
	s_getpc_b64 s[14:15]
.Lpost_getpc24008:
	s_add_u32 s14, s14, (.LBB2_19345-.Lpost_getpc24008)&4294967295
	s_addc_u32 s15, s15, (.LBB2_19345-.Lpost_getpc24008)>>32
	s_setpc_b64 s[14:15]
.LBB2_5009:
	s_or_saveexec_b64 s[6:7], s[6:7]
	v_mov_b32_e32 v12, s10
	s_xor_b64 exec, exec, s[6:7]
	s_cbranch_execz .LBB2_5010
; %bb.40851:
	s_getpc_b64 s[14:15]
.Lpost_getpc24009:
	s_add_u32 s14, s14, (.LBB2_19348-.Lpost_getpc24009)&4294967295
	s_addc_u32 s15, s15, (.LBB2_19348-.Lpost_getpc24009)>>32
	s_setpc_b64 s[14:15]
.LBB2_5010:
	s_or_b64 exec, exec, s[6:7]
	s_and_saveexec_b64 s[6:7], s[4:5]
	s_cbranch_execz .LBB2_5012
.LBB2_5011:
	v_bfe_u32 v12, v6, 16, 3
	v_ffbh_u32_e32 v15, v12
	v_min_u32_e32 v15, 32, v15
	v_lshrrev_b32_e32 v13, 19, v6
	v_subrev_u32_e32 v16, 28, v15
	v_and_b32_e32 v13, 15, v13
	v_lshlrev_b32_sdwa v16, v16, v6 dst_sel:DWORD dst_unused:UNUSED_PAD src0_sel:DWORD src1_sel:WORD_1
	v_bfe_u32 v14, v6, 19, 4
	v_sub_u32_e32 v15, 29, v15
	v_and_b32_e32 v16, 7, v16
	v_cmp_eq_u16_e32 vcc, 0, v13
	v_cndmask_b32_e32 v12, v12, v16, vcc
	v_cndmask_b32_e32 v13, v14, v15, vcc
	v_lshlrev_b32_e32 v14, 8, v6
	v_mov_b32_e32 v15, 0x3b800000
	v_lshlrev_b32_e32 v12, 20, v12
	v_and_b32_e32 v14, 0x80000000, v14
	v_lshl_add_u32 v13, v13, 23, v15
	v_or3_b32 v12, v14, v13, v12
.LBB2_5012:
	s_or_b64 exec, exec, s[6:7]
	s_movk_i32 s4, 0xff
	v_and_b32_sdwa v13, v2, s4 dst_sel:DWORD dst_unused:UNUSED_PAD src0_sel:WORD_1 src1_sel:DWORD
	s_movk_i32 s4, 0x7f
	v_cmp_lt_i16_e32 vcc, s4, v13
	s_mov_b64 s[4:5], 0
                                        ; implicit-def: $sgpr10
	s_and_saveexec_b64 s[6:7], vcc
	s_xor_b64 s[6:7], exec, s[6:7]
	s_cbranch_execz .LBB2_5013
; %bb.40853:
	s_getpc_b64 s[14:15]
.Lpost_getpc24010:
	s_add_u32 s14, s14, (.LBB2_19349-.Lpost_getpc24010)&4294967295
	s_addc_u32 s15, s15, (.LBB2_19349-.Lpost_getpc24010)>>32
	s_setpc_b64 s[14:15]
.LBB2_5013:
	s_or_saveexec_b64 s[6:7], s[6:7]
	v_mov_b32_e32 v14, s10
	s_xor_b64 exec, exec, s[6:7]
	s_cbranch_execz .LBB2_5014
; %bb.40855:
	s_getpc_b64 s[14:15]
.Lpost_getpc24011:
	s_add_u32 s14, s14, (.LBB2_19352-.Lpost_getpc24011)&4294967295
	s_addc_u32 s15, s15, (.LBB2_19352-.Lpost_getpc24011)>>32
	s_setpc_b64 s[14:15]
.LBB2_5014:
	s_or_b64 exec, exec, s[6:7]
	s_and_saveexec_b64 s[6:7], s[4:5]
	s_cbranch_execz .LBB2_5016
.LBB2_5015:
	v_bfe_u32 v13, v2, 16, 3
	v_ffbh_u32_e32 v16, v13
	v_min_u32_e32 v16, 32, v16
	v_lshrrev_b32_e32 v14, 19, v2
	v_subrev_u32_e32 v17, 28, v16
	v_and_b32_e32 v14, 15, v14
	v_lshlrev_b32_sdwa v17, v17, v2 dst_sel:DWORD dst_unused:UNUSED_PAD src0_sel:DWORD src1_sel:WORD_1
	v_bfe_u32 v15, v2, 19, 4
	v_sub_u32_e32 v16, 29, v16
	v_and_b32_e32 v17, 7, v17
	v_cmp_eq_u16_e32 vcc, 0, v14
	v_cndmask_b32_e32 v13, v13, v17, vcc
	v_cndmask_b32_e32 v14, v15, v16, vcc
	v_lshlrev_b32_e32 v15, 8, v2
	v_mov_b32_e32 v16, 0x3b800000
	v_lshlrev_b32_e32 v13, 20, v13
	v_and_b32_e32 v15, 0x80000000, v15
	v_lshl_add_u32 v14, v14, 23, v16
	v_or3_b32 v14, v15, v14, v13
.LBB2_5016:
	s_or_b64 exec, exec, s[6:7]
	s_nop 0
	v_mfma_f32_16x16x4f32 a[0:3], v12, v14, a[0:3]
	s_movk_i32 s4, 0x7f
	v_cmp_gt_i16_sdwa s[6:7], v6, s4 src0_sel:BYTE_3 src1_sel:DWORD
	s_mov_b64 s[4:5], 0
                                        ; implicit-def: $sgpr10
	s_and_saveexec_b64 s[8:9], s[6:7]
	s_xor_b64 s[6:7], exec, s[8:9]
	s_cbranch_execz .LBB2_5017
; %bb.40857:
	s_getpc_b64 s[14:15]
.Lpost_getpc24012:
	s_add_u32 s14, s14, (.LBB2_19353-.Lpost_getpc24012)&4294967295
	s_addc_u32 s15, s15, (.LBB2_19353-.Lpost_getpc24012)>>32
	s_setpc_b64 s[14:15]
.LBB2_5017:
	s_or_saveexec_b64 s[6:7], s[6:7]
	v_mov_b32_e32 v12, s10
	s_xor_b64 exec, exec, s[6:7]
	s_cbranch_execz .LBB2_5018
; %bb.40859:
	s_getpc_b64 s[14:15]
.Lpost_getpc24013:
	s_add_u32 s14, s14, (.LBB2_19356-.Lpost_getpc24013)&4294967295
	s_addc_u32 s15, s15, (.LBB2_19356-.Lpost_getpc24013)>>32
	s_setpc_b64 s[14:15]
.LBB2_5018:
	s_or_b64 exec, exec, s[6:7]
	s_and_saveexec_b64 s[6:7], s[4:5]
	s_cbranch_execz .LBB2_5020
.LBB2_5019:
	v_bfe_u32 v12, v6, 24, 3
	v_ffbh_u32_e32 v16, v12
	v_min_u32_e32 v16, 32, v16
	v_lshrrev_b32_e32 v14, 27, v6
	v_subrev_u32_e32 v17, 28, v16
	v_and_b32_e32 v13, 0x80000000, v6
	v_and_b32_e32 v14, 15, v14
	v_bfe_u32 v15, v6, 27, 4
	v_lshlrev_b32_sdwa v6, v17, v6 dst_sel:DWORD dst_unused:UNUSED_PAD src0_sel:DWORD src1_sel:BYTE_3
	v_sub_u32_e32 v16, 29, v16
	v_and_b32_e32 v6, 7, v6
	v_cmp_eq_u16_e32 vcc, 0, v14
	v_cndmask_b32_e32 v6, v12, v6, vcc
	v_cndmask_b32_e32 v12, v15, v16, vcc
	v_mov_b32_e32 v14, 0x3b800000
	v_lshlrev_b32_e32 v6, 20, v6
	v_lshl_add_u32 v12, v12, 23, v14
	v_or3_b32 v12, v13, v12, v6
.LBB2_5020:
	s_or_b64 exec, exec, s[6:7]
	s_movk_i32 s4, 0x7f
	v_cmp_gt_i16_sdwa s[6:7], v2, s4 src0_sel:BYTE_3 src1_sel:DWORD
	s_mov_b64 s[4:5], 0
                                        ; implicit-def: $sgpr10
	s_and_saveexec_b64 s[8:9], s[6:7]
	s_xor_b64 s[6:7], exec, s[8:9]
	s_cbranch_execz .LBB2_5021
; %bb.40861:
	s_getpc_b64 s[14:15]
.Lpost_getpc24014:
	s_add_u32 s14, s14, (.LBB2_19357-.Lpost_getpc24014)&4294967295
	s_addc_u32 s15, s15, (.LBB2_19357-.Lpost_getpc24014)>>32
	s_setpc_b64 s[14:15]
.LBB2_5021:
	s_or_saveexec_b64 s[6:7], s[6:7]
	v_mov_b32_e32 v6, s10
	s_xor_b64 exec, exec, s[6:7]
	s_cbranch_execz .LBB2_5022
; %bb.40863:
	s_getpc_b64 s[14:15]
.Lpost_getpc24015:
	s_add_u32 s14, s14, (.LBB2_19360-.Lpost_getpc24015)&4294967295
	s_addc_u32 s15, s15, (.LBB2_19360-.Lpost_getpc24015)>>32
	s_setpc_b64 s[14:15]
.LBB2_5022:
	s_or_b64 exec, exec, s[6:7]
	s_and_saveexec_b64 s[6:7], s[4:5]
	s_cbranch_execz .LBB2_5024
.LBB2_5023:
	v_bfe_u32 v6, v2, 24, 3
	v_ffbh_u32_e32 v16, v6
	v_min_u32_e32 v16, 32, v16
	v_lshrrev_b32_e32 v14, 27, v2
	v_subrev_u32_e32 v17, 28, v16
	v_and_b32_e32 v13, 0x80000000, v2
	v_and_b32_e32 v14, 15, v14
	v_bfe_u32 v15, v2, 27, 4
	v_lshlrev_b32_sdwa v2, v17, v2 dst_sel:DWORD dst_unused:UNUSED_PAD src0_sel:DWORD src1_sel:BYTE_3
	v_sub_u32_e32 v16, 29, v16
	v_and_b32_e32 v2, 7, v2
	v_cmp_eq_u16_e32 vcc, 0, v14
	v_cndmask_b32_e32 v2, v6, v2, vcc
	v_cndmask_b32_e32 v6, v15, v16, vcc
	v_mov_b32_e32 v14, 0x3b800000
	v_lshlrev_b32_e32 v2, 20, v2
	v_lshl_add_u32 v6, v6, 23, v14
	v_or3_b32 v6, v13, v6, v2
.LBB2_5024:
	s_or_b64 exec, exec, s[6:7]
	s_nop 0
	v_mfma_f32_16x16x4f32 a[0:3], v12, v6, a[0:3]
	s_movk_i32 s4, 0x7f
	v_cmp_gt_i16_sdwa s[6:7], v7, s4 src0_sel:BYTE_0 src1_sel:DWORD
	s_mov_b64 s[4:5], 0
                                        ; implicit-def: $sgpr10
	s_and_saveexec_b64 s[8:9], s[6:7]
	s_xor_b64 s[6:7], exec, s[8:9]
	s_cbranch_execz .LBB2_5025
; %bb.40865:
	s_getpc_b64 s[14:15]
.Lpost_getpc24016:
	s_add_u32 s14, s14, (.LBB2_19361-.Lpost_getpc24016)&4294967295
	s_addc_u32 s15, s15, (.LBB2_19361-.Lpost_getpc24016)>>32
	s_setpc_b64 s[14:15]
.LBB2_5025:
	s_or_saveexec_b64 s[6:7], s[6:7]
	v_mov_b32_e32 v2, s10
	s_xor_b64 exec, exec, s[6:7]
	s_cbranch_execz .LBB2_5026
; %bb.40867:
	s_getpc_b64 s[14:15]
.Lpost_getpc24017:
	s_add_u32 s14, s14, (.LBB2_19364-.Lpost_getpc24017)&4294967295
	s_addc_u32 s15, s15, (.LBB2_19364-.Lpost_getpc24017)>>32
	s_setpc_b64 s[14:15]
.LBB2_5026:
	s_or_b64 exec, exec, s[6:7]
	s_and_saveexec_b64 s[6:7], s[4:5]
	s_cbranch_execz .LBB2_5028
.LBB2_5027:
	v_and_b32_e32 v2, 7, v7
	v_ffbh_u32_e32 v12, v2
	v_min_u32_e32 v12, 32, v12
	v_lshrrev_b16_e32 v6, 3, v7
	v_subrev_u32_e32 v13, 28, v12
	v_and_b32_e32 v6, 15, v6
	v_lshlrev_b32_e32 v13, v13, v7
	v_sub_u32_e32 v12, 29, v12
	v_and_b32_e32 v13, 7, v13
	v_cmp_eq_u16_e32 vcc, 0, v6
	v_cndmask_b32_e32 v2, v2, v13, vcc
	v_cndmask_b32_e32 v6, v6, v12, vcc
	v_lshlrev_b32_e32 v12, 24, v7
	v_mov_b32_e32 v13, 0x3b800000
	v_lshlrev_b32_e32 v2, 20, v2
	v_and_b32_e32 v12, 0x80000000, v12
	v_lshl_add_u32 v6, v6, 23, v13
	v_or3_b32 v2, v12, v6, v2
.LBB2_5028:
	s_or_b64 exec, exec, s[6:7]
	s_movk_i32 s4, 0x7f
	v_cmp_gt_i16_sdwa s[6:7], v3, s4 src0_sel:BYTE_0 src1_sel:DWORD
	s_mov_b64 s[4:5], 0
                                        ; implicit-def: $sgpr10
	s_and_saveexec_b64 s[8:9], s[6:7]
	s_xor_b64 s[6:7], exec, s[8:9]
	s_cbranch_execz .LBB2_5029
; %bb.40869:
	s_getpc_b64 s[14:15]
.Lpost_getpc24018:
	s_add_u32 s14, s14, (.LBB2_19365-.Lpost_getpc24018)&4294967295
	s_addc_u32 s15, s15, (.LBB2_19365-.Lpost_getpc24018)>>32
	s_setpc_b64 s[14:15]
.LBB2_5029:
	s_or_saveexec_b64 s[6:7], s[6:7]
	v_mov_b32_e32 v6, s10
	s_xor_b64 exec, exec, s[6:7]
	s_cbranch_execz .LBB2_5030
; %bb.40871:
	s_getpc_b64 s[14:15]
.Lpost_getpc24019:
	s_add_u32 s14, s14, (.LBB2_19368-.Lpost_getpc24019)&4294967295
	s_addc_u32 s15, s15, (.LBB2_19368-.Lpost_getpc24019)>>32
	s_setpc_b64 s[14:15]
.LBB2_5030:
	s_or_b64 exec, exec, s[6:7]
	s_and_saveexec_b64 s[6:7], s[4:5]
	s_cbranch_execz .LBB2_5032
.LBB2_5031:
	v_and_b32_e32 v6, 7, v3
	v_ffbh_u32_e32 v13, v6
	v_min_u32_e32 v13, 32, v13
	v_lshrrev_b16_e32 v12, 3, v3
	v_subrev_u32_e32 v14, 28, v13
	v_and_b32_e32 v12, 15, v12
	v_lshlrev_b32_e32 v14, v14, v3
	v_sub_u32_e32 v13, 29, v13
	v_and_b32_e32 v14, 7, v14
	v_cmp_eq_u16_e32 vcc, 0, v12
	v_cndmask_b32_e32 v6, v6, v14, vcc
	v_cndmask_b32_e32 v12, v12, v13, vcc
	v_lshlrev_b32_e32 v13, 24, v3
	v_mov_b32_e32 v14, 0x3b800000
	v_lshlrev_b32_e32 v6, 20, v6
	v_and_b32_e32 v13, 0x80000000, v13
	v_lshl_add_u32 v12, v12, 23, v14
	v_or3_b32 v6, v13, v12, v6
.LBB2_5032:
	s_or_b64 exec, exec, s[6:7]
	s_nop 0
	v_mfma_f32_16x16x4f32 a[0:3], v2, v6, a[0:3]
	v_lshrrev_b32_e32 v6, 8, v7
	s_movk_i32 s4, 0x7f
	v_cmp_gt_i16_sdwa s[6:7], v6, s4 src0_sel:BYTE_0 src1_sel:DWORD
	s_mov_b64 s[4:5], 0
                                        ; implicit-def: $sgpr10
	s_and_saveexec_b64 s[8:9], s[6:7]
	s_xor_b64 s[6:7], exec, s[8:9]
	s_cbranch_execz .LBB2_5033
; %bb.40873:
	s_getpc_b64 s[14:15]
.Lpost_getpc24020:
	s_add_u32 s14, s14, (.LBB2_19369-.Lpost_getpc24020)&4294967295
	s_addc_u32 s15, s15, (.LBB2_19369-.Lpost_getpc24020)>>32
	s_setpc_b64 s[14:15]
.LBB2_5033:
	s_or_saveexec_b64 s[6:7], s[6:7]
	v_mov_b32_e32 v2, s10
	s_xor_b64 exec, exec, s[6:7]
	s_cbranch_execz .LBB2_5034
; %bb.40875:
	s_getpc_b64 s[14:15]
.Lpost_getpc24021:
	s_add_u32 s14, s14, (.LBB2_19372-.Lpost_getpc24021)&4294967295
	s_addc_u32 s15, s15, (.LBB2_19372-.Lpost_getpc24021)>>32
	s_setpc_b64 s[14:15]
.LBB2_5034:
	s_or_b64 exec, exec, s[6:7]
	s_and_saveexec_b64 s[6:7], s[4:5]
	s_cbranch_execz .LBB2_5036
.LBB2_5035:
	v_bfe_u32 v2, v7, 8, 3
	v_ffbh_u32_e32 v13, v2
	v_min_u32_e32 v13, 32, v13
	v_lshrrev_b16_e32 v12, 3, v6
	v_subrev_u32_e32 v14, 28, v13
	v_and_b32_e32 v12, 15, v12
	v_lshlrev_b32_e32 v6, v14, v6
	v_sub_u32_e32 v13, 29, v13
	v_and_b32_e32 v6, 7, v6
	v_cmp_eq_u16_e32 vcc, 0, v12
	v_cndmask_b32_e32 v2, v2, v6, vcc
	v_cndmask_b32_e32 v6, v12, v13, vcc
	v_lshlrev_b32_e32 v12, 16, v7
	v_mov_b32_e32 v13, 0x3b800000
	v_lshlrev_b32_e32 v2, 20, v2
	v_and_b32_e32 v12, 0x80000000, v12
	v_lshl_add_u32 v6, v6, 23, v13
	v_or3_b32 v2, v12, v6, v2
.LBB2_5036:
	s_or_b64 exec, exec, s[6:7]
	v_lshrrev_b32_e32 v6, 8, v3
	s_movk_i32 s4, 0x7f
	v_cmp_gt_i16_sdwa s[6:7], v6, s4 src0_sel:BYTE_0 src1_sel:DWORD
	s_mov_b64 s[4:5], 0
                                        ; implicit-def: $sgpr10
	s_and_saveexec_b64 s[8:9], s[6:7]
	s_xor_b64 s[6:7], exec, s[8:9]
	s_cbranch_execz .LBB2_5037
; %bb.40877:
	s_getpc_b64 s[14:15]
.Lpost_getpc24022:
	s_add_u32 s14, s14, (.LBB2_19373-.Lpost_getpc24022)&4294967295
	s_addc_u32 s15, s15, (.LBB2_19373-.Lpost_getpc24022)>>32
	s_setpc_b64 s[14:15]
.LBB2_5037:
	s_or_saveexec_b64 s[6:7], s[6:7]
	v_mov_b32_e32 v12, s10
	s_xor_b64 exec, exec, s[6:7]
	s_cbranch_execz .LBB2_5038
; %bb.40879:
	s_getpc_b64 s[14:15]
.Lpost_getpc24023:
	s_add_u32 s14, s14, (.LBB2_19376-.Lpost_getpc24023)&4294967295
	s_addc_u32 s15, s15, (.LBB2_19376-.Lpost_getpc24023)>>32
	s_setpc_b64 s[14:15]
.LBB2_5038:
	s_or_b64 exec, exec, s[6:7]
	s_and_saveexec_b64 s[6:7], s[4:5]
	s_cbranch_execz .LBB2_5040
.LBB2_5039:
	v_bfe_u32 v12, v3, 8, 3
	v_ffbh_u32_e32 v14, v12
	v_min_u32_e32 v14, 32, v14
	v_lshrrev_b16_e32 v13, 3, v6
	v_subrev_u32_e32 v15, 28, v14
	v_and_b32_e32 v13, 15, v13
	v_lshlrev_b32_e32 v6, v15, v6
	v_sub_u32_e32 v14, 29, v14
	v_and_b32_e32 v6, 7, v6
	v_cmp_eq_u16_e32 vcc, 0, v13
	v_cndmask_b32_e32 v6, v12, v6, vcc
	v_cndmask_b32_e32 v12, v13, v14, vcc
	v_lshlrev_b32_e32 v13, 16, v3
	v_mov_b32_e32 v14, 0x3b800000
	v_lshlrev_b32_e32 v6, 20, v6
	v_and_b32_e32 v13, 0x80000000, v13
	v_lshl_add_u32 v12, v12, 23, v14
	v_or3_b32 v12, v13, v12, v6
.LBB2_5040:
	s_or_b64 exec, exec, s[6:7]
	s_nop 0
	v_mfma_f32_16x16x4f32 a[0:3], v2, v12, a[0:3]
	s_movk_i32 s4, 0xff
	v_and_b32_sdwa v6, v7, s4 dst_sel:DWORD dst_unused:UNUSED_PAD src0_sel:WORD_1 src1_sel:DWORD
	s_movk_i32 s4, 0x7f
	v_cmp_lt_i16_e32 vcc, s4, v6
	s_mov_b64 s[4:5], 0
                                        ; implicit-def: $sgpr10
	s_and_saveexec_b64 s[6:7], vcc
	s_xor_b64 s[6:7], exec, s[6:7]
	s_cbranch_execz .LBB2_5041
; %bb.40881:
	s_getpc_b64 s[14:15]
.Lpost_getpc24024:
	s_add_u32 s14, s14, (.LBB2_19377-.Lpost_getpc24024)&4294967295
	s_addc_u32 s15, s15, (.LBB2_19377-.Lpost_getpc24024)>>32
	s_setpc_b64 s[14:15]
.LBB2_5041:
	s_or_saveexec_b64 s[6:7], s[6:7]
	v_mov_b32_e32 v2, s10
	s_xor_b64 exec, exec, s[6:7]
	s_cbranch_execz .LBB2_5042
; %bb.40883:
	s_getpc_b64 s[14:15]
.Lpost_getpc24025:
	s_add_u32 s14, s14, (.LBB2_19380-.Lpost_getpc24025)&4294967295
	s_addc_u32 s15, s15, (.LBB2_19380-.Lpost_getpc24025)>>32
	s_setpc_b64 s[14:15]
.LBB2_5042:
	s_or_b64 exec, exec, s[6:7]
	s_and_saveexec_b64 s[6:7], s[4:5]
	s_cbranch_execz .LBB2_5044
.LBB2_5043:
	v_bfe_u32 v2, v7, 16, 3
	v_ffbh_u32_e32 v13, v2
	v_min_u32_e32 v13, 32, v13
	v_lshrrev_b32_e32 v6, 19, v7
	v_subrev_u32_e32 v14, 28, v13
	v_and_b32_e32 v6, 15, v6
	v_lshlrev_b32_sdwa v14, v14, v7 dst_sel:DWORD dst_unused:UNUSED_PAD src0_sel:DWORD src1_sel:WORD_1
	v_bfe_u32 v12, v7, 19, 4
	v_sub_u32_e32 v13, 29, v13
	v_and_b32_e32 v14, 7, v14
	v_cmp_eq_u16_e32 vcc, 0, v6
	v_cndmask_b32_e32 v2, v2, v14, vcc
	v_cndmask_b32_e32 v6, v12, v13, vcc
	v_lshlrev_b32_e32 v12, 8, v7
	v_mov_b32_e32 v13, 0x3b800000
	v_lshlrev_b32_e32 v2, 20, v2
	v_and_b32_e32 v12, 0x80000000, v12
	v_lshl_add_u32 v6, v6, 23, v13
	v_or3_b32 v2, v12, v6, v2
.LBB2_5044:
	s_or_b64 exec, exec, s[6:7]
	s_movk_i32 s4, 0xff
	v_and_b32_sdwa v6, v3, s4 dst_sel:DWORD dst_unused:UNUSED_PAD src0_sel:WORD_1 src1_sel:DWORD
	s_movk_i32 s4, 0x7f
	v_cmp_lt_i16_e32 vcc, s4, v6
	s_mov_b64 s[4:5], 0
                                        ; implicit-def: $sgpr10
	s_and_saveexec_b64 s[6:7], vcc
	s_xor_b64 s[6:7], exec, s[6:7]
	s_cbranch_execz .LBB2_5045
; %bb.40885:
	s_getpc_b64 s[14:15]
.Lpost_getpc24026:
	s_add_u32 s14, s14, (.LBB2_19381-.Lpost_getpc24026)&4294967295
	s_addc_u32 s15, s15, (.LBB2_19381-.Lpost_getpc24026)>>32
	s_setpc_b64 s[14:15]
.LBB2_5045:
	s_or_saveexec_b64 s[6:7], s[6:7]
	v_mov_b32_e32 v12, s10
	s_xor_b64 exec, exec, s[6:7]
	s_cbranch_execz .LBB2_5046
; %bb.40887:
	s_getpc_b64 s[14:15]
.Lpost_getpc24027:
	s_add_u32 s14, s14, (.LBB2_19384-.Lpost_getpc24027)&4294967295
	s_addc_u32 s15, s15, (.LBB2_19384-.Lpost_getpc24027)>>32
	s_setpc_b64 s[14:15]
.LBB2_5046:
	s_or_b64 exec, exec, s[6:7]
	s_and_saveexec_b64 s[6:7], s[4:5]
	s_cbranch_execz .LBB2_5048
.LBB2_5047:
	v_bfe_u32 v6, v3, 16, 3
	v_ffbh_u32_e32 v14, v6
	v_min_u32_e32 v14, 32, v14
	v_lshrrev_b32_e32 v12, 19, v3
	v_subrev_u32_e32 v15, 28, v14
	v_and_b32_e32 v12, 15, v12
	v_lshlrev_b32_sdwa v15, v15, v3 dst_sel:DWORD dst_unused:UNUSED_PAD src0_sel:DWORD src1_sel:WORD_1
	v_bfe_u32 v13, v3, 19, 4
	v_sub_u32_e32 v14, 29, v14
	v_and_b32_e32 v15, 7, v15
	v_cmp_eq_u16_e32 vcc, 0, v12
	v_cndmask_b32_e32 v6, v6, v15, vcc
	v_cndmask_b32_e32 v12, v13, v14, vcc
	v_lshlrev_b32_e32 v13, 8, v3
	v_mov_b32_e32 v14, 0x3b800000
	v_lshlrev_b32_e32 v6, 20, v6
	v_and_b32_e32 v13, 0x80000000, v13
	v_lshl_add_u32 v12, v12, 23, v14
	v_or3_b32 v12, v13, v12, v6
.LBB2_5048:
	s_or_b64 exec, exec, s[6:7]
	s_nop 0
	v_mfma_f32_16x16x4f32 a[0:3], v2, v12, a[0:3]
	s_movk_i32 s4, 0x7f
	v_cmp_gt_i16_sdwa s[6:7], v7, s4 src0_sel:BYTE_3 src1_sel:DWORD
	s_mov_b64 s[4:5], 0
                                        ; implicit-def: $sgpr10
	s_and_saveexec_b64 s[8:9], s[6:7]
	s_xor_b64 s[6:7], exec, s[8:9]
	s_cbranch_execz .LBB2_5049
; %bb.40889:
	s_getpc_b64 s[14:15]
.Lpost_getpc24028:
	s_add_u32 s14, s14, (.LBB2_19385-.Lpost_getpc24028)&4294967295
	s_addc_u32 s15, s15, (.LBB2_19385-.Lpost_getpc24028)>>32
	s_setpc_b64 s[14:15]
.LBB2_5049:
	s_or_saveexec_b64 s[6:7], s[6:7]
	v_mov_b32_e32 v2, s10
	s_xor_b64 exec, exec, s[6:7]
	s_cbranch_execz .LBB2_5050
; %bb.40891:
	s_getpc_b64 s[14:15]
.Lpost_getpc24029:
	s_add_u32 s14, s14, (.LBB2_19388-.Lpost_getpc24029)&4294967295
	s_addc_u32 s15, s15, (.LBB2_19388-.Lpost_getpc24029)>>32
	s_setpc_b64 s[14:15]
.LBB2_5050:
	s_or_b64 exec, exec, s[6:7]
	s_and_saveexec_b64 s[6:7], s[4:5]
	s_cbranch_execz .LBB2_5052
.LBB2_5051:
	v_bfe_u32 v2, v7, 24, 3
	v_ffbh_u32_e32 v14, v2
	v_min_u32_e32 v14, 32, v14
	v_lshrrev_b32_e32 v12, 27, v7
	v_subrev_u32_e32 v15, 28, v14
	v_and_b32_e32 v6, 0x80000000, v7
	v_and_b32_e32 v12, 15, v12
	v_bfe_u32 v13, v7, 27, 4
	v_lshlrev_b32_sdwa v7, v15, v7 dst_sel:DWORD dst_unused:UNUSED_PAD src0_sel:DWORD src1_sel:BYTE_3
	v_sub_u32_e32 v14, 29, v14
	v_and_b32_e32 v7, 7, v7
	v_cmp_eq_u16_e32 vcc, 0, v12
	v_cndmask_b32_e32 v2, v2, v7, vcc
	v_cndmask_b32_e32 v7, v13, v14, vcc
	v_mov_b32_e32 v12, 0x3b800000
	v_lshlrev_b32_e32 v2, 20, v2
	v_lshl_add_u32 v7, v7, 23, v12
	v_or3_b32 v2, v6, v7, v2
.LBB2_5052:
	s_or_b64 exec, exec, s[6:7]
	s_movk_i32 s4, 0x7f
	v_cmp_gt_i16_sdwa s[6:7], v3, s4 src0_sel:BYTE_3 src1_sel:DWORD
	s_mov_b64 s[4:5], 0
                                        ; implicit-def: $sgpr10
	s_and_saveexec_b64 s[8:9], s[6:7]
	s_xor_b64 s[6:7], exec, s[8:9]
	s_cbranch_execz .LBB2_5053
; %bb.40893:
	s_getpc_b64 s[14:15]
.Lpost_getpc24030:
	s_add_u32 s14, s14, (.LBB2_19389-.Lpost_getpc24030)&4294967295
	s_addc_u32 s15, s15, (.LBB2_19389-.Lpost_getpc24030)>>32
	s_setpc_b64 s[14:15]
.LBB2_5053:
	s_or_saveexec_b64 s[6:7], s[6:7]
	v_mov_b32_e32 v6, s10
	s_xor_b64 exec, exec, s[6:7]
	s_cbranch_execz .LBB2_5054
; %bb.40895:
	s_getpc_b64 s[14:15]
.Lpost_getpc24031:
	s_add_u32 s14, s14, (.LBB2_19392-.Lpost_getpc24031)&4294967295
	s_addc_u32 s15, s15, (.LBB2_19392-.Lpost_getpc24031)>>32
	s_setpc_b64 s[14:15]
.LBB2_5054:
	s_or_b64 exec, exec, s[6:7]
	s_and_saveexec_b64 s[6:7], s[4:5]
	s_cbranch_execz .LBB2_5056
.LBB2_5055:
	v_bfe_u32 v6, v3, 24, 3
	v_ffbh_u32_e32 v14, v6
	v_min_u32_e32 v14, 32, v14
	v_lshrrev_b32_e32 v12, 27, v3
	v_subrev_u32_e32 v15, 28, v14
	v_and_b32_e32 v7, 0x80000000, v3
	v_and_b32_e32 v12, 15, v12
	v_bfe_u32 v13, v3, 27, 4
	v_lshlrev_b32_sdwa v3, v15, v3 dst_sel:DWORD dst_unused:UNUSED_PAD src0_sel:DWORD src1_sel:BYTE_3
	v_sub_u32_e32 v14, 29, v14
	v_and_b32_e32 v3, 7, v3
	v_cmp_eq_u16_e32 vcc, 0, v12
	v_cndmask_b32_e32 v3, v6, v3, vcc
	v_cndmask_b32_e32 v6, v13, v14, vcc
	v_mov_b32_e32 v12, 0x3b800000
	v_lshlrev_b32_e32 v3, 20, v3
	v_lshl_add_u32 v6, v6, 23, v12
	v_or3_b32 v6, v7, v6, v3
.LBB2_5056:
	s_or_b64 exec, exec, s[6:7]
	s_nop 0
	v_mfma_f32_16x16x4f32 a[0:3], v2, v6, a[0:3]
	s_movk_i32 s4, 0x7f
	v_cmp_gt_i16_sdwa s[6:7], v8, s4 src0_sel:BYTE_0 src1_sel:DWORD
	s_mov_b64 s[4:5], 0
                                        ; implicit-def: $sgpr10
	s_and_saveexec_b64 s[8:9], s[6:7]
	s_xor_b64 s[6:7], exec, s[8:9]
	s_cbranch_execz .LBB2_5057
; %bb.40897:
	s_getpc_b64 s[14:15]
.Lpost_getpc24032:
	s_add_u32 s14, s14, (.LBB2_19393-.Lpost_getpc24032)&4294967295
	s_addc_u32 s15, s15, (.LBB2_19393-.Lpost_getpc24032)>>32
	s_setpc_b64 s[14:15]
.LBB2_5057:
	s_or_saveexec_b64 s[6:7], s[6:7]
	v_mov_b32_e32 v2, s10
	s_xor_b64 exec, exec, s[6:7]
	s_cbranch_execz .LBB2_5058
; %bb.40899:
	s_getpc_b64 s[14:15]
.Lpost_getpc24033:
	s_add_u32 s14, s14, (.LBB2_19396-.Lpost_getpc24033)&4294967295
	s_addc_u32 s15, s15, (.LBB2_19396-.Lpost_getpc24033)>>32
	s_setpc_b64 s[14:15]
.LBB2_5058:
	s_or_b64 exec, exec, s[6:7]
	s_and_saveexec_b64 s[6:7], s[4:5]
	s_cbranch_execz .LBB2_5060
.LBB2_5059:
	v_and_b32_e32 v2, 7, v8
	v_ffbh_u32_e32 v6, v2
	v_min_u32_e32 v6, 32, v6
	v_lshrrev_b16_e32 v3, 3, v8
	v_subrev_u32_e32 v7, 28, v6
	v_and_b32_e32 v3, 15, v3
	v_lshlrev_b32_e32 v7, v7, v8
	v_sub_u32_e32 v6, 29, v6
	v_and_b32_e32 v7, 7, v7
	v_cmp_eq_u16_e32 vcc, 0, v3
	v_cndmask_b32_e32 v2, v2, v7, vcc
	v_cndmask_b32_e32 v3, v3, v6, vcc
	v_lshlrev_b32_e32 v6, 24, v8
	v_mov_b32_e32 v7, 0x3b800000
	v_lshlrev_b32_e32 v2, 20, v2
	v_and_b32_e32 v6, 0x80000000, v6
	v_lshl_add_u32 v3, v3, 23, v7
	v_or3_b32 v2, v6, v3, v2
.LBB2_5060:
	s_or_b64 exec, exec, s[6:7]
	s_movk_i32 s4, 0x7f
	v_cmp_gt_i16_sdwa s[6:7], v4, s4 src0_sel:BYTE_0 src1_sel:DWORD
	s_mov_b64 s[4:5], 0
                                        ; implicit-def: $sgpr10
	s_and_saveexec_b64 s[8:9], s[6:7]
	s_xor_b64 s[6:7], exec, s[8:9]
	s_cbranch_execz .LBB2_5061
; %bb.40901:
	s_getpc_b64 s[14:15]
.Lpost_getpc24034:
	s_add_u32 s14, s14, (.LBB2_19397-.Lpost_getpc24034)&4294967295
	s_addc_u32 s15, s15, (.LBB2_19397-.Lpost_getpc24034)>>32
	s_setpc_b64 s[14:15]
.LBB2_5061:
	s_or_saveexec_b64 s[6:7], s[6:7]
	v_mov_b32_e32 v3, s10
	s_xor_b64 exec, exec, s[6:7]
	s_cbranch_execz .LBB2_5062
; %bb.40903:
	s_getpc_b64 s[14:15]
.Lpost_getpc24035:
	s_add_u32 s14, s14, (.LBB2_19400-.Lpost_getpc24035)&4294967295
	s_addc_u32 s15, s15, (.LBB2_19400-.Lpost_getpc24035)>>32
	s_setpc_b64 s[14:15]
.LBB2_5062:
	s_or_b64 exec, exec, s[6:7]
	s_and_saveexec_b64 s[6:7], s[4:5]
	s_cbranch_execz .LBB2_5064
.LBB2_5063:
	v_and_b32_e32 v3, 7, v4
	v_ffbh_u32_e32 v7, v3
	v_min_u32_e32 v7, 32, v7
	v_lshrrev_b16_e32 v6, 3, v4
	v_subrev_u32_e32 v12, 28, v7
	v_and_b32_e32 v6, 15, v6
	v_lshlrev_b32_e32 v12, v12, v4
	v_sub_u32_e32 v7, 29, v7
	v_and_b32_e32 v12, 7, v12
	v_cmp_eq_u16_e32 vcc, 0, v6
	v_cndmask_b32_e32 v3, v3, v12, vcc
	v_cndmask_b32_e32 v6, v6, v7, vcc
	v_lshlrev_b32_e32 v7, 24, v4
	v_mov_b32_e32 v12, 0x3b800000
	v_lshlrev_b32_e32 v3, 20, v3
	v_and_b32_e32 v7, 0x80000000, v7
	v_lshl_add_u32 v6, v6, 23, v12
	v_or3_b32 v3, v7, v6, v3
.LBB2_5064:
	s_or_b64 exec, exec, s[6:7]
	s_nop 0
	v_mfma_f32_16x16x4f32 a[0:3], v2, v3, a[0:3]
	v_lshrrev_b32_e32 v3, 8, v8
	s_movk_i32 s4, 0x7f
	v_cmp_gt_i16_sdwa s[6:7], v3, s4 src0_sel:BYTE_0 src1_sel:DWORD
	s_mov_b64 s[4:5], 0
                                        ; implicit-def: $sgpr10
	s_and_saveexec_b64 s[8:9], s[6:7]
	s_xor_b64 s[6:7], exec, s[8:9]
	s_cbranch_execz .LBB2_5065
; %bb.40905:
	s_getpc_b64 s[14:15]
.Lpost_getpc24036:
	s_add_u32 s14, s14, (.LBB2_19401-.Lpost_getpc24036)&4294967295
	s_addc_u32 s15, s15, (.LBB2_19401-.Lpost_getpc24036)>>32
	s_setpc_b64 s[14:15]
.LBB2_5065:
	s_or_saveexec_b64 s[6:7], s[6:7]
	v_mov_b32_e32 v2, s10
	s_xor_b64 exec, exec, s[6:7]
	s_cbranch_execz .LBB2_5066
; %bb.40907:
	s_getpc_b64 s[14:15]
.Lpost_getpc24037:
	s_add_u32 s14, s14, (.LBB2_19404-.Lpost_getpc24037)&4294967295
	s_addc_u32 s15, s15, (.LBB2_19404-.Lpost_getpc24037)>>32
	s_setpc_b64 s[14:15]
.LBB2_5066:
	s_or_b64 exec, exec, s[6:7]
	s_and_saveexec_b64 s[6:7], s[4:5]
	s_cbranch_execz .LBB2_5068
.LBB2_5067:
	v_bfe_u32 v2, v8, 8, 3
	v_ffbh_u32_e32 v7, v2
	v_min_u32_e32 v7, 32, v7
	v_lshrrev_b16_e32 v6, 3, v3
	v_subrev_u32_e32 v12, 28, v7
	v_and_b32_e32 v6, 15, v6
	v_lshlrev_b32_e32 v3, v12, v3
	v_sub_u32_e32 v7, 29, v7
	v_and_b32_e32 v3, 7, v3
	v_cmp_eq_u16_e32 vcc, 0, v6
	v_cndmask_b32_e32 v2, v2, v3, vcc
	v_cndmask_b32_e32 v3, v6, v7, vcc
	v_lshlrev_b32_e32 v6, 16, v8
	v_mov_b32_e32 v7, 0x3b800000
	v_lshlrev_b32_e32 v2, 20, v2
	v_and_b32_e32 v6, 0x80000000, v6
	v_lshl_add_u32 v3, v3, 23, v7
	v_or3_b32 v2, v6, v3, v2
.LBB2_5068:
	s_or_b64 exec, exec, s[6:7]
	v_lshrrev_b32_e32 v3, 8, v4
	s_movk_i32 s4, 0x7f
	v_cmp_gt_i16_sdwa s[6:7], v3, s4 src0_sel:BYTE_0 src1_sel:DWORD
	s_mov_b64 s[4:5], 0
                                        ; implicit-def: $sgpr10
	s_and_saveexec_b64 s[8:9], s[6:7]
	s_xor_b64 s[6:7], exec, s[8:9]
	s_cbranch_execz .LBB2_5069
; %bb.40909:
	s_getpc_b64 s[14:15]
.Lpost_getpc24038:
	s_add_u32 s14, s14, (.LBB2_19405-.Lpost_getpc24038)&4294967295
	s_addc_u32 s15, s15, (.LBB2_19405-.Lpost_getpc24038)>>32
	s_setpc_b64 s[14:15]
.LBB2_5069:
	s_or_saveexec_b64 s[6:7], s[6:7]
	v_mov_b32_e32 v6, s10
	s_xor_b64 exec, exec, s[6:7]
	s_cbranch_execz .LBB2_5070
; %bb.40911:
	s_getpc_b64 s[14:15]
.Lpost_getpc24039:
	s_add_u32 s14, s14, (.LBB2_19408-.Lpost_getpc24039)&4294967295
	s_addc_u32 s15, s15, (.LBB2_19408-.Lpost_getpc24039)>>32
	s_setpc_b64 s[14:15]
.LBB2_5070:
	s_or_b64 exec, exec, s[6:7]
	s_and_saveexec_b64 s[6:7], s[4:5]
	s_cbranch_execz .LBB2_5072
.LBB2_5071:
	v_bfe_u32 v6, v4, 8, 3
	v_ffbh_u32_e32 v12, v6
	v_min_u32_e32 v12, 32, v12
	v_lshrrev_b16_e32 v7, 3, v3
	v_subrev_u32_e32 v13, 28, v12
	v_and_b32_e32 v7, 15, v7
	v_lshlrev_b32_e32 v3, v13, v3
	v_sub_u32_e32 v12, 29, v12
	v_and_b32_e32 v3, 7, v3
	v_cmp_eq_u16_e32 vcc, 0, v7
	v_cndmask_b32_e32 v3, v6, v3, vcc
	v_cndmask_b32_e32 v6, v7, v12, vcc
	v_lshlrev_b32_e32 v7, 16, v4
	v_mov_b32_e32 v12, 0x3b800000
	v_lshlrev_b32_e32 v3, 20, v3
	v_and_b32_e32 v7, 0x80000000, v7
	v_lshl_add_u32 v6, v6, 23, v12
	v_or3_b32 v6, v7, v6, v3
.LBB2_5072:
	s_or_b64 exec, exec, s[6:7]
	s_nop 0
	v_mfma_f32_16x16x4f32 a[0:3], v2, v6, a[0:3]
	s_movk_i32 s4, 0xff
	v_and_b32_sdwa v3, v8, s4 dst_sel:DWORD dst_unused:UNUSED_PAD src0_sel:WORD_1 src1_sel:DWORD
	s_movk_i32 s4, 0x7f
	v_cmp_lt_i16_e32 vcc, s4, v3
	s_mov_b64 s[4:5], 0
                                        ; implicit-def: $sgpr10
	s_and_saveexec_b64 s[6:7], vcc
	s_xor_b64 s[6:7], exec, s[6:7]
	s_cbranch_execz .LBB2_5073
; %bb.40913:
	s_getpc_b64 s[14:15]
.Lpost_getpc24040:
	s_add_u32 s14, s14, (.LBB2_19409-.Lpost_getpc24040)&4294967295
	s_addc_u32 s15, s15, (.LBB2_19409-.Lpost_getpc24040)>>32
	s_setpc_b64 s[14:15]
.LBB2_5073:
	s_or_saveexec_b64 s[6:7], s[6:7]
	v_mov_b32_e32 v2, s10
	s_xor_b64 exec, exec, s[6:7]
	s_cbranch_execz .LBB2_5074
; %bb.40915:
	s_getpc_b64 s[14:15]
.Lpost_getpc24041:
	s_add_u32 s14, s14, (.LBB2_19412-.Lpost_getpc24041)&4294967295
	s_addc_u32 s15, s15, (.LBB2_19412-.Lpost_getpc24041)>>32
	s_setpc_b64 s[14:15]
.LBB2_5074:
	s_or_b64 exec, exec, s[6:7]
	s_and_saveexec_b64 s[6:7], s[4:5]
	s_cbranch_execz .LBB2_5076
.LBB2_5075:
	v_bfe_u32 v2, v8, 16, 3
	v_ffbh_u32_e32 v7, v2
	v_min_u32_e32 v7, 32, v7
	v_lshrrev_b32_e32 v3, 19, v8
	v_subrev_u32_e32 v12, 28, v7
	v_and_b32_e32 v3, 15, v3
	v_lshlrev_b32_sdwa v12, v12, v8 dst_sel:DWORD dst_unused:UNUSED_PAD src0_sel:DWORD src1_sel:WORD_1
	v_bfe_u32 v6, v8, 19, 4
	v_sub_u32_e32 v7, 29, v7
	v_and_b32_e32 v12, 7, v12
	v_cmp_eq_u16_e32 vcc, 0, v3
	v_cndmask_b32_e32 v2, v2, v12, vcc
	v_cndmask_b32_e32 v3, v6, v7, vcc
	v_lshlrev_b32_e32 v6, 8, v8
	v_mov_b32_e32 v7, 0x3b800000
	v_lshlrev_b32_e32 v2, 20, v2
	v_and_b32_e32 v6, 0x80000000, v6
	v_lshl_add_u32 v3, v3, 23, v7
	v_or3_b32 v2, v6, v3, v2
.LBB2_5076:
	s_or_b64 exec, exec, s[6:7]
	s_movk_i32 s4, 0xff
	v_and_b32_sdwa v3, v4, s4 dst_sel:DWORD dst_unused:UNUSED_PAD src0_sel:WORD_1 src1_sel:DWORD
	s_movk_i32 s4, 0x7f
	v_cmp_lt_i16_e32 vcc, s4, v3
	s_mov_b64 s[4:5], 0
                                        ; implicit-def: $sgpr10
	s_and_saveexec_b64 s[6:7], vcc
	s_xor_b64 s[6:7], exec, s[6:7]
	s_cbranch_execz .LBB2_5077
; %bb.40917:
	s_getpc_b64 s[14:15]
.Lpost_getpc24042:
	s_add_u32 s14, s14, (.LBB2_19413-.Lpost_getpc24042)&4294967295
	s_addc_u32 s15, s15, (.LBB2_19413-.Lpost_getpc24042)>>32
	s_setpc_b64 s[14:15]
.LBB2_5077:
	s_or_saveexec_b64 s[6:7], s[6:7]
	v_mov_b32_e32 v6, s10
	s_xor_b64 exec, exec, s[6:7]
	s_cbranch_execz .LBB2_5078
; %bb.40919:
	s_getpc_b64 s[14:15]
.Lpost_getpc24043:
	s_add_u32 s14, s14, (.LBB2_19416-.Lpost_getpc24043)&4294967295
	s_addc_u32 s15, s15, (.LBB2_19416-.Lpost_getpc24043)>>32
	s_setpc_b64 s[14:15]
.LBB2_5078:
	s_or_b64 exec, exec, s[6:7]
	s_and_saveexec_b64 s[6:7], s[4:5]
	s_cbranch_execz .LBB2_5080
.LBB2_5079:
	v_bfe_u32 v3, v4, 16, 3
	v_ffbh_u32_e32 v12, v3
	v_min_u32_e32 v12, 32, v12
	v_lshrrev_b32_e32 v6, 19, v4
	v_subrev_u32_e32 v13, 28, v12
	v_and_b32_e32 v6, 15, v6
	v_lshlrev_b32_sdwa v13, v13, v4 dst_sel:DWORD dst_unused:UNUSED_PAD src0_sel:DWORD src1_sel:WORD_1
	v_bfe_u32 v7, v4, 19, 4
	v_sub_u32_e32 v12, 29, v12
	v_and_b32_e32 v13, 7, v13
	v_cmp_eq_u16_e32 vcc, 0, v6
	v_cndmask_b32_e32 v3, v3, v13, vcc
	v_cndmask_b32_e32 v6, v7, v12, vcc
	v_lshlrev_b32_e32 v7, 8, v4
	v_mov_b32_e32 v12, 0x3b800000
	v_lshlrev_b32_e32 v3, 20, v3
	v_and_b32_e32 v7, 0x80000000, v7
	v_lshl_add_u32 v6, v6, 23, v12
	v_or3_b32 v6, v7, v6, v3
.LBB2_5080:
	s_or_b64 exec, exec, s[6:7]
	s_nop 0
	v_mfma_f32_16x16x4f32 a[0:3], v2, v6, a[0:3]
	s_movk_i32 s4, 0x7f
	v_cmp_gt_i16_sdwa s[6:7], v8, s4 src0_sel:BYTE_3 src1_sel:DWORD
	s_mov_b64 s[4:5], 0
                                        ; implicit-def: $sgpr10
	s_and_saveexec_b64 s[8:9], s[6:7]
	s_xor_b64 s[6:7], exec, s[8:9]
	s_cbranch_execz .LBB2_5081
; %bb.40921:
	s_getpc_b64 s[14:15]
.Lpost_getpc24044:
	s_add_u32 s14, s14, (.LBB2_19417-.Lpost_getpc24044)&4294967295
	s_addc_u32 s15, s15, (.LBB2_19417-.Lpost_getpc24044)>>32
	s_setpc_b64 s[14:15]
.LBB2_5081:
	s_or_saveexec_b64 s[6:7], s[6:7]
	v_mov_b32_e32 v2, s10
	s_xor_b64 exec, exec, s[6:7]
	s_cbranch_execz .LBB2_5082
; %bb.40923:
	s_getpc_b64 s[14:15]
.Lpost_getpc24045:
	s_add_u32 s14, s14, (.LBB2_19420-.Lpost_getpc24045)&4294967295
	s_addc_u32 s15, s15, (.LBB2_19420-.Lpost_getpc24045)>>32
	s_setpc_b64 s[14:15]
.LBB2_5082:
	s_or_b64 exec, exec, s[6:7]
	s_and_saveexec_b64 s[6:7], s[4:5]
	s_cbranch_execz .LBB2_5084
.LBB2_5083:
	v_bfe_u32 v2, v8, 24, 3
	v_ffbh_u32_e32 v12, v2
	v_min_u32_e32 v12, 32, v12
	v_lshrrev_b32_e32 v6, 27, v8
	v_subrev_u32_e32 v13, 28, v12
	v_and_b32_e32 v3, 0x80000000, v8
	v_and_b32_e32 v6, 15, v6
	v_bfe_u32 v7, v8, 27, 4
	v_lshlrev_b32_sdwa v8, v13, v8 dst_sel:DWORD dst_unused:UNUSED_PAD src0_sel:DWORD src1_sel:BYTE_3
	v_sub_u32_e32 v12, 29, v12
	v_and_b32_e32 v8, 7, v8
	v_cmp_eq_u16_e32 vcc, 0, v6
	v_cndmask_b32_e32 v2, v2, v8, vcc
	v_cndmask_b32_e32 v6, v7, v12, vcc
	v_mov_b32_e32 v7, 0x3b800000
	v_lshlrev_b32_e32 v2, 20, v2
	v_lshl_add_u32 v6, v6, 23, v7
	v_or3_b32 v2, v3, v6, v2
.LBB2_5084:
	s_or_b64 exec, exec, s[6:7]
	s_movk_i32 s4, 0x7f
	v_cmp_gt_i16_sdwa s[6:7], v4, s4 src0_sel:BYTE_3 src1_sel:DWORD
	s_mov_b64 s[4:5], 0
                                        ; implicit-def: $sgpr10
	s_and_saveexec_b64 s[8:9], s[6:7]
	s_xor_b64 s[6:7], exec, s[8:9]
	s_cbranch_execz .LBB2_5085
; %bb.40925:
	s_getpc_b64 s[14:15]
.Lpost_getpc24046:
	s_add_u32 s14, s14, (.LBB2_19421-.Lpost_getpc24046)&4294967295
	s_addc_u32 s15, s15, (.LBB2_19421-.Lpost_getpc24046)>>32
	s_setpc_b64 s[14:15]
.LBB2_5085:
	s_or_saveexec_b64 s[6:7], s[6:7]
	v_mov_b32_e32 v3, s10
	s_xor_b64 exec, exec, s[6:7]
	s_cbranch_execz .LBB2_5086
; %bb.40927:
	s_getpc_b64 s[14:15]
.Lpost_getpc24047:
	s_add_u32 s14, s14, (.LBB2_19424-.Lpost_getpc24047)&4294967295
	s_addc_u32 s15, s15, (.LBB2_19424-.Lpost_getpc24047)>>32
	s_setpc_b64 s[14:15]
.LBB2_5086:
	s_or_b64 exec, exec, s[6:7]
	s_and_saveexec_b64 s[6:7], s[4:5]
	s_cbranch_execz .LBB2_5088
.LBB2_5087:
	v_bfe_u32 v3, v4, 24, 3
	v_ffbh_u32_e32 v12, v3
	v_min_u32_e32 v12, 32, v12
	v_lshrrev_b32_e32 v7, 27, v4
	v_subrev_u32_e32 v13, 28, v12
	v_and_b32_e32 v6, 0x80000000, v4
	v_and_b32_e32 v7, 15, v7
	v_bfe_u32 v8, v4, 27, 4
	v_lshlrev_b32_sdwa v4, v13, v4 dst_sel:DWORD dst_unused:UNUSED_PAD src0_sel:DWORD src1_sel:BYTE_3
	v_sub_u32_e32 v12, 29, v12
	v_and_b32_e32 v4, 7, v4
	v_cmp_eq_u16_e32 vcc, 0, v7
	v_cndmask_b32_e32 v3, v3, v4, vcc
	v_cndmask_b32_e32 v4, v8, v12, vcc
	v_mov_b32_e32 v7, 0x3b800000
	v_lshlrev_b32_e32 v3, 20, v3
	v_lshl_add_u32 v4, v4, 23, v7
	v_or3_b32 v3, v6, v4, v3
.LBB2_5088:
	s_or_b64 exec, exec, s[6:7]
	s_nop 0
	v_mfma_f32_16x16x4f32 a[0:3], v2, v3, a[0:3]
	s_movk_i32 s4, 0x7f
	v_cmp_gt_i16_sdwa s[6:7], v9, s4 src0_sel:BYTE_0 src1_sel:DWORD
	s_mov_b64 s[4:5], 0
                                        ; implicit-def: $sgpr10
	s_and_saveexec_b64 s[8:9], s[6:7]
	s_xor_b64 s[6:7], exec, s[8:9]
	s_cbranch_execz .LBB2_5089
; %bb.40929:
	s_getpc_b64 s[14:15]
.Lpost_getpc24048:
	s_add_u32 s14, s14, (.LBB2_19425-.Lpost_getpc24048)&4294967295
	s_addc_u32 s15, s15, (.LBB2_19425-.Lpost_getpc24048)>>32
	s_setpc_b64 s[14:15]
.LBB2_5089:
	s_or_saveexec_b64 s[6:7], s[6:7]
	v_mov_b32_e32 v2, s10
	s_xor_b64 exec, exec, s[6:7]
	s_cbranch_execz .LBB2_5090
; %bb.40931:
	s_getpc_b64 s[14:15]
.Lpost_getpc24049:
	s_add_u32 s14, s14, (.LBB2_19428-.Lpost_getpc24049)&4294967295
	s_addc_u32 s15, s15, (.LBB2_19428-.Lpost_getpc24049)>>32
	s_setpc_b64 s[14:15]
.LBB2_5090:
	s_or_b64 exec, exec, s[6:7]
	s_and_saveexec_b64 s[6:7], s[4:5]
	s_cbranch_execz .LBB2_5092
.LBB2_5091:
	v_mov_b32_e32 v2, 8
	v_and_b32_e32 v3, 7, v9
	v_lshrrev_b32_sdwa v2, v2, v9 dst_sel:BYTE_1 dst_unused:UNUSED_PAD src0_sel:DWORD src1_sel:DWORD
	v_ffbh_u32_e32 v4, v3
	v_or_b32_sdwa v2, v9, v2 dst_sel:DWORD dst_unused:UNUSED_PAD src0_sel:BYTE_0 src1_sel:DWORD
	v_min_u32_e32 v4, 32, v4
	v_lshrrev_b16_e32 v2, 3, v2
	v_subrev_u32_e32 v6, 28, v4
	v_and_b32_e32 v2, 15, v2
	v_lshlrev_b32_e32 v6, v6, v9
	v_sub_u32_e32 v4, 29, v4
	v_and_b32_e32 v6, 7, v6
	v_cmp_eq_u16_e32 vcc, 0, v2
	v_cndmask_b32_e32 v3, v3, v6, vcc
	v_cndmask_b32_e32 v2, v2, v4, vcc
	v_lshlrev_b32_e32 v4, 24, v9
	v_mov_b32_e32 v6, 0x3b800000
	v_lshlrev_b32_e32 v3, 20, v3
	v_and_b32_e32 v4, 0x80000000, v4
	v_lshl_add_u32 v2, v2, 23, v6
	v_or3_b32 v2, v4, v2, v3
.LBB2_5092:
	s_or_b64 exec, exec, s[6:7]
	s_movk_i32 s4, 0x7f
	v_cmp_gt_i16_sdwa s[6:7], v5, s4 src0_sel:BYTE_0 src1_sel:DWORD
	s_mov_b64 s[4:5], 0
                                        ; implicit-def: $sgpr10
	s_and_saveexec_b64 s[8:9], s[6:7]
	s_xor_b64 s[6:7], exec, s[8:9]
	s_cbranch_execz .LBB2_5093
; %bb.40933:
	s_getpc_b64 s[14:15]
.Lpost_getpc24050:
	s_add_u32 s14, s14, (.LBB2_19429-.Lpost_getpc24050)&4294967295
	s_addc_u32 s15, s15, (.LBB2_19429-.Lpost_getpc24050)>>32
	s_setpc_b64 s[14:15]
.LBB2_5093:
	s_or_saveexec_b64 s[6:7], s[6:7]
	v_mov_b32_e32 v3, s10
	s_xor_b64 exec, exec, s[6:7]
	s_cbranch_execz .LBB2_5094
; %bb.40935:
	s_getpc_b64 s[14:15]
.Lpost_getpc24051:
	s_add_u32 s14, s14, (.LBB2_19432-.Lpost_getpc24051)&4294967295
	s_addc_u32 s15, s15, (.LBB2_19432-.Lpost_getpc24051)>>32
	s_setpc_b64 s[14:15]
.LBB2_5094:
	s_or_b64 exec, exec, s[6:7]
	s_and_saveexec_b64 s[6:7], s[4:5]
	s_cbranch_execz .LBB2_5096
.LBB2_5095:
	v_mov_b32_e32 v3, 8
	v_and_b32_e32 v4, 7, v5
	v_lshrrev_b32_sdwa v3, v3, v5 dst_sel:BYTE_1 dst_unused:UNUSED_PAD src0_sel:DWORD src1_sel:DWORD
	v_ffbh_u32_e32 v6, v4
	v_or_b32_sdwa v3, v5, v3 dst_sel:DWORD dst_unused:UNUSED_PAD src0_sel:BYTE_0 src1_sel:DWORD
	v_min_u32_e32 v6, 32, v6
	v_lshrrev_b16_e32 v3, 3, v3
	v_subrev_u32_e32 v7, 28, v6
	v_and_b32_e32 v3, 15, v3
	v_lshlrev_b32_e32 v7, v7, v5
	v_sub_u32_e32 v6, 29, v6
	v_and_b32_e32 v7, 7, v7
	v_cmp_eq_u16_e32 vcc, 0, v3
	v_cndmask_b32_e32 v4, v4, v7, vcc
	v_cndmask_b32_e32 v3, v3, v6, vcc
	v_lshlrev_b32_e32 v6, 24, v5
	v_mov_b32_e32 v7, 0x3b800000
	v_lshlrev_b32_e32 v4, 20, v4
	v_and_b32_e32 v6, 0x80000000, v6
	v_lshl_add_u32 v3, v3, 23, v7
	v_or3_b32 v3, v6, v3, v4
.LBB2_5096:
	s_or_b64 exec, exec, s[6:7]
	s_nop 0
	v_mfma_f32_16x16x4f32 a[0:3], v2, v3, a[0:3]
	v_lshrrev_b32_e32 v3, 8, v9
	s_movk_i32 s4, 0x7f
	v_cmp_gt_i16_sdwa s[6:7], v3, s4 src0_sel:BYTE_0 src1_sel:DWORD
	s_mov_b64 s[4:5], 0
                                        ; implicit-def: $sgpr10
	s_and_saveexec_b64 s[8:9], s[6:7]
	s_xor_b64 s[6:7], exec, s[8:9]
	s_cbranch_execz .LBB2_5097
; %bb.40937:
	s_getpc_b64 s[14:15]
.Lpost_getpc24052:
	s_add_u32 s14, s14, (.LBB2_19433-.Lpost_getpc24052)&4294967295
	s_addc_u32 s15, s15, (.LBB2_19433-.Lpost_getpc24052)>>32
	s_setpc_b64 s[14:15]
.LBB2_5097:
	s_or_saveexec_b64 s[6:7], s[6:7]
	v_mov_b32_e32 v2, s10
	s_xor_b64 exec, exec, s[6:7]
	s_cbranch_execz .LBB2_5098
; %bb.40939:
	s_getpc_b64 s[14:15]
.Lpost_getpc24053:
	s_add_u32 s14, s14, (.LBB2_19436-.Lpost_getpc24053)&4294967295
	s_addc_u32 s15, s15, (.LBB2_19436-.Lpost_getpc24053)>>32
	s_setpc_b64 s[14:15]
.LBB2_5098:
	s_or_b64 exec, exec, s[6:7]
	s_and_saveexec_b64 s[6:7], s[4:5]
	s_cbranch_execz .LBB2_5100
.LBB2_5099:
	v_bfe_u32 v2, v9, 8, 3
	v_ffbh_u32_e32 v6, v2
	v_min_u32_e32 v6, 32, v6
	v_lshrrev_b16_e32 v4, 3, v3
	v_subrev_u32_e32 v7, 28, v6
	v_and_b32_e32 v4, 15, v4
	v_lshlrev_b32_e32 v3, v7, v3
	v_sub_u32_e32 v6, 29, v6
	v_and_b32_e32 v3, 7, v3
	v_cmp_eq_u16_e32 vcc, 0, v4
	v_cndmask_b32_e32 v2, v2, v3, vcc
	v_cndmask_b32_e32 v3, v4, v6, vcc
	v_lshlrev_b32_e32 v4, 16, v9
	v_mov_b32_e32 v6, 0x3b800000
	v_lshlrev_b32_e32 v2, 20, v2
	v_and_b32_e32 v4, 0x80000000, v4
	v_lshl_add_u32 v3, v3, 23, v6
	v_or3_b32 v2, v4, v3, v2
.LBB2_5100:
	s_or_b64 exec, exec, s[6:7]
	v_lshrrev_b32_e32 v3, 8, v5
	s_movk_i32 s4, 0x7f
	v_cmp_gt_i16_sdwa s[6:7], v3, s4 src0_sel:BYTE_0 src1_sel:DWORD
	s_mov_b64 s[4:5], 0
                                        ; implicit-def: $sgpr10
	s_and_saveexec_b64 s[8:9], s[6:7]
	s_xor_b64 s[6:7], exec, s[8:9]
	s_cbranch_execz .LBB2_5101
; %bb.40941:
	s_getpc_b64 s[14:15]
.Lpost_getpc24054:
	s_add_u32 s14, s14, (.LBB2_19437-.Lpost_getpc24054)&4294967295
	s_addc_u32 s15, s15, (.LBB2_19437-.Lpost_getpc24054)>>32
	s_setpc_b64 s[14:15]
.LBB2_5101:
	s_or_saveexec_b64 s[6:7], s[6:7]
	v_mov_b32_e32 v4, s10
	s_xor_b64 exec, exec, s[6:7]
	s_cbranch_execz .LBB2_5102
; %bb.40943:
	s_getpc_b64 s[14:15]
.Lpost_getpc24055:
	s_add_u32 s14, s14, (.LBB2_19440-.Lpost_getpc24055)&4294967295
	s_addc_u32 s15, s15, (.LBB2_19440-.Lpost_getpc24055)>>32
	s_setpc_b64 s[14:15]
.LBB2_5102:
	s_or_b64 exec, exec, s[6:7]
	s_and_saveexec_b64 s[6:7], s[4:5]
	s_cbranch_execz .LBB2_5104
.LBB2_5103:
	v_bfe_u32 v4, v5, 8, 3
	v_ffbh_u32_e32 v7, v4
	v_min_u32_e32 v7, 32, v7
	v_lshrrev_b16_e32 v6, 3, v3
	v_subrev_u32_e32 v8, 28, v7
	v_and_b32_e32 v6, 15, v6
	v_lshlrev_b32_e32 v3, v8, v3
	v_sub_u32_e32 v7, 29, v7
	v_and_b32_e32 v3, 7, v3
	v_cmp_eq_u16_e32 vcc, 0, v6
	v_cndmask_b32_e32 v3, v4, v3, vcc
	v_cndmask_b32_e32 v4, v6, v7, vcc
	v_lshlrev_b32_e32 v6, 16, v5
	v_mov_b32_e32 v7, 0x3b800000
	v_lshlrev_b32_e32 v3, 20, v3
	v_and_b32_e32 v6, 0x80000000, v6
	v_lshl_add_u32 v4, v4, 23, v7
	v_or3_b32 v4, v6, v4, v3
.LBB2_5104:
	s_or_b64 exec, exec, s[6:7]
	s_nop 0
	v_mfma_f32_16x16x4f32 a[0:3], v2, v4, a[0:3]
	s_movk_i32 s4, 0xff
	v_and_b32_sdwa v3, v9, s4 dst_sel:DWORD dst_unused:UNUSED_PAD src0_sel:WORD_1 src1_sel:DWORD
	s_movk_i32 s4, 0x7f
	v_cmp_lt_i16_e32 vcc, s4, v3
	s_mov_b64 s[4:5], 0
                                        ; implicit-def: $sgpr10
	s_and_saveexec_b64 s[6:7], vcc
	s_xor_b64 s[6:7], exec, s[6:7]
	s_cbranch_execz .LBB2_5105
; %bb.40945:
	s_getpc_b64 s[14:15]
.Lpost_getpc24056:
	s_add_u32 s14, s14, (.LBB2_19441-.Lpost_getpc24056)&4294967295
	s_addc_u32 s15, s15, (.LBB2_19441-.Lpost_getpc24056)>>32
	s_setpc_b64 s[14:15]
.LBB2_5105:
	s_or_saveexec_b64 s[6:7], s[6:7]
	v_mov_b32_e32 v2, s10
	s_xor_b64 exec, exec, s[6:7]
	s_cbranch_execz .LBB2_5106
; %bb.40947:
	s_getpc_b64 s[14:15]
.Lpost_getpc24057:
	s_add_u32 s14, s14, (.LBB2_19444-.Lpost_getpc24057)&4294967295
	s_addc_u32 s15, s15, (.LBB2_19444-.Lpost_getpc24057)>>32
	s_setpc_b64 s[14:15]
.LBB2_5106:
	s_or_b64 exec, exec, s[6:7]
	s_and_saveexec_b64 s[6:7], s[4:5]
	s_cbranch_execz .LBB2_5108
.LBB2_5107:
	v_bfe_u32 v2, v9, 16, 3
	v_ffbh_u32_e32 v6, v2
	v_min_u32_e32 v6, 32, v6
	v_lshrrev_b32_e32 v3, 19, v9
	v_subrev_u32_e32 v7, 28, v6
	v_and_b32_e32 v3, 15, v3
	v_lshlrev_b32_sdwa v7, v7, v9 dst_sel:DWORD dst_unused:UNUSED_PAD src0_sel:DWORD src1_sel:WORD_1
	v_bfe_u32 v4, v9, 19, 4
	v_sub_u32_e32 v6, 29, v6
	v_and_b32_e32 v7, 7, v7
	v_cmp_eq_u16_e32 vcc, 0, v3
	v_cndmask_b32_e32 v2, v2, v7, vcc
	v_cndmask_b32_e32 v3, v4, v6, vcc
	v_lshlrev_b32_e32 v4, 8, v9
	v_mov_b32_e32 v6, 0x3b800000
	v_lshlrev_b32_e32 v2, 20, v2
	v_and_b32_e32 v4, 0x80000000, v4
	v_lshl_add_u32 v3, v3, 23, v6
	v_or3_b32 v2, v4, v3, v2
.LBB2_5108:
	s_or_b64 exec, exec, s[6:7]
	s_movk_i32 s4, 0xff
	v_and_b32_sdwa v3, v5, s4 dst_sel:DWORD dst_unused:UNUSED_PAD src0_sel:WORD_1 src1_sel:DWORD
	s_movk_i32 s4, 0x7f
	v_cmp_lt_i16_e32 vcc, s4, v3
	s_mov_b64 s[4:5], 0
                                        ; implicit-def: $sgpr10
	s_and_saveexec_b64 s[6:7], vcc
	s_xor_b64 s[6:7], exec, s[6:7]
	s_cbranch_execz .LBB2_5109
; %bb.40949:
	s_getpc_b64 s[14:15]
.Lpost_getpc24058:
	s_add_u32 s14, s14, (.LBB2_19445-.Lpost_getpc24058)&4294967295
	s_addc_u32 s15, s15, (.LBB2_19445-.Lpost_getpc24058)>>32
	s_setpc_b64 s[14:15]
.LBB2_5109:
	s_or_saveexec_b64 s[6:7], s[6:7]
	v_mov_b32_e32 v4, s10
	s_xor_b64 exec, exec, s[6:7]
	s_cbranch_execz .LBB2_5110
; %bb.40951:
	s_getpc_b64 s[14:15]
.Lpost_getpc24059:
	s_add_u32 s14, s14, (.LBB2_19448-.Lpost_getpc24059)&4294967295
	s_addc_u32 s15, s15, (.LBB2_19448-.Lpost_getpc24059)>>32
	s_setpc_b64 s[14:15]
.LBB2_5110:
	s_or_b64 exec, exec, s[6:7]
	s_and_saveexec_b64 s[6:7], s[4:5]
	s_cbranch_execz .LBB2_5112
.LBB2_5111:
	v_bfe_u32 v3, v5, 16, 3
	v_ffbh_u32_e32 v7, v3
	v_min_u32_e32 v7, 32, v7
	v_lshrrev_b32_e32 v4, 19, v5
	v_subrev_u32_e32 v8, 28, v7
	v_and_b32_e32 v4, 15, v4
	v_lshlrev_b32_sdwa v8, v8, v5 dst_sel:DWORD dst_unused:UNUSED_PAD src0_sel:DWORD src1_sel:WORD_1
	v_bfe_u32 v6, v5, 19, 4
	v_sub_u32_e32 v7, 29, v7
	v_and_b32_e32 v8, 7, v8
	v_cmp_eq_u16_e32 vcc, 0, v4
	v_cndmask_b32_e32 v3, v3, v8, vcc
	v_cndmask_b32_e32 v4, v6, v7, vcc
	v_lshlrev_b32_e32 v6, 8, v5
	v_mov_b32_e32 v7, 0x3b800000
	v_lshlrev_b32_e32 v3, 20, v3
	v_and_b32_e32 v6, 0x80000000, v6
	v_lshl_add_u32 v4, v4, 23, v7
	v_or3_b32 v4, v6, v4, v3
.LBB2_5112:
	s_or_b64 exec, exec, s[6:7]
	s_nop 0
	v_mfma_f32_16x16x4f32 a[0:3], v2, v4, a[0:3]
	s_movk_i32 s4, 0x7f
	v_cmp_gt_i16_sdwa s[6:7], v9, s4 src0_sel:BYTE_3 src1_sel:DWORD
	s_mov_b64 s[4:5], 0
                                        ; implicit-def: $sgpr10
	s_and_saveexec_b64 s[8:9], s[6:7]
	s_xor_b64 s[6:7], exec, s[8:9]
	s_cbranch_execz .LBB2_5113
; %bb.40953:
	s_getpc_b64 s[14:15]
.Lpost_getpc24060:
	s_add_u32 s14, s14, (.LBB2_19449-.Lpost_getpc24060)&4294967295
	s_addc_u32 s15, s15, (.LBB2_19449-.Lpost_getpc24060)>>32
	s_setpc_b64 s[14:15]
.LBB2_5113:
	s_or_saveexec_b64 s[6:7], s[6:7]
	v_mov_b32_e32 v2, s10
	s_xor_b64 exec, exec, s[6:7]
	s_cbranch_execz .LBB2_5114
; %bb.40955:
	s_getpc_b64 s[14:15]
.Lpost_getpc24061:
	s_add_u32 s14, s14, (.LBB2_19452-.Lpost_getpc24061)&4294967295
	s_addc_u32 s15, s15, (.LBB2_19452-.Lpost_getpc24061)>>32
	s_setpc_b64 s[14:15]
.LBB2_5114:
	s_or_b64 exec, exec, s[6:7]
	s_and_saveexec_b64 s[6:7], s[4:5]
	s_cbranch_execz .LBB2_5116
.LBB2_5115:
	v_bfe_u32 v2, v9, 24, 3
	v_ffbh_u32_e32 v7, v2
	v_min_u32_e32 v7, 32, v7
	v_lshrrev_b32_e32 v4, 27, v9
	v_subrev_u32_e32 v8, 28, v7
	v_and_b32_e32 v4, 15, v4
	v_lshlrev_b32_sdwa v8, v8, v9 dst_sel:DWORD dst_unused:UNUSED_PAD src0_sel:DWORD src1_sel:BYTE_3
	v_bfe_u32 v6, v9, 27, 4
	v_sub_u32_e32 v7, 29, v7
	v_and_b32_e32 v8, 7, v8
	v_cmp_eq_u16_e32 vcc, 0, v4
	v_cndmask_b32_e32 v2, v2, v8, vcc
	v_cndmask_b32_e32 v4, v6, v7, vcc
	v_mov_b32_e32 v6, 0x3b800000
	v_and_b32_e32 v3, 0x80000000, v9
	v_lshlrev_b32_e32 v2, 20, v2
	v_lshl_add_u32 v4, v4, 23, v6
	v_or3_b32 v2, v3, v4, v2
.LBB2_5116:
	s_or_b64 exec, exec, s[6:7]
	s_movk_i32 s4, 0x7f
	v_cmp_gt_i16_sdwa s[6:7], v5, s4 src0_sel:BYTE_3 src1_sel:DWORD
	s_mov_b64 s[4:5], 0
                                        ; implicit-def: $sgpr10
	s_and_saveexec_b64 s[8:9], s[6:7]
	s_xor_b64 s[6:7], exec, s[8:9]
	s_cbranch_execz .LBB2_5117
; %bb.40957:
	s_getpc_b64 s[14:15]
.Lpost_getpc24062:
	s_add_u32 s14, s14, (.LBB2_19453-.Lpost_getpc24062)&4294967295
	s_addc_u32 s15, s15, (.LBB2_19453-.Lpost_getpc24062)>>32
	s_setpc_b64 s[14:15]
.LBB2_5117:
	s_or_saveexec_b64 s[6:7], s[6:7]
	v_mov_b32_e32 v3, s10
	s_xor_b64 exec, exec, s[6:7]
	s_cbranch_execz .LBB2_5118
; %bb.40959:
	s_getpc_b64 s[14:15]
.Lpost_getpc24063:
	s_add_u32 s14, s14, (.LBB2_19456-.Lpost_getpc24063)&4294967295
	s_addc_u32 s15, s15, (.LBB2_19456-.Lpost_getpc24063)>>32
	s_setpc_b64 s[14:15]
.LBB2_5118:
	s_or_b64 exec, exec, s[6:7]
	s_and_saveexec_b64 s[6:7], s[4:5]
	s_cbranch_execz .LBB2_5120
.LBB2_5119:
	v_bfe_u32 v3, v5, 24, 3
	v_ffbh_u32_e32 v8, v3
	v_min_u32_e32 v8, 32, v8
	v_lshrrev_b32_e32 v6, 27, v5
	v_subrev_u32_e32 v9, 28, v8
	v_and_b32_e32 v4, 0x80000000, v5
	v_and_b32_e32 v6, 15, v6
	v_bfe_u32 v7, v5, 27, 4
	v_lshlrev_b32_sdwa v5, v9, v5 dst_sel:DWORD dst_unused:UNUSED_PAD src0_sel:DWORD src1_sel:BYTE_3
	v_sub_u32_e32 v8, 29, v8
	v_and_b32_e32 v5, 7, v5
	v_cmp_eq_u16_e32 vcc, 0, v6
	v_cndmask_b32_e32 v3, v3, v5, vcc
	v_cndmask_b32_e32 v5, v7, v8, vcc
	v_mov_b32_e32 v6, 0x3b800000
	v_lshlrev_b32_e32 v3, 20, v3
	v_lshl_add_u32 v5, v5, 23, v6
	v_or3_b32 v3, v4, v5, v3
.LBB2_5120:
	s_or_b64 exec, exec, s[6:7]
	s_nop 0
	v_mfma_f32_16x16x4f32 a[0:3], v2, v3, a[0:3]
	s_movk_i32 s4, 0x7f
                                        ; implicit-def: $sgpr10
	s_nop 7
	s_nop 1
	flat_store_dwordx4 v[10:11], a[0:3] offset:624
	flat_load_dwordx4 v[12:15], v[0:1]
	s_nop 0
	flat_load_dwordx2 v[10:11], v[0:1] offset:16
	s_waitcnt vmcnt(0) lgkmcnt(0)
	flat_load_dwordx4 v[6:9], v[12:13] offset:80
	flat_load_dwordx4 v[2:5], v[14:15]
	s_waitcnt vmcnt(0) lgkmcnt(0)
	v_cmp_gt_i16_sdwa s[6:7], v6, s4 src0_sel:BYTE_0 src1_sel:DWORD
	s_mov_b64 s[4:5], 0
	s_and_saveexec_b64 s[8:9], s[6:7]
	s_xor_b64 s[6:7], exec, s[8:9]
	s_cbranch_execz .LBB2_5121
; %bb.40961:
	s_getpc_b64 s[14:15]
.Lpost_getpc24064:
	s_add_u32 s14, s14, (.LBB2_19457-.Lpost_getpc24064)&4294967295
	s_addc_u32 s15, s15, (.LBB2_19457-.Lpost_getpc24064)>>32
	s_setpc_b64 s[14:15]
.LBB2_5121:
	s_or_saveexec_b64 s[6:7], s[6:7]
	v_mov_b32_e32 v12, s10
	s_xor_b64 exec, exec, s[6:7]
	s_cbranch_execz .LBB2_5122
; %bb.40963:
	s_getpc_b64 s[14:15]
.Lpost_getpc24065:
	s_add_u32 s14, s14, (.LBB2_19460-.Lpost_getpc24065)&4294967295
	s_addc_u32 s15, s15, (.LBB2_19460-.Lpost_getpc24065)>>32
	s_setpc_b64 s[14:15]
.LBB2_5122:
	s_or_b64 exec, exec, s[6:7]
	s_and_saveexec_b64 s[6:7], s[4:5]
	s_cbranch_execz .LBB2_5124
.LBB2_5123:
	v_and_b32_e32 v12, 7, v6
	v_ffbh_u32_e32 v14, v12
	v_min_u32_e32 v14, 32, v14
	v_lshrrev_b16_e32 v13, 3, v6
	v_subrev_u32_e32 v15, 28, v14
	v_and_b32_e32 v13, 15, v13
	v_lshlrev_b32_e32 v15, v15, v6
	v_sub_u32_e32 v14, 29, v14
	v_and_b32_e32 v15, 7, v15
	v_cmp_eq_u16_e32 vcc, 0, v13
	v_cndmask_b32_e32 v12, v12, v15, vcc
	v_cndmask_b32_e32 v13, v13, v14, vcc
	v_lshlrev_b32_e32 v14, 24, v6
	v_mov_b32_e32 v15, 0x3b800000
	v_lshlrev_b32_e32 v12, 20, v12
	v_and_b32_e32 v14, 0x80000000, v14
	v_lshl_add_u32 v13, v13, 23, v15
	v_or3_b32 v12, v14, v13, v12
.LBB2_5124:
	s_or_b64 exec, exec, s[6:7]
	s_movk_i32 s4, 0x7f
	v_cmp_gt_i16_sdwa s[6:7], v2, s4 src0_sel:BYTE_0 src1_sel:DWORD
	s_mov_b64 s[4:5], 0
                                        ; implicit-def: $sgpr10
	s_and_saveexec_b64 s[8:9], s[6:7]
	s_xor_b64 s[6:7], exec, s[8:9]
	s_cbranch_execz .LBB2_5125
; %bb.40965:
	s_getpc_b64 s[14:15]
.Lpost_getpc24066:
	s_add_u32 s14, s14, (.LBB2_19461-.Lpost_getpc24066)&4294967295
	s_addc_u32 s15, s15, (.LBB2_19461-.Lpost_getpc24066)>>32
	s_setpc_b64 s[14:15]
.LBB2_5125:
	s_or_saveexec_b64 s[6:7], s[6:7]
	v_mov_b32_e32 v13, s10
	s_xor_b64 exec, exec, s[6:7]
	s_cbranch_execz .LBB2_5126
; %bb.40967:
	s_getpc_b64 s[14:15]
.Lpost_getpc24067:
	s_add_u32 s14, s14, (.LBB2_19464-.Lpost_getpc24067)&4294967295
	s_addc_u32 s15, s15, (.LBB2_19464-.Lpost_getpc24067)>>32
	s_setpc_b64 s[14:15]
.LBB2_5126:
	s_or_b64 exec, exec, s[6:7]
	s_and_saveexec_b64 s[6:7], s[4:5]
	s_cbranch_execz .LBB2_5128
.LBB2_5127:
	v_and_b32_e32 v13, 7, v2
	v_ffbh_u32_e32 v15, v13
	v_min_u32_e32 v15, 32, v15
	v_lshrrev_b16_e32 v14, 3, v2
	v_subrev_u32_e32 v16, 28, v15
	v_and_b32_e32 v14, 15, v14
	v_lshlrev_b32_e32 v16, v16, v2
	v_sub_u32_e32 v15, 29, v15
	v_and_b32_e32 v16, 7, v16
	v_cmp_eq_u16_e32 vcc, 0, v14
	v_cndmask_b32_e32 v13, v13, v16, vcc
	v_cndmask_b32_e32 v14, v14, v15, vcc
	v_lshlrev_b32_e32 v15, 24, v2
	v_mov_b32_e32 v16, 0x3b800000
	v_lshlrev_b32_e32 v13, 20, v13
	v_and_b32_e32 v15, 0x80000000, v15
	v_lshl_add_u32 v14, v14, 23, v16
	v_or3_b32 v13, v15, v14, v13
.LBB2_5128:
	s_or_b64 exec, exec, s[6:7]
	flat_load_dwordx4 a[0:3], v[10:11] offset:640
	s_movk_i32 s4, 0x7f
                                        ; implicit-def: $sgpr10
	s_waitcnt vmcnt(0) lgkmcnt(0)
	v_mfma_f32_16x16x4f32 a[0:3], v12, v13, a[0:3]
	v_lshrrev_b32_e32 v13, 8, v6
	v_cmp_gt_i16_sdwa s[6:7], v13, s4 src0_sel:BYTE_0 src1_sel:DWORD
	s_mov_b64 s[4:5], 0
	s_and_saveexec_b64 s[8:9], s[6:7]
	s_xor_b64 s[6:7], exec, s[8:9]
	s_cbranch_execz .LBB2_5129
; %bb.40969:
	s_getpc_b64 s[14:15]
.Lpost_getpc24068:
	s_add_u32 s14, s14, (.LBB2_19465-.Lpost_getpc24068)&4294967295
	s_addc_u32 s15, s15, (.LBB2_19465-.Lpost_getpc24068)>>32
	s_setpc_b64 s[14:15]
.LBB2_5129:
	s_or_saveexec_b64 s[6:7], s[6:7]
	v_mov_b32_e32 v12, s10
	s_xor_b64 exec, exec, s[6:7]
	s_cbranch_execz .LBB2_5130
; %bb.40971:
	s_getpc_b64 s[14:15]
.Lpost_getpc24069:
	s_add_u32 s14, s14, (.LBB2_19468-.Lpost_getpc24069)&4294967295
	s_addc_u32 s15, s15, (.LBB2_19468-.Lpost_getpc24069)>>32
	s_setpc_b64 s[14:15]
.LBB2_5130:
	s_or_b64 exec, exec, s[6:7]
	s_and_saveexec_b64 s[6:7], s[4:5]
	s_cbranch_execz .LBB2_5132
.LBB2_5131:
	v_bfe_u32 v12, v6, 8, 3
	v_ffbh_u32_e32 v15, v12
	v_min_u32_e32 v15, 32, v15
	v_lshrrev_b16_e32 v14, 3, v13
	v_subrev_u32_e32 v16, 28, v15
	v_and_b32_e32 v14, 15, v14
	v_lshlrev_b32_e32 v13, v16, v13
	v_sub_u32_e32 v15, 29, v15
	v_and_b32_e32 v13, 7, v13
	v_cmp_eq_u16_e32 vcc, 0, v14
	v_cndmask_b32_e32 v12, v12, v13, vcc
	v_cndmask_b32_e32 v13, v14, v15, vcc
	v_lshlrev_b32_e32 v14, 16, v6
	v_mov_b32_e32 v15, 0x3b800000
	v_lshlrev_b32_e32 v12, 20, v12
	v_and_b32_e32 v14, 0x80000000, v14
	v_lshl_add_u32 v13, v13, 23, v15
	v_or3_b32 v12, v14, v13, v12
.LBB2_5132:
	s_or_b64 exec, exec, s[6:7]
	v_lshrrev_b32_e32 v13, 8, v2
	s_movk_i32 s4, 0x7f
	v_cmp_gt_i16_sdwa s[6:7], v13, s4 src0_sel:BYTE_0 src1_sel:DWORD
	s_mov_b64 s[4:5], 0
                                        ; implicit-def: $sgpr10
	s_and_saveexec_b64 s[8:9], s[6:7]
	s_xor_b64 s[6:7], exec, s[8:9]
	s_cbranch_execz .LBB2_5133
; %bb.40973:
	s_getpc_b64 s[14:15]
.Lpost_getpc24070:
	s_add_u32 s14, s14, (.LBB2_19469-.Lpost_getpc24070)&4294967295
	s_addc_u32 s15, s15, (.LBB2_19469-.Lpost_getpc24070)>>32
	s_setpc_b64 s[14:15]
.LBB2_5133:
	s_or_saveexec_b64 s[6:7], s[6:7]
	v_mov_b32_e32 v14, s10
	s_xor_b64 exec, exec, s[6:7]
	s_cbranch_execz .LBB2_5134
; %bb.40975:
	s_getpc_b64 s[14:15]
.Lpost_getpc24071:
	s_add_u32 s14, s14, (.LBB2_19472-.Lpost_getpc24071)&4294967295
	s_addc_u32 s15, s15, (.LBB2_19472-.Lpost_getpc24071)>>32
	s_setpc_b64 s[14:15]
.LBB2_5134:
	s_or_b64 exec, exec, s[6:7]
	s_and_saveexec_b64 s[6:7], s[4:5]
	s_cbranch_execz .LBB2_5136
.LBB2_5135:
	v_bfe_u32 v14, v2, 8, 3
	v_ffbh_u32_e32 v16, v14
	v_min_u32_e32 v16, 32, v16
	v_lshrrev_b16_e32 v15, 3, v13
	v_subrev_u32_e32 v17, 28, v16
	v_and_b32_e32 v15, 15, v15
	v_lshlrev_b32_e32 v13, v17, v13
	v_sub_u32_e32 v16, 29, v16
	v_and_b32_e32 v13, 7, v13
	v_cmp_eq_u16_e32 vcc, 0, v15
	v_cndmask_b32_e32 v13, v14, v13, vcc
	v_cndmask_b32_e32 v14, v15, v16, vcc
	v_lshlrev_b32_e32 v15, 16, v2
	v_mov_b32_e32 v16, 0x3b800000
	v_lshlrev_b32_e32 v13, 20, v13
	v_and_b32_e32 v15, 0x80000000, v15
	v_lshl_add_u32 v14, v14, 23, v16
	v_or3_b32 v14, v15, v14, v13
.LBB2_5136:
	s_or_b64 exec, exec, s[6:7]
	s_nop 0
	v_mfma_f32_16x16x4f32 a[0:3], v12, v14, a[0:3]
	s_movk_i32 s4, 0xff
	v_and_b32_sdwa v13, v6, s4 dst_sel:DWORD dst_unused:UNUSED_PAD src0_sel:WORD_1 src1_sel:DWORD
	s_movk_i32 s4, 0x7f
	v_cmp_lt_i16_e32 vcc, s4, v13
	s_mov_b64 s[4:5], 0
                                        ; implicit-def: $sgpr10
	s_and_saveexec_b64 s[6:7], vcc
	s_xor_b64 s[6:7], exec, s[6:7]
	s_cbranch_execz .LBB2_5137
; %bb.40977:
	s_getpc_b64 s[14:15]
.Lpost_getpc24072:
	s_add_u32 s14, s14, (.LBB2_19473-.Lpost_getpc24072)&4294967295
	s_addc_u32 s15, s15, (.LBB2_19473-.Lpost_getpc24072)>>32
	s_setpc_b64 s[14:15]
.LBB2_5137:
	s_or_saveexec_b64 s[6:7], s[6:7]
	v_mov_b32_e32 v12, s10
	s_xor_b64 exec, exec, s[6:7]
	s_cbranch_execz .LBB2_5138
; %bb.40979:
	s_getpc_b64 s[14:15]
.Lpost_getpc24073:
	s_add_u32 s14, s14, (.LBB2_19476-.Lpost_getpc24073)&4294967295
	s_addc_u32 s15, s15, (.LBB2_19476-.Lpost_getpc24073)>>32
	s_setpc_b64 s[14:15]
.LBB2_5138:
	s_or_b64 exec, exec, s[6:7]
	s_and_saveexec_b64 s[6:7], s[4:5]
	s_cbranch_execz .LBB2_5140
.LBB2_5139:
	v_bfe_u32 v12, v6, 16, 3
	v_ffbh_u32_e32 v15, v12
	v_min_u32_e32 v15, 32, v15
	v_lshrrev_b32_e32 v13, 19, v6
	v_subrev_u32_e32 v16, 28, v15
	v_and_b32_e32 v13, 15, v13
	v_lshlrev_b32_sdwa v16, v16, v6 dst_sel:DWORD dst_unused:UNUSED_PAD src0_sel:DWORD src1_sel:WORD_1
	v_bfe_u32 v14, v6, 19, 4
	v_sub_u32_e32 v15, 29, v15
	v_and_b32_e32 v16, 7, v16
	v_cmp_eq_u16_e32 vcc, 0, v13
	v_cndmask_b32_e32 v12, v12, v16, vcc
	v_cndmask_b32_e32 v13, v14, v15, vcc
	v_lshlrev_b32_e32 v14, 8, v6
	v_mov_b32_e32 v15, 0x3b800000
	v_lshlrev_b32_e32 v12, 20, v12
	v_and_b32_e32 v14, 0x80000000, v14
	v_lshl_add_u32 v13, v13, 23, v15
	v_or3_b32 v12, v14, v13, v12
.LBB2_5140:
	s_or_b64 exec, exec, s[6:7]
	s_movk_i32 s4, 0xff
	v_and_b32_sdwa v13, v2, s4 dst_sel:DWORD dst_unused:UNUSED_PAD src0_sel:WORD_1 src1_sel:DWORD
	s_movk_i32 s4, 0x7f
	v_cmp_lt_i16_e32 vcc, s4, v13
	s_mov_b64 s[4:5], 0
                                        ; implicit-def: $sgpr10
	s_and_saveexec_b64 s[6:7], vcc
	s_xor_b64 s[6:7], exec, s[6:7]
	s_cbranch_execz .LBB2_5141
; %bb.40981:
	s_getpc_b64 s[14:15]
.Lpost_getpc24074:
	s_add_u32 s14, s14, (.LBB2_19477-.Lpost_getpc24074)&4294967295
	s_addc_u32 s15, s15, (.LBB2_19477-.Lpost_getpc24074)>>32
	s_setpc_b64 s[14:15]
.LBB2_5141:
	s_or_saveexec_b64 s[6:7], s[6:7]
	v_mov_b32_e32 v14, s10
	s_xor_b64 exec, exec, s[6:7]
	s_cbranch_execz .LBB2_5142
; %bb.40983:
	s_getpc_b64 s[14:15]
.Lpost_getpc24075:
	s_add_u32 s14, s14, (.LBB2_19480-.Lpost_getpc24075)&4294967295
	s_addc_u32 s15, s15, (.LBB2_19480-.Lpost_getpc24075)>>32
	s_setpc_b64 s[14:15]
.LBB2_5142:
	s_or_b64 exec, exec, s[6:7]
	s_and_saveexec_b64 s[6:7], s[4:5]
	s_cbranch_execz .LBB2_5144
.LBB2_5143:
	v_bfe_u32 v13, v2, 16, 3
	v_ffbh_u32_e32 v16, v13
	v_min_u32_e32 v16, 32, v16
	v_lshrrev_b32_e32 v14, 19, v2
	v_subrev_u32_e32 v17, 28, v16
	v_and_b32_e32 v14, 15, v14
	v_lshlrev_b32_sdwa v17, v17, v2 dst_sel:DWORD dst_unused:UNUSED_PAD src0_sel:DWORD src1_sel:WORD_1
	v_bfe_u32 v15, v2, 19, 4
	v_sub_u32_e32 v16, 29, v16
	v_and_b32_e32 v17, 7, v17
	v_cmp_eq_u16_e32 vcc, 0, v14
	v_cndmask_b32_e32 v13, v13, v17, vcc
	v_cndmask_b32_e32 v14, v15, v16, vcc
	v_lshlrev_b32_e32 v15, 8, v2
	v_mov_b32_e32 v16, 0x3b800000
	v_lshlrev_b32_e32 v13, 20, v13
	v_and_b32_e32 v15, 0x80000000, v15
	v_lshl_add_u32 v14, v14, 23, v16
	v_or3_b32 v14, v15, v14, v13
.LBB2_5144:
	s_or_b64 exec, exec, s[6:7]
	s_nop 0
	v_mfma_f32_16x16x4f32 a[0:3], v12, v14, a[0:3]
	s_movk_i32 s4, 0x7f
	v_cmp_gt_i16_sdwa s[6:7], v6, s4 src0_sel:BYTE_3 src1_sel:DWORD
	s_mov_b64 s[4:5], 0
                                        ; implicit-def: $sgpr10
	s_and_saveexec_b64 s[8:9], s[6:7]
	s_xor_b64 s[6:7], exec, s[8:9]
	s_cbranch_execz .LBB2_5145
; %bb.40985:
	s_getpc_b64 s[14:15]
.Lpost_getpc24076:
	s_add_u32 s14, s14, (.LBB2_19481-.Lpost_getpc24076)&4294967295
	s_addc_u32 s15, s15, (.LBB2_19481-.Lpost_getpc24076)>>32
	s_setpc_b64 s[14:15]
.LBB2_5145:
	s_or_saveexec_b64 s[6:7], s[6:7]
	v_mov_b32_e32 v12, s10
	s_xor_b64 exec, exec, s[6:7]
	s_cbranch_execz .LBB2_5146
; %bb.40987:
	s_getpc_b64 s[14:15]
.Lpost_getpc24077:
	s_add_u32 s14, s14, (.LBB2_19484-.Lpost_getpc24077)&4294967295
	s_addc_u32 s15, s15, (.LBB2_19484-.Lpost_getpc24077)>>32
	s_setpc_b64 s[14:15]
.LBB2_5146:
	s_or_b64 exec, exec, s[6:7]
	s_and_saveexec_b64 s[6:7], s[4:5]
	s_cbranch_execz .LBB2_5148
.LBB2_5147:
	v_bfe_u32 v12, v6, 24, 3
	v_ffbh_u32_e32 v16, v12
	v_min_u32_e32 v16, 32, v16
	v_lshrrev_b32_e32 v14, 27, v6
	v_subrev_u32_e32 v17, 28, v16
	v_and_b32_e32 v13, 0x80000000, v6
	v_and_b32_e32 v14, 15, v14
	v_bfe_u32 v15, v6, 27, 4
	v_lshlrev_b32_sdwa v6, v17, v6 dst_sel:DWORD dst_unused:UNUSED_PAD src0_sel:DWORD src1_sel:BYTE_3
	v_sub_u32_e32 v16, 29, v16
	v_and_b32_e32 v6, 7, v6
	v_cmp_eq_u16_e32 vcc, 0, v14
	v_cndmask_b32_e32 v6, v12, v6, vcc
	v_cndmask_b32_e32 v12, v15, v16, vcc
	v_mov_b32_e32 v14, 0x3b800000
	v_lshlrev_b32_e32 v6, 20, v6
	v_lshl_add_u32 v12, v12, 23, v14
	v_or3_b32 v12, v13, v12, v6
.LBB2_5148:
	s_or_b64 exec, exec, s[6:7]
	s_movk_i32 s4, 0x7f
	v_cmp_gt_i16_sdwa s[6:7], v2, s4 src0_sel:BYTE_3 src1_sel:DWORD
	s_mov_b64 s[4:5], 0
                                        ; implicit-def: $sgpr10
	s_and_saveexec_b64 s[8:9], s[6:7]
	s_xor_b64 s[6:7], exec, s[8:9]
	s_cbranch_execz .LBB2_5149
; %bb.40989:
	s_getpc_b64 s[14:15]
.Lpost_getpc24078:
	s_add_u32 s14, s14, (.LBB2_19485-.Lpost_getpc24078)&4294967295
	s_addc_u32 s15, s15, (.LBB2_19485-.Lpost_getpc24078)>>32
	s_setpc_b64 s[14:15]
.LBB2_5149:
	s_or_saveexec_b64 s[6:7], s[6:7]
	v_mov_b32_e32 v6, s10
	s_xor_b64 exec, exec, s[6:7]
	s_cbranch_execz .LBB2_5150
; %bb.40991:
	s_getpc_b64 s[14:15]
.Lpost_getpc24079:
	s_add_u32 s14, s14, (.LBB2_19488-.Lpost_getpc24079)&4294967295
	s_addc_u32 s15, s15, (.LBB2_19488-.Lpost_getpc24079)>>32
	s_setpc_b64 s[14:15]
.LBB2_5150:
	s_or_b64 exec, exec, s[6:7]
	s_and_saveexec_b64 s[6:7], s[4:5]
	s_cbranch_execz .LBB2_5152
.LBB2_5151:
	v_bfe_u32 v6, v2, 24, 3
	v_ffbh_u32_e32 v16, v6
	v_min_u32_e32 v16, 32, v16
	v_lshrrev_b32_e32 v14, 27, v2
	v_subrev_u32_e32 v17, 28, v16
	v_and_b32_e32 v13, 0x80000000, v2
	v_and_b32_e32 v14, 15, v14
	v_bfe_u32 v15, v2, 27, 4
	v_lshlrev_b32_sdwa v2, v17, v2 dst_sel:DWORD dst_unused:UNUSED_PAD src0_sel:DWORD src1_sel:BYTE_3
	v_sub_u32_e32 v16, 29, v16
	v_and_b32_e32 v2, 7, v2
	v_cmp_eq_u16_e32 vcc, 0, v14
	v_cndmask_b32_e32 v2, v6, v2, vcc
	v_cndmask_b32_e32 v6, v15, v16, vcc
	v_mov_b32_e32 v14, 0x3b800000
	v_lshlrev_b32_e32 v2, 20, v2
	v_lshl_add_u32 v6, v6, 23, v14
	v_or3_b32 v6, v13, v6, v2
.LBB2_5152:
	s_or_b64 exec, exec, s[6:7]
	s_nop 0
	v_mfma_f32_16x16x4f32 a[0:3], v12, v6, a[0:3]
	s_movk_i32 s4, 0x7f
	v_cmp_gt_i16_sdwa s[6:7], v7, s4 src0_sel:BYTE_0 src1_sel:DWORD
	s_mov_b64 s[4:5], 0
                                        ; implicit-def: $sgpr10
	s_and_saveexec_b64 s[8:9], s[6:7]
	s_xor_b64 s[6:7], exec, s[8:9]
	s_cbranch_execz .LBB2_5153
; %bb.40993:
	s_getpc_b64 s[14:15]
.Lpost_getpc24080:
	s_add_u32 s14, s14, (.LBB2_19489-.Lpost_getpc24080)&4294967295
	s_addc_u32 s15, s15, (.LBB2_19489-.Lpost_getpc24080)>>32
	s_setpc_b64 s[14:15]
.LBB2_5153:
	s_or_saveexec_b64 s[6:7], s[6:7]
	v_mov_b32_e32 v2, s10
	s_xor_b64 exec, exec, s[6:7]
	s_cbranch_execz .LBB2_5154
; %bb.40995:
	s_getpc_b64 s[14:15]
.Lpost_getpc24081:
	s_add_u32 s14, s14, (.LBB2_19492-.Lpost_getpc24081)&4294967295
	s_addc_u32 s15, s15, (.LBB2_19492-.Lpost_getpc24081)>>32
	s_setpc_b64 s[14:15]
.LBB2_5154:
	s_or_b64 exec, exec, s[6:7]
	s_and_saveexec_b64 s[6:7], s[4:5]
	s_cbranch_execz .LBB2_5156
.LBB2_5155:
	v_and_b32_e32 v2, 7, v7
	v_ffbh_u32_e32 v12, v2
	v_min_u32_e32 v12, 32, v12
	v_lshrrev_b16_e32 v6, 3, v7
	v_subrev_u32_e32 v13, 28, v12
	v_and_b32_e32 v6, 15, v6
	v_lshlrev_b32_e32 v13, v13, v7
	v_sub_u32_e32 v12, 29, v12
	v_and_b32_e32 v13, 7, v13
	v_cmp_eq_u16_e32 vcc, 0, v6
	v_cndmask_b32_e32 v2, v2, v13, vcc
	v_cndmask_b32_e32 v6, v6, v12, vcc
	v_lshlrev_b32_e32 v12, 24, v7
	v_mov_b32_e32 v13, 0x3b800000
	v_lshlrev_b32_e32 v2, 20, v2
	v_and_b32_e32 v12, 0x80000000, v12
	v_lshl_add_u32 v6, v6, 23, v13
	v_or3_b32 v2, v12, v6, v2
.LBB2_5156:
	s_or_b64 exec, exec, s[6:7]
	s_movk_i32 s4, 0x7f
	v_cmp_gt_i16_sdwa s[6:7], v3, s4 src0_sel:BYTE_0 src1_sel:DWORD
	s_mov_b64 s[4:5], 0
                                        ; implicit-def: $sgpr10
	s_and_saveexec_b64 s[8:9], s[6:7]
	s_xor_b64 s[6:7], exec, s[8:9]
	s_cbranch_execz .LBB2_5157
; %bb.40997:
	s_getpc_b64 s[14:15]
.Lpost_getpc24082:
	s_add_u32 s14, s14, (.LBB2_19493-.Lpost_getpc24082)&4294967295
	s_addc_u32 s15, s15, (.LBB2_19493-.Lpost_getpc24082)>>32
	s_setpc_b64 s[14:15]
.LBB2_5157:
	s_or_saveexec_b64 s[6:7], s[6:7]
	v_mov_b32_e32 v6, s10
	s_xor_b64 exec, exec, s[6:7]
	s_cbranch_execz .LBB2_5158
; %bb.40999:
	s_getpc_b64 s[14:15]
.Lpost_getpc24083:
	s_add_u32 s14, s14, (.LBB2_19496-.Lpost_getpc24083)&4294967295
	s_addc_u32 s15, s15, (.LBB2_19496-.Lpost_getpc24083)>>32
	s_setpc_b64 s[14:15]
.LBB2_5158:
	s_or_b64 exec, exec, s[6:7]
	s_and_saveexec_b64 s[6:7], s[4:5]
	s_cbranch_execz .LBB2_5160
.LBB2_5159:
	v_and_b32_e32 v6, 7, v3
	v_ffbh_u32_e32 v13, v6
	v_min_u32_e32 v13, 32, v13
	v_lshrrev_b16_e32 v12, 3, v3
	v_subrev_u32_e32 v14, 28, v13
	v_and_b32_e32 v12, 15, v12
	v_lshlrev_b32_e32 v14, v14, v3
	v_sub_u32_e32 v13, 29, v13
	v_and_b32_e32 v14, 7, v14
	v_cmp_eq_u16_e32 vcc, 0, v12
	v_cndmask_b32_e32 v6, v6, v14, vcc
	v_cndmask_b32_e32 v12, v12, v13, vcc
	v_lshlrev_b32_e32 v13, 24, v3
	v_mov_b32_e32 v14, 0x3b800000
	v_lshlrev_b32_e32 v6, 20, v6
	v_and_b32_e32 v13, 0x80000000, v13
	v_lshl_add_u32 v12, v12, 23, v14
	v_or3_b32 v6, v13, v12, v6
.LBB2_5160:
	s_or_b64 exec, exec, s[6:7]
	s_nop 0
	v_mfma_f32_16x16x4f32 a[0:3], v2, v6, a[0:3]
	v_lshrrev_b32_e32 v6, 8, v7
	s_movk_i32 s4, 0x7f
	v_cmp_gt_i16_sdwa s[6:7], v6, s4 src0_sel:BYTE_0 src1_sel:DWORD
	s_mov_b64 s[4:5], 0
                                        ; implicit-def: $sgpr10
	s_and_saveexec_b64 s[8:9], s[6:7]
	s_xor_b64 s[6:7], exec, s[8:9]
	s_cbranch_execz .LBB2_5161
; %bb.41001:
	s_getpc_b64 s[14:15]
.Lpost_getpc24084:
	s_add_u32 s14, s14, (.LBB2_19497-.Lpost_getpc24084)&4294967295
	s_addc_u32 s15, s15, (.LBB2_19497-.Lpost_getpc24084)>>32
	s_setpc_b64 s[14:15]
.LBB2_5161:
	s_or_saveexec_b64 s[6:7], s[6:7]
	v_mov_b32_e32 v2, s10
	s_xor_b64 exec, exec, s[6:7]
	s_cbranch_execz .LBB2_5162
; %bb.41003:
	s_getpc_b64 s[14:15]
.Lpost_getpc24085:
	s_add_u32 s14, s14, (.LBB2_19500-.Lpost_getpc24085)&4294967295
	s_addc_u32 s15, s15, (.LBB2_19500-.Lpost_getpc24085)>>32
	s_setpc_b64 s[14:15]
.LBB2_5162:
	s_or_b64 exec, exec, s[6:7]
	s_and_saveexec_b64 s[6:7], s[4:5]
	s_cbranch_execz .LBB2_5164
.LBB2_5163:
	v_bfe_u32 v2, v7, 8, 3
	v_ffbh_u32_e32 v13, v2
	v_min_u32_e32 v13, 32, v13
	v_lshrrev_b16_e32 v12, 3, v6
	v_subrev_u32_e32 v14, 28, v13
	v_and_b32_e32 v12, 15, v12
	v_lshlrev_b32_e32 v6, v14, v6
	v_sub_u32_e32 v13, 29, v13
	v_and_b32_e32 v6, 7, v6
	v_cmp_eq_u16_e32 vcc, 0, v12
	v_cndmask_b32_e32 v2, v2, v6, vcc
	v_cndmask_b32_e32 v6, v12, v13, vcc
	v_lshlrev_b32_e32 v12, 16, v7
	v_mov_b32_e32 v13, 0x3b800000
	v_lshlrev_b32_e32 v2, 20, v2
	v_and_b32_e32 v12, 0x80000000, v12
	v_lshl_add_u32 v6, v6, 23, v13
	v_or3_b32 v2, v12, v6, v2
.LBB2_5164:
	s_or_b64 exec, exec, s[6:7]
	v_lshrrev_b32_e32 v6, 8, v3
	s_movk_i32 s4, 0x7f
	v_cmp_gt_i16_sdwa s[6:7], v6, s4 src0_sel:BYTE_0 src1_sel:DWORD
	s_mov_b64 s[4:5], 0
                                        ; implicit-def: $sgpr10
	s_and_saveexec_b64 s[8:9], s[6:7]
	s_xor_b64 s[6:7], exec, s[8:9]
	s_cbranch_execz .LBB2_5165
; %bb.41005:
	s_getpc_b64 s[14:15]
.Lpost_getpc24086:
	s_add_u32 s14, s14, (.LBB2_19501-.Lpost_getpc24086)&4294967295
	s_addc_u32 s15, s15, (.LBB2_19501-.Lpost_getpc24086)>>32
	s_setpc_b64 s[14:15]
.LBB2_5165:
	s_or_saveexec_b64 s[6:7], s[6:7]
	v_mov_b32_e32 v12, s10
	s_xor_b64 exec, exec, s[6:7]
	s_cbranch_execz .LBB2_5166
; %bb.41007:
	s_getpc_b64 s[14:15]
.Lpost_getpc24087:
	s_add_u32 s14, s14, (.LBB2_19504-.Lpost_getpc24087)&4294967295
	s_addc_u32 s15, s15, (.LBB2_19504-.Lpost_getpc24087)>>32
	s_setpc_b64 s[14:15]
.LBB2_5166:
	s_or_b64 exec, exec, s[6:7]
	s_and_saveexec_b64 s[6:7], s[4:5]
	s_cbranch_execz .LBB2_5168
.LBB2_5167:
	v_bfe_u32 v12, v3, 8, 3
	v_ffbh_u32_e32 v14, v12
	v_min_u32_e32 v14, 32, v14
	v_lshrrev_b16_e32 v13, 3, v6
	v_subrev_u32_e32 v15, 28, v14
	v_and_b32_e32 v13, 15, v13
	v_lshlrev_b32_e32 v6, v15, v6
	v_sub_u32_e32 v14, 29, v14
	v_and_b32_e32 v6, 7, v6
	v_cmp_eq_u16_e32 vcc, 0, v13
	v_cndmask_b32_e32 v6, v12, v6, vcc
	v_cndmask_b32_e32 v12, v13, v14, vcc
	v_lshlrev_b32_e32 v13, 16, v3
	v_mov_b32_e32 v14, 0x3b800000
	v_lshlrev_b32_e32 v6, 20, v6
	v_and_b32_e32 v13, 0x80000000, v13
	v_lshl_add_u32 v12, v12, 23, v14
	v_or3_b32 v12, v13, v12, v6
.LBB2_5168:
	s_or_b64 exec, exec, s[6:7]
	s_nop 0
	v_mfma_f32_16x16x4f32 a[0:3], v2, v12, a[0:3]
	s_movk_i32 s4, 0xff
	v_and_b32_sdwa v6, v7, s4 dst_sel:DWORD dst_unused:UNUSED_PAD src0_sel:WORD_1 src1_sel:DWORD
	s_movk_i32 s4, 0x7f
	v_cmp_lt_i16_e32 vcc, s4, v6
	s_mov_b64 s[4:5], 0
                                        ; implicit-def: $sgpr10
	s_and_saveexec_b64 s[6:7], vcc
	s_xor_b64 s[6:7], exec, s[6:7]
	s_cbranch_execz .LBB2_5169
; %bb.41009:
	s_getpc_b64 s[14:15]
.Lpost_getpc24088:
	s_add_u32 s14, s14, (.LBB2_19505-.Lpost_getpc24088)&4294967295
	s_addc_u32 s15, s15, (.LBB2_19505-.Lpost_getpc24088)>>32
	s_setpc_b64 s[14:15]
.LBB2_5169:
	s_or_saveexec_b64 s[6:7], s[6:7]
	v_mov_b32_e32 v2, s10
	s_xor_b64 exec, exec, s[6:7]
	s_cbranch_execz .LBB2_5170
; %bb.41011:
	s_getpc_b64 s[14:15]
.Lpost_getpc24089:
	s_add_u32 s14, s14, (.LBB2_19508-.Lpost_getpc24089)&4294967295
	s_addc_u32 s15, s15, (.LBB2_19508-.Lpost_getpc24089)>>32
	s_setpc_b64 s[14:15]
.LBB2_5170:
	s_or_b64 exec, exec, s[6:7]
	s_and_saveexec_b64 s[6:7], s[4:5]
	s_cbranch_execz .LBB2_5172
.LBB2_5171:
	v_bfe_u32 v2, v7, 16, 3
	v_ffbh_u32_e32 v13, v2
	v_min_u32_e32 v13, 32, v13
	v_lshrrev_b32_e32 v6, 19, v7
	v_subrev_u32_e32 v14, 28, v13
	v_and_b32_e32 v6, 15, v6
	v_lshlrev_b32_sdwa v14, v14, v7 dst_sel:DWORD dst_unused:UNUSED_PAD src0_sel:DWORD src1_sel:WORD_1
	v_bfe_u32 v12, v7, 19, 4
	v_sub_u32_e32 v13, 29, v13
	v_and_b32_e32 v14, 7, v14
	v_cmp_eq_u16_e32 vcc, 0, v6
	v_cndmask_b32_e32 v2, v2, v14, vcc
	v_cndmask_b32_e32 v6, v12, v13, vcc
	v_lshlrev_b32_e32 v12, 8, v7
	v_mov_b32_e32 v13, 0x3b800000
	v_lshlrev_b32_e32 v2, 20, v2
	v_and_b32_e32 v12, 0x80000000, v12
	v_lshl_add_u32 v6, v6, 23, v13
	v_or3_b32 v2, v12, v6, v2
.LBB2_5172:
	s_or_b64 exec, exec, s[6:7]
	s_movk_i32 s4, 0xff
	v_and_b32_sdwa v6, v3, s4 dst_sel:DWORD dst_unused:UNUSED_PAD src0_sel:WORD_1 src1_sel:DWORD
	s_movk_i32 s4, 0x7f
	v_cmp_lt_i16_e32 vcc, s4, v6
	s_mov_b64 s[4:5], 0
                                        ; implicit-def: $sgpr10
	s_and_saveexec_b64 s[6:7], vcc
	s_xor_b64 s[6:7], exec, s[6:7]
	s_cbranch_execz .LBB2_5173
; %bb.41013:
	s_getpc_b64 s[14:15]
.Lpost_getpc24090:
	s_add_u32 s14, s14, (.LBB2_19509-.Lpost_getpc24090)&4294967295
	s_addc_u32 s15, s15, (.LBB2_19509-.Lpost_getpc24090)>>32
	s_setpc_b64 s[14:15]
.LBB2_5173:
	s_or_saveexec_b64 s[6:7], s[6:7]
	v_mov_b32_e32 v12, s10
	s_xor_b64 exec, exec, s[6:7]
	s_cbranch_execz .LBB2_5174
; %bb.41015:
	s_getpc_b64 s[14:15]
.Lpost_getpc24091:
	s_add_u32 s14, s14, (.LBB2_19512-.Lpost_getpc24091)&4294967295
	s_addc_u32 s15, s15, (.LBB2_19512-.Lpost_getpc24091)>>32
	s_setpc_b64 s[14:15]
.LBB2_5174:
	s_or_b64 exec, exec, s[6:7]
	s_and_saveexec_b64 s[6:7], s[4:5]
	s_cbranch_execz .LBB2_5176
.LBB2_5175:
	v_bfe_u32 v6, v3, 16, 3
	v_ffbh_u32_e32 v14, v6
	v_min_u32_e32 v14, 32, v14
	v_lshrrev_b32_e32 v12, 19, v3
	v_subrev_u32_e32 v15, 28, v14
	v_and_b32_e32 v12, 15, v12
	v_lshlrev_b32_sdwa v15, v15, v3 dst_sel:DWORD dst_unused:UNUSED_PAD src0_sel:DWORD src1_sel:WORD_1
	v_bfe_u32 v13, v3, 19, 4
	v_sub_u32_e32 v14, 29, v14
	v_and_b32_e32 v15, 7, v15
	v_cmp_eq_u16_e32 vcc, 0, v12
	v_cndmask_b32_e32 v6, v6, v15, vcc
	v_cndmask_b32_e32 v12, v13, v14, vcc
	v_lshlrev_b32_e32 v13, 8, v3
	v_mov_b32_e32 v14, 0x3b800000
	v_lshlrev_b32_e32 v6, 20, v6
	v_and_b32_e32 v13, 0x80000000, v13
	v_lshl_add_u32 v12, v12, 23, v14
	v_or3_b32 v12, v13, v12, v6
.LBB2_5176:
	s_or_b64 exec, exec, s[6:7]
	s_nop 0
	v_mfma_f32_16x16x4f32 a[0:3], v2, v12, a[0:3]
	s_movk_i32 s4, 0x7f
	v_cmp_gt_i16_sdwa s[6:7], v7, s4 src0_sel:BYTE_3 src1_sel:DWORD
	s_mov_b64 s[4:5], 0
                                        ; implicit-def: $sgpr10
	s_and_saveexec_b64 s[8:9], s[6:7]
	s_xor_b64 s[6:7], exec, s[8:9]
	s_cbranch_execz .LBB2_5177
; %bb.41017:
	s_getpc_b64 s[14:15]
.Lpost_getpc24092:
	s_add_u32 s14, s14, (.LBB2_19513-.Lpost_getpc24092)&4294967295
	s_addc_u32 s15, s15, (.LBB2_19513-.Lpost_getpc24092)>>32
	s_setpc_b64 s[14:15]
.LBB2_5177:
	s_or_saveexec_b64 s[6:7], s[6:7]
	v_mov_b32_e32 v2, s10
	s_xor_b64 exec, exec, s[6:7]
	s_cbranch_execz .LBB2_5178
; %bb.41019:
	s_getpc_b64 s[14:15]
.Lpost_getpc24093:
	s_add_u32 s14, s14, (.LBB2_19516-.Lpost_getpc24093)&4294967295
	s_addc_u32 s15, s15, (.LBB2_19516-.Lpost_getpc24093)>>32
	s_setpc_b64 s[14:15]
.LBB2_5178:
	s_or_b64 exec, exec, s[6:7]
	s_and_saveexec_b64 s[6:7], s[4:5]
	s_cbranch_execz .LBB2_5180
.LBB2_5179:
	v_bfe_u32 v2, v7, 24, 3
	v_ffbh_u32_e32 v14, v2
	v_min_u32_e32 v14, 32, v14
	v_lshrrev_b32_e32 v12, 27, v7
	v_subrev_u32_e32 v15, 28, v14
	v_and_b32_e32 v6, 0x80000000, v7
	v_and_b32_e32 v12, 15, v12
	v_bfe_u32 v13, v7, 27, 4
	v_lshlrev_b32_sdwa v7, v15, v7 dst_sel:DWORD dst_unused:UNUSED_PAD src0_sel:DWORD src1_sel:BYTE_3
	v_sub_u32_e32 v14, 29, v14
	v_and_b32_e32 v7, 7, v7
	v_cmp_eq_u16_e32 vcc, 0, v12
	v_cndmask_b32_e32 v2, v2, v7, vcc
	v_cndmask_b32_e32 v7, v13, v14, vcc
	v_mov_b32_e32 v12, 0x3b800000
	v_lshlrev_b32_e32 v2, 20, v2
	v_lshl_add_u32 v7, v7, 23, v12
	v_or3_b32 v2, v6, v7, v2
.LBB2_5180:
	s_or_b64 exec, exec, s[6:7]
	s_movk_i32 s4, 0x7f
	v_cmp_gt_i16_sdwa s[6:7], v3, s4 src0_sel:BYTE_3 src1_sel:DWORD
	s_mov_b64 s[4:5], 0
                                        ; implicit-def: $sgpr10
	s_and_saveexec_b64 s[8:9], s[6:7]
	s_xor_b64 s[6:7], exec, s[8:9]
	s_cbranch_execz .LBB2_5181
; %bb.41021:
	s_getpc_b64 s[14:15]
.Lpost_getpc24094:
	s_add_u32 s14, s14, (.LBB2_19517-.Lpost_getpc24094)&4294967295
	s_addc_u32 s15, s15, (.LBB2_19517-.Lpost_getpc24094)>>32
	s_setpc_b64 s[14:15]
.LBB2_5181:
	s_or_saveexec_b64 s[6:7], s[6:7]
	v_mov_b32_e32 v6, s10
	s_xor_b64 exec, exec, s[6:7]
	s_cbranch_execz .LBB2_5182
; %bb.41023:
	s_getpc_b64 s[14:15]
.Lpost_getpc24095:
	s_add_u32 s14, s14, (.LBB2_19520-.Lpost_getpc24095)&4294967295
	s_addc_u32 s15, s15, (.LBB2_19520-.Lpost_getpc24095)>>32
	s_setpc_b64 s[14:15]
.LBB2_5182:
	s_or_b64 exec, exec, s[6:7]
	s_and_saveexec_b64 s[6:7], s[4:5]
	s_cbranch_execz .LBB2_5184
.LBB2_5183:
	v_bfe_u32 v6, v3, 24, 3
	v_ffbh_u32_e32 v14, v6
	v_min_u32_e32 v14, 32, v14
	v_lshrrev_b32_e32 v12, 27, v3
	v_subrev_u32_e32 v15, 28, v14
	v_and_b32_e32 v7, 0x80000000, v3
	v_and_b32_e32 v12, 15, v12
	v_bfe_u32 v13, v3, 27, 4
	v_lshlrev_b32_sdwa v3, v15, v3 dst_sel:DWORD dst_unused:UNUSED_PAD src0_sel:DWORD src1_sel:BYTE_3
	v_sub_u32_e32 v14, 29, v14
	v_and_b32_e32 v3, 7, v3
	v_cmp_eq_u16_e32 vcc, 0, v12
	v_cndmask_b32_e32 v3, v6, v3, vcc
	v_cndmask_b32_e32 v6, v13, v14, vcc
	v_mov_b32_e32 v12, 0x3b800000
	v_lshlrev_b32_e32 v3, 20, v3
	v_lshl_add_u32 v6, v6, 23, v12
	v_or3_b32 v6, v7, v6, v3
.LBB2_5184:
	s_or_b64 exec, exec, s[6:7]
	s_nop 0
	v_mfma_f32_16x16x4f32 a[0:3], v2, v6, a[0:3]
	s_movk_i32 s4, 0x7f
	v_cmp_gt_i16_sdwa s[6:7], v8, s4 src0_sel:BYTE_0 src1_sel:DWORD
	s_mov_b64 s[4:5], 0
                                        ; implicit-def: $sgpr10
	s_and_saveexec_b64 s[8:9], s[6:7]
	s_xor_b64 s[6:7], exec, s[8:9]
	s_cbranch_execz .LBB2_5185
; %bb.41025:
	s_getpc_b64 s[14:15]
.Lpost_getpc24096:
	s_add_u32 s14, s14, (.LBB2_19521-.Lpost_getpc24096)&4294967295
	s_addc_u32 s15, s15, (.LBB2_19521-.Lpost_getpc24096)>>32
	s_setpc_b64 s[14:15]
.LBB2_5185:
	s_or_saveexec_b64 s[6:7], s[6:7]
	v_mov_b32_e32 v2, s10
	s_xor_b64 exec, exec, s[6:7]
	s_cbranch_execz .LBB2_5186
; %bb.41027:
	s_getpc_b64 s[14:15]
.Lpost_getpc24097:
	s_add_u32 s14, s14, (.LBB2_19524-.Lpost_getpc24097)&4294967295
	s_addc_u32 s15, s15, (.LBB2_19524-.Lpost_getpc24097)>>32
	s_setpc_b64 s[14:15]
.LBB2_5186:
	s_or_b64 exec, exec, s[6:7]
	s_and_saveexec_b64 s[6:7], s[4:5]
	s_cbranch_execz .LBB2_5188
.LBB2_5187:
	v_and_b32_e32 v2, 7, v8
	v_ffbh_u32_e32 v6, v2
	v_min_u32_e32 v6, 32, v6
	v_lshrrev_b16_e32 v3, 3, v8
	v_subrev_u32_e32 v7, 28, v6
	v_and_b32_e32 v3, 15, v3
	v_lshlrev_b32_e32 v7, v7, v8
	v_sub_u32_e32 v6, 29, v6
	v_and_b32_e32 v7, 7, v7
	v_cmp_eq_u16_e32 vcc, 0, v3
	v_cndmask_b32_e32 v2, v2, v7, vcc
	v_cndmask_b32_e32 v3, v3, v6, vcc
	v_lshlrev_b32_e32 v6, 24, v8
	v_mov_b32_e32 v7, 0x3b800000
	v_lshlrev_b32_e32 v2, 20, v2
	v_and_b32_e32 v6, 0x80000000, v6
	v_lshl_add_u32 v3, v3, 23, v7
	v_or3_b32 v2, v6, v3, v2
.LBB2_5188:
	s_or_b64 exec, exec, s[6:7]
	s_movk_i32 s4, 0x7f
	v_cmp_gt_i16_sdwa s[6:7], v4, s4 src0_sel:BYTE_0 src1_sel:DWORD
	s_mov_b64 s[4:5], 0
                                        ; implicit-def: $sgpr10
	s_and_saveexec_b64 s[8:9], s[6:7]
	s_xor_b64 s[6:7], exec, s[8:9]
	s_cbranch_execz .LBB2_5189
; %bb.41029:
	s_getpc_b64 s[14:15]
.Lpost_getpc24098:
	s_add_u32 s14, s14, (.LBB2_19525-.Lpost_getpc24098)&4294967295
	s_addc_u32 s15, s15, (.LBB2_19525-.Lpost_getpc24098)>>32
	s_setpc_b64 s[14:15]
.LBB2_5189:
	s_or_saveexec_b64 s[6:7], s[6:7]
	v_mov_b32_e32 v3, s10
	s_xor_b64 exec, exec, s[6:7]
	s_cbranch_execz .LBB2_5190
; %bb.41031:
	s_getpc_b64 s[14:15]
.Lpost_getpc24099:
	s_add_u32 s14, s14, (.LBB2_19528-.Lpost_getpc24099)&4294967295
	s_addc_u32 s15, s15, (.LBB2_19528-.Lpost_getpc24099)>>32
	s_setpc_b64 s[14:15]
.LBB2_5190:
	s_or_b64 exec, exec, s[6:7]
	s_and_saveexec_b64 s[6:7], s[4:5]
	s_cbranch_execz .LBB2_5192
.LBB2_5191:
	v_and_b32_e32 v3, 7, v4
	v_ffbh_u32_e32 v7, v3
	v_min_u32_e32 v7, 32, v7
	v_lshrrev_b16_e32 v6, 3, v4
	v_subrev_u32_e32 v12, 28, v7
	v_and_b32_e32 v6, 15, v6
	v_lshlrev_b32_e32 v12, v12, v4
	v_sub_u32_e32 v7, 29, v7
	v_and_b32_e32 v12, 7, v12
	v_cmp_eq_u16_e32 vcc, 0, v6
	v_cndmask_b32_e32 v3, v3, v12, vcc
	v_cndmask_b32_e32 v6, v6, v7, vcc
	v_lshlrev_b32_e32 v7, 24, v4
	v_mov_b32_e32 v12, 0x3b800000
	v_lshlrev_b32_e32 v3, 20, v3
	v_and_b32_e32 v7, 0x80000000, v7
	v_lshl_add_u32 v6, v6, 23, v12
	v_or3_b32 v3, v7, v6, v3
.LBB2_5192:
	s_or_b64 exec, exec, s[6:7]
	s_nop 0
	v_mfma_f32_16x16x4f32 a[0:3], v2, v3, a[0:3]
	v_lshrrev_b32_e32 v3, 8, v8
	s_movk_i32 s4, 0x7f
	v_cmp_gt_i16_sdwa s[6:7], v3, s4 src0_sel:BYTE_0 src1_sel:DWORD
	s_mov_b64 s[4:5], 0
                                        ; implicit-def: $sgpr10
	s_and_saveexec_b64 s[8:9], s[6:7]
	s_xor_b64 s[6:7], exec, s[8:9]
	s_cbranch_execz .LBB2_5193
; %bb.41033:
	s_getpc_b64 s[14:15]
.Lpost_getpc24100:
	s_add_u32 s14, s14, (.LBB2_19529-.Lpost_getpc24100)&4294967295
	s_addc_u32 s15, s15, (.LBB2_19529-.Lpost_getpc24100)>>32
	s_setpc_b64 s[14:15]
.LBB2_5193:
	s_or_saveexec_b64 s[6:7], s[6:7]
	v_mov_b32_e32 v2, s10
	s_xor_b64 exec, exec, s[6:7]
	s_cbranch_execz .LBB2_5194
; %bb.41035:
	s_getpc_b64 s[14:15]
.Lpost_getpc24101:
	s_add_u32 s14, s14, (.LBB2_19532-.Lpost_getpc24101)&4294967295
	s_addc_u32 s15, s15, (.LBB2_19532-.Lpost_getpc24101)>>32
	s_setpc_b64 s[14:15]
.LBB2_5194:
	s_or_b64 exec, exec, s[6:7]
	s_and_saveexec_b64 s[6:7], s[4:5]
	s_cbranch_execz .LBB2_5196
.LBB2_5195:
	v_bfe_u32 v2, v8, 8, 3
	v_ffbh_u32_e32 v7, v2
	v_min_u32_e32 v7, 32, v7
	v_lshrrev_b16_e32 v6, 3, v3
	v_subrev_u32_e32 v12, 28, v7
	v_and_b32_e32 v6, 15, v6
	v_lshlrev_b32_e32 v3, v12, v3
	v_sub_u32_e32 v7, 29, v7
	v_and_b32_e32 v3, 7, v3
	v_cmp_eq_u16_e32 vcc, 0, v6
	v_cndmask_b32_e32 v2, v2, v3, vcc
	v_cndmask_b32_e32 v3, v6, v7, vcc
	v_lshlrev_b32_e32 v6, 16, v8
	v_mov_b32_e32 v7, 0x3b800000
	v_lshlrev_b32_e32 v2, 20, v2
	v_and_b32_e32 v6, 0x80000000, v6
	v_lshl_add_u32 v3, v3, 23, v7
	v_or3_b32 v2, v6, v3, v2
.LBB2_5196:
	s_or_b64 exec, exec, s[6:7]
	v_lshrrev_b32_e32 v3, 8, v4
	s_movk_i32 s4, 0x7f
	v_cmp_gt_i16_sdwa s[6:7], v3, s4 src0_sel:BYTE_0 src1_sel:DWORD
	s_mov_b64 s[4:5], 0
                                        ; implicit-def: $sgpr10
	s_and_saveexec_b64 s[8:9], s[6:7]
	s_xor_b64 s[6:7], exec, s[8:9]
	s_cbranch_execz .LBB2_5197
; %bb.41037:
	s_getpc_b64 s[14:15]
.Lpost_getpc24102:
	s_add_u32 s14, s14, (.LBB2_19533-.Lpost_getpc24102)&4294967295
	s_addc_u32 s15, s15, (.LBB2_19533-.Lpost_getpc24102)>>32
	s_setpc_b64 s[14:15]
.LBB2_5197:
	s_or_saveexec_b64 s[6:7], s[6:7]
	v_mov_b32_e32 v6, s10
	s_xor_b64 exec, exec, s[6:7]
	s_cbranch_execz .LBB2_5198
; %bb.41039:
	s_getpc_b64 s[14:15]
.Lpost_getpc24103:
	s_add_u32 s14, s14, (.LBB2_19536-.Lpost_getpc24103)&4294967295
	s_addc_u32 s15, s15, (.LBB2_19536-.Lpost_getpc24103)>>32
	s_setpc_b64 s[14:15]
.LBB2_5198:
	s_or_b64 exec, exec, s[6:7]
	s_and_saveexec_b64 s[6:7], s[4:5]
	s_cbranch_execz .LBB2_5200
.LBB2_5199:
	v_bfe_u32 v6, v4, 8, 3
	v_ffbh_u32_e32 v12, v6
	v_min_u32_e32 v12, 32, v12
	v_lshrrev_b16_e32 v7, 3, v3
	v_subrev_u32_e32 v13, 28, v12
	v_and_b32_e32 v7, 15, v7
	v_lshlrev_b32_e32 v3, v13, v3
	v_sub_u32_e32 v12, 29, v12
	v_and_b32_e32 v3, 7, v3
	v_cmp_eq_u16_e32 vcc, 0, v7
	v_cndmask_b32_e32 v3, v6, v3, vcc
	v_cndmask_b32_e32 v6, v7, v12, vcc
	v_lshlrev_b32_e32 v7, 16, v4
	v_mov_b32_e32 v12, 0x3b800000
	v_lshlrev_b32_e32 v3, 20, v3
	v_and_b32_e32 v7, 0x80000000, v7
	v_lshl_add_u32 v6, v6, 23, v12
	v_or3_b32 v6, v7, v6, v3
.LBB2_5200:
	s_or_b64 exec, exec, s[6:7]
	s_nop 0
	v_mfma_f32_16x16x4f32 a[0:3], v2, v6, a[0:3]
	s_movk_i32 s4, 0xff
	v_and_b32_sdwa v3, v8, s4 dst_sel:DWORD dst_unused:UNUSED_PAD src0_sel:WORD_1 src1_sel:DWORD
	s_movk_i32 s4, 0x7f
	v_cmp_lt_i16_e32 vcc, s4, v3
	s_mov_b64 s[4:5], 0
                                        ; implicit-def: $sgpr10
	s_and_saveexec_b64 s[6:7], vcc
	s_xor_b64 s[6:7], exec, s[6:7]
	s_cbranch_execz .LBB2_5201
; %bb.41041:
	s_getpc_b64 s[14:15]
.Lpost_getpc24104:
	s_add_u32 s14, s14, (.LBB2_19537-.Lpost_getpc24104)&4294967295
	s_addc_u32 s15, s15, (.LBB2_19537-.Lpost_getpc24104)>>32
	s_setpc_b64 s[14:15]
.LBB2_5201:
	s_or_saveexec_b64 s[6:7], s[6:7]
	v_mov_b32_e32 v2, s10
	s_xor_b64 exec, exec, s[6:7]
	s_cbranch_execz .LBB2_5202
; %bb.41043:
	s_getpc_b64 s[14:15]
.Lpost_getpc24105:
	s_add_u32 s14, s14, (.LBB2_19540-.Lpost_getpc24105)&4294967295
	s_addc_u32 s15, s15, (.LBB2_19540-.Lpost_getpc24105)>>32
	s_setpc_b64 s[14:15]
.LBB2_5202:
	s_or_b64 exec, exec, s[6:7]
	s_and_saveexec_b64 s[6:7], s[4:5]
	s_cbranch_execz .LBB2_5204
.LBB2_5203:
	v_bfe_u32 v2, v8, 16, 3
	v_ffbh_u32_e32 v7, v2
	v_min_u32_e32 v7, 32, v7
	v_lshrrev_b32_e32 v3, 19, v8
	v_subrev_u32_e32 v12, 28, v7
	v_and_b32_e32 v3, 15, v3
	v_lshlrev_b32_sdwa v12, v12, v8 dst_sel:DWORD dst_unused:UNUSED_PAD src0_sel:DWORD src1_sel:WORD_1
	v_bfe_u32 v6, v8, 19, 4
	v_sub_u32_e32 v7, 29, v7
	v_and_b32_e32 v12, 7, v12
	v_cmp_eq_u16_e32 vcc, 0, v3
	v_cndmask_b32_e32 v2, v2, v12, vcc
	v_cndmask_b32_e32 v3, v6, v7, vcc
	v_lshlrev_b32_e32 v6, 8, v8
	v_mov_b32_e32 v7, 0x3b800000
	v_lshlrev_b32_e32 v2, 20, v2
	v_and_b32_e32 v6, 0x80000000, v6
	v_lshl_add_u32 v3, v3, 23, v7
	v_or3_b32 v2, v6, v3, v2
.LBB2_5204:
	s_or_b64 exec, exec, s[6:7]
	s_movk_i32 s4, 0xff
	v_and_b32_sdwa v3, v4, s4 dst_sel:DWORD dst_unused:UNUSED_PAD src0_sel:WORD_1 src1_sel:DWORD
	s_movk_i32 s4, 0x7f
	v_cmp_lt_i16_e32 vcc, s4, v3
	s_mov_b64 s[4:5], 0
                                        ; implicit-def: $sgpr10
	s_and_saveexec_b64 s[6:7], vcc
	s_xor_b64 s[6:7], exec, s[6:7]
	s_cbranch_execz .LBB2_5205
; %bb.41045:
	s_getpc_b64 s[14:15]
.Lpost_getpc24106:
	s_add_u32 s14, s14, (.LBB2_19541-.Lpost_getpc24106)&4294967295
	s_addc_u32 s15, s15, (.LBB2_19541-.Lpost_getpc24106)>>32
	s_setpc_b64 s[14:15]
.LBB2_5205:
	s_or_saveexec_b64 s[6:7], s[6:7]
	v_mov_b32_e32 v6, s10
	s_xor_b64 exec, exec, s[6:7]
	s_cbranch_execz .LBB2_5206
; %bb.41047:
	s_getpc_b64 s[14:15]
.Lpost_getpc24107:
	s_add_u32 s14, s14, (.LBB2_19544-.Lpost_getpc24107)&4294967295
	s_addc_u32 s15, s15, (.LBB2_19544-.Lpost_getpc24107)>>32
	s_setpc_b64 s[14:15]
.LBB2_5206:
	s_or_b64 exec, exec, s[6:7]
	s_and_saveexec_b64 s[6:7], s[4:5]
	s_cbranch_execz .LBB2_5208
.LBB2_5207:
	v_bfe_u32 v3, v4, 16, 3
	v_ffbh_u32_e32 v12, v3
	v_min_u32_e32 v12, 32, v12
	v_lshrrev_b32_e32 v6, 19, v4
	v_subrev_u32_e32 v13, 28, v12
	v_and_b32_e32 v6, 15, v6
	v_lshlrev_b32_sdwa v13, v13, v4 dst_sel:DWORD dst_unused:UNUSED_PAD src0_sel:DWORD src1_sel:WORD_1
	v_bfe_u32 v7, v4, 19, 4
	v_sub_u32_e32 v12, 29, v12
	v_and_b32_e32 v13, 7, v13
	v_cmp_eq_u16_e32 vcc, 0, v6
	v_cndmask_b32_e32 v3, v3, v13, vcc
	v_cndmask_b32_e32 v6, v7, v12, vcc
	v_lshlrev_b32_e32 v7, 8, v4
	v_mov_b32_e32 v12, 0x3b800000
	v_lshlrev_b32_e32 v3, 20, v3
	v_and_b32_e32 v7, 0x80000000, v7
	v_lshl_add_u32 v6, v6, 23, v12
	v_or3_b32 v6, v7, v6, v3
.LBB2_5208:
	s_or_b64 exec, exec, s[6:7]
	s_nop 0
	v_mfma_f32_16x16x4f32 a[0:3], v2, v6, a[0:3]
	s_movk_i32 s4, 0x7f
	v_cmp_gt_i16_sdwa s[6:7], v8, s4 src0_sel:BYTE_3 src1_sel:DWORD
	s_mov_b64 s[4:5], 0
                                        ; implicit-def: $sgpr10
	s_and_saveexec_b64 s[8:9], s[6:7]
	s_xor_b64 s[6:7], exec, s[8:9]
	s_cbranch_execz .LBB2_5209
; %bb.41049:
	s_getpc_b64 s[14:15]
.Lpost_getpc24108:
	s_add_u32 s14, s14, (.LBB2_19545-.Lpost_getpc24108)&4294967295
	s_addc_u32 s15, s15, (.LBB2_19545-.Lpost_getpc24108)>>32
	s_setpc_b64 s[14:15]
.LBB2_5209:
	s_or_saveexec_b64 s[6:7], s[6:7]
	v_mov_b32_e32 v2, s10
	s_xor_b64 exec, exec, s[6:7]
	s_cbranch_execz .LBB2_5210
; %bb.41051:
	s_getpc_b64 s[14:15]
.Lpost_getpc24109:
	s_add_u32 s14, s14, (.LBB2_19548-.Lpost_getpc24109)&4294967295
	s_addc_u32 s15, s15, (.LBB2_19548-.Lpost_getpc24109)>>32
	s_setpc_b64 s[14:15]
.LBB2_5210:
	s_or_b64 exec, exec, s[6:7]
	s_and_saveexec_b64 s[6:7], s[4:5]
	s_cbranch_execz .LBB2_5212
.LBB2_5211:
	v_bfe_u32 v2, v8, 24, 3
	v_ffbh_u32_e32 v12, v2
	v_min_u32_e32 v12, 32, v12
	v_lshrrev_b32_e32 v6, 27, v8
	v_subrev_u32_e32 v13, 28, v12
	v_and_b32_e32 v3, 0x80000000, v8
	v_and_b32_e32 v6, 15, v6
	v_bfe_u32 v7, v8, 27, 4
	v_lshlrev_b32_sdwa v8, v13, v8 dst_sel:DWORD dst_unused:UNUSED_PAD src0_sel:DWORD src1_sel:BYTE_3
	v_sub_u32_e32 v12, 29, v12
	v_and_b32_e32 v8, 7, v8
	v_cmp_eq_u16_e32 vcc, 0, v6
	v_cndmask_b32_e32 v2, v2, v8, vcc
	v_cndmask_b32_e32 v6, v7, v12, vcc
	v_mov_b32_e32 v7, 0x3b800000
	v_lshlrev_b32_e32 v2, 20, v2
	v_lshl_add_u32 v6, v6, 23, v7
	v_or3_b32 v2, v3, v6, v2
.LBB2_5212:
	s_or_b64 exec, exec, s[6:7]
	s_movk_i32 s4, 0x7f
	v_cmp_gt_i16_sdwa s[6:7], v4, s4 src0_sel:BYTE_3 src1_sel:DWORD
	s_mov_b64 s[4:5], 0
                                        ; implicit-def: $sgpr10
	s_and_saveexec_b64 s[8:9], s[6:7]
	s_xor_b64 s[6:7], exec, s[8:9]
	s_cbranch_execz .LBB2_5213
; %bb.41053:
	s_getpc_b64 s[14:15]
.Lpost_getpc24110:
	s_add_u32 s14, s14, (.LBB2_19549-.Lpost_getpc24110)&4294967295
	s_addc_u32 s15, s15, (.LBB2_19549-.Lpost_getpc24110)>>32
	s_setpc_b64 s[14:15]
.LBB2_5213:
	s_or_saveexec_b64 s[6:7], s[6:7]
	v_mov_b32_e32 v3, s10
	s_xor_b64 exec, exec, s[6:7]
	s_cbranch_execz .LBB2_5214
; %bb.41055:
	s_getpc_b64 s[14:15]
.Lpost_getpc24111:
	s_add_u32 s14, s14, (.LBB2_19552-.Lpost_getpc24111)&4294967295
	s_addc_u32 s15, s15, (.LBB2_19552-.Lpost_getpc24111)>>32
	s_setpc_b64 s[14:15]
.LBB2_5214:
	s_or_b64 exec, exec, s[6:7]
	s_and_saveexec_b64 s[6:7], s[4:5]
	s_cbranch_execz .LBB2_5216
.LBB2_5215:
	v_bfe_u32 v3, v4, 24, 3
	v_ffbh_u32_e32 v12, v3
	v_min_u32_e32 v12, 32, v12
	v_lshrrev_b32_e32 v7, 27, v4
	v_subrev_u32_e32 v13, 28, v12
	v_and_b32_e32 v6, 0x80000000, v4
	v_and_b32_e32 v7, 15, v7
	v_bfe_u32 v8, v4, 27, 4
	v_lshlrev_b32_sdwa v4, v13, v4 dst_sel:DWORD dst_unused:UNUSED_PAD src0_sel:DWORD src1_sel:BYTE_3
	v_sub_u32_e32 v12, 29, v12
	v_and_b32_e32 v4, 7, v4
	v_cmp_eq_u16_e32 vcc, 0, v7
	v_cndmask_b32_e32 v3, v3, v4, vcc
	v_cndmask_b32_e32 v4, v8, v12, vcc
	v_mov_b32_e32 v7, 0x3b800000
	v_lshlrev_b32_e32 v3, 20, v3
	v_lshl_add_u32 v4, v4, 23, v7
	v_or3_b32 v3, v6, v4, v3
.LBB2_5216:
	s_or_b64 exec, exec, s[6:7]
	s_nop 0
	v_mfma_f32_16x16x4f32 a[0:3], v2, v3, a[0:3]
	s_movk_i32 s4, 0x7f
	v_cmp_gt_i16_sdwa s[6:7], v9, s4 src0_sel:BYTE_0 src1_sel:DWORD
	s_mov_b64 s[4:5], 0
                                        ; implicit-def: $sgpr10
	s_and_saveexec_b64 s[8:9], s[6:7]
	s_xor_b64 s[6:7], exec, s[8:9]
	s_cbranch_execz .LBB2_5217
; %bb.41057:
	s_getpc_b64 s[14:15]
.Lpost_getpc24112:
	s_add_u32 s14, s14, (.LBB2_19553-.Lpost_getpc24112)&4294967295
	s_addc_u32 s15, s15, (.LBB2_19553-.Lpost_getpc24112)>>32
	s_setpc_b64 s[14:15]
.LBB2_5217:
	s_or_saveexec_b64 s[6:7], s[6:7]
	v_mov_b32_e32 v2, s10
	s_xor_b64 exec, exec, s[6:7]
	s_cbranch_execz .LBB2_5218
; %bb.41059:
	s_getpc_b64 s[14:15]
.Lpost_getpc24113:
	s_add_u32 s14, s14, (.LBB2_19556-.Lpost_getpc24113)&4294967295
	s_addc_u32 s15, s15, (.LBB2_19556-.Lpost_getpc24113)>>32
	s_setpc_b64 s[14:15]
.LBB2_5218:
	s_or_b64 exec, exec, s[6:7]
	s_and_saveexec_b64 s[6:7], s[4:5]
	s_cbranch_execz .LBB2_5220
.LBB2_5219:
	v_mov_b32_e32 v2, 8
	v_and_b32_e32 v3, 7, v9
	v_lshrrev_b32_sdwa v2, v2, v9 dst_sel:BYTE_1 dst_unused:UNUSED_PAD src0_sel:DWORD src1_sel:DWORD
	v_ffbh_u32_e32 v4, v3
	v_or_b32_sdwa v2, v9, v2 dst_sel:DWORD dst_unused:UNUSED_PAD src0_sel:BYTE_0 src1_sel:DWORD
	v_min_u32_e32 v4, 32, v4
	v_lshrrev_b16_e32 v2, 3, v2
	v_subrev_u32_e32 v6, 28, v4
	v_and_b32_e32 v2, 15, v2
	v_lshlrev_b32_e32 v6, v6, v9
	v_sub_u32_e32 v4, 29, v4
	v_and_b32_e32 v6, 7, v6
	v_cmp_eq_u16_e32 vcc, 0, v2
	v_cndmask_b32_e32 v3, v3, v6, vcc
	v_cndmask_b32_e32 v2, v2, v4, vcc
	v_lshlrev_b32_e32 v4, 24, v9
	v_mov_b32_e32 v6, 0x3b800000
	v_lshlrev_b32_e32 v3, 20, v3
	v_and_b32_e32 v4, 0x80000000, v4
	v_lshl_add_u32 v2, v2, 23, v6
	v_or3_b32 v2, v4, v2, v3
.LBB2_5220:
	s_or_b64 exec, exec, s[6:7]
	s_movk_i32 s4, 0x7f
	v_cmp_gt_i16_sdwa s[6:7], v5, s4 src0_sel:BYTE_0 src1_sel:DWORD
	s_mov_b64 s[4:5], 0
                                        ; implicit-def: $sgpr10
	s_and_saveexec_b64 s[8:9], s[6:7]
	s_xor_b64 s[6:7], exec, s[8:9]
	s_cbranch_execz .LBB2_5221
; %bb.41061:
	s_getpc_b64 s[14:15]
.Lpost_getpc24114:
	s_add_u32 s14, s14, (.LBB2_19557-.Lpost_getpc24114)&4294967295
	s_addc_u32 s15, s15, (.LBB2_19557-.Lpost_getpc24114)>>32
	s_setpc_b64 s[14:15]
.LBB2_5221:
	s_or_saveexec_b64 s[6:7], s[6:7]
	v_mov_b32_e32 v3, s10
	s_xor_b64 exec, exec, s[6:7]
	s_cbranch_execz .LBB2_5222
; %bb.41063:
	s_getpc_b64 s[14:15]
.Lpost_getpc24115:
	s_add_u32 s14, s14, (.LBB2_19560-.Lpost_getpc24115)&4294967295
	s_addc_u32 s15, s15, (.LBB2_19560-.Lpost_getpc24115)>>32
	s_setpc_b64 s[14:15]
.LBB2_5222:
	s_or_b64 exec, exec, s[6:7]
	s_and_saveexec_b64 s[6:7], s[4:5]
	s_cbranch_execz .LBB2_5224
.LBB2_5223:
	v_mov_b32_e32 v3, 8
	v_and_b32_e32 v4, 7, v5
	v_lshrrev_b32_sdwa v3, v3, v5 dst_sel:BYTE_1 dst_unused:UNUSED_PAD src0_sel:DWORD src1_sel:DWORD
	v_ffbh_u32_e32 v6, v4
	v_or_b32_sdwa v3, v5, v3 dst_sel:DWORD dst_unused:UNUSED_PAD src0_sel:BYTE_0 src1_sel:DWORD
	v_min_u32_e32 v6, 32, v6
	v_lshrrev_b16_e32 v3, 3, v3
	v_subrev_u32_e32 v7, 28, v6
	v_and_b32_e32 v3, 15, v3
	v_lshlrev_b32_e32 v7, v7, v5
	v_sub_u32_e32 v6, 29, v6
	v_and_b32_e32 v7, 7, v7
	v_cmp_eq_u16_e32 vcc, 0, v3
	v_cndmask_b32_e32 v4, v4, v7, vcc
	v_cndmask_b32_e32 v3, v3, v6, vcc
	v_lshlrev_b32_e32 v6, 24, v5
	v_mov_b32_e32 v7, 0x3b800000
	v_lshlrev_b32_e32 v4, 20, v4
	v_and_b32_e32 v6, 0x80000000, v6
	v_lshl_add_u32 v3, v3, 23, v7
	v_or3_b32 v3, v6, v3, v4
.LBB2_5224:
	s_or_b64 exec, exec, s[6:7]
	s_nop 0
	v_mfma_f32_16x16x4f32 a[0:3], v2, v3, a[0:3]
	v_lshrrev_b32_e32 v3, 8, v9
	s_movk_i32 s4, 0x7f
	v_cmp_gt_i16_sdwa s[6:7], v3, s4 src0_sel:BYTE_0 src1_sel:DWORD
	s_mov_b64 s[4:5], 0
                                        ; implicit-def: $sgpr10
	s_and_saveexec_b64 s[8:9], s[6:7]
	s_xor_b64 s[6:7], exec, s[8:9]
	s_cbranch_execz .LBB2_5225
; %bb.41065:
	s_getpc_b64 s[14:15]
.Lpost_getpc24116:
	s_add_u32 s14, s14, (.LBB2_19561-.Lpost_getpc24116)&4294967295
	s_addc_u32 s15, s15, (.LBB2_19561-.Lpost_getpc24116)>>32
	s_setpc_b64 s[14:15]
.LBB2_5225:
	s_or_saveexec_b64 s[6:7], s[6:7]
	v_mov_b32_e32 v2, s10
	s_xor_b64 exec, exec, s[6:7]
	s_cbranch_execz .LBB2_5226
; %bb.41067:
	s_getpc_b64 s[14:15]
.Lpost_getpc24117:
	s_add_u32 s14, s14, (.LBB2_19564-.Lpost_getpc24117)&4294967295
	s_addc_u32 s15, s15, (.LBB2_19564-.Lpost_getpc24117)>>32
	s_setpc_b64 s[14:15]
.LBB2_5226:
	s_or_b64 exec, exec, s[6:7]
	s_and_saveexec_b64 s[6:7], s[4:5]
	s_cbranch_execz .LBB2_5228
.LBB2_5227:
	v_bfe_u32 v2, v9, 8, 3
	v_ffbh_u32_e32 v6, v2
	v_min_u32_e32 v6, 32, v6
	v_lshrrev_b16_e32 v4, 3, v3
	v_subrev_u32_e32 v7, 28, v6
	v_and_b32_e32 v4, 15, v4
	v_lshlrev_b32_e32 v3, v7, v3
	v_sub_u32_e32 v6, 29, v6
	v_and_b32_e32 v3, 7, v3
	v_cmp_eq_u16_e32 vcc, 0, v4
	v_cndmask_b32_e32 v2, v2, v3, vcc
	v_cndmask_b32_e32 v3, v4, v6, vcc
	v_lshlrev_b32_e32 v4, 16, v9
	v_mov_b32_e32 v6, 0x3b800000
	v_lshlrev_b32_e32 v2, 20, v2
	v_and_b32_e32 v4, 0x80000000, v4
	v_lshl_add_u32 v3, v3, 23, v6
	v_or3_b32 v2, v4, v3, v2
.LBB2_5228:
	s_or_b64 exec, exec, s[6:7]
	v_lshrrev_b32_e32 v3, 8, v5
	s_movk_i32 s4, 0x7f
	v_cmp_gt_i16_sdwa s[6:7], v3, s4 src0_sel:BYTE_0 src1_sel:DWORD
	s_mov_b64 s[4:5], 0
                                        ; implicit-def: $sgpr10
	s_and_saveexec_b64 s[8:9], s[6:7]
	s_xor_b64 s[6:7], exec, s[8:9]
	s_cbranch_execz .LBB2_5229
; %bb.41069:
	s_getpc_b64 s[14:15]
.Lpost_getpc24118:
	s_add_u32 s14, s14, (.LBB2_19565-.Lpost_getpc24118)&4294967295
	s_addc_u32 s15, s15, (.LBB2_19565-.Lpost_getpc24118)>>32
	s_setpc_b64 s[14:15]
.LBB2_5229:
	s_or_saveexec_b64 s[6:7], s[6:7]
	v_mov_b32_e32 v4, s10
	s_xor_b64 exec, exec, s[6:7]
	s_cbranch_execz .LBB2_5230
; %bb.41071:
	s_getpc_b64 s[14:15]
.Lpost_getpc24119:
	s_add_u32 s14, s14, (.LBB2_19568-.Lpost_getpc24119)&4294967295
	s_addc_u32 s15, s15, (.LBB2_19568-.Lpost_getpc24119)>>32
	s_setpc_b64 s[14:15]
.LBB2_5230:
	s_or_b64 exec, exec, s[6:7]
	s_and_saveexec_b64 s[6:7], s[4:5]
	s_cbranch_execz .LBB2_5232
.LBB2_5231:
	v_bfe_u32 v4, v5, 8, 3
	v_ffbh_u32_e32 v7, v4
	v_min_u32_e32 v7, 32, v7
	v_lshrrev_b16_e32 v6, 3, v3
	v_subrev_u32_e32 v8, 28, v7
	v_and_b32_e32 v6, 15, v6
	v_lshlrev_b32_e32 v3, v8, v3
	v_sub_u32_e32 v7, 29, v7
	v_and_b32_e32 v3, 7, v3
	v_cmp_eq_u16_e32 vcc, 0, v6
	v_cndmask_b32_e32 v3, v4, v3, vcc
	v_cndmask_b32_e32 v4, v6, v7, vcc
	v_lshlrev_b32_e32 v6, 16, v5
	v_mov_b32_e32 v7, 0x3b800000
	v_lshlrev_b32_e32 v3, 20, v3
	v_and_b32_e32 v6, 0x80000000, v6
	v_lshl_add_u32 v4, v4, 23, v7
	v_or3_b32 v4, v6, v4, v3
.LBB2_5232:
	s_or_b64 exec, exec, s[6:7]
	s_nop 0
	v_mfma_f32_16x16x4f32 a[0:3], v2, v4, a[0:3]
	s_movk_i32 s4, 0xff
	v_and_b32_sdwa v3, v9, s4 dst_sel:DWORD dst_unused:UNUSED_PAD src0_sel:WORD_1 src1_sel:DWORD
	s_movk_i32 s4, 0x7f
	v_cmp_lt_i16_e32 vcc, s4, v3
	s_mov_b64 s[4:5], 0
                                        ; implicit-def: $sgpr10
	s_and_saveexec_b64 s[6:7], vcc
	s_xor_b64 s[6:7], exec, s[6:7]
	s_cbranch_execz .LBB2_5233
; %bb.41073:
	s_getpc_b64 s[14:15]
.Lpost_getpc24120:
	s_add_u32 s14, s14, (.LBB2_19569-.Lpost_getpc24120)&4294967295
	s_addc_u32 s15, s15, (.LBB2_19569-.Lpost_getpc24120)>>32
	s_setpc_b64 s[14:15]
.LBB2_5233:
	s_or_saveexec_b64 s[6:7], s[6:7]
	v_mov_b32_e32 v2, s10
	s_xor_b64 exec, exec, s[6:7]
	s_cbranch_execz .LBB2_5234
; %bb.41075:
	s_getpc_b64 s[14:15]
.Lpost_getpc24121:
	s_add_u32 s14, s14, (.LBB2_19572-.Lpost_getpc24121)&4294967295
	s_addc_u32 s15, s15, (.LBB2_19572-.Lpost_getpc24121)>>32
	s_setpc_b64 s[14:15]
.LBB2_5234:
	s_or_b64 exec, exec, s[6:7]
	s_and_saveexec_b64 s[6:7], s[4:5]
	s_cbranch_execz .LBB2_5236
.LBB2_5235:
	v_bfe_u32 v2, v9, 16, 3
	v_ffbh_u32_e32 v6, v2
	v_min_u32_e32 v6, 32, v6
	v_lshrrev_b32_e32 v3, 19, v9
	v_subrev_u32_e32 v7, 28, v6
	v_and_b32_e32 v3, 15, v3
	v_lshlrev_b32_sdwa v7, v7, v9 dst_sel:DWORD dst_unused:UNUSED_PAD src0_sel:DWORD src1_sel:WORD_1
	v_bfe_u32 v4, v9, 19, 4
	v_sub_u32_e32 v6, 29, v6
	v_and_b32_e32 v7, 7, v7
	v_cmp_eq_u16_e32 vcc, 0, v3
	v_cndmask_b32_e32 v2, v2, v7, vcc
	v_cndmask_b32_e32 v3, v4, v6, vcc
	v_lshlrev_b32_e32 v4, 8, v9
	v_mov_b32_e32 v6, 0x3b800000
	v_lshlrev_b32_e32 v2, 20, v2
	v_and_b32_e32 v4, 0x80000000, v4
	v_lshl_add_u32 v3, v3, 23, v6
	v_or3_b32 v2, v4, v3, v2
.LBB2_5236:
	s_or_b64 exec, exec, s[6:7]
	s_movk_i32 s4, 0xff
	v_and_b32_sdwa v3, v5, s4 dst_sel:DWORD dst_unused:UNUSED_PAD src0_sel:WORD_1 src1_sel:DWORD
	s_movk_i32 s4, 0x7f
	v_cmp_lt_i16_e32 vcc, s4, v3
	s_mov_b64 s[4:5], 0
                                        ; implicit-def: $sgpr10
	s_and_saveexec_b64 s[6:7], vcc
	s_xor_b64 s[6:7], exec, s[6:7]
	s_cbranch_execz .LBB2_5237
; %bb.41077:
	s_getpc_b64 s[14:15]
.Lpost_getpc24122:
	s_add_u32 s14, s14, (.LBB2_19573-.Lpost_getpc24122)&4294967295
	s_addc_u32 s15, s15, (.LBB2_19573-.Lpost_getpc24122)>>32
	s_setpc_b64 s[14:15]
.LBB2_5237:
	s_or_saveexec_b64 s[6:7], s[6:7]
	v_mov_b32_e32 v4, s10
	s_xor_b64 exec, exec, s[6:7]
	s_cbranch_execz .LBB2_5238
; %bb.41079:
	s_getpc_b64 s[14:15]
.Lpost_getpc24123:
	s_add_u32 s14, s14, (.LBB2_19576-.Lpost_getpc24123)&4294967295
	s_addc_u32 s15, s15, (.LBB2_19576-.Lpost_getpc24123)>>32
	s_setpc_b64 s[14:15]
.LBB2_5238:
	s_or_b64 exec, exec, s[6:7]
	s_and_saveexec_b64 s[6:7], s[4:5]
	s_cbranch_execz .LBB2_5240
.LBB2_5239:
	v_bfe_u32 v3, v5, 16, 3
	v_ffbh_u32_e32 v7, v3
	v_min_u32_e32 v7, 32, v7
	v_lshrrev_b32_e32 v4, 19, v5
	v_subrev_u32_e32 v8, 28, v7
	v_and_b32_e32 v4, 15, v4
	v_lshlrev_b32_sdwa v8, v8, v5 dst_sel:DWORD dst_unused:UNUSED_PAD src0_sel:DWORD src1_sel:WORD_1
	v_bfe_u32 v6, v5, 19, 4
	v_sub_u32_e32 v7, 29, v7
	v_and_b32_e32 v8, 7, v8
	v_cmp_eq_u16_e32 vcc, 0, v4
	v_cndmask_b32_e32 v3, v3, v8, vcc
	v_cndmask_b32_e32 v4, v6, v7, vcc
	v_lshlrev_b32_e32 v6, 8, v5
	v_mov_b32_e32 v7, 0x3b800000
	v_lshlrev_b32_e32 v3, 20, v3
	v_and_b32_e32 v6, 0x80000000, v6
	v_lshl_add_u32 v4, v4, 23, v7
	v_or3_b32 v4, v6, v4, v3
.LBB2_5240:
	s_or_b64 exec, exec, s[6:7]
	s_nop 0
	v_mfma_f32_16x16x4f32 a[0:3], v2, v4, a[0:3]
	s_movk_i32 s4, 0x7f
	v_cmp_gt_i16_sdwa s[6:7], v9, s4 src0_sel:BYTE_3 src1_sel:DWORD
	s_mov_b64 s[4:5], 0
                                        ; implicit-def: $sgpr10
	s_and_saveexec_b64 s[8:9], s[6:7]
	s_xor_b64 s[6:7], exec, s[8:9]
	s_cbranch_execz .LBB2_5241
; %bb.41081:
	s_getpc_b64 s[14:15]
.Lpost_getpc24124:
	s_add_u32 s14, s14, (.LBB2_19577-.Lpost_getpc24124)&4294967295
	s_addc_u32 s15, s15, (.LBB2_19577-.Lpost_getpc24124)>>32
	s_setpc_b64 s[14:15]
.LBB2_5241:
	s_or_saveexec_b64 s[6:7], s[6:7]
	v_mov_b32_e32 v2, s10
	s_xor_b64 exec, exec, s[6:7]
	s_cbranch_execz .LBB2_5242
; %bb.41083:
	s_getpc_b64 s[14:15]
.Lpost_getpc24125:
	s_add_u32 s14, s14, (.LBB2_19580-.Lpost_getpc24125)&4294967295
	s_addc_u32 s15, s15, (.LBB2_19580-.Lpost_getpc24125)>>32
	s_setpc_b64 s[14:15]
.LBB2_5242:
	s_or_b64 exec, exec, s[6:7]
	s_and_saveexec_b64 s[6:7], s[4:5]
	s_cbranch_execz .LBB2_5244
.LBB2_5243:
	v_bfe_u32 v2, v9, 24, 3
	v_ffbh_u32_e32 v7, v2
	v_min_u32_e32 v7, 32, v7
	v_lshrrev_b32_e32 v4, 27, v9
	v_subrev_u32_e32 v8, 28, v7
	v_and_b32_e32 v4, 15, v4
	v_lshlrev_b32_sdwa v8, v8, v9 dst_sel:DWORD dst_unused:UNUSED_PAD src0_sel:DWORD src1_sel:BYTE_3
	v_bfe_u32 v6, v9, 27, 4
	v_sub_u32_e32 v7, 29, v7
	v_and_b32_e32 v8, 7, v8
	v_cmp_eq_u16_e32 vcc, 0, v4
	v_cndmask_b32_e32 v2, v2, v8, vcc
	v_cndmask_b32_e32 v4, v6, v7, vcc
	v_mov_b32_e32 v6, 0x3b800000
	v_and_b32_e32 v3, 0x80000000, v9
	v_lshlrev_b32_e32 v2, 20, v2
	v_lshl_add_u32 v4, v4, 23, v6
	v_or3_b32 v2, v3, v4, v2
.LBB2_5244:
	s_or_b64 exec, exec, s[6:7]
	s_movk_i32 s4, 0x7f
	v_cmp_gt_i16_sdwa s[6:7], v5, s4 src0_sel:BYTE_3 src1_sel:DWORD
	s_mov_b64 s[4:5], 0
                                        ; implicit-def: $sgpr10
	s_and_saveexec_b64 s[8:9], s[6:7]
	s_xor_b64 s[6:7], exec, s[8:9]
	s_cbranch_execz .LBB2_5245
; %bb.41085:
	s_getpc_b64 s[14:15]
.Lpost_getpc24126:
	s_add_u32 s14, s14, (.LBB2_19581-.Lpost_getpc24126)&4294967295
	s_addc_u32 s15, s15, (.LBB2_19581-.Lpost_getpc24126)>>32
	s_setpc_b64 s[14:15]
.LBB2_5245:
	s_or_saveexec_b64 s[6:7], s[6:7]
	v_mov_b32_e32 v3, s10
	s_xor_b64 exec, exec, s[6:7]
	s_cbranch_execz .LBB2_5246
; %bb.41087:
	s_getpc_b64 s[14:15]
.Lpost_getpc24127:
	s_add_u32 s14, s14, (.LBB2_19584-.Lpost_getpc24127)&4294967295
	s_addc_u32 s15, s15, (.LBB2_19584-.Lpost_getpc24127)>>32
	s_setpc_b64 s[14:15]
.LBB2_5246:
	s_or_b64 exec, exec, s[6:7]
	s_and_saveexec_b64 s[6:7], s[4:5]
	s_cbranch_execz .LBB2_5248
.LBB2_5247:
	v_bfe_u32 v3, v5, 24, 3
	v_ffbh_u32_e32 v8, v3
	v_min_u32_e32 v8, 32, v8
	v_lshrrev_b32_e32 v6, 27, v5
	v_subrev_u32_e32 v9, 28, v8
	v_and_b32_e32 v4, 0x80000000, v5
	v_and_b32_e32 v6, 15, v6
	v_bfe_u32 v7, v5, 27, 4
	v_lshlrev_b32_sdwa v5, v9, v5 dst_sel:DWORD dst_unused:UNUSED_PAD src0_sel:DWORD src1_sel:BYTE_3
	v_sub_u32_e32 v8, 29, v8
	v_and_b32_e32 v5, 7, v5
	v_cmp_eq_u16_e32 vcc, 0, v6
	v_cndmask_b32_e32 v3, v3, v5, vcc
	v_cndmask_b32_e32 v5, v7, v8, vcc
	v_mov_b32_e32 v6, 0x3b800000
	v_lshlrev_b32_e32 v3, 20, v3
	v_lshl_add_u32 v5, v5, 23, v6
	v_or3_b32 v3, v4, v5, v3
.LBB2_5248:
	s_or_b64 exec, exec, s[6:7]
	s_nop 0
	v_mfma_f32_16x16x4f32 a[0:3], v2, v3, a[0:3]
	s_movk_i32 s4, 0x7f
                                        ; implicit-def: $sgpr10
	s_nop 7
	s_nop 1
	flat_store_dwordx4 v[10:11], a[0:3] offset:640
	flat_load_dwordx4 v[12:15], v[0:1]
	s_nop 0
	flat_load_dwordx2 v[10:11], v[0:1] offset:16
	s_waitcnt vmcnt(0) lgkmcnt(0)
	flat_load_dwordx4 v[6:9], v[12:13] offset:80
	flat_load_dwordx4 v[2:5], v[14:15] offset:16
	s_waitcnt vmcnt(0) lgkmcnt(0)
	v_cmp_gt_i16_sdwa s[6:7], v6, s4 src0_sel:BYTE_0 src1_sel:DWORD
	s_mov_b64 s[4:5], 0
	s_and_saveexec_b64 s[8:9], s[6:7]
	s_xor_b64 s[6:7], exec, s[8:9]
	s_cbranch_execz .LBB2_5249
; %bb.41089:
	s_getpc_b64 s[14:15]
.Lpost_getpc24128:
	s_add_u32 s14, s14, (.LBB2_19585-.Lpost_getpc24128)&4294967295
	s_addc_u32 s15, s15, (.LBB2_19585-.Lpost_getpc24128)>>32
	s_setpc_b64 s[14:15]
.LBB2_5249:
	s_or_saveexec_b64 s[6:7], s[6:7]
	v_mov_b32_e32 v12, s10
	s_xor_b64 exec, exec, s[6:7]
	s_cbranch_execz .LBB2_5250
; %bb.41091:
	s_getpc_b64 s[14:15]
.Lpost_getpc24129:
	s_add_u32 s14, s14, (.LBB2_19588-.Lpost_getpc24129)&4294967295
	s_addc_u32 s15, s15, (.LBB2_19588-.Lpost_getpc24129)>>32
	s_setpc_b64 s[14:15]
.LBB2_5250:
	s_or_b64 exec, exec, s[6:7]
	s_and_saveexec_b64 s[6:7], s[4:5]
	s_cbranch_execz .LBB2_5252
.LBB2_5251:
	v_and_b32_e32 v12, 7, v6
	v_ffbh_u32_e32 v14, v12
	v_min_u32_e32 v14, 32, v14
	v_lshrrev_b16_e32 v13, 3, v6
	v_subrev_u32_e32 v15, 28, v14
	v_and_b32_e32 v13, 15, v13
	v_lshlrev_b32_e32 v15, v15, v6
	v_sub_u32_e32 v14, 29, v14
	v_and_b32_e32 v15, 7, v15
	v_cmp_eq_u16_e32 vcc, 0, v13
	v_cndmask_b32_e32 v12, v12, v15, vcc
	v_cndmask_b32_e32 v13, v13, v14, vcc
	v_lshlrev_b32_e32 v14, 24, v6
	v_mov_b32_e32 v15, 0x3b800000
	v_lshlrev_b32_e32 v12, 20, v12
	v_and_b32_e32 v14, 0x80000000, v14
	v_lshl_add_u32 v13, v13, 23, v15
	v_or3_b32 v12, v14, v13, v12
.LBB2_5252:
	s_or_b64 exec, exec, s[6:7]
	s_movk_i32 s4, 0x7f
	v_cmp_gt_i16_sdwa s[6:7], v2, s4 src0_sel:BYTE_0 src1_sel:DWORD
	s_mov_b64 s[4:5], 0
                                        ; implicit-def: $sgpr10
	s_and_saveexec_b64 s[8:9], s[6:7]
	s_xor_b64 s[6:7], exec, s[8:9]
	s_cbranch_execz .LBB2_5253
; %bb.41093:
	s_getpc_b64 s[14:15]
.Lpost_getpc24130:
	s_add_u32 s14, s14, (.LBB2_19589-.Lpost_getpc24130)&4294967295
	s_addc_u32 s15, s15, (.LBB2_19589-.Lpost_getpc24130)>>32
	s_setpc_b64 s[14:15]
.LBB2_5253:
	s_or_saveexec_b64 s[6:7], s[6:7]
	v_mov_b32_e32 v13, s10
	s_xor_b64 exec, exec, s[6:7]
	s_cbranch_execz .LBB2_5254
; %bb.41095:
	s_getpc_b64 s[14:15]
.Lpost_getpc24131:
	s_add_u32 s14, s14, (.LBB2_19592-.Lpost_getpc24131)&4294967295
	s_addc_u32 s15, s15, (.LBB2_19592-.Lpost_getpc24131)>>32
	s_setpc_b64 s[14:15]
.LBB2_5254:
	s_or_b64 exec, exec, s[6:7]
	s_and_saveexec_b64 s[6:7], s[4:5]
	s_cbranch_execz .LBB2_5256
.LBB2_5255:
	v_and_b32_e32 v13, 7, v2
	v_ffbh_u32_e32 v15, v13
	v_min_u32_e32 v15, 32, v15
	v_lshrrev_b16_e32 v14, 3, v2
	v_subrev_u32_e32 v16, 28, v15
	v_and_b32_e32 v14, 15, v14
	v_lshlrev_b32_e32 v16, v16, v2
	v_sub_u32_e32 v15, 29, v15
	v_and_b32_e32 v16, 7, v16
	v_cmp_eq_u16_e32 vcc, 0, v14
	v_cndmask_b32_e32 v13, v13, v16, vcc
	v_cndmask_b32_e32 v14, v14, v15, vcc
	v_lshlrev_b32_e32 v15, 24, v2
	v_mov_b32_e32 v16, 0x3b800000
	v_lshlrev_b32_e32 v13, 20, v13
	v_and_b32_e32 v15, 0x80000000, v15
	v_lshl_add_u32 v14, v14, 23, v16
	v_or3_b32 v13, v15, v14, v13
.LBB2_5256:
	s_or_b64 exec, exec, s[6:7]
	flat_load_dwordx4 a[0:3], v[10:11] offset:656
	s_movk_i32 s4, 0x7f
                                        ; implicit-def: $sgpr10
	s_waitcnt vmcnt(0) lgkmcnt(0)
	v_mfma_f32_16x16x4f32 a[0:3], v12, v13, a[0:3]
	v_lshrrev_b32_e32 v13, 8, v6
	v_cmp_gt_i16_sdwa s[6:7], v13, s4 src0_sel:BYTE_0 src1_sel:DWORD
	s_mov_b64 s[4:5], 0
	s_and_saveexec_b64 s[8:9], s[6:7]
	s_xor_b64 s[6:7], exec, s[8:9]
	s_cbranch_execz .LBB2_5257
; %bb.41097:
	s_getpc_b64 s[14:15]
.Lpost_getpc24132:
	s_add_u32 s14, s14, (.LBB2_19593-.Lpost_getpc24132)&4294967295
	s_addc_u32 s15, s15, (.LBB2_19593-.Lpost_getpc24132)>>32
	s_setpc_b64 s[14:15]
.LBB2_5257:
	s_or_saveexec_b64 s[6:7], s[6:7]
	v_mov_b32_e32 v12, s10
	s_xor_b64 exec, exec, s[6:7]
	s_cbranch_execz .LBB2_5258
; %bb.41099:
	s_getpc_b64 s[14:15]
.Lpost_getpc24133:
	s_add_u32 s14, s14, (.LBB2_19596-.Lpost_getpc24133)&4294967295
	s_addc_u32 s15, s15, (.LBB2_19596-.Lpost_getpc24133)>>32
	s_setpc_b64 s[14:15]
.LBB2_5258:
	s_or_b64 exec, exec, s[6:7]
	s_and_saveexec_b64 s[6:7], s[4:5]
	s_cbranch_execz .LBB2_5260
.LBB2_5259:
	v_bfe_u32 v12, v6, 8, 3
	v_ffbh_u32_e32 v15, v12
	v_min_u32_e32 v15, 32, v15
	v_lshrrev_b16_e32 v14, 3, v13
	v_subrev_u32_e32 v16, 28, v15
	v_and_b32_e32 v14, 15, v14
	v_lshlrev_b32_e32 v13, v16, v13
	v_sub_u32_e32 v15, 29, v15
	v_and_b32_e32 v13, 7, v13
	v_cmp_eq_u16_e32 vcc, 0, v14
	v_cndmask_b32_e32 v12, v12, v13, vcc
	v_cndmask_b32_e32 v13, v14, v15, vcc
	v_lshlrev_b32_e32 v14, 16, v6
	v_mov_b32_e32 v15, 0x3b800000
	v_lshlrev_b32_e32 v12, 20, v12
	v_and_b32_e32 v14, 0x80000000, v14
	v_lshl_add_u32 v13, v13, 23, v15
	v_or3_b32 v12, v14, v13, v12
.LBB2_5260:
	s_or_b64 exec, exec, s[6:7]
	v_lshrrev_b32_e32 v13, 8, v2
	s_movk_i32 s4, 0x7f
	v_cmp_gt_i16_sdwa s[6:7], v13, s4 src0_sel:BYTE_0 src1_sel:DWORD
	s_mov_b64 s[4:5], 0
                                        ; implicit-def: $sgpr10
	s_and_saveexec_b64 s[8:9], s[6:7]
	s_xor_b64 s[6:7], exec, s[8:9]
	s_cbranch_execz .LBB2_5261
; %bb.41101:
	s_getpc_b64 s[14:15]
.Lpost_getpc24134:
	s_add_u32 s14, s14, (.LBB2_19597-.Lpost_getpc24134)&4294967295
	s_addc_u32 s15, s15, (.LBB2_19597-.Lpost_getpc24134)>>32
	s_setpc_b64 s[14:15]
.LBB2_5261:
	s_or_saveexec_b64 s[6:7], s[6:7]
	v_mov_b32_e32 v14, s10
	s_xor_b64 exec, exec, s[6:7]
	s_cbranch_execz .LBB2_5262
; %bb.41103:
	s_getpc_b64 s[14:15]
.Lpost_getpc24135:
	s_add_u32 s14, s14, (.LBB2_19600-.Lpost_getpc24135)&4294967295
	s_addc_u32 s15, s15, (.LBB2_19600-.Lpost_getpc24135)>>32
	s_setpc_b64 s[14:15]
.LBB2_5262:
	s_or_b64 exec, exec, s[6:7]
	s_and_saveexec_b64 s[6:7], s[4:5]
	s_cbranch_execz .LBB2_5264
.LBB2_5263:
	v_bfe_u32 v14, v2, 8, 3
	v_ffbh_u32_e32 v16, v14
	v_min_u32_e32 v16, 32, v16
	v_lshrrev_b16_e32 v15, 3, v13
	v_subrev_u32_e32 v17, 28, v16
	v_and_b32_e32 v15, 15, v15
	v_lshlrev_b32_e32 v13, v17, v13
	v_sub_u32_e32 v16, 29, v16
	v_and_b32_e32 v13, 7, v13
	v_cmp_eq_u16_e32 vcc, 0, v15
	v_cndmask_b32_e32 v13, v14, v13, vcc
	v_cndmask_b32_e32 v14, v15, v16, vcc
	v_lshlrev_b32_e32 v15, 16, v2
	v_mov_b32_e32 v16, 0x3b800000
	v_lshlrev_b32_e32 v13, 20, v13
	v_and_b32_e32 v15, 0x80000000, v15
	v_lshl_add_u32 v14, v14, 23, v16
	v_or3_b32 v14, v15, v14, v13
.LBB2_5264:
	s_or_b64 exec, exec, s[6:7]
	s_nop 0
	v_mfma_f32_16x16x4f32 a[0:3], v12, v14, a[0:3]
	s_movk_i32 s4, 0xff
	v_and_b32_sdwa v13, v6, s4 dst_sel:DWORD dst_unused:UNUSED_PAD src0_sel:WORD_1 src1_sel:DWORD
	s_movk_i32 s4, 0x7f
	v_cmp_lt_i16_e32 vcc, s4, v13
	s_mov_b64 s[4:5], 0
                                        ; implicit-def: $sgpr10
	s_and_saveexec_b64 s[6:7], vcc
	s_xor_b64 s[6:7], exec, s[6:7]
	s_cbranch_execz .LBB2_5265
; %bb.41105:
	s_getpc_b64 s[14:15]
.Lpost_getpc24136:
	s_add_u32 s14, s14, (.LBB2_19601-.Lpost_getpc24136)&4294967295
	s_addc_u32 s15, s15, (.LBB2_19601-.Lpost_getpc24136)>>32
	s_setpc_b64 s[14:15]
.LBB2_5265:
	s_or_saveexec_b64 s[6:7], s[6:7]
	v_mov_b32_e32 v12, s10
	s_xor_b64 exec, exec, s[6:7]
	s_cbranch_execz .LBB2_5266
; %bb.41107:
	s_getpc_b64 s[14:15]
.Lpost_getpc24137:
	s_add_u32 s14, s14, (.LBB2_19604-.Lpost_getpc24137)&4294967295
	s_addc_u32 s15, s15, (.LBB2_19604-.Lpost_getpc24137)>>32
	s_setpc_b64 s[14:15]
.LBB2_5266:
	s_or_b64 exec, exec, s[6:7]
	s_and_saveexec_b64 s[6:7], s[4:5]
	s_cbranch_execz .LBB2_5268
.LBB2_5267:
	v_bfe_u32 v12, v6, 16, 3
	v_ffbh_u32_e32 v15, v12
	v_min_u32_e32 v15, 32, v15
	v_lshrrev_b32_e32 v13, 19, v6
	v_subrev_u32_e32 v16, 28, v15
	v_and_b32_e32 v13, 15, v13
	v_lshlrev_b32_sdwa v16, v16, v6 dst_sel:DWORD dst_unused:UNUSED_PAD src0_sel:DWORD src1_sel:WORD_1
	v_bfe_u32 v14, v6, 19, 4
	v_sub_u32_e32 v15, 29, v15
	v_and_b32_e32 v16, 7, v16
	v_cmp_eq_u16_e32 vcc, 0, v13
	v_cndmask_b32_e32 v12, v12, v16, vcc
	v_cndmask_b32_e32 v13, v14, v15, vcc
	v_lshlrev_b32_e32 v14, 8, v6
	v_mov_b32_e32 v15, 0x3b800000
	v_lshlrev_b32_e32 v12, 20, v12
	v_and_b32_e32 v14, 0x80000000, v14
	v_lshl_add_u32 v13, v13, 23, v15
	v_or3_b32 v12, v14, v13, v12
.LBB2_5268:
	s_or_b64 exec, exec, s[6:7]
	s_movk_i32 s4, 0xff
	v_and_b32_sdwa v13, v2, s4 dst_sel:DWORD dst_unused:UNUSED_PAD src0_sel:WORD_1 src1_sel:DWORD
	s_movk_i32 s4, 0x7f
	v_cmp_lt_i16_e32 vcc, s4, v13
	s_mov_b64 s[4:5], 0
                                        ; implicit-def: $sgpr10
	s_and_saveexec_b64 s[6:7], vcc
	s_xor_b64 s[6:7], exec, s[6:7]
	s_cbranch_execz .LBB2_5269
; %bb.41109:
	s_getpc_b64 s[14:15]
.Lpost_getpc24138:
	s_add_u32 s14, s14, (.LBB2_19605-.Lpost_getpc24138)&4294967295
	s_addc_u32 s15, s15, (.LBB2_19605-.Lpost_getpc24138)>>32
	s_setpc_b64 s[14:15]
.LBB2_5269:
	s_or_saveexec_b64 s[6:7], s[6:7]
	v_mov_b32_e32 v14, s10
	s_xor_b64 exec, exec, s[6:7]
	s_cbranch_execz .LBB2_5270
; %bb.41111:
	s_getpc_b64 s[14:15]
.Lpost_getpc24139:
	s_add_u32 s14, s14, (.LBB2_19608-.Lpost_getpc24139)&4294967295
	s_addc_u32 s15, s15, (.LBB2_19608-.Lpost_getpc24139)>>32
	s_setpc_b64 s[14:15]
.LBB2_5270:
	s_or_b64 exec, exec, s[6:7]
	s_and_saveexec_b64 s[6:7], s[4:5]
	s_cbranch_execz .LBB2_5272
.LBB2_5271:
	v_bfe_u32 v13, v2, 16, 3
	v_ffbh_u32_e32 v16, v13
	v_min_u32_e32 v16, 32, v16
	v_lshrrev_b32_e32 v14, 19, v2
	v_subrev_u32_e32 v17, 28, v16
	v_and_b32_e32 v14, 15, v14
	v_lshlrev_b32_sdwa v17, v17, v2 dst_sel:DWORD dst_unused:UNUSED_PAD src0_sel:DWORD src1_sel:WORD_1
	v_bfe_u32 v15, v2, 19, 4
	v_sub_u32_e32 v16, 29, v16
	v_and_b32_e32 v17, 7, v17
	v_cmp_eq_u16_e32 vcc, 0, v14
	v_cndmask_b32_e32 v13, v13, v17, vcc
	v_cndmask_b32_e32 v14, v15, v16, vcc
	v_lshlrev_b32_e32 v15, 8, v2
	v_mov_b32_e32 v16, 0x3b800000
	v_lshlrev_b32_e32 v13, 20, v13
	v_and_b32_e32 v15, 0x80000000, v15
	v_lshl_add_u32 v14, v14, 23, v16
	v_or3_b32 v14, v15, v14, v13
.LBB2_5272:
	s_or_b64 exec, exec, s[6:7]
	s_nop 0
	v_mfma_f32_16x16x4f32 a[0:3], v12, v14, a[0:3]
	s_movk_i32 s4, 0x7f
	v_cmp_gt_i16_sdwa s[6:7], v6, s4 src0_sel:BYTE_3 src1_sel:DWORD
	s_mov_b64 s[4:5], 0
                                        ; implicit-def: $sgpr10
	s_and_saveexec_b64 s[8:9], s[6:7]
	s_xor_b64 s[6:7], exec, s[8:9]
	s_cbranch_execz .LBB2_5273
; %bb.41113:
	s_getpc_b64 s[14:15]
.Lpost_getpc24140:
	s_add_u32 s14, s14, (.LBB2_19609-.Lpost_getpc24140)&4294967295
	s_addc_u32 s15, s15, (.LBB2_19609-.Lpost_getpc24140)>>32
	s_setpc_b64 s[14:15]
.LBB2_5273:
	s_or_saveexec_b64 s[6:7], s[6:7]
	v_mov_b32_e32 v12, s10
	s_xor_b64 exec, exec, s[6:7]
	s_cbranch_execz .LBB2_5274
; %bb.41115:
	s_getpc_b64 s[14:15]
.Lpost_getpc24141:
	s_add_u32 s14, s14, (.LBB2_19612-.Lpost_getpc24141)&4294967295
	s_addc_u32 s15, s15, (.LBB2_19612-.Lpost_getpc24141)>>32
	s_setpc_b64 s[14:15]
.LBB2_5274:
	s_or_b64 exec, exec, s[6:7]
	s_and_saveexec_b64 s[6:7], s[4:5]
	s_cbranch_execz .LBB2_5276
.LBB2_5275:
	v_bfe_u32 v12, v6, 24, 3
	v_ffbh_u32_e32 v16, v12
	v_min_u32_e32 v16, 32, v16
	v_lshrrev_b32_e32 v14, 27, v6
	v_subrev_u32_e32 v17, 28, v16
	v_and_b32_e32 v13, 0x80000000, v6
	v_and_b32_e32 v14, 15, v14
	v_bfe_u32 v15, v6, 27, 4
	v_lshlrev_b32_sdwa v6, v17, v6 dst_sel:DWORD dst_unused:UNUSED_PAD src0_sel:DWORD src1_sel:BYTE_3
	v_sub_u32_e32 v16, 29, v16
	v_and_b32_e32 v6, 7, v6
	v_cmp_eq_u16_e32 vcc, 0, v14
	v_cndmask_b32_e32 v6, v12, v6, vcc
	v_cndmask_b32_e32 v12, v15, v16, vcc
	v_mov_b32_e32 v14, 0x3b800000
	v_lshlrev_b32_e32 v6, 20, v6
	v_lshl_add_u32 v12, v12, 23, v14
	v_or3_b32 v12, v13, v12, v6
.LBB2_5276:
	s_or_b64 exec, exec, s[6:7]
	s_movk_i32 s4, 0x7f
	v_cmp_gt_i16_sdwa s[6:7], v2, s4 src0_sel:BYTE_3 src1_sel:DWORD
	s_mov_b64 s[4:5], 0
                                        ; implicit-def: $sgpr10
	s_and_saveexec_b64 s[8:9], s[6:7]
	s_xor_b64 s[6:7], exec, s[8:9]
	s_cbranch_execz .LBB2_5277
; %bb.41117:
	s_getpc_b64 s[14:15]
.Lpost_getpc24142:
	s_add_u32 s14, s14, (.LBB2_19613-.Lpost_getpc24142)&4294967295
	s_addc_u32 s15, s15, (.LBB2_19613-.Lpost_getpc24142)>>32
	s_setpc_b64 s[14:15]
.LBB2_5277:
	s_or_saveexec_b64 s[6:7], s[6:7]
	v_mov_b32_e32 v6, s10
	s_xor_b64 exec, exec, s[6:7]
	s_cbranch_execz .LBB2_5278
; %bb.41119:
	s_getpc_b64 s[14:15]
.Lpost_getpc24143:
	s_add_u32 s14, s14, (.LBB2_19616-.Lpost_getpc24143)&4294967295
	s_addc_u32 s15, s15, (.LBB2_19616-.Lpost_getpc24143)>>32
	s_setpc_b64 s[14:15]
.LBB2_5278:
	s_or_b64 exec, exec, s[6:7]
	s_and_saveexec_b64 s[6:7], s[4:5]
	s_cbranch_execz .LBB2_5280
.LBB2_5279:
	v_bfe_u32 v6, v2, 24, 3
	v_ffbh_u32_e32 v16, v6
	v_min_u32_e32 v16, 32, v16
	v_lshrrev_b32_e32 v14, 27, v2
	v_subrev_u32_e32 v17, 28, v16
	v_and_b32_e32 v13, 0x80000000, v2
	v_and_b32_e32 v14, 15, v14
	v_bfe_u32 v15, v2, 27, 4
	v_lshlrev_b32_sdwa v2, v17, v2 dst_sel:DWORD dst_unused:UNUSED_PAD src0_sel:DWORD src1_sel:BYTE_3
	v_sub_u32_e32 v16, 29, v16
	v_and_b32_e32 v2, 7, v2
	v_cmp_eq_u16_e32 vcc, 0, v14
	v_cndmask_b32_e32 v2, v6, v2, vcc
	v_cndmask_b32_e32 v6, v15, v16, vcc
	v_mov_b32_e32 v14, 0x3b800000
	v_lshlrev_b32_e32 v2, 20, v2
	v_lshl_add_u32 v6, v6, 23, v14
	v_or3_b32 v6, v13, v6, v2
.LBB2_5280:
	s_or_b64 exec, exec, s[6:7]
	s_nop 0
	v_mfma_f32_16x16x4f32 a[0:3], v12, v6, a[0:3]
	s_movk_i32 s4, 0x7f
	v_cmp_gt_i16_sdwa s[6:7], v7, s4 src0_sel:BYTE_0 src1_sel:DWORD
	s_mov_b64 s[4:5], 0
                                        ; implicit-def: $sgpr10
	s_and_saveexec_b64 s[8:9], s[6:7]
	s_xor_b64 s[6:7], exec, s[8:9]
	s_cbranch_execz .LBB2_5281
; %bb.41121:
	s_getpc_b64 s[14:15]
.Lpost_getpc24144:
	s_add_u32 s14, s14, (.LBB2_19617-.Lpost_getpc24144)&4294967295
	s_addc_u32 s15, s15, (.LBB2_19617-.Lpost_getpc24144)>>32
	s_setpc_b64 s[14:15]
.LBB2_5281:
	s_or_saveexec_b64 s[6:7], s[6:7]
	v_mov_b32_e32 v2, s10
	s_xor_b64 exec, exec, s[6:7]
	s_cbranch_execz .LBB2_5282
; %bb.41123:
	s_getpc_b64 s[14:15]
.Lpost_getpc24145:
	s_add_u32 s14, s14, (.LBB2_19620-.Lpost_getpc24145)&4294967295
	s_addc_u32 s15, s15, (.LBB2_19620-.Lpost_getpc24145)>>32
	s_setpc_b64 s[14:15]
.LBB2_5282:
	s_or_b64 exec, exec, s[6:7]
	s_and_saveexec_b64 s[6:7], s[4:5]
	s_cbranch_execz .LBB2_5284
.LBB2_5283:
	v_and_b32_e32 v2, 7, v7
	v_ffbh_u32_e32 v12, v2
	v_min_u32_e32 v12, 32, v12
	v_lshrrev_b16_e32 v6, 3, v7
	v_subrev_u32_e32 v13, 28, v12
	v_and_b32_e32 v6, 15, v6
	v_lshlrev_b32_e32 v13, v13, v7
	v_sub_u32_e32 v12, 29, v12
	v_and_b32_e32 v13, 7, v13
	v_cmp_eq_u16_e32 vcc, 0, v6
	v_cndmask_b32_e32 v2, v2, v13, vcc
	v_cndmask_b32_e32 v6, v6, v12, vcc
	v_lshlrev_b32_e32 v12, 24, v7
	v_mov_b32_e32 v13, 0x3b800000
	v_lshlrev_b32_e32 v2, 20, v2
	v_and_b32_e32 v12, 0x80000000, v12
	v_lshl_add_u32 v6, v6, 23, v13
	v_or3_b32 v2, v12, v6, v2
.LBB2_5284:
	s_or_b64 exec, exec, s[6:7]
	s_movk_i32 s4, 0x7f
	v_cmp_gt_i16_sdwa s[6:7], v3, s4 src0_sel:BYTE_0 src1_sel:DWORD
	s_mov_b64 s[4:5], 0
                                        ; implicit-def: $sgpr10
	s_and_saveexec_b64 s[8:9], s[6:7]
	s_xor_b64 s[6:7], exec, s[8:9]
	s_cbranch_execz .LBB2_5285
; %bb.41125:
	s_getpc_b64 s[14:15]
.Lpost_getpc24146:
	s_add_u32 s14, s14, (.LBB2_19621-.Lpost_getpc24146)&4294967295
	s_addc_u32 s15, s15, (.LBB2_19621-.Lpost_getpc24146)>>32
	s_setpc_b64 s[14:15]
.LBB2_5285:
	s_or_saveexec_b64 s[6:7], s[6:7]
	v_mov_b32_e32 v6, s10
	s_xor_b64 exec, exec, s[6:7]
	s_cbranch_execz .LBB2_5286
; %bb.41127:
	s_getpc_b64 s[14:15]
.Lpost_getpc24147:
	s_add_u32 s14, s14, (.LBB2_19624-.Lpost_getpc24147)&4294967295
	s_addc_u32 s15, s15, (.LBB2_19624-.Lpost_getpc24147)>>32
	s_setpc_b64 s[14:15]
.LBB2_5286:
	s_or_b64 exec, exec, s[6:7]
	s_and_saveexec_b64 s[6:7], s[4:5]
	s_cbranch_execz .LBB2_5288
.LBB2_5287:
	v_and_b32_e32 v6, 7, v3
	v_ffbh_u32_e32 v13, v6
	v_min_u32_e32 v13, 32, v13
	v_lshrrev_b16_e32 v12, 3, v3
	v_subrev_u32_e32 v14, 28, v13
	v_and_b32_e32 v12, 15, v12
	v_lshlrev_b32_e32 v14, v14, v3
	v_sub_u32_e32 v13, 29, v13
	v_and_b32_e32 v14, 7, v14
	v_cmp_eq_u16_e32 vcc, 0, v12
	v_cndmask_b32_e32 v6, v6, v14, vcc
	v_cndmask_b32_e32 v12, v12, v13, vcc
	v_lshlrev_b32_e32 v13, 24, v3
	v_mov_b32_e32 v14, 0x3b800000
	v_lshlrev_b32_e32 v6, 20, v6
	v_and_b32_e32 v13, 0x80000000, v13
	v_lshl_add_u32 v12, v12, 23, v14
	v_or3_b32 v6, v13, v12, v6
.LBB2_5288:
	s_or_b64 exec, exec, s[6:7]
	s_nop 0
	v_mfma_f32_16x16x4f32 a[0:3], v2, v6, a[0:3]
	v_lshrrev_b32_e32 v6, 8, v7
	s_movk_i32 s4, 0x7f
	v_cmp_gt_i16_sdwa s[6:7], v6, s4 src0_sel:BYTE_0 src1_sel:DWORD
	s_mov_b64 s[4:5], 0
                                        ; implicit-def: $sgpr10
	s_and_saveexec_b64 s[8:9], s[6:7]
	s_xor_b64 s[6:7], exec, s[8:9]
	s_cbranch_execz .LBB2_5289
; %bb.41129:
	s_getpc_b64 s[14:15]
.Lpost_getpc24148:
	s_add_u32 s14, s14, (.LBB2_19625-.Lpost_getpc24148)&4294967295
	s_addc_u32 s15, s15, (.LBB2_19625-.Lpost_getpc24148)>>32
	s_setpc_b64 s[14:15]
.LBB2_5289:
	s_or_saveexec_b64 s[6:7], s[6:7]
	v_mov_b32_e32 v2, s10
	s_xor_b64 exec, exec, s[6:7]
	s_cbranch_execz .LBB2_5290
; %bb.41131:
	s_getpc_b64 s[14:15]
.Lpost_getpc24149:
	s_add_u32 s14, s14, (.LBB2_19628-.Lpost_getpc24149)&4294967295
	s_addc_u32 s15, s15, (.LBB2_19628-.Lpost_getpc24149)>>32
	s_setpc_b64 s[14:15]
.LBB2_5290:
	s_or_b64 exec, exec, s[6:7]
	s_and_saveexec_b64 s[6:7], s[4:5]
	s_cbranch_execz .LBB2_5292
.LBB2_5291:
	v_bfe_u32 v2, v7, 8, 3
	v_ffbh_u32_e32 v13, v2
	v_min_u32_e32 v13, 32, v13
	v_lshrrev_b16_e32 v12, 3, v6
	v_subrev_u32_e32 v14, 28, v13
	v_and_b32_e32 v12, 15, v12
	v_lshlrev_b32_e32 v6, v14, v6
	v_sub_u32_e32 v13, 29, v13
	v_and_b32_e32 v6, 7, v6
	v_cmp_eq_u16_e32 vcc, 0, v12
	v_cndmask_b32_e32 v2, v2, v6, vcc
	v_cndmask_b32_e32 v6, v12, v13, vcc
	v_lshlrev_b32_e32 v12, 16, v7
	v_mov_b32_e32 v13, 0x3b800000
	v_lshlrev_b32_e32 v2, 20, v2
	v_and_b32_e32 v12, 0x80000000, v12
	v_lshl_add_u32 v6, v6, 23, v13
	v_or3_b32 v2, v12, v6, v2
.LBB2_5292:
	s_or_b64 exec, exec, s[6:7]
	v_lshrrev_b32_e32 v6, 8, v3
	s_movk_i32 s4, 0x7f
	v_cmp_gt_i16_sdwa s[6:7], v6, s4 src0_sel:BYTE_0 src1_sel:DWORD
	s_mov_b64 s[4:5], 0
                                        ; implicit-def: $sgpr10
	s_and_saveexec_b64 s[8:9], s[6:7]
	s_xor_b64 s[6:7], exec, s[8:9]
	s_cbranch_execz .LBB2_5293
; %bb.41133:
	s_getpc_b64 s[14:15]
.Lpost_getpc24150:
	s_add_u32 s14, s14, (.LBB2_19629-.Lpost_getpc24150)&4294967295
	s_addc_u32 s15, s15, (.LBB2_19629-.Lpost_getpc24150)>>32
	s_setpc_b64 s[14:15]
.LBB2_5293:
	s_or_saveexec_b64 s[6:7], s[6:7]
	v_mov_b32_e32 v12, s10
	s_xor_b64 exec, exec, s[6:7]
	s_cbranch_execz .LBB2_5294
; %bb.41135:
	s_getpc_b64 s[14:15]
.Lpost_getpc24151:
	s_add_u32 s14, s14, (.LBB2_19632-.Lpost_getpc24151)&4294967295
	s_addc_u32 s15, s15, (.LBB2_19632-.Lpost_getpc24151)>>32
	s_setpc_b64 s[14:15]
.LBB2_5294:
	s_or_b64 exec, exec, s[6:7]
	s_and_saveexec_b64 s[6:7], s[4:5]
	s_cbranch_execz .LBB2_5296
.LBB2_5295:
	v_bfe_u32 v12, v3, 8, 3
	v_ffbh_u32_e32 v14, v12
	v_min_u32_e32 v14, 32, v14
	v_lshrrev_b16_e32 v13, 3, v6
	v_subrev_u32_e32 v15, 28, v14
	v_and_b32_e32 v13, 15, v13
	v_lshlrev_b32_e32 v6, v15, v6
	v_sub_u32_e32 v14, 29, v14
	v_and_b32_e32 v6, 7, v6
	v_cmp_eq_u16_e32 vcc, 0, v13
	v_cndmask_b32_e32 v6, v12, v6, vcc
	v_cndmask_b32_e32 v12, v13, v14, vcc
	v_lshlrev_b32_e32 v13, 16, v3
	v_mov_b32_e32 v14, 0x3b800000
	v_lshlrev_b32_e32 v6, 20, v6
	v_and_b32_e32 v13, 0x80000000, v13
	v_lshl_add_u32 v12, v12, 23, v14
	v_or3_b32 v12, v13, v12, v6
.LBB2_5296:
	s_or_b64 exec, exec, s[6:7]
	s_nop 0
	v_mfma_f32_16x16x4f32 a[0:3], v2, v12, a[0:3]
	s_movk_i32 s4, 0xff
	v_and_b32_sdwa v6, v7, s4 dst_sel:DWORD dst_unused:UNUSED_PAD src0_sel:WORD_1 src1_sel:DWORD
	s_movk_i32 s4, 0x7f
	v_cmp_lt_i16_e32 vcc, s4, v6
	s_mov_b64 s[4:5], 0
                                        ; implicit-def: $sgpr10
	s_and_saveexec_b64 s[6:7], vcc
	s_xor_b64 s[6:7], exec, s[6:7]
	s_cbranch_execz .LBB2_5297
; %bb.41137:
	s_getpc_b64 s[14:15]
.Lpost_getpc24152:
	s_add_u32 s14, s14, (.LBB2_19633-.Lpost_getpc24152)&4294967295
	s_addc_u32 s15, s15, (.LBB2_19633-.Lpost_getpc24152)>>32
	s_setpc_b64 s[14:15]
.LBB2_5297:
	s_or_saveexec_b64 s[6:7], s[6:7]
	v_mov_b32_e32 v2, s10
	s_xor_b64 exec, exec, s[6:7]
	s_cbranch_execz .LBB2_5298
; %bb.41139:
	s_getpc_b64 s[14:15]
.Lpost_getpc24153:
	s_add_u32 s14, s14, (.LBB2_19636-.Lpost_getpc24153)&4294967295
	s_addc_u32 s15, s15, (.LBB2_19636-.Lpost_getpc24153)>>32
	s_setpc_b64 s[14:15]
.LBB2_5298:
	s_or_b64 exec, exec, s[6:7]
	s_and_saveexec_b64 s[6:7], s[4:5]
	s_cbranch_execz .LBB2_5300
.LBB2_5299:
	v_bfe_u32 v2, v7, 16, 3
	v_ffbh_u32_e32 v13, v2
	v_min_u32_e32 v13, 32, v13
	v_lshrrev_b32_e32 v6, 19, v7
	v_subrev_u32_e32 v14, 28, v13
	v_and_b32_e32 v6, 15, v6
	v_lshlrev_b32_sdwa v14, v14, v7 dst_sel:DWORD dst_unused:UNUSED_PAD src0_sel:DWORD src1_sel:WORD_1
	v_bfe_u32 v12, v7, 19, 4
	v_sub_u32_e32 v13, 29, v13
	v_and_b32_e32 v14, 7, v14
	v_cmp_eq_u16_e32 vcc, 0, v6
	v_cndmask_b32_e32 v2, v2, v14, vcc
	v_cndmask_b32_e32 v6, v12, v13, vcc
	v_lshlrev_b32_e32 v12, 8, v7
	v_mov_b32_e32 v13, 0x3b800000
	v_lshlrev_b32_e32 v2, 20, v2
	v_and_b32_e32 v12, 0x80000000, v12
	v_lshl_add_u32 v6, v6, 23, v13
	v_or3_b32 v2, v12, v6, v2
.LBB2_5300:
	s_or_b64 exec, exec, s[6:7]
	s_movk_i32 s4, 0xff
	v_and_b32_sdwa v6, v3, s4 dst_sel:DWORD dst_unused:UNUSED_PAD src0_sel:WORD_1 src1_sel:DWORD
	s_movk_i32 s4, 0x7f
	v_cmp_lt_i16_e32 vcc, s4, v6
	s_mov_b64 s[4:5], 0
                                        ; implicit-def: $sgpr10
	s_and_saveexec_b64 s[6:7], vcc
	s_xor_b64 s[6:7], exec, s[6:7]
	s_cbranch_execz .LBB2_5301
; %bb.41141:
	s_getpc_b64 s[14:15]
.Lpost_getpc24154:
	s_add_u32 s14, s14, (.LBB2_19637-.Lpost_getpc24154)&4294967295
	s_addc_u32 s15, s15, (.LBB2_19637-.Lpost_getpc24154)>>32
	s_setpc_b64 s[14:15]
.LBB2_5301:
	s_or_saveexec_b64 s[6:7], s[6:7]
	v_mov_b32_e32 v12, s10
	s_xor_b64 exec, exec, s[6:7]
	s_cbranch_execz .LBB2_5302
; %bb.41143:
	s_getpc_b64 s[14:15]
.Lpost_getpc24155:
	s_add_u32 s14, s14, (.LBB2_19640-.Lpost_getpc24155)&4294967295
	s_addc_u32 s15, s15, (.LBB2_19640-.Lpost_getpc24155)>>32
	s_setpc_b64 s[14:15]
.LBB2_5302:
	s_or_b64 exec, exec, s[6:7]
	s_and_saveexec_b64 s[6:7], s[4:5]
	s_cbranch_execz .LBB2_5304
.LBB2_5303:
	v_bfe_u32 v6, v3, 16, 3
	v_ffbh_u32_e32 v14, v6
	v_min_u32_e32 v14, 32, v14
	v_lshrrev_b32_e32 v12, 19, v3
	v_subrev_u32_e32 v15, 28, v14
	v_and_b32_e32 v12, 15, v12
	v_lshlrev_b32_sdwa v15, v15, v3 dst_sel:DWORD dst_unused:UNUSED_PAD src0_sel:DWORD src1_sel:WORD_1
	v_bfe_u32 v13, v3, 19, 4
	v_sub_u32_e32 v14, 29, v14
	v_and_b32_e32 v15, 7, v15
	v_cmp_eq_u16_e32 vcc, 0, v12
	v_cndmask_b32_e32 v6, v6, v15, vcc
	v_cndmask_b32_e32 v12, v13, v14, vcc
	v_lshlrev_b32_e32 v13, 8, v3
	v_mov_b32_e32 v14, 0x3b800000
	v_lshlrev_b32_e32 v6, 20, v6
	v_and_b32_e32 v13, 0x80000000, v13
	v_lshl_add_u32 v12, v12, 23, v14
	v_or3_b32 v12, v13, v12, v6
.LBB2_5304:
	s_or_b64 exec, exec, s[6:7]
	s_nop 0
	v_mfma_f32_16x16x4f32 a[0:3], v2, v12, a[0:3]
	s_movk_i32 s4, 0x7f
	v_cmp_gt_i16_sdwa s[6:7], v7, s4 src0_sel:BYTE_3 src1_sel:DWORD
	s_mov_b64 s[4:5], 0
                                        ; implicit-def: $sgpr10
	s_and_saveexec_b64 s[8:9], s[6:7]
	s_xor_b64 s[6:7], exec, s[8:9]
	s_cbranch_execz .LBB2_5305
; %bb.41145:
	s_getpc_b64 s[14:15]
.Lpost_getpc24156:
	s_add_u32 s14, s14, (.LBB2_19641-.Lpost_getpc24156)&4294967295
	s_addc_u32 s15, s15, (.LBB2_19641-.Lpost_getpc24156)>>32
	s_setpc_b64 s[14:15]
.LBB2_5305:
	s_or_saveexec_b64 s[6:7], s[6:7]
	v_mov_b32_e32 v2, s10
	s_xor_b64 exec, exec, s[6:7]
	s_cbranch_execz .LBB2_5306
; %bb.41147:
	s_getpc_b64 s[14:15]
.Lpost_getpc24157:
	s_add_u32 s14, s14, (.LBB2_19644-.Lpost_getpc24157)&4294967295
	s_addc_u32 s15, s15, (.LBB2_19644-.Lpost_getpc24157)>>32
	s_setpc_b64 s[14:15]
.LBB2_5306:
	s_or_b64 exec, exec, s[6:7]
	s_and_saveexec_b64 s[6:7], s[4:5]
	s_cbranch_execz .LBB2_5308
.LBB2_5307:
	v_bfe_u32 v2, v7, 24, 3
	v_ffbh_u32_e32 v14, v2
	v_min_u32_e32 v14, 32, v14
	v_lshrrev_b32_e32 v12, 27, v7
	v_subrev_u32_e32 v15, 28, v14
	v_and_b32_e32 v6, 0x80000000, v7
	v_and_b32_e32 v12, 15, v12
	v_bfe_u32 v13, v7, 27, 4
	v_lshlrev_b32_sdwa v7, v15, v7 dst_sel:DWORD dst_unused:UNUSED_PAD src0_sel:DWORD src1_sel:BYTE_3
	v_sub_u32_e32 v14, 29, v14
	v_and_b32_e32 v7, 7, v7
	v_cmp_eq_u16_e32 vcc, 0, v12
	v_cndmask_b32_e32 v2, v2, v7, vcc
	v_cndmask_b32_e32 v7, v13, v14, vcc
	v_mov_b32_e32 v12, 0x3b800000
	v_lshlrev_b32_e32 v2, 20, v2
	v_lshl_add_u32 v7, v7, 23, v12
	v_or3_b32 v2, v6, v7, v2
.LBB2_5308:
	s_or_b64 exec, exec, s[6:7]
	s_movk_i32 s4, 0x7f
	v_cmp_gt_i16_sdwa s[6:7], v3, s4 src0_sel:BYTE_3 src1_sel:DWORD
	s_mov_b64 s[4:5], 0
                                        ; implicit-def: $sgpr10
	s_and_saveexec_b64 s[8:9], s[6:7]
	s_xor_b64 s[6:7], exec, s[8:9]
	s_cbranch_execz .LBB2_5309
; %bb.41149:
	s_getpc_b64 s[14:15]
.Lpost_getpc24158:
	s_add_u32 s14, s14, (.LBB2_19645-.Lpost_getpc24158)&4294967295
	s_addc_u32 s15, s15, (.LBB2_19645-.Lpost_getpc24158)>>32
	s_setpc_b64 s[14:15]
.LBB2_5309:
	s_or_saveexec_b64 s[6:7], s[6:7]
	v_mov_b32_e32 v6, s10
	s_xor_b64 exec, exec, s[6:7]
	s_cbranch_execz .LBB2_5310
; %bb.41151:
	s_getpc_b64 s[14:15]
.Lpost_getpc24159:
	s_add_u32 s14, s14, (.LBB2_19648-.Lpost_getpc24159)&4294967295
	s_addc_u32 s15, s15, (.LBB2_19648-.Lpost_getpc24159)>>32
	s_setpc_b64 s[14:15]
.LBB2_5310:
	s_or_b64 exec, exec, s[6:7]
	s_and_saveexec_b64 s[6:7], s[4:5]
	s_cbranch_execz .LBB2_5312
.LBB2_5311:
	v_bfe_u32 v6, v3, 24, 3
	v_ffbh_u32_e32 v14, v6
	v_min_u32_e32 v14, 32, v14
	v_lshrrev_b32_e32 v12, 27, v3
	v_subrev_u32_e32 v15, 28, v14
	v_and_b32_e32 v7, 0x80000000, v3
	v_and_b32_e32 v12, 15, v12
	v_bfe_u32 v13, v3, 27, 4
	v_lshlrev_b32_sdwa v3, v15, v3 dst_sel:DWORD dst_unused:UNUSED_PAD src0_sel:DWORD src1_sel:BYTE_3
	v_sub_u32_e32 v14, 29, v14
	v_and_b32_e32 v3, 7, v3
	v_cmp_eq_u16_e32 vcc, 0, v12
	v_cndmask_b32_e32 v3, v6, v3, vcc
	v_cndmask_b32_e32 v6, v13, v14, vcc
	v_mov_b32_e32 v12, 0x3b800000
	v_lshlrev_b32_e32 v3, 20, v3
	v_lshl_add_u32 v6, v6, 23, v12
	v_or3_b32 v6, v7, v6, v3
.LBB2_5312:
	s_or_b64 exec, exec, s[6:7]
	s_nop 0
	v_mfma_f32_16x16x4f32 a[0:3], v2, v6, a[0:3]
	s_movk_i32 s4, 0x7f
	v_cmp_gt_i16_sdwa s[6:7], v8, s4 src0_sel:BYTE_0 src1_sel:DWORD
	s_mov_b64 s[4:5], 0
                                        ; implicit-def: $sgpr10
	s_and_saveexec_b64 s[8:9], s[6:7]
	s_xor_b64 s[6:7], exec, s[8:9]
	s_cbranch_execz .LBB2_5313
; %bb.41153:
	s_getpc_b64 s[14:15]
.Lpost_getpc24160:
	s_add_u32 s14, s14, (.LBB2_19649-.Lpost_getpc24160)&4294967295
	s_addc_u32 s15, s15, (.LBB2_19649-.Lpost_getpc24160)>>32
	s_setpc_b64 s[14:15]
.LBB2_5313:
	s_or_saveexec_b64 s[6:7], s[6:7]
	v_mov_b32_e32 v2, s10
	s_xor_b64 exec, exec, s[6:7]
	s_cbranch_execz .LBB2_5314
; %bb.41155:
	s_getpc_b64 s[14:15]
.Lpost_getpc24161:
	s_add_u32 s14, s14, (.LBB2_19652-.Lpost_getpc24161)&4294967295
	s_addc_u32 s15, s15, (.LBB2_19652-.Lpost_getpc24161)>>32
	s_setpc_b64 s[14:15]
.LBB2_5314:
	s_or_b64 exec, exec, s[6:7]
	s_and_saveexec_b64 s[6:7], s[4:5]
	s_cbranch_execz .LBB2_5316
.LBB2_5315:
	v_and_b32_e32 v2, 7, v8
	v_ffbh_u32_e32 v6, v2
	v_min_u32_e32 v6, 32, v6
	v_lshrrev_b16_e32 v3, 3, v8
	v_subrev_u32_e32 v7, 28, v6
	v_and_b32_e32 v3, 15, v3
	v_lshlrev_b32_e32 v7, v7, v8
	v_sub_u32_e32 v6, 29, v6
	v_and_b32_e32 v7, 7, v7
	v_cmp_eq_u16_e32 vcc, 0, v3
	v_cndmask_b32_e32 v2, v2, v7, vcc
	v_cndmask_b32_e32 v3, v3, v6, vcc
	v_lshlrev_b32_e32 v6, 24, v8
	v_mov_b32_e32 v7, 0x3b800000
	v_lshlrev_b32_e32 v2, 20, v2
	v_and_b32_e32 v6, 0x80000000, v6
	v_lshl_add_u32 v3, v3, 23, v7
	v_or3_b32 v2, v6, v3, v2
.LBB2_5316:
	s_or_b64 exec, exec, s[6:7]
	s_movk_i32 s4, 0x7f
	v_cmp_gt_i16_sdwa s[6:7], v4, s4 src0_sel:BYTE_0 src1_sel:DWORD
	s_mov_b64 s[4:5], 0
                                        ; implicit-def: $sgpr10
	s_and_saveexec_b64 s[8:9], s[6:7]
	s_xor_b64 s[6:7], exec, s[8:9]
	s_cbranch_execz .LBB2_5317
; %bb.41157:
	s_getpc_b64 s[14:15]
.Lpost_getpc24162:
	s_add_u32 s14, s14, (.LBB2_19653-.Lpost_getpc24162)&4294967295
	s_addc_u32 s15, s15, (.LBB2_19653-.Lpost_getpc24162)>>32
	s_setpc_b64 s[14:15]
.LBB2_5317:
	s_or_saveexec_b64 s[6:7], s[6:7]
	v_mov_b32_e32 v3, s10
	s_xor_b64 exec, exec, s[6:7]
	s_cbranch_execz .LBB2_5318
; %bb.41159:
	s_getpc_b64 s[14:15]
.Lpost_getpc24163:
	s_add_u32 s14, s14, (.LBB2_19656-.Lpost_getpc24163)&4294967295
	s_addc_u32 s15, s15, (.LBB2_19656-.Lpost_getpc24163)>>32
	s_setpc_b64 s[14:15]
.LBB2_5318:
	s_or_b64 exec, exec, s[6:7]
	s_and_saveexec_b64 s[6:7], s[4:5]
	s_cbranch_execz .LBB2_5320
.LBB2_5319:
	v_and_b32_e32 v3, 7, v4
	v_ffbh_u32_e32 v7, v3
	v_min_u32_e32 v7, 32, v7
	v_lshrrev_b16_e32 v6, 3, v4
	v_subrev_u32_e32 v12, 28, v7
	v_and_b32_e32 v6, 15, v6
	v_lshlrev_b32_e32 v12, v12, v4
	v_sub_u32_e32 v7, 29, v7
	v_and_b32_e32 v12, 7, v12
	v_cmp_eq_u16_e32 vcc, 0, v6
	v_cndmask_b32_e32 v3, v3, v12, vcc
	v_cndmask_b32_e32 v6, v6, v7, vcc
	v_lshlrev_b32_e32 v7, 24, v4
	v_mov_b32_e32 v12, 0x3b800000
	v_lshlrev_b32_e32 v3, 20, v3
	v_and_b32_e32 v7, 0x80000000, v7
	v_lshl_add_u32 v6, v6, 23, v12
	v_or3_b32 v3, v7, v6, v3
.LBB2_5320:
	s_or_b64 exec, exec, s[6:7]
	s_nop 0
	v_mfma_f32_16x16x4f32 a[0:3], v2, v3, a[0:3]
	v_lshrrev_b32_e32 v3, 8, v8
	s_movk_i32 s4, 0x7f
	v_cmp_gt_i16_sdwa s[6:7], v3, s4 src0_sel:BYTE_0 src1_sel:DWORD
	s_mov_b64 s[4:5], 0
                                        ; implicit-def: $sgpr10
	s_and_saveexec_b64 s[8:9], s[6:7]
	s_xor_b64 s[6:7], exec, s[8:9]
	s_cbranch_execz .LBB2_5321
; %bb.41161:
	s_getpc_b64 s[14:15]
.Lpost_getpc24164:
	s_add_u32 s14, s14, (.LBB2_19657-.Lpost_getpc24164)&4294967295
	s_addc_u32 s15, s15, (.LBB2_19657-.Lpost_getpc24164)>>32
	s_setpc_b64 s[14:15]
.LBB2_5321:
	s_or_saveexec_b64 s[6:7], s[6:7]
	v_mov_b32_e32 v2, s10
	s_xor_b64 exec, exec, s[6:7]
	s_cbranch_execz .LBB2_5322
; %bb.41163:
	s_getpc_b64 s[14:15]
.Lpost_getpc24165:
	s_add_u32 s14, s14, (.LBB2_19660-.Lpost_getpc24165)&4294967295
	s_addc_u32 s15, s15, (.LBB2_19660-.Lpost_getpc24165)>>32
	s_setpc_b64 s[14:15]
.LBB2_5322:
	s_or_b64 exec, exec, s[6:7]
	s_and_saveexec_b64 s[6:7], s[4:5]
	s_cbranch_execz .LBB2_5324
.LBB2_5323:
	v_bfe_u32 v2, v8, 8, 3
	v_ffbh_u32_e32 v7, v2
	v_min_u32_e32 v7, 32, v7
	v_lshrrev_b16_e32 v6, 3, v3
	v_subrev_u32_e32 v12, 28, v7
	v_and_b32_e32 v6, 15, v6
	v_lshlrev_b32_e32 v3, v12, v3
	v_sub_u32_e32 v7, 29, v7
	v_and_b32_e32 v3, 7, v3
	v_cmp_eq_u16_e32 vcc, 0, v6
	v_cndmask_b32_e32 v2, v2, v3, vcc
	v_cndmask_b32_e32 v3, v6, v7, vcc
	v_lshlrev_b32_e32 v6, 16, v8
	v_mov_b32_e32 v7, 0x3b800000
	v_lshlrev_b32_e32 v2, 20, v2
	v_and_b32_e32 v6, 0x80000000, v6
	v_lshl_add_u32 v3, v3, 23, v7
	v_or3_b32 v2, v6, v3, v2
.LBB2_5324:
	s_or_b64 exec, exec, s[6:7]
	v_lshrrev_b32_e32 v3, 8, v4
	s_movk_i32 s4, 0x7f
	v_cmp_gt_i16_sdwa s[6:7], v3, s4 src0_sel:BYTE_0 src1_sel:DWORD
	s_mov_b64 s[4:5], 0
                                        ; implicit-def: $sgpr10
	s_and_saveexec_b64 s[8:9], s[6:7]
	s_xor_b64 s[6:7], exec, s[8:9]
	s_cbranch_execz .LBB2_5325
; %bb.41165:
	s_getpc_b64 s[14:15]
.Lpost_getpc24166:
	s_add_u32 s14, s14, (.LBB2_19661-.Lpost_getpc24166)&4294967295
	s_addc_u32 s15, s15, (.LBB2_19661-.Lpost_getpc24166)>>32
	s_setpc_b64 s[14:15]
.LBB2_5325:
	s_or_saveexec_b64 s[6:7], s[6:7]
	v_mov_b32_e32 v6, s10
	s_xor_b64 exec, exec, s[6:7]
	s_cbranch_execz .LBB2_5326
; %bb.41167:
	s_getpc_b64 s[14:15]
.Lpost_getpc24167:
	s_add_u32 s14, s14, (.LBB2_19664-.Lpost_getpc24167)&4294967295
	s_addc_u32 s15, s15, (.LBB2_19664-.Lpost_getpc24167)>>32
	s_setpc_b64 s[14:15]
.LBB2_5326:
	s_or_b64 exec, exec, s[6:7]
	s_and_saveexec_b64 s[6:7], s[4:5]
	s_cbranch_execz .LBB2_5328
.LBB2_5327:
	v_bfe_u32 v6, v4, 8, 3
	v_ffbh_u32_e32 v12, v6
	v_min_u32_e32 v12, 32, v12
	v_lshrrev_b16_e32 v7, 3, v3
	v_subrev_u32_e32 v13, 28, v12
	v_and_b32_e32 v7, 15, v7
	v_lshlrev_b32_e32 v3, v13, v3
	v_sub_u32_e32 v12, 29, v12
	v_and_b32_e32 v3, 7, v3
	v_cmp_eq_u16_e32 vcc, 0, v7
	v_cndmask_b32_e32 v3, v6, v3, vcc
	v_cndmask_b32_e32 v6, v7, v12, vcc
	v_lshlrev_b32_e32 v7, 16, v4
	v_mov_b32_e32 v12, 0x3b800000
	v_lshlrev_b32_e32 v3, 20, v3
	v_and_b32_e32 v7, 0x80000000, v7
	v_lshl_add_u32 v6, v6, 23, v12
	v_or3_b32 v6, v7, v6, v3
.LBB2_5328:
	s_or_b64 exec, exec, s[6:7]
	s_nop 0
	v_mfma_f32_16x16x4f32 a[0:3], v2, v6, a[0:3]
	s_movk_i32 s4, 0xff
	v_and_b32_sdwa v3, v8, s4 dst_sel:DWORD dst_unused:UNUSED_PAD src0_sel:WORD_1 src1_sel:DWORD
	s_movk_i32 s4, 0x7f
	v_cmp_lt_i16_e32 vcc, s4, v3
	s_mov_b64 s[4:5], 0
                                        ; implicit-def: $sgpr10
	s_and_saveexec_b64 s[6:7], vcc
	s_xor_b64 s[6:7], exec, s[6:7]
	s_cbranch_execz .LBB2_5329
; %bb.41169:
	s_getpc_b64 s[14:15]
.Lpost_getpc24168:
	s_add_u32 s14, s14, (.LBB2_19665-.Lpost_getpc24168)&4294967295
	s_addc_u32 s15, s15, (.LBB2_19665-.Lpost_getpc24168)>>32
	s_setpc_b64 s[14:15]
.LBB2_5329:
	s_or_saveexec_b64 s[6:7], s[6:7]
	v_mov_b32_e32 v2, s10
	s_xor_b64 exec, exec, s[6:7]
	s_cbranch_execz .LBB2_5330
; %bb.41171:
	s_getpc_b64 s[14:15]
.Lpost_getpc24169:
	s_add_u32 s14, s14, (.LBB2_19668-.Lpost_getpc24169)&4294967295
	s_addc_u32 s15, s15, (.LBB2_19668-.Lpost_getpc24169)>>32
	s_setpc_b64 s[14:15]
.LBB2_5330:
	s_or_b64 exec, exec, s[6:7]
	s_and_saveexec_b64 s[6:7], s[4:5]
	s_cbranch_execz .LBB2_5332
.LBB2_5331:
	v_bfe_u32 v2, v8, 16, 3
	v_ffbh_u32_e32 v7, v2
	v_min_u32_e32 v7, 32, v7
	v_lshrrev_b32_e32 v3, 19, v8
	v_subrev_u32_e32 v12, 28, v7
	v_and_b32_e32 v3, 15, v3
	v_lshlrev_b32_sdwa v12, v12, v8 dst_sel:DWORD dst_unused:UNUSED_PAD src0_sel:DWORD src1_sel:WORD_1
	v_bfe_u32 v6, v8, 19, 4
	v_sub_u32_e32 v7, 29, v7
	v_and_b32_e32 v12, 7, v12
	v_cmp_eq_u16_e32 vcc, 0, v3
	v_cndmask_b32_e32 v2, v2, v12, vcc
	v_cndmask_b32_e32 v3, v6, v7, vcc
	v_lshlrev_b32_e32 v6, 8, v8
	v_mov_b32_e32 v7, 0x3b800000
	v_lshlrev_b32_e32 v2, 20, v2
	v_and_b32_e32 v6, 0x80000000, v6
	v_lshl_add_u32 v3, v3, 23, v7
	v_or3_b32 v2, v6, v3, v2
.LBB2_5332:
	s_or_b64 exec, exec, s[6:7]
	s_movk_i32 s4, 0xff
	v_and_b32_sdwa v3, v4, s4 dst_sel:DWORD dst_unused:UNUSED_PAD src0_sel:WORD_1 src1_sel:DWORD
	s_movk_i32 s4, 0x7f
	v_cmp_lt_i16_e32 vcc, s4, v3
	s_mov_b64 s[4:5], 0
                                        ; implicit-def: $sgpr10
	s_and_saveexec_b64 s[6:7], vcc
	s_xor_b64 s[6:7], exec, s[6:7]
	s_cbranch_execz .LBB2_5333
; %bb.41173:
	s_getpc_b64 s[14:15]
.Lpost_getpc24170:
	s_add_u32 s14, s14, (.LBB2_19669-.Lpost_getpc24170)&4294967295
	s_addc_u32 s15, s15, (.LBB2_19669-.Lpost_getpc24170)>>32
	s_setpc_b64 s[14:15]
.LBB2_5333:
	s_or_saveexec_b64 s[6:7], s[6:7]
	v_mov_b32_e32 v6, s10
	s_xor_b64 exec, exec, s[6:7]
	s_cbranch_execz .LBB2_5334
; %bb.41175:
	s_getpc_b64 s[14:15]
.Lpost_getpc24171:
	s_add_u32 s14, s14, (.LBB2_19672-.Lpost_getpc24171)&4294967295
	s_addc_u32 s15, s15, (.LBB2_19672-.Lpost_getpc24171)>>32
	s_setpc_b64 s[14:15]
.LBB2_5334:
	s_or_b64 exec, exec, s[6:7]
	s_and_saveexec_b64 s[6:7], s[4:5]
	s_cbranch_execz .LBB2_5336
.LBB2_5335:
	v_bfe_u32 v3, v4, 16, 3
	v_ffbh_u32_e32 v12, v3
	v_min_u32_e32 v12, 32, v12
	v_lshrrev_b32_e32 v6, 19, v4
	v_subrev_u32_e32 v13, 28, v12
	v_and_b32_e32 v6, 15, v6
	v_lshlrev_b32_sdwa v13, v13, v4 dst_sel:DWORD dst_unused:UNUSED_PAD src0_sel:DWORD src1_sel:WORD_1
	v_bfe_u32 v7, v4, 19, 4
	v_sub_u32_e32 v12, 29, v12
	v_and_b32_e32 v13, 7, v13
	v_cmp_eq_u16_e32 vcc, 0, v6
	v_cndmask_b32_e32 v3, v3, v13, vcc
	v_cndmask_b32_e32 v6, v7, v12, vcc
	v_lshlrev_b32_e32 v7, 8, v4
	v_mov_b32_e32 v12, 0x3b800000
	v_lshlrev_b32_e32 v3, 20, v3
	v_and_b32_e32 v7, 0x80000000, v7
	v_lshl_add_u32 v6, v6, 23, v12
	v_or3_b32 v6, v7, v6, v3
.LBB2_5336:
	s_or_b64 exec, exec, s[6:7]
	s_nop 0
	v_mfma_f32_16x16x4f32 a[0:3], v2, v6, a[0:3]
	s_movk_i32 s4, 0x7f
	v_cmp_gt_i16_sdwa s[6:7], v8, s4 src0_sel:BYTE_3 src1_sel:DWORD
	s_mov_b64 s[4:5], 0
                                        ; implicit-def: $sgpr10
	s_and_saveexec_b64 s[8:9], s[6:7]
	s_xor_b64 s[6:7], exec, s[8:9]
	s_cbranch_execz .LBB2_5337
; %bb.41177:
	s_getpc_b64 s[14:15]
.Lpost_getpc24172:
	s_add_u32 s14, s14, (.LBB2_19673-.Lpost_getpc24172)&4294967295
	s_addc_u32 s15, s15, (.LBB2_19673-.Lpost_getpc24172)>>32
	s_setpc_b64 s[14:15]
.LBB2_5337:
	s_or_saveexec_b64 s[6:7], s[6:7]
	v_mov_b32_e32 v2, s10
	s_xor_b64 exec, exec, s[6:7]
	s_cbranch_execz .LBB2_5338
; %bb.41179:
	s_getpc_b64 s[14:15]
.Lpost_getpc24173:
	s_add_u32 s14, s14, (.LBB2_19676-.Lpost_getpc24173)&4294967295
	s_addc_u32 s15, s15, (.LBB2_19676-.Lpost_getpc24173)>>32
	s_setpc_b64 s[14:15]
.LBB2_5338:
	s_or_b64 exec, exec, s[6:7]
	s_and_saveexec_b64 s[6:7], s[4:5]
	s_cbranch_execz .LBB2_5340
.LBB2_5339:
	v_bfe_u32 v2, v8, 24, 3
	v_ffbh_u32_e32 v12, v2
	v_min_u32_e32 v12, 32, v12
	v_lshrrev_b32_e32 v6, 27, v8
	v_subrev_u32_e32 v13, 28, v12
	v_and_b32_e32 v3, 0x80000000, v8
	v_and_b32_e32 v6, 15, v6
	v_bfe_u32 v7, v8, 27, 4
	v_lshlrev_b32_sdwa v8, v13, v8 dst_sel:DWORD dst_unused:UNUSED_PAD src0_sel:DWORD src1_sel:BYTE_3
	v_sub_u32_e32 v12, 29, v12
	v_and_b32_e32 v8, 7, v8
	v_cmp_eq_u16_e32 vcc, 0, v6
	v_cndmask_b32_e32 v2, v2, v8, vcc
	v_cndmask_b32_e32 v6, v7, v12, vcc
	v_mov_b32_e32 v7, 0x3b800000
	v_lshlrev_b32_e32 v2, 20, v2
	v_lshl_add_u32 v6, v6, 23, v7
	v_or3_b32 v2, v3, v6, v2
.LBB2_5340:
	s_or_b64 exec, exec, s[6:7]
	s_movk_i32 s4, 0x7f
	v_cmp_gt_i16_sdwa s[6:7], v4, s4 src0_sel:BYTE_3 src1_sel:DWORD
	s_mov_b64 s[4:5], 0
                                        ; implicit-def: $sgpr10
	s_and_saveexec_b64 s[8:9], s[6:7]
	s_xor_b64 s[6:7], exec, s[8:9]
	s_cbranch_execz .LBB2_5341
; %bb.41181:
	s_getpc_b64 s[14:15]
.Lpost_getpc24174:
	s_add_u32 s14, s14, (.LBB2_19677-.Lpost_getpc24174)&4294967295
	s_addc_u32 s15, s15, (.LBB2_19677-.Lpost_getpc24174)>>32
	s_setpc_b64 s[14:15]
.LBB2_5341:
	s_or_saveexec_b64 s[6:7], s[6:7]
	v_mov_b32_e32 v3, s10
	s_xor_b64 exec, exec, s[6:7]
	s_cbranch_execz .LBB2_5342
; %bb.41183:
	s_getpc_b64 s[14:15]
.Lpost_getpc24175:
	s_add_u32 s14, s14, (.LBB2_19680-.Lpost_getpc24175)&4294967295
	s_addc_u32 s15, s15, (.LBB2_19680-.Lpost_getpc24175)>>32
	s_setpc_b64 s[14:15]
.LBB2_5342:
	s_or_b64 exec, exec, s[6:7]
	s_and_saveexec_b64 s[6:7], s[4:5]
	s_cbranch_execz .LBB2_5344
.LBB2_5343:
	v_bfe_u32 v3, v4, 24, 3
	v_ffbh_u32_e32 v12, v3
	v_min_u32_e32 v12, 32, v12
	v_lshrrev_b32_e32 v7, 27, v4
	v_subrev_u32_e32 v13, 28, v12
	v_and_b32_e32 v6, 0x80000000, v4
	v_and_b32_e32 v7, 15, v7
	v_bfe_u32 v8, v4, 27, 4
	v_lshlrev_b32_sdwa v4, v13, v4 dst_sel:DWORD dst_unused:UNUSED_PAD src0_sel:DWORD src1_sel:BYTE_3
	v_sub_u32_e32 v12, 29, v12
	v_and_b32_e32 v4, 7, v4
	v_cmp_eq_u16_e32 vcc, 0, v7
	v_cndmask_b32_e32 v3, v3, v4, vcc
	v_cndmask_b32_e32 v4, v8, v12, vcc
	v_mov_b32_e32 v7, 0x3b800000
	v_lshlrev_b32_e32 v3, 20, v3
	v_lshl_add_u32 v4, v4, 23, v7
	v_or3_b32 v3, v6, v4, v3
.LBB2_5344:
	s_or_b64 exec, exec, s[6:7]
	s_nop 0
	v_mfma_f32_16x16x4f32 a[0:3], v2, v3, a[0:3]
	s_movk_i32 s4, 0x7f
	v_cmp_gt_i16_sdwa s[6:7], v9, s4 src0_sel:BYTE_0 src1_sel:DWORD
	s_mov_b64 s[4:5], 0
                                        ; implicit-def: $sgpr10
	s_and_saveexec_b64 s[8:9], s[6:7]
	s_xor_b64 s[6:7], exec, s[8:9]
	s_cbranch_execz .LBB2_5345
; %bb.41185:
	s_getpc_b64 s[14:15]
.Lpost_getpc24176:
	s_add_u32 s14, s14, (.LBB2_19681-.Lpost_getpc24176)&4294967295
	s_addc_u32 s15, s15, (.LBB2_19681-.Lpost_getpc24176)>>32
	s_setpc_b64 s[14:15]
.LBB2_5345:
	s_or_saveexec_b64 s[6:7], s[6:7]
	v_mov_b32_e32 v2, s10
	s_xor_b64 exec, exec, s[6:7]
	s_cbranch_execz .LBB2_5346
; %bb.41187:
	s_getpc_b64 s[14:15]
.Lpost_getpc24177:
	s_add_u32 s14, s14, (.LBB2_19684-.Lpost_getpc24177)&4294967295
	s_addc_u32 s15, s15, (.LBB2_19684-.Lpost_getpc24177)>>32
	s_setpc_b64 s[14:15]
.LBB2_5346:
	s_or_b64 exec, exec, s[6:7]
	s_and_saveexec_b64 s[6:7], s[4:5]
	s_cbranch_execz .LBB2_5348
.LBB2_5347:
	v_mov_b32_e32 v2, 8
	v_and_b32_e32 v3, 7, v9
	v_lshrrev_b32_sdwa v2, v2, v9 dst_sel:BYTE_1 dst_unused:UNUSED_PAD src0_sel:DWORD src1_sel:DWORD
	v_ffbh_u32_e32 v4, v3
	v_or_b32_sdwa v2, v9, v2 dst_sel:DWORD dst_unused:UNUSED_PAD src0_sel:BYTE_0 src1_sel:DWORD
	v_min_u32_e32 v4, 32, v4
	v_lshrrev_b16_e32 v2, 3, v2
	v_subrev_u32_e32 v6, 28, v4
	v_and_b32_e32 v2, 15, v2
	v_lshlrev_b32_e32 v6, v6, v9
	v_sub_u32_e32 v4, 29, v4
	v_and_b32_e32 v6, 7, v6
	v_cmp_eq_u16_e32 vcc, 0, v2
	v_cndmask_b32_e32 v3, v3, v6, vcc
	v_cndmask_b32_e32 v2, v2, v4, vcc
	v_lshlrev_b32_e32 v4, 24, v9
	v_mov_b32_e32 v6, 0x3b800000
	v_lshlrev_b32_e32 v3, 20, v3
	v_and_b32_e32 v4, 0x80000000, v4
	v_lshl_add_u32 v2, v2, 23, v6
	v_or3_b32 v2, v4, v2, v3
.LBB2_5348:
	s_or_b64 exec, exec, s[6:7]
	s_movk_i32 s4, 0x7f
	v_cmp_gt_i16_sdwa s[6:7], v5, s4 src0_sel:BYTE_0 src1_sel:DWORD
	s_mov_b64 s[4:5], 0
                                        ; implicit-def: $sgpr10
	s_and_saveexec_b64 s[8:9], s[6:7]
	s_xor_b64 s[6:7], exec, s[8:9]
	s_cbranch_execz .LBB2_5349
; %bb.41189:
	s_getpc_b64 s[14:15]
.Lpost_getpc24178:
	s_add_u32 s14, s14, (.LBB2_19685-.Lpost_getpc24178)&4294967295
	s_addc_u32 s15, s15, (.LBB2_19685-.Lpost_getpc24178)>>32
	s_setpc_b64 s[14:15]
.LBB2_5349:
	s_or_saveexec_b64 s[6:7], s[6:7]
	v_mov_b32_e32 v3, s10
	s_xor_b64 exec, exec, s[6:7]
	s_cbranch_execz .LBB2_5350
; %bb.41191:
	s_getpc_b64 s[14:15]
.Lpost_getpc24179:
	s_add_u32 s14, s14, (.LBB2_19688-.Lpost_getpc24179)&4294967295
	s_addc_u32 s15, s15, (.LBB2_19688-.Lpost_getpc24179)>>32
	s_setpc_b64 s[14:15]
.LBB2_5350:
	s_or_b64 exec, exec, s[6:7]
	s_and_saveexec_b64 s[6:7], s[4:5]
	s_cbranch_execz .LBB2_5352
.LBB2_5351:
	v_mov_b32_e32 v3, 8
	v_and_b32_e32 v4, 7, v5
	v_lshrrev_b32_sdwa v3, v3, v5 dst_sel:BYTE_1 dst_unused:UNUSED_PAD src0_sel:DWORD src1_sel:DWORD
	v_ffbh_u32_e32 v6, v4
	v_or_b32_sdwa v3, v5, v3 dst_sel:DWORD dst_unused:UNUSED_PAD src0_sel:BYTE_0 src1_sel:DWORD
	v_min_u32_e32 v6, 32, v6
	v_lshrrev_b16_e32 v3, 3, v3
	v_subrev_u32_e32 v7, 28, v6
	v_and_b32_e32 v3, 15, v3
	v_lshlrev_b32_e32 v7, v7, v5
	v_sub_u32_e32 v6, 29, v6
	v_and_b32_e32 v7, 7, v7
	v_cmp_eq_u16_e32 vcc, 0, v3
	v_cndmask_b32_e32 v4, v4, v7, vcc
	v_cndmask_b32_e32 v3, v3, v6, vcc
	v_lshlrev_b32_e32 v6, 24, v5
	v_mov_b32_e32 v7, 0x3b800000
	v_lshlrev_b32_e32 v4, 20, v4
	v_and_b32_e32 v6, 0x80000000, v6
	v_lshl_add_u32 v3, v3, 23, v7
	v_or3_b32 v3, v6, v3, v4
.LBB2_5352:
	s_or_b64 exec, exec, s[6:7]
	s_nop 0
	v_mfma_f32_16x16x4f32 a[0:3], v2, v3, a[0:3]
	v_lshrrev_b32_e32 v3, 8, v9
	s_movk_i32 s4, 0x7f
	v_cmp_gt_i16_sdwa s[6:7], v3, s4 src0_sel:BYTE_0 src1_sel:DWORD
	s_mov_b64 s[4:5], 0
                                        ; implicit-def: $sgpr10
	s_and_saveexec_b64 s[8:9], s[6:7]
	s_xor_b64 s[6:7], exec, s[8:9]
	s_cbranch_execz .LBB2_5353
; %bb.41193:
	s_getpc_b64 s[14:15]
.Lpost_getpc24180:
	s_add_u32 s14, s14, (.LBB2_19689-.Lpost_getpc24180)&4294967295
	s_addc_u32 s15, s15, (.LBB2_19689-.Lpost_getpc24180)>>32
	s_setpc_b64 s[14:15]
.LBB2_5353:
	s_or_saveexec_b64 s[6:7], s[6:7]
	v_mov_b32_e32 v2, s10
	s_xor_b64 exec, exec, s[6:7]
	s_cbranch_execz .LBB2_5354
; %bb.41195:
	s_getpc_b64 s[14:15]
.Lpost_getpc24181:
	s_add_u32 s14, s14, (.LBB2_19692-.Lpost_getpc24181)&4294967295
	s_addc_u32 s15, s15, (.LBB2_19692-.Lpost_getpc24181)>>32
	s_setpc_b64 s[14:15]
.LBB2_5354:
	s_or_b64 exec, exec, s[6:7]
	s_and_saveexec_b64 s[6:7], s[4:5]
	s_cbranch_execz .LBB2_5356
.LBB2_5355:
	v_bfe_u32 v2, v9, 8, 3
	v_ffbh_u32_e32 v6, v2
	v_min_u32_e32 v6, 32, v6
	v_lshrrev_b16_e32 v4, 3, v3
	v_subrev_u32_e32 v7, 28, v6
	v_and_b32_e32 v4, 15, v4
	v_lshlrev_b32_e32 v3, v7, v3
	v_sub_u32_e32 v6, 29, v6
	v_and_b32_e32 v3, 7, v3
	v_cmp_eq_u16_e32 vcc, 0, v4
	v_cndmask_b32_e32 v2, v2, v3, vcc
	v_cndmask_b32_e32 v3, v4, v6, vcc
	v_lshlrev_b32_e32 v4, 16, v9
	v_mov_b32_e32 v6, 0x3b800000
	v_lshlrev_b32_e32 v2, 20, v2
	v_and_b32_e32 v4, 0x80000000, v4
	v_lshl_add_u32 v3, v3, 23, v6
	v_or3_b32 v2, v4, v3, v2
.LBB2_5356:
	s_or_b64 exec, exec, s[6:7]
	v_lshrrev_b32_e32 v3, 8, v5
	s_movk_i32 s4, 0x7f
	v_cmp_gt_i16_sdwa s[6:7], v3, s4 src0_sel:BYTE_0 src1_sel:DWORD
	s_mov_b64 s[4:5], 0
                                        ; implicit-def: $sgpr10
	s_and_saveexec_b64 s[8:9], s[6:7]
	s_xor_b64 s[6:7], exec, s[8:9]
	s_cbranch_execz .LBB2_5357
; %bb.41197:
	s_getpc_b64 s[14:15]
.Lpost_getpc24182:
	s_add_u32 s14, s14, (.LBB2_19693-.Lpost_getpc24182)&4294967295
	s_addc_u32 s15, s15, (.LBB2_19693-.Lpost_getpc24182)>>32
	s_setpc_b64 s[14:15]
.LBB2_5357:
	s_or_saveexec_b64 s[6:7], s[6:7]
	v_mov_b32_e32 v4, s10
	s_xor_b64 exec, exec, s[6:7]
	s_cbranch_execz .LBB2_5358
; %bb.41199:
	s_getpc_b64 s[14:15]
.Lpost_getpc24183:
	s_add_u32 s14, s14, (.LBB2_19696-.Lpost_getpc24183)&4294967295
	s_addc_u32 s15, s15, (.LBB2_19696-.Lpost_getpc24183)>>32
	s_setpc_b64 s[14:15]
.LBB2_5358:
	s_or_b64 exec, exec, s[6:7]
	s_and_saveexec_b64 s[6:7], s[4:5]
	s_cbranch_execz .LBB2_5360
.LBB2_5359:
	v_bfe_u32 v4, v5, 8, 3
	v_ffbh_u32_e32 v7, v4
	v_min_u32_e32 v7, 32, v7
	v_lshrrev_b16_e32 v6, 3, v3
	v_subrev_u32_e32 v8, 28, v7
	v_and_b32_e32 v6, 15, v6
	v_lshlrev_b32_e32 v3, v8, v3
	v_sub_u32_e32 v7, 29, v7
	v_and_b32_e32 v3, 7, v3
	v_cmp_eq_u16_e32 vcc, 0, v6
	v_cndmask_b32_e32 v3, v4, v3, vcc
	v_cndmask_b32_e32 v4, v6, v7, vcc
	v_lshlrev_b32_e32 v6, 16, v5
	v_mov_b32_e32 v7, 0x3b800000
	v_lshlrev_b32_e32 v3, 20, v3
	v_and_b32_e32 v6, 0x80000000, v6
	v_lshl_add_u32 v4, v4, 23, v7
	v_or3_b32 v4, v6, v4, v3
.LBB2_5360:
	s_or_b64 exec, exec, s[6:7]
	s_nop 0
	v_mfma_f32_16x16x4f32 a[0:3], v2, v4, a[0:3]
	s_movk_i32 s4, 0xff
	v_and_b32_sdwa v3, v9, s4 dst_sel:DWORD dst_unused:UNUSED_PAD src0_sel:WORD_1 src1_sel:DWORD
	s_movk_i32 s4, 0x7f
	v_cmp_lt_i16_e32 vcc, s4, v3
	s_mov_b64 s[4:5], 0
                                        ; implicit-def: $sgpr10
	s_and_saveexec_b64 s[6:7], vcc
	s_xor_b64 s[6:7], exec, s[6:7]
	s_cbranch_execz .LBB2_5361
; %bb.41201:
	s_getpc_b64 s[14:15]
.Lpost_getpc24184:
	s_add_u32 s14, s14, (.LBB2_19697-.Lpost_getpc24184)&4294967295
	s_addc_u32 s15, s15, (.LBB2_19697-.Lpost_getpc24184)>>32
	s_setpc_b64 s[14:15]
.LBB2_5361:
	s_or_saveexec_b64 s[6:7], s[6:7]
	v_mov_b32_e32 v2, s10
	s_xor_b64 exec, exec, s[6:7]
	s_cbranch_execz .LBB2_5362
; %bb.41203:
	s_getpc_b64 s[14:15]
.Lpost_getpc24185:
	s_add_u32 s14, s14, (.LBB2_19700-.Lpost_getpc24185)&4294967295
	s_addc_u32 s15, s15, (.LBB2_19700-.Lpost_getpc24185)>>32
	s_setpc_b64 s[14:15]
.LBB2_5362:
	s_or_b64 exec, exec, s[6:7]
	s_and_saveexec_b64 s[6:7], s[4:5]
	s_cbranch_execz .LBB2_5364
.LBB2_5363:
	v_bfe_u32 v2, v9, 16, 3
	v_ffbh_u32_e32 v6, v2
	v_min_u32_e32 v6, 32, v6
	v_lshrrev_b32_e32 v3, 19, v9
	v_subrev_u32_e32 v7, 28, v6
	v_and_b32_e32 v3, 15, v3
	v_lshlrev_b32_sdwa v7, v7, v9 dst_sel:DWORD dst_unused:UNUSED_PAD src0_sel:DWORD src1_sel:WORD_1
	v_bfe_u32 v4, v9, 19, 4
	v_sub_u32_e32 v6, 29, v6
	v_and_b32_e32 v7, 7, v7
	v_cmp_eq_u16_e32 vcc, 0, v3
	v_cndmask_b32_e32 v2, v2, v7, vcc
	v_cndmask_b32_e32 v3, v4, v6, vcc
	v_lshlrev_b32_e32 v4, 8, v9
	v_mov_b32_e32 v6, 0x3b800000
	v_lshlrev_b32_e32 v2, 20, v2
	v_and_b32_e32 v4, 0x80000000, v4
	v_lshl_add_u32 v3, v3, 23, v6
	v_or3_b32 v2, v4, v3, v2
.LBB2_5364:
	s_or_b64 exec, exec, s[6:7]
	s_movk_i32 s4, 0xff
	v_and_b32_sdwa v3, v5, s4 dst_sel:DWORD dst_unused:UNUSED_PAD src0_sel:WORD_1 src1_sel:DWORD
	s_movk_i32 s4, 0x7f
	v_cmp_lt_i16_e32 vcc, s4, v3
	s_mov_b64 s[4:5], 0
                                        ; implicit-def: $sgpr10
	s_and_saveexec_b64 s[6:7], vcc
	s_xor_b64 s[6:7], exec, s[6:7]
	s_cbranch_execz .LBB2_5365
; %bb.41205:
	s_getpc_b64 s[14:15]
.Lpost_getpc24186:
	s_add_u32 s14, s14, (.LBB2_19701-.Lpost_getpc24186)&4294967295
	s_addc_u32 s15, s15, (.LBB2_19701-.Lpost_getpc24186)>>32
	s_setpc_b64 s[14:15]
.LBB2_5365:
	s_or_saveexec_b64 s[6:7], s[6:7]
	v_mov_b32_e32 v4, s10
	s_xor_b64 exec, exec, s[6:7]
	s_cbranch_execz .LBB2_5366
; %bb.41207:
	s_getpc_b64 s[14:15]
.Lpost_getpc24187:
	s_add_u32 s14, s14, (.LBB2_19704-.Lpost_getpc24187)&4294967295
	s_addc_u32 s15, s15, (.LBB2_19704-.Lpost_getpc24187)>>32
	s_setpc_b64 s[14:15]
.LBB2_5366:
	s_or_b64 exec, exec, s[6:7]
	s_and_saveexec_b64 s[6:7], s[4:5]
	s_cbranch_execz .LBB2_5368
.LBB2_5367:
	v_bfe_u32 v3, v5, 16, 3
	v_ffbh_u32_e32 v7, v3
	v_min_u32_e32 v7, 32, v7
	v_lshrrev_b32_e32 v4, 19, v5
	v_subrev_u32_e32 v8, 28, v7
	v_and_b32_e32 v4, 15, v4
	v_lshlrev_b32_sdwa v8, v8, v5 dst_sel:DWORD dst_unused:UNUSED_PAD src0_sel:DWORD src1_sel:WORD_1
	v_bfe_u32 v6, v5, 19, 4
	v_sub_u32_e32 v7, 29, v7
	v_and_b32_e32 v8, 7, v8
	v_cmp_eq_u16_e32 vcc, 0, v4
	v_cndmask_b32_e32 v3, v3, v8, vcc
	v_cndmask_b32_e32 v4, v6, v7, vcc
	v_lshlrev_b32_e32 v6, 8, v5
	v_mov_b32_e32 v7, 0x3b800000
	v_lshlrev_b32_e32 v3, 20, v3
	v_and_b32_e32 v6, 0x80000000, v6
	v_lshl_add_u32 v4, v4, 23, v7
	v_or3_b32 v4, v6, v4, v3
.LBB2_5368:
	s_or_b64 exec, exec, s[6:7]
	s_nop 0
	v_mfma_f32_16x16x4f32 a[0:3], v2, v4, a[0:3]
	s_movk_i32 s4, 0x7f
	v_cmp_gt_i16_sdwa s[6:7], v9, s4 src0_sel:BYTE_3 src1_sel:DWORD
	s_mov_b64 s[4:5], 0
                                        ; implicit-def: $sgpr10
	s_and_saveexec_b64 s[8:9], s[6:7]
	s_xor_b64 s[6:7], exec, s[8:9]
	s_cbranch_execz .LBB2_5369
; %bb.41209:
	s_getpc_b64 s[14:15]
.Lpost_getpc24188:
	s_add_u32 s14, s14, (.LBB2_19705-.Lpost_getpc24188)&4294967295
	s_addc_u32 s15, s15, (.LBB2_19705-.Lpost_getpc24188)>>32
	s_setpc_b64 s[14:15]
.LBB2_5369:
	s_or_saveexec_b64 s[6:7], s[6:7]
	v_mov_b32_e32 v2, s10
	s_xor_b64 exec, exec, s[6:7]
	s_cbranch_execz .LBB2_5370
; %bb.41211:
	s_getpc_b64 s[14:15]
.Lpost_getpc24189:
	s_add_u32 s14, s14, (.LBB2_19708-.Lpost_getpc24189)&4294967295
	s_addc_u32 s15, s15, (.LBB2_19708-.Lpost_getpc24189)>>32
	s_setpc_b64 s[14:15]
.LBB2_5370:
	s_or_b64 exec, exec, s[6:7]
	s_and_saveexec_b64 s[6:7], s[4:5]
	s_cbranch_execz .LBB2_5372
.LBB2_5371:
	v_bfe_u32 v2, v9, 24, 3
	v_ffbh_u32_e32 v7, v2
	v_min_u32_e32 v7, 32, v7
	v_lshrrev_b32_e32 v4, 27, v9
	v_subrev_u32_e32 v8, 28, v7
	v_and_b32_e32 v4, 15, v4
	v_lshlrev_b32_sdwa v8, v8, v9 dst_sel:DWORD dst_unused:UNUSED_PAD src0_sel:DWORD src1_sel:BYTE_3
	v_bfe_u32 v6, v9, 27, 4
	v_sub_u32_e32 v7, 29, v7
	v_and_b32_e32 v8, 7, v8
	v_cmp_eq_u16_e32 vcc, 0, v4
	v_cndmask_b32_e32 v2, v2, v8, vcc
	v_cndmask_b32_e32 v4, v6, v7, vcc
	v_mov_b32_e32 v6, 0x3b800000
	v_and_b32_e32 v3, 0x80000000, v9
	v_lshlrev_b32_e32 v2, 20, v2
	v_lshl_add_u32 v4, v4, 23, v6
	v_or3_b32 v2, v3, v4, v2
.LBB2_5372:
	s_or_b64 exec, exec, s[6:7]
	s_movk_i32 s4, 0x7f
	v_cmp_gt_i16_sdwa s[6:7], v5, s4 src0_sel:BYTE_3 src1_sel:DWORD
	s_mov_b64 s[4:5], 0
                                        ; implicit-def: $sgpr10
	s_and_saveexec_b64 s[8:9], s[6:7]
	s_xor_b64 s[6:7], exec, s[8:9]
	s_cbranch_execz .LBB2_5373
; %bb.41213:
	s_getpc_b64 s[14:15]
.Lpost_getpc24190:
	s_add_u32 s14, s14, (.LBB2_19709-.Lpost_getpc24190)&4294967295
	s_addc_u32 s15, s15, (.LBB2_19709-.Lpost_getpc24190)>>32
	s_setpc_b64 s[14:15]
.LBB2_5373:
	s_or_saveexec_b64 s[6:7], s[6:7]
	v_mov_b32_e32 v3, s10
	s_xor_b64 exec, exec, s[6:7]
	s_cbranch_execz .LBB2_5374
; %bb.41215:
	s_getpc_b64 s[14:15]
.Lpost_getpc24191:
	s_add_u32 s14, s14, (.LBB2_19712-.Lpost_getpc24191)&4294967295
	s_addc_u32 s15, s15, (.LBB2_19712-.Lpost_getpc24191)>>32
	s_setpc_b64 s[14:15]
.LBB2_5374:
	s_or_b64 exec, exec, s[6:7]
	s_and_saveexec_b64 s[6:7], s[4:5]
	s_cbranch_execz .LBB2_5376
.LBB2_5375:
	v_bfe_u32 v3, v5, 24, 3
	v_ffbh_u32_e32 v8, v3
	v_min_u32_e32 v8, 32, v8
	v_lshrrev_b32_e32 v6, 27, v5
	v_subrev_u32_e32 v9, 28, v8
	v_and_b32_e32 v4, 0x80000000, v5
	v_and_b32_e32 v6, 15, v6
	v_bfe_u32 v7, v5, 27, 4
	v_lshlrev_b32_sdwa v5, v9, v5 dst_sel:DWORD dst_unused:UNUSED_PAD src0_sel:DWORD src1_sel:BYTE_3
	v_sub_u32_e32 v8, 29, v8
	v_and_b32_e32 v5, 7, v5
	v_cmp_eq_u16_e32 vcc, 0, v6
	v_cndmask_b32_e32 v3, v3, v5, vcc
	v_cndmask_b32_e32 v5, v7, v8, vcc
	v_mov_b32_e32 v6, 0x3b800000
	v_lshlrev_b32_e32 v3, 20, v3
	v_lshl_add_u32 v5, v5, 23, v6
	v_or3_b32 v3, v4, v5, v3
.LBB2_5376:
	s_or_b64 exec, exec, s[6:7]
	s_nop 0
	v_mfma_f32_16x16x4f32 a[0:3], v2, v3, a[0:3]
	s_movk_i32 s4, 0x7f
                                        ; implicit-def: $sgpr10
	s_nop 7
	s_nop 1
	flat_store_dwordx4 v[10:11], a[0:3] offset:656
	flat_load_dwordx4 v[12:15], v[0:1]
	s_nop 0
	flat_load_dwordx2 v[10:11], v[0:1] offset:16
	s_waitcnt vmcnt(0) lgkmcnt(0)
	flat_load_dwordx4 v[6:9], v[12:13] offset:80
	flat_load_dwordx4 v[2:5], v[14:15] offset:32
	s_waitcnt vmcnt(0) lgkmcnt(0)
	v_cmp_gt_i16_sdwa s[6:7], v6, s4 src0_sel:BYTE_0 src1_sel:DWORD
	s_mov_b64 s[4:5], 0
	s_and_saveexec_b64 s[8:9], s[6:7]
	s_xor_b64 s[6:7], exec, s[8:9]
	s_cbranch_execz .LBB2_5377
; %bb.41217:
	s_getpc_b64 s[14:15]
.Lpost_getpc24192:
	s_add_u32 s14, s14, (.LBB2_19713-.Lpost_getpc24192)&4294967295
	s_addc_u32 s15, s15, (.LBB2_19713-.Lpost_getpc24192)>>32
	s_setpc_b64 s[14:15]
.LBB2_5377:
	s_or_saveexec_b64 s[6:7], s[6:7]
	v_mov_b32_e32 v12, s10
	s_xor_b64 exec, exec, s[6:7]
	s_cbranch_execz .LBB2_5378
; %bb.41219:
	s_getpc_b64 s[14:15]
.Lpost_getpc24193:
	s_add_u32 s14, s14, (.LBB2_19716-.Lpost_getpc24193)&4294967295
	s_addc_u32 s15, s15, (.LBB2_19716-.Lpost_getpc24193)>>32
	s_setpc_b64 s[14:15]
.LBB2_5378:
	s_or_b64 exec, exec, s[6:7]
	s_and_saveexec_b64 s[6:7], s[4:5]
	s_cbranch_execz .LBB2_5380
.LBB2_5379:
	v_and_b32_e32 v12, 7, v6
	v_ffbh_u32_e32 v14, v12
	v_min_u32_e32 v14, 32, v14
	v_lshrrev_b16_e32 v13, 3, v6
	v_subrev_u32_e32 v15, 28, v14
	v_and_b32_e32 v13, 15, v13
	v_lshlrev_b32_e32 v15, v15, v6
	v_sub_u32_e32 v14, 29, v14
	v_and_b32_e32 v15, 7, v15
	v_cmp_eq_u16_e32 vcc, 0, v13
	v_cndmask_b32_e32 v12, v12, v15, vcc
	v_cndmask_b32_e32 v13, v13, v14, vcc
	v_lshlrev_b32_e32 v14, 24, v6
	v_mov_b32_e32 v15, 0x3b800000
	v_lshlrev_b32_e32 v12, 20, v12
	v_and_b32_e32 v14, 0x80000000, v14
	v_lshl_add_u32 v13, v13, 23, v15
	v_or3_b32 v12, v14, v13, v12
.LBB2_5380:
	s_or_b64 exec, exec, s[6:7]
	s_movk_i32 s4, 0x7f
	v_cmp_gt_i16_sdwa s[6:7], v2, s4 src0_sel:BYTE_0 src1_sel:DWORD
	s_mov_b64 s[4:5], 0
                                        ; implicit-def: $sgpr10
	s_and_saveexec_b64 s[8:9], s[6:7]
	s_xor_b64 s[6:7], exec, s[8:9]
	s_cbranch_execz .LBB2_5381
; %bb.41221:
	s_getpc_b64 s[14:15]
.Lpost_getpc24194:
	s_add_u32 s14, s14, (.LBB2_19717-.Lpost_getpc24194)&4294967295
	s_addc_u32 s15, s15, (.LBB2_19717-.Lpost_getpc24194)>>32
	s_setpc_b64 s[14:15]
.LBB2_5381:
	s_or_saveexec_b64 s[6:7], s[6:7]
	v_mov_b32_e32 v13, s10
	s_xor_b64 exec, exec, s[6:7]
	s_cbranch_execz .LBB2_5382
; %bb.41223:
	s_getpc_b64 s[14:15]
.Lpost_getpc24195:
	s_add_u32 s14, s14, (.LBB2_19720-.Lpost_getpc24195)&4294967295
	s_addc_u32 s15, s15, (.LBB2_19720-.Lpost_getpc24195)>>32
	s_setpc_b64 s[14:15]
.LBB2_5382:
	s_or_b64 exec, exec, s[6:7]
	s_and_saveexec_b64 s[6:7], s[4:5]
	s_cbranch_execz .LBB2_5384
.LBB2_5383:
	v_and_b32_e32 v13, 7, v2
	v_ffbh_u32_e32 v15, v13
	v_min_u32_e32 v15, 32, v15
	v_lshrrev_b16_e32 v14, 3, v2
	v_subrev_u32_e32 v16, 28, v15
	v_and_b32_e32 v14, 15, v14
	v_lshlrev_b32_e32 v16, v16, v2
	v_sub_u32_e32 v15, 29, v15
	v_and_b32_e32 v16, 7, v16
	v_cmp_eq_u16_e32 vcc, 0, v14
	v_cndmask_b32_e32 v13, v13, v16, vcc
	v_cndmask_b32_e32 v14, v14, v15, vcc
	v_lshlrev_b32_e32 v15, 24, v2
	v_mov_b32_e32 v16, 0x3b800000
	v_lshlrev_b32_e32 v13, 20, v13
	v_and_b32_e32 v15, 0x80000000, v15
	v_lshl_add_u32 v14, v14, 23, v16
	v_or3_b32 v13, v15, v14, v13
.LBB2_5384:
	s_or_b64 exec, exec, s[6:7]
	flat_load_dwordx4 a[0:3], v[10:11] offset:672
	s_movk_i32 s4, 0x7f
                                        ; implicit-def: $sgpr10
	s_waitcnt vmcnt(0) lgkmcnt(0)
	v_mfma_f32_16x16x4f32 a[0:3], v12, v13, a[0:3]
	v_lshrrev_b32_e32 v13, 8, v6
	v_cmp_gt_i16_sdwa s[6:7], v13, s4 src0_sel:BYTE_0 src1_sel:DWORD
	s_mov_b64 s[4:5], 0
	s_and_saveexec_b64 s[8:9], s[6:7]
	s_xor_b64 s[6:7], exec, s[8:9]
	s_cbranch_execz .LBB2_5385
; %bb.41225:
	s_getpc_b64 s[14:15]
.Lpost_getpc24196:
	s_add_u32 s14, s14, (.LBB2_19721-.Lpost_getpc24196)&4294967295
	s_addc_u32 s15, s15, (.LBB2_19721-.Lpost_getpc24196)>>32
	s_setpc_b64 s[14:15]
.LBB2_5385:
	s_or_saveexec_b64 s[6:7], s[6:7]
	v_mov_b32_e32 v12, s10
	s_xor_b64 exec, exec, s[6:7]
	s_cbranch_execz .LBB2_5386
; %bb.41227:
	s_getpc_b64 s[14:15]
.Lpost_getpc24197:
	s_add_u32 s14, s14, (.LBB2_19724-.Lpost_getpc24197)&4294967295
	s_addc_u32 s15, s15, (.LBB2_19724-.Lpost_getpc24197)>>32
	s_setpc_b64 s[14:15]
.LBB2_5386:
	s_or_b64 exec, exec, s[6:7]
	s_and_saveexec_b64 s[6:7], s[4:5]
	s_cbranch_execz .LBB2_5388
.LBB2_5387:
	v_bfe_u32 v12, v6, 8, 3
	v_ffbh_u32_e32 v15, v12
	v_min_u32_e32 v15, 32, v15
	v_lshrrev_b16_e32 v14, 3, v13
	v_subrev_u32_e32 v16, 28, v15
	v_and_b32_e32 v14, 15, v14
	v_lshlrev_b32_e32 v13, v16, v13
	v_sub_u32_e32 v15, 29, v15
	v_and_b32_e32 v13, 7, v13
	v_cmp_eq_u16_e32 vcc, 0, v14
	v_cndmask_b32_e32 v12, v12, v13, vcc
	v_cndmask_b32_e32 v13, v14, v15, vcc
	v_lshlrev_b32_e32 v14, 16, v6
	v_mov_b32_e32 v15, 0x3b800000
	v_lshlrev_b32_e32 v12, 20, v12
	v_and_b32_e32 v14, 0x80000000, v14
	v_lshl_add_u32 v13, v13, 23, v15
	v_or3_b32 v12, v14, v13, v12
.LBB2_5388:
	s_or_b64 exec, exec, s[6:7]
	v_lshrrev_b32_e32 v13, 8, v2
	s_movk_i32 s4, 0x7f
	v_cmp_gt_i16_sdwa s[6:7], v13, s4 src0_sel:BYTE_0 src1_sel:DWORD
	s_mov_b64 s[4:5], 0
                                        ; implicit-def: $sgpr10
	s_and_saveexec_b64 s[8:9], s[6:7]
	s_xor_b64 s[6:7], exec, s[8:9]
	s_cbranch_execz .LBB2_5389
; %bb.41229:
	s_getpc_b64 s[14:15]
.Lpost_getpc24198:
	s_add_u32 s14, s14, (.LBB2_19725-.Lpost_getpc24198)&4294967295
	s_addc_u32 s15, s15, (.LBB2_19725-.Lpost_getpc24198)>>32
	s_setpc_b64 s[14:15]
.LBB2_5389:
	s_or_saveexec_b64 s[6:7], s[6:7]
	v_mov_b32_e32 v14, s10
	s_xor_b64 exec, exec, s[6:7]
	s_cbranch_execz .LBB2_5390
; %bb.41231:
	s_getpc_b64 s[14:15]
.Lpost_getpc24199:
	s_add_u32 s14, s14, (.LBB2_19728-.Lpost_getpc24199)&4294967295
	s_addc_u32 s15, s15, (.LBB2_19728-.Lpost_getpc24199)>>32
	s_setpc_b64 s[14:15]
.LBB2_5390:
	s_or_b64 exec, exec, s[6:7]
	s_and_saveexec_b64 s[6:7], s[4:5]
	s_cbranch_execz .LBB2_5392
.LBB2_5391:
	v_bfe_u32 v14, v2, 8, 3
	v_ffbh_u32_e32 v16, v14
	v_min_u32_e32 v16, 32, v16
	v_lshrrev_b16_e32 v15, 3, v13
	v_subrev_u32_e32 v17, 28, v16
	v_and_b32_e32 v15, 15, v15
	v_lshlrev_b32_e32 v13, v17, v13
	v_sub_u32_e32 v16, 29, v16
	v_and_b32_e32 v13, 7, v13
	v_cmp_eq_u16_e32 vcc, 0, v15
	v_cndmask_b32_e32 v13, v14, v13, vcc
	v_cndmask_b32_e32 v14, v15, v16, vcc
	v_lshlrev_b32_e32 v15, 16, v2
	v_mov_b32_e32 v16, 0x3b800000
	v_lshlrev_b32_e32 v13, 20, v13
	v_and_b32_e32 v15, 0x80000000, v15
	v_lshl_add_u32 v14, v14, 23, v16
	v_or3_b32 v14, v15, v14, v13
.LBB2_5392:
	s_or_b64 exec, exec, s[6:7]
	s_nop 0
	v_mfma_f32_16x16x4f32 a[0:3], v12, v14, a[0:3]
	s_movk_i32 s4, 0xff
	v_and_b32_sdwa v13, v6, s4 dst_sel:DWORD dst_unused:UNUSED_PAD src0_sel:WORD_1 src1_sel:DWORD
	s_movk_i32 s4, 0x7f
	v_cmp_lt_i16_e32 vcc, s4, v13
	s_mov_b64 s[4:5], 0
                                        ; implicit-def: $sgpr10
	s_and_saveexec_b64 s[6:7], vcc
	s_xor_b64 s[6:7], exec, s[6:7]
	s_cbranch_execz .LBB2_5393
; %bb.41233:
	s_getpc_b64 s[14:15]
.Lpost_getpc24200:
	s_add_u32 s14, s14, (.LBB2_19729-.Lpost_getpc24200)&4294967295
	s_addc_u32 s15, s15, (.LBB2_19729-.Lpost_getpc24200)>>32
	s_setpc_b64 s[14:15]
.LBB2_5393:
	s_or_saveexec_b64 s[6:7], s[6:7]
	v_mov_b32_e32 v12, s10
	s_xor_b64 exec, exec, s[6:7]
	s_cbranch_execz .LBB2_5394
; %bb.41235:
	s_getpc_b64 s[14:15]
.Lpost_getpc24201:
	s_add_u32 s14, s14, (.LBB2_19732-.Lpost_getpc24201)&4294967295
	s_addc_u32 s15, s15, (.LBB2_19732-.Lpost_getpc24201)>>32
	s_setpc_b64 s[14:15]
.LBB2_5394:
	s_or_b64 exec, exec, s[6:7]
	s_and_saveexec_b64 s[6:7], s[4:5]
	s_cbranch_execz .LBB2_5396
.LBB2_5395:
	v_bfe_u32 v12, v6, 16, 3
	v_ffbh_u32_e32 v15, v12
	v_min_u32_e32 v15, 32, v15
	v_lshrrev_b32_e32 v13, 19, v6
	v_subrev_u32_e32 v16, 28, v15
	v_and_b32_e32 v13, 15, v13
	v_lshlrev_b32_sdwa v16, v16, v6 dst_sel:DWORD dst_unused:UNUSED_PAD src0_sel:DWORD src1_sel:WORD_1
	v_bfe_u32 v14, v6, 19, 4
	v_sub_u32_e32 v15, 29, v15
	v_and_b32_e32 v16, 7, v16
	v_cmp_eq_u16_e32 vcc, 0, v13
	v_cndmask_b32_e32 v12, v12, v16, vcc
	v_cndmask_b32_e32 v13, v14, v15, vcc
	v_lshlrev_b32_e32 v14, 8, v6
	v_mov_b32_e32 v15, 0x3b800000
	v_lshlrev_b32_e32 v12, 20, v12
	v_and_b32_e32 v14, 0x80000000, v14
	v_lshl_add_u32 v13, v13, 23, v15
	v_or3_b32 v12, v14, v13, v12
.LBB2_5396:
	s_or_b64 exec, exec, s[6:7]
	s_movk_i32 s4, 0xff
	v_and_b32_sdwa v13, v2, s4 dst_sel:DWORD dst_unused:UNUSED_PAD src0_sel:WORD_1 src1_sel:DWORD
	s_movk_i32 s4, 0x7f
	v_cmp_lt_i16_e32 vcc, s4, v13
	s_mov_b64 s[4:5], 0
                                        ; implicit-def: $sgpr10
	s_and_saveexec_b64 s[6:7], vcc
	s_xor_b64 s[6:7], exec, s[6:7]
	s_cbranch_execz .LBB2_5397
; %bb.41237:
	s_getpc_b64 s[14:15]
.Lpost_getpc24202:
	s_add_u32 s14, s14, (.LBB2_19733-.Lpost_getpc24202)&4294967295
	s_addc_u32 s15, s15, (.LBB2_19733-.Lpost_getpc24202)>>32
	s_setpc_b64 s[14:15]
.LBB2_5397:
	s_or_saveexec_b64 s[6:7], s[6:7]
	v_mov_b32_e32 v14, s10
	s_xor_b64 exec, exec, s[6:7]
	s_cbranch_execz .LBB2_5398
; %bb.41239:
	s_getpc_b64 s[14:15]
.Lpost_getpc24203:
	s_add_u32 s14, s14, (.LBB2_19736-.Lpost_getpc24203)&4294967295
	s_addc_u32 s15, s15, (.LBB2_19736-.Lpost_getpc24203)>>32
	s_setpc_b64 s[14:15]
.LBB2_5398:
	s_or_b64 exec, exec, s[6:7]
	s_and_saveexec_b64 s[6:7], s[4:5]
	s_cbranch_execz .LBB2_5400
.LBB2_5399:
	v_bfe_u32 v13, v2, 16, 3
	v_ffbh_u32_e32 v16, v13
	v_min_u32_e32 v16, 32, v16
	v_lshrrev_b32_e32 v14, 19, v2
	v_subrev_u32_e32 v17, 28, v16
	v_and_b32_e32 v14, 15, v14
	v_lshlrev_b32_sdwa v17, v17, v2 dst_sel:DWORD dst_unused:UNUSED_PAD src0_sel:DWORD src1_sel:WORD_1
	v_bfe_u32 v15, v2, 19, 4
	v_sub_u32_e32 v16, 29, v16
	v_and_b32_e32 v17, 7, v17
	v_cmp_eq_u16_e32 vcc, 0, v14
	v_cndmask_b32_e32 v13, v13, v17, vcc
	v_cndmask_b32_e32 v14, v15, v16, vcc
	v_lshlrev_b32_e32 v15, 8, v2
	v_mov_b32_e32 v16, 0x3b800000
	v_lshlrev_b32_e32 v13, 20, v13
	v_and_b32_e32 v15, 0x80000000, v15
	v_lshl_add_u32 v14, v14, 23, v16
	v_or3_b32 v14, v15, v14, v13
.LBB2_5400:
	s_or_b64 exec, exec, s[6:7]
	s_nop 0
	v_mfma_f32_16x16x4f32 a[0:3], v12, v14, a[0:3]
	s_movk_i32 s4, 0x7f
	v_cmp_gt_i16_sdwa s[6:7], v6, s4 src0_sel:BYTE_3 src1_sel:DWORD
	s_mov_b64 s[4:5], 0
                                        ; implicit-def: $sgpr10
	s_and_saveexec_b64 s[8:9], s[6:7]
	s_xor_b64 s[6:7], exec, s[8:9]
	s_cbranch_execz .LBB2_5401
; %bb.41241:
	s_getpc_b64 s[14:15]
.Lpost_getpc24204:
	s_add_u32 s14, s14, (.LBB2_19737-.Lpost_getpc24204)&4294967295
	s_addc_u32 s15, s15, (.LBB2_19737-.Lpost_getpc24204)>>32
	s_setpc_b64 s[14:15]
.LBB2_5401:
	s_or_saveexec_b64 s[6:7], s[6:7]
	v_mov_b32_e32 v12, s10
	s_xor_b64 exec, exec, s[6:7]
	s_cbranch_execz .LBB2_5402
; %bb.41243:
	s_getpc_b64 s[14:15]
.Lpost_getpc24205:
	s_add_u32 s14, s14, (.LBB2_19740-.Lpost_getpc24205)&4294967295
	s_addc_u32 s15, s15, (.LBB2_19740-.Lpost_getpc24205)>>32
	s_setpc_b64 s[14:15]
.LBB2_5402:
	s_or_b64 exec, exec, s[6:7]
	s_and_saveexec_b64 s[6:7], s[4:5]
	s_cbranch_execz .LBB2_5404
.LBB2_5403:
	v_bfe_u32 v12, v6, 24, 3
	v_ffbh_u32_e32 v16, v12
	v_min_u32_e32 v16, 32, v16
	v_lshrrev_b32_e32 v14, 27, v6
	v_subrev_u32_e32 v17, 28, v16
	v_and_b32_e32 v13, 0x80000000, v6
	v_and_b32_e32 v14, 15, v14
	v_bfe_u32 v15, v6, 27, 4
	v_lshlrev_b32_sdwa v6, v17, v6 dst_sel:DWORD dst_unused:UNUSED_PAD src0_sel:DWORD src1_sel:BYTE_3
	v_sub_u32_e32 v16, 29, v16
	v_and_b32_e32 v6, 7, v6
	v_cmp_eq_u16_e32 vcc, 0, v14
	v_cndmask_b32_e32 v6, v12, v6, vcc
	v_cndmask_b32_e32 v12, v15, v16, vcc
	v_mov_b32_e32 v14, 0x3b800000
	v_lshlrev_b32_e32 v6, 20, v6
	v_lshl_add_u32 v12, v12, 23, v14
	v_or3_b32 v12, v13, v12, v6
.LBB2_5404:
	s_or_b64 exec, exec, s[6:7]
	s_movk_i32 s4, 0x7f
	v_cmp_gt_i16_sdwa s[6:7], v2, s4 src0_sel:BYTE_3 src1_sel:DWORD
	s_mov_b64 s[4:5], 0
                                        ; implicit-def: $sgpr10
	s_and_saveexec_b64 s[8:9], s[6:7]
	s_xor_b64 s[6:7], exec, s[8:9]
	s_cbranch_execz .LBB2_5405
; %bb.41245:
	s_getpc_b64 s[14:15]
.Lpost_getpc24206:
	s_add_u32 s14, s14, (.LBB2_19741-.Lpost_getpc24206)&4294967295
	s_addc_u32 s15, s15, (.LBB2_19741-.Lpost_getpc24206)>>32
	s_setpc_b64 s[14:15]
.LBB2_5405:
	s_or_saveexec_b64 s[6:7], s[6:7]
	v_mov_b32_e32 v6, s10
	s_xor_b64 exec, exec, s[6:7]
	s_cbranch_execz .LBB2_5406
; %bb.41247:
	s_getpc_b64 s[14:15]
.Lpost_getpc24207:
	s_add_u32 s14, s14, (.LBB2_19744-.Lpost_getpc24207)&4294967295
	s_addc_u32 s15, s15, (.LBB2_19744-.Lpost_getpc24207)>>32
	s_setpc_b64 s[14:15]
.LBB2_5406:
	s_or_b64 exec, exec, s[6:7]
	s_and_saveexec_b64 s[6:7], s[4:5]
	s_cbranch_execz .LBB2_5408
.LBB2_5407:
	v_bfe_u32 v6, v2, 24, 3
	v_ffbh_u32_e32 v16, v6
	v_min_u32_e32 v16, 32, v16
	v_lshrrev_b32_e32 v14, 27, v2
	v_subrev_u32_e32 v17, 28, v16
	v_and_b32_e32 v13, 0x80000000, v2
	v_and_b32_e32 v14, 15, v14
	v_bfe_u32 v15, v2, 27, 4
	v_lshlrev_b32_sdwa v2, v17, v2 dst_sel:DWORD dst_unused:UNUSED_PAD src0_sel:DWORD src1_sel:BYTE_3
	v_sub_u32_e32 v16, 29, v16
	v_and_b32_e32 v2, 7, v2
	v_cmp_eq_u16_e32 vcc, 0, v14
	v_cndmask_b32_e32 v2, v6, v2, vcc
	v_cndmask_b32_e32 v6, v15, v16, vcc
	v_mov_b32_e32 v14, 0x3b800000
	v_lshlrev_b32_e32 v2, 20, v2
	v_lshl_add_u32 v6, v6, 23, v14
	v_or3_b32 v6, v13, v6, v2
.LBB2_5408:
	s_or_b64 exec, exec, s[6:7]
	s_nop 0
	v_mfma_f32_16x16x4f32 a[0:3], v12, v6, a[0:3]
	s_movk_i32 s4, 0x7f
	v_cmp_gt_i16_sdwa s[6:7], v7, s4 src0_sel:BYTE_0 src1_sel:DWORD
	s_mov_b64 s[4:5], 0
                                        ; implicit-def: $sgpr10
	s_and_saveexec_b64 s[8:9], s[6:7]
	s_xor_b64 s[6:7], exec, s[8:9]
	s_cbranch_execz .LBB2_5409
; %bb.41249:
	s_getpc_b64 s[14:15]
.Lpost_getpc24208:
	s_add_u32 s14, s14, (.LBB2_19745-.Lpost_getpc24208)&4294967295
	s_addc_u32 s15, s15, (.LBB2_19745-.Lpost_getpc24208)>>32
	s_setpc_b64 s[14:15]
.LBB2_5409:
	s_or_saveexec_b64 s[6:7], s[6:7]
	v_mov_b32_e32 v2, s10
	s_xor_b64 exec, exec, s[6:7]
	s_cbranch_execz .LBB2_5410
; %bb.41251:
	s_getpc_b64 s[14:15]
.Lpost_getpc24209:
	s_add_u32 s14, s14, (.LBB2_19748-.Lpost_getpc24209)&4294967295
	s_addc_u32 s15, s15, (.LBB2_19748-.Lpost_getpc24209)>>32
	s_setpc_b64 s[14:15]
.LBB2_5410:
	s_or_b64 exec, exec, s[6:7]
	s_and_saveexec_b64 s[6:7], s[4:5]
	s_cbranch_execz .LBB2_5412
.LBB2_5411:
	v_and_b32_e32 v2, 7, v7
	v_ffbh_u32_e32 v12, v2
	v_min_u32_e32 v12, 32, v12
	v_lshrrev_b16_e32 v6, 3, v7
	v_subrev_u32_e32 v13, 28, v12
	v_and_b32_e32 v6, 15, v6
	v_lshlrev_b32_e32 v13, v13, v7
	v_sub_u32_e32 v12, 29, v12
	v_and_b32_e32 v13, 7, v13
	v_cmp_eq_u16_e32 vcc, 0, v6
	v_cndmask_b32_e32 v2, v2, v13, vcc
	v_cndmask_b32_e32 v6, v6, v12, vcc
	v_lshlrev_b32_e32 v12, 24, v7
	v_mov_b32_e32 v13, 0x3b800000
	v_lshlrev_b32_e32 v2, 20, v2
	v_and_b32_e32 v12, 0x80000000, v12
	v_lshl_add_u32 v6, v6, 23, v13
	v_or3_b32 v2, v12, v6, v2
.LBB2_5412:
	s_or_b64 exec, exec, s[6:7]
	s_movk_i32 s4, 0x7f
	v_cmp_gt_i16_sdwa s[6:7], v3, s4 src0_sel:BYTE_0 src1_sel:DWORD
	s_mov_b64 s[4:5], 0
                                        ; implicit-def: $sgpr10
	s_and_saveexec_b64 s[8:9], s[6:7]
	s_xor_b64 s[6:7], exec, s[8:9]
	s_cbranch_execz .LBB2_5413
; %bb.41253:
	s_getpc_b64 s[14:15]
.Lpost_getpc24210:
	s_add_u32 s14, s14, (.LBB2_19749-.Lpost_getpc24210)&4294967295
	s_addc_u32 s15, s15, (.LBB2_19749-.Lpost_getpc24210)>>32
	s_setpc_b64 s[14:15]
.LBB2_5413:
	s_or_saveexec_b64 s[6:7], s[6:7]
	v_mov_b32_e32 v6, s10
	s_xor_b64 exec, exec, s[6:7]
	s_cbranch_execz .LBB2_5414
; %bb.41255:
	s_getpc_b64 s[14:15]
.Lpost_getpc24211:
	s_add_u32 s14, s14, (.LBB2_19752-.Lpost_getpc24211)&4294967295
	s_addc_u32 s15, s15, (.LBB2_19752-.Lpost_getpc24211)>>32
	s_setpc_b64 s[14:15]
.LBB2_5414:
	s_or_b64 exec, exec, s[6:7]
	s_and_saveexec_b64 s[6:7], s[4:5]
	s_cbranch_execz .LBB2_5416
.LBB2_5415:
	v_and_b32_e32 v6, 7, v3
	v_ffbh_u32_e32 v13, v6
	v_min_u32_e32 v13, 32, v13
	v_lshrrev_b16_e32 v12, 3, v3
	v_subrev_u32_e32 v14, 28, v13
	v_and_b32_e32 v12, 15, v12
	v_lshlrev_b32_e32 v14, v14, v3
	v_sub_u32_e32 v13, 29, v13
	v_and_b32_e32 v14, 7, v14
	v_cmp_eq_u16_e32 vcc, 0, v12
	v_cndmask_b32_e32 v6, v6, v14, vcc
	v_cndmask_b32_e32 v12, v12, v13, vcc
	v_lshlrev_b32_e32 v13, 24, v3
	v_mov_b32_e32 v14, 0x3b800000
	v_lshlrev_b32_e32 v6, 20, v6
	v_and_b32_e32 v13, 0x80000000, v13
	v_lshl_add_u32 v12, v12, 23, v14
	v_or3_b32 v6, v13, v12, v6
.LBB2_5416:
	s_or_b64 exec, exec, s[6:7]
	s_nop 0
	v_mfma_f32_16x16x4f32 a[0:3], v2, v6, a[0:3]
	v_lshrrev_b32_e32 v6, 8, v7
	s_movk_i32 s4, 0x7f
	v_cmp_gt_i16_sdwa s[6:7], v6, s4 src0_sel:BYTE_0 src1_sel:DWORD
	s_mov_b64 s[4:5], 0
                                        ; implicit-def: $sgpr10
	s_and_saveexec_b64 s[8:9], s[6:7]
	s_xor_b64 s[6:7], exec, s[8:9]
	s_cbranch_execz .LBB2_5417
; %bb.41257:
	s_getpc_b64 s[14:15]
.Lpost_getpc24212:
	s_add_u32 s14, s14, (.LBB2_19753-.Lpost_getpc24212)&4294967295
	s_addc_u32 s15, s15, (.LBB2_19753-.Lpost_getpc24212)>>32
	s_setpc_b64 s[14:15]
.LBB2_5417:
	s_or_saveexec_b64 s[6:7], s[6:7]
	v_mov_b32_e32 v2, s10
	s_xor_b64 exec, exec, s[6:7]
	s_cbranch_execz .LBB2_5418
; %bb.41259:
	s_getpc_b64 s[14:15]
.Lpost_getpc24213:
	s_add_u32 s14, s14, (.LBB2_19756-.Lpost_getpc24213)&4294967295
	s_addc_u32 s15, s15, (.LBB2_19756-.Lpost_getpc24213)>>32
	s_setpc_b64 s[14:15]
.LBB2_5418:
	s_or_b64 exec, exec, s[6:7]
	s_and_saveexec_b64 s[6:7], s[4:5]
	s_cbranch_execz .LBB2_5420
.LBB2_5419:
	v_bfe_u32 v2, v7, 8, 3
	v_ffbh_u32_e32 v13, v2
	v_min_u32_e32 v13, 32, v13
	v_lshrrev_b16_e32 v12, 3, v6
	v_subrev_u32_e32 v14, 28, v13
	v_and_b32_e32 v12, 15, v12
	v_lshlrev_b32_e32 v6, v14, v6
	v_sub_u32_e32 v13, 29, v13
	v_and_b32_e32 v6, 7, v6
	v_cmp_eq_u16_e32 vcc, 0, v12
	v_cndmask_b32_e32 v2, v2, v6, vcc
	v_cndmask_b32_e32 v6, v12, v13, vcc
	v_lshlrev_b32_e32 v12, 16, v7
	v_mov_b32_e32 v13, 0x3b800000
	v_lshlrev_b32_e32 v2, 20, v2
	v_and_b32_e32 v12, 0x80000000, v12
	v_lshl_add_u32 v6, v6, 23, v13
	v_or3_b32 v2, v12, v6, v2
.LBB2_5420:
	s_or_b64 exec, exec, s[6:7]
	v_lshrrev_b32_e32 v6, 8, v3
	s_movk_i32 s4, 0x7f
	v_cmp_gt_i16_sdwa s[6:7], v6, s4 src0_sel:BYTE_0 src1_sel:DWORD
	s_mov_b64 s[4:5], 0
                                        ; implicit-def: $sgpr10
	s_and_saveexec_b64 s[8:9], s[6:7]
	s_xor_b64 s[6:7], exec, s[8:9]
	s_cbranch_execz .LBB2_5421
; %bb.41261:
	s_getpc_b64 s[14:15]
.Lpost_getpc24214:
	s_add_u32 s14, s14, (.LBB2_19757-.Lpost_getpc24214)&4294967295
	s_addc_u32 s15, s15, (.LBB2_19757-.Lpost_getpc24214)>>32
	s_setpc_b64 s[14:15]
.LBB2_5421:
	s_or_saveexec_b64 s[6:7], s[6:7]
	v_mov_b32_e32 v12, s10
	s_xor_b64 exec, exec, s[6:7]
	s_cbranch_execz .LBB2_5422
; %bb.41263:
	s_getpc_b64 s[14:15]
.Lpost_getpc24215:
	s_add_u32 s14, s14, (.LBB2_19760-.Lpost_getpc24215)&4294967295
	s_addc_u32 s15, s15, (.LBB2_19760-.Lpost_getpc24215)>>32
	s_setpc_b64 s[14:15]
.LBB2_5422:
	s_or_b64 exec, exec, s[6:7]
	s_and_saveexec_b64 s[6:7], s[4:5]
	s_cbranch_execz .LBB2_5424
.LBB2_5423:
	v_bfe_u32 v12, v3, 8, 3
	v_ffbh_u32_e32 v14, v12
	v_min_u32_e32 v14, 32, v14
	v_lshrrev_b16_e32 v13, 3, v6
	v_subrev_u32_e32 v15, 28, v14
	v_and_b32_e32 v13, 15, v13
	v_lshlrev_b32_e32 v6, v15, v6
	v_sub_u32_e32 v14, 29, v14
	v_and_b32_e32 v6, 7, v6
	v_cmp_eq_u16_e32 vcc, 0, v13
	v_cndmask_b32_e32 v6, v12, v6, vcc
	v_cndmask_b32_e32 v12, v13, v14, vcc
	v_lshlrev_b32_e32 v13, 16, v3
	v_mov_b32_e32 v14, 0x3b800000
	v_lshlrev_b32_e32 v6, 20, v6
	v_and_b32_e32 v13, 0x80000000, v13
	v_lshl_add_u32 v12, v12, 23, v14
	v_or3_b32 v12, v13, v12, v6
.LBB2_5424:
	s_or_b64 exec, exec, s[6:7]
	s_nop 0
	v_mfma_f32_16x16x4f32 a[0:3], v2, v12, a[0:3]
	s_movk_i32 s4, 0xff
	v_and_b32_sdwa v6, v7, s4 dst_sel:DWORD dst_unused:UNUSED_PAD src0_sel:WORD_1 src1_sel:DWORD
	s_movk_i32 s4, 0x7f
	v_cmp_lt_i16_e32 vcc, s4, v6
	s_mov_b64 s[4:5], 0
                                        ; implicit-def: $sgpr10
	s_and_saveexec_b64 s[6:7], vcc
	s_xor_b64 s[6:7], exec, s[6:7]
	s_cbranch_execz .LBB2_5425
; %bb.41265:
	s_getpc_b64 s[14:15]
.Lpost_getpc24216:
	s_add_u32 s14, s14, (.LBB2_19761-.Lpost_getpc24216)&4294967295
	s_addc_u32 s15, s15, (.LBB2_19761-.Lpost_getpc24216)>>32
	s_setpc_b64 s[14:15]
.LBB2_5425:
	s_or_saveexec_b64 s[6:7], s[6:7]
	v_mov_b32_e32 v2, s10
	s_xor_b64 exec, exec, s[6:7]
	s_cbranch_execz .LBB2_5426
; %bb.41267:
	s_getpc_b64 s[14:15]
.Lpost_getpc24217:
	s_add_u32 s14, s14, (.LBB2_19764-.Lpost_getpc24217)&4294967295
	s_addc_u32 s15, s15, (.LBB2_19764-.Lpost_getpc24217)>>32
	s_setpc_b64 s[14:15]
.LBB2_5426:
	s_or_b64 exec, exec, s[6:7]
	s_and_saveexec_b64 s[6:7], s[4:5]
	s_cbranch_execz .LBB2_5428
.LBB2_5427:
	v_bfe_u32 v2, v7, 16, 3
	v_ffbh_u32_e32 v13, v2
	v_min_u32_e32 v13, 32, v13
	v_lshrrev_b32_e32 v6, 19, v7
	v_subrev_u32_e32 v14, 28, v13
	v_and_b32_e32 v6, 15, v6
	v_lshlrev_b32_sdwa v14, v14, v7 dst_sel:DWORD dst_unused:UNUSED_PAD src0_sel:DWORD src1_sel:WORD_1
	v_bfe_u32 v12, v7, 19, 4
	v_sub_u32_e32 v13, 29, v13
	v_and_b32_e32 v14, 7, v14
	v_cmp_eq_u16_e32 vcc, 0, v6
	v_cndmask_b32_e32 v2, v2, v14, vcc
	v_cndmask_b32_e32 v6, v12, v13, vcc
	v_lshlrev_b32_e32 v12, 8, v7
	v_mov_b32_e32 v13, 0x3b800000
	v_lshlrev_b32_e32 v2, 20, v2
	v_and_b32_e32 v12, 0x80000000, v12
	v_lshl_add_u32 v6, v6, 23, v13
	v_or3_b32 v2, v12, v6, v2
.LBB2_5428:
	s_or_b64 exec, exec, s[6:7]
	s_movk_i32 s4, 0xff
	v_and_b32_sdwa v6, v3, s4 dst_sel:DWORD dst_unused:UNUSED_PAD src0_sel:WORD_1 src1_sel:DWORD
	s_movk_i32 s4, 0x7f
	v_cmp_lt_i16_e32 vcc, s4, v6
	s_mov_b64 s[4:5], 0
                                        ; implicit-def: $sgpr10
	s_and_saveexec_b64 s[6:7], vcc
	s_xor_b64 s[6:7], exec, s[6:7]
	s_cbranch_execz .LBB2_5429
; %bb.41269:
	s_getpc_b64 s[14:15]
.Lpost_getpc24218:
	s_add_u32 s14, s14, (.LBB2_19765-.Lpost_getpc24218)&4294967295
	s_addc_u32 s15, s15, (.LBB2_19765-.Lpost_getpc24218)>>32
	s_setpc_b64 s[14:15]
.LBB2_5429:
	s_or_saveexec_b64 s[6:7], s[6:7]
	v_mov_b32_e32 v12, s10
	s_xor_b64 exec, exec, s[6:7]
	s_cbranch_execz .LBB2_5430
; %bb.41271:
	s_getpc_b64 s[14:15]
.Lpost_getpc24219:
	s_add_u32 s14, s14, (.LBB2_19768-.Lpost_getpc24219)&4294967295
	s_addc_u32 s15, s15, (.LBB2_19768-.Lpost_getpc24219)>>32
	s_setpc_b64 s[14:15]
.LBB2_5430:
	s_or_b64 exec, exec, s[6:7]
	s_and_saveexec_b64 s[6:7], s[4:5]
	s_cbranch_execz .LBB2_5432
.LBB2_5431:
	v_bfe_u32 v6, v3, 16, 3
	v_ffbh_u32_e32 v14, v6
	v_min_u32_e32 v14, 32, v14
	v_lshrrev_b32_e32 v12, 19, v3
	v_subrev_u32_e32 v15, 28, v14
	v_and_b32_e32 v12, 15, v12
	v_lshlrev_b32_sdwa v15, v15, v3 dst_sel:DWORD dst_unused:UNUSED_PAD src0_sel:DWORD src1_sel:WORD_1
	v_bfe_u32 v13, v3, 19, 4
	v_sub_u32_e32 v14, 29, v14
	v_and_b32_e32 v15, 7, v15
	v_cmp_eq_u16_e32 vcc, 0, v12
	v_cndmask_b32_e32 v6, v6, v15, vcc
	v_cndmask_b32_e32 v12, v13, v14, vcc
	v_lshlrev_b32_e32 v13, 8, v3
	v_mov_b32_e32 v14, 0x3b800000
	v_lshlrev_b32_e32 v6, 20, v6
	v_and_b32_e32 v13, 0x80000000, v13
	v_lshl_add_u32 v12, v12, 23, v14
	v_or3_b32 v12, v13, v12, v6
.LBB2_5432:
	s_or_b64 exec, exec, s[6:7]
	s_nop 0
	v_mfma_f32_16x16x4f32 a[0:3], v2, v12, a[0:3]
	s_movk_i32 s4, 0x7f
	v_cmp_gt_i16_sdwa s[6:7], v7, s4 src0_sel:BYTE_3 src1_sel:DWORD
	s_mov_b64 s[4:5], 0
                                        ; implicit-def: $sgpr10
	s_and_saveexec_b64 s[8:9], s[6:7]
	s_xor_b64 s[6:7], exec, s[8:9]
	s_cbranch_execz .LBB2_5433
; %bb.41273:
	s_getpc_b64 s[14:15]
.Lpost_getpc24220:
	s_add_u32 s14, s14, (.LBB2_19769-.Lpost_getpc24220)&4294967295
	s_addc_u32 s15, s15, (.LBB2_19769-.Lpost_getpc24220)>>32
	s_setpc_b64 s[14:15]
.LBB2_5433:
	s_or_saveexec_b64 s[6:7], s[6:7]
	v_mov_b32_e32 v2, s10
	s_xor_b64 exec, exec, s[6:7]
	s_cbranch_execz .LBB2_5434
; %bb.41275:
	s_getpc_b64 s[14:15]
.Lpost_getpc24221:
	s_add_u32 s14, s14, (.LBB2_19772-.Lpost_getpc24221)&4294967295
	s_addc_u32 s15, s15, (.LBB2_19772-.Lpost_getpc24221)>>32
	s_setpc_b64 s[14:15]
.LBB2_5434:
	s_or_b64 exec, exec, s[6:7]
	s_and_saveexec_b64 s[6:7], s[4:5]
	s_cbranch_execz .LBB2_5436
.LBB2_5435:
	v_bfe_u32 v2, v7, 24, 3
	v_ffbh_u32_e32 v14, v2
	v_min_u32_e32 v14, 32, v14
	v_lshrrev_b32_e32 v12, 27, v7
	v_subrev_u32_e32 v15, 28, v14
	v_and_b32_e32 v6, 0x80000000, v7
	v_and_b32_e32 v12, 15, v12
	v_bfe_u32 v13, v7, 27, 4
	v_lshlrev_b32_sdwa v7, v15, v7 dst_sel:DWORD dst_unused:UNUSED_PAD src0_sel:DWORD src1_sel:BYTE_3
	v_sub_u32_e32 v14, 29, v14
	v_and_b32_e32 v7, 7, v7
	v_cmp_eq_u16_e32 vcc, 0, v12
	v_cndmask_b32_e32 v2, v2, v7, vcc
	v_cndmask_b32_e32 v7, v13, v14, vcc
	v_mov_b32_e32 v12, 0x3b800000
	v_lshlrev_b32_e32 v2, 20, v2
	v_lshl_add_u32 v7, v7, 23, v12
	v_or3_b32 v2, v6, v7, v2
.LBB2_5436:
	s_or_b64 exec, exec, s[6:7]
	s_movk_i32 s4, 0x7f
	v_cmp_gt_i16_sdwa s[6:7], v3, s4 src0_sel:BYTE_3 src1_sel:DWORD
	s_mov_b64 s[4:5], 0
                                        ; implicit-def: $sgpr10
	s_and_saveexec_b64 s[8:9], s[6:7]
	s_xor_b64 s[6:7], exec, s[8:9]
	s_cbranch_execz .LBB2_5437
; %bb.41277:
	s_getpc_b64 s[14:15]
.Lpost_getpc24222:
	s_add_u32 s14, s14, (.LBB2_19773-.Lpost_getpc24222)&4294967295
	s_addc_u32 s15, s15, (.LBB2_19773-.Lpost_getpc24222)>>32
	s_setpc_b64 s[14:15]
.LBB2_5437:
	s_or_saveexec_b64 s[6:7], s[6:7]
	v_mov_b32_e32 v6, s10
	s_xor_b64 exec, exec, s[6:7]
	s_cbranch_execz .LBB2_5438
; %bb.41279:
	s_getpc_b64 s[14:15]
.Lpost_getpc24223:
	s_add_u32 s14, s14, (.LBB2_19776-.Lpost_getpc24223)&4294967295
	s_addc_u32 s15, s15, (.LBB2_19776-.Lpost_getpc24223)>>32
	s_setpc_b64 s[14:15]
.LBB2_5438:
	s_or_b64 exec, exec, s[6:7]
	s_and_saveexec_b64 s[6:7], s[4:5]
	s_cbranch_execz .LBB2_5440
.LBB2_5439:
	v_bfe_u32 v6, v3, 24, 3
	v_ffbh_u32_e32 v14, v6
	v_min_u32_e32 v14, 32, v14
	v_lshrrev_b32_e32 v12, 27, v3
	v_subrev_u32_e32 v15, 28, v14
	v_and_b32_e32 v7, 0x80000000, v3
	v_and_b32_e32 v12, 15, v12
	v_bfe_u32 v13, v3, 27, 4
	v_lshlrev_b32_sdwa v3, v15, v3 dst_sel:DWORD dst_unused:UNUSED_PAD src0_sel:DWORD src1_sel:BYTE_3
	v_sub_u32_e32 v14, 29, v14
	v_and_b32_e32 v3, 7, v3
	v_cmp_eq_u16_e32 vcc, 0, v12
	v_cndmask_b32_e32 v3, v6, v3, vcc
	v_cndmask_b32_e32 v6, v13, v14, vcc
	v_mov_b32_e32 v12, 0x3b800000
	v_lshlrev_b32_e32 v3, 20, v3
	v_lshl_add_u32 v6, v6, 23, v12
	v_or3_b32 v6, v7, v6, v3
.LBB2_5440:
	s_or_b64 exec, exec, s[6:7]
	s_nop 0
	v_mfma_f32_16x16x4f32 a[0:3], v2, v6, a[0:3]
	s_movk_i32 s4, 0x7f
	v_cmp_gt_i16_sdwa s[6:7], v8, s4 src0_sel:BYTE_0 src1_sel:DWORD
	s_mov_b64 s[4:5], 0
                                        ; implicit-def: $sgpr10
	s_and_saveexec_b64 s[8:9], s[6:7]
	s_xor_b64 s[6:7], exec, s[8:9]
	s_cbranch_execz .LBB2_5441
; %bb.41281:
	s_getpc_b64 s[14:15]
.Lpost_getpc24224:
	s_add_u32 s14, s14, (.LBB2_19777-.Lpost_getpc24224)&4294967295
	s_addc_u32 s15, s15, (.LBB2_19777-.Lpost_getpc24224)>>32
	s_setpc_b64 s[14:15]
.LBB2_5441:
	s_or_saveexec_b64 s[6:7], s[6:7]
	v_mov_b32_e32 v2, s10
	s_xor_b64 exec, exec, s[6:7]
	s_cbranch_execz .LBB2_5442
; %bb.41283:
	s_getpc_b64 s[14:15]
.Lpost_getpc24225:
	s_add_u32 s14, s14, (.LBB2_19780-.Lpost_getpc24225)&4294967295
	s_addc_u32 s15, s15, (.LBB2_19780-.Lpost_getpc24225)>>32
	s_setpc_b64 s[14:15]
.LBB2_5442:
	s_or_b64 exec, exec, s[6:7]
	s_and_saveexec_b64 s[6:7], s[4:5]
	s_cbranch_execz .LBB2_5444
.LBB2_5443:
	v_and_b32_e32 v2, 7, v8
	v_ffbh_u32_e32 v6, v2
	v_min_u32_e32 v6, 32, v6
	v_lshrrev_b16_e32 v3, 3, v8
	v_subrev_u32_e32 v7, 28, v6
	v_and_b32_e32 v3, 15, v3
	v_lshlrev_b32_e32 v7, v7, v8
	v_sub_u32_e32 v6, 29, v6
	v_and_b32_e32 v7, 7, v7
	v_cmp_eq_u16_e32 vcc, 0, v3
	v_cndmask_b32_e32 v2, v2, v7, vcc
	v_cndmask_b32_e32 v3, v3, v6, vcc
	v_lshlrev_b32_e32 v6, 24, v8
	v_mov_b32_e32 v7, 0x3b800000
	v_lshlrev_b32_e32 v2, 20, v2
	v_and_b32_e32 v6, 0x80000000, v6
	v_lshl_add_u32 v3, v3, 23, v7
	v_or3_b32 v2, v6, v3, v2
.LBB2_5444:
	s_or_b64 exec, exec, s[6:7]
	s_movk_i32 s4, 0x7f
	v_cmp_gt_i16_sdwa s[6:7], v4, s4 src0_sel:BYTE_0 src1_sel:DWORD
	s_mov_b64 s[4:5], 0
                                        ; implicit-def: $sgpr10
	s_and_saveexec_b64 s[8:9], s[6:7]
	s_xor_b64 s[6:7], exec, s[8:9]
	s_cbranch_execz .LBB2_5445
; %bb.41285:
	s_getpc_b64 s[14:15]
.Lpost_getpc24226:
	s_add_u32 s14, s14, (.LBB2_19781-.Lpost_getpc24226)&4294967295
	s_addc_u32 s15, s15, (.LBB2_19781-.Lpost_getpc24226)>>32
	s_setpc_b64 s[14:15]
.LBB2_5445:
	s_or_saveexec_b64 s[6:7], s[6:7]
	v_mov_b32_e32 v3, s10
	s_xor_b64 exec, exec, s[6:7]
	s_cbranch_execz .LBB2_5446
; %bb.41287:
	s_getpc_b64 s[14:15]
.Lpost_getpc24227:
	s_add_u32 s14, s14, (.LBB2_19784-.Lpost_getpc24227)&4294967295
	s_addc_u32 s15, s15, (.LBB2_19784-.Lpost_getpc24227)>>32
	s_setpc_b64 s[14:15]
.LBB2_5446:
	s_or_b64 exec, exec, s[6:7]
	s_and_saveexec_b64 s[6:7], s[4:5]
	s_cbranch_execz .LBB2_5448
.LBB2_5447:
	v_and_b32_e32 v3, 7, v4
	v_ffbh_u32_e32 v7, v3
	v_min_u32_e32 v7, 32, v7
	v_lshrrev_b16_e32 v6, 3, v4
	v_subrev_u32_e32 v12, 28, v7
	v_and_b32_e32 v6, 15, v6
	v_lshlrev_b32_e32 v12, v12, v4
	v_sub_u32_e32 v7, 29, v7
	v_and_b32_e32 v12, 7, v12
	v_cmp_eq_u16_e32 vcc, 0, v6
	v_cndmask_b32_e32 v3, v3, v12, vcc
	v_cndmask_b32_e32 v6, v6, v7, vcc
	v_lshlrev_b32_e32 v7, 24, v4
	v_mov_b32_e32 v12, 0x3b800000
	v_lshlrev_b32_e32 v3, 20, v3
	v_and_b32_e32 v7, 0x80000000, v7
	v_lshl_add_u32 v6, v6, 23, v12
	v_or3_b32 v3, v7, v6, v3
.LBB2_5448:
	s_or_b64 exec, exec, s[6:7]
	s_nop 0
	v_mfma_f32_16x16x4f32 a[0:3], v2, v3, a[0:3]
	v_lshrrev_b32_e32 v3, 8, v8
	s_movk_i32 s4, 0x7f
	v_cmp_gt_i16_sdwa s[6:7], v3, s4 src0_sel:BYTE_0 src1_sel:DWORD
	s_mov_b64 s[4:5], 0
                                        ; implicit-def: $sgpr10
	s_and_saveexec_b64 s[8:9], s[6:7]
	s_xor_b64 s[6:7], exec, s[8:9]
	s_cbranch_execz .LBB2_5449
; %bb.41289:
	s_getpc_b64 s[14:15]
.Lpost_getpc24228:
	s_add_u32 s14, s14, (.LBB2_19785-.Lpost_getpc24228)&4294967295
	s_addc_u32 s15, s15, (.LBB2_19785-.Lpost_getpc24228)>>32
	s_setpc_b64 s[14:15]
.LBB2_5449:
	s_or_saveexec_b64 s[6:7], s[6:7]
	v_mov_b32_e32 v2, s10
	s_xor_b64 exec, exec, s[6:7]
	s_cbranch_execz .LBB2_5450
; %bb.41291:
	s_getpc_b64 s[14:15]
.Lpost_getpc24229:
	s_add_u32 s14, s14, (.LBB2_19788-.Lpost_getpc24229)&4294967295
	s_addc_u32 s15, s15, (.LBB2_19788-.Lpost_getpc24229)>>32
	s_setpc_b64 s[14:15]
.LBB2_5450:
	s_or_b64 exec, exec, s[6:7]
	s_and_saveexec_b64 s[6:7], s[4:5]
	s_cbranch_execz .LBB2_5452
.LBB2_5451:
	v_bfe_u32 v2, v8, 8, 3
	v_ffbh_u32_e32 v7, v2
	v_min_u32_e32 v7, 32, v7
	v_lshrrev_b16_e32 v6, 3, v3
	v_subrev_u32_e32 v12, 28, v7
	v_and_b32_e32 v6, 15, v6
	v_lshlrev_b32_e32 v3, v12, v3
	v_sub_u32_e32 v7, 29, v7
	v_and_b32_e32 v3, 7, v3
	v_cmp_eq_u16_e32 vcc, 0, v6
	v_cndmask_b32_e32 v2, v2, v3, vcc
	v_cndmask_b32_e32 v3, v6, v7, vcc
	v_lshlrev_b32_e32 v6, 16, v8
	v_mov_b32_e32 v7, 0x3b800000
	v_lshlrev_b32_e32 v2, 20, v2
	v_and_b32_e32 v6, 0x80000000, v6
	v_lshl_add_u32 v3, v3, 23, v7
	v_or3_b32 v2, v6, v3, v2
.LBB2_5452:
	s_or_b64 exec, exec, s[6:7]
	v_lshrrev_b32_e32 v3, 8, v4
	s_movk_i32 s4, 0x7f
	v_cmp_gt_i16_sdwa s[6:7], v3, s4 src0_sel:BYTE_0 src1_sel:DWORD
	s_mov_b64 s[4:5], 0
                                        ; implicit-def: $sgpr10
	s_and_saveexec_b64 s[8:9], s[6:7]
	s_xor_b64 s[6:7], exec, s[8:9]
	s_cbranch_execz .LBB2_5453
; %bb.41293:
	s_getpc_b64 s[14:15]
.Lpost_getpc24230:
	s_add_u32 s14, s14, (.LBB2_19789-.Lpost_getpc24230)&4294967295
	s_addc_u32 s15, s15, (.LBB2_19789-.Lpost_getpc24230)>>32
	s_setpc_b64 s[14:15]
.LBB2_5453:
	s_or_saveexec_b64 s[6:7], s[6:7]
	v_mov_b32_e32 v6, s10
	s_xor_b64 exec, exec, s[6:7]
	s_cbranch_execz .LBB2_5454
; %bb.41295:
	s_getpc_b64 s[14:15]
.Lpost_getpc24231:
	s_add_u32 s14, s14, (.LBB2_19792-.Lpost_getpc24231)&4294967295
	s_addc_u32 s15, s15, (.LBB2_19792-.Lpost_getpc24231)>>32
	s_setpc_b64 s[14:15]
.LBB2_5454:
	s_or_b64 exec, exec, s[6:7]
	s_and_saveexec_b64 s[6:7], s[4:5]
	s_cbranch_execz .LBB2_5456
.LBB2_5455:
	v_bfe_u32 v6, v4, 8, 3
	v_ffbh_u32_e32 v12, v6
	v_min_u32_e32 v12, 32, v12
	v_lshrrev_b16_e32 v7, 3, v3
	v_subrev_u32_e32 v13, 28, v12
	v_and_b32_e32 v7, 15, v7
	v_lshlrev_b32_e32 v3, v13, v3
	v_sub_u32_e32 v12, 29, v12
	v_and_b32_e32 v3, 7, v3
	v_cmp_eq_u16_e32 vcc, 0, v7
	v_cndmask_b32_e32 v3, v6, v3, vcc
	v_cndmask_b32_e32 v6, v7, v12, vcc
	v_lshlrev_b32_e32 v7, 16, v4
	v_mov_b32_e32 v12, 0x3b800000
	v_lshlrev_b32_e32 v3, 20, v3
	v_and_b32_e32 v7, 0x80000000, v7
	v_lshl_add_u32 v6, v6, 23, v12
	v_or3_b32 v6, v7, v6, v3
.LBB2_5456:
	s_or_b64 exec, exec, s[6:7]
	s_nop 0
	v_mfma_f32_16x16x4f32 a[0:3], v2, v6, a[0:3]
	s_movk_i32 s4, 0xff
	v_and_b32_sdwa v3, v8, s4 dst_sel:DWORD dst_unused:UNUSED_PAD src0_sel:WORD_1 src1_sel:DWORD
	s_movk_i32 s4, 0x7f
	v_cmp_lt_i16_e32 vcc, s4, v3
	s_mov_b64 s[4:5], 0
                                        ; implicit-def: $sgpr10
	s_and_saveexec_b64 s[6:7], vcc
	s_xor_b64 s[6:7], exec, s[6:7]
	s_cbranch_execz .LBB2_5457
; %bb.41297:
	s_getpc_b64 s[14:15]
.Lpost_getpc24232:
	s_add_u32 s14, s14, (.LBB2_19793-.Lpost_getpc24232)&4294967295
	s_addc_u32 s15, s15, (.LBB2_19793-.Lpost_getpc24232)>>32
	s_setpc_b64 s[14:15]
.LBB2_5457:
	s_or_saveexec_b64 s[6:7], s[6:7]
	v_mov_b32_e32 v2, s10
	s_xor_b64 exec, exec, s[6:7]
	s_cbranch_execz .LBB2_5458
; %bb.41299:
	s_getpc_b64 s[14:15]
.Lpost_getpc24233:
	s_add_u32 s14, s14, (.LBB2_19796-.Lpost_getpc24233)&4294967295
	s_addc_u32 s15, s15, (.LBB2_19796-.Lpost_getpc24233)>>32
	s_setpc_b64 s[14:15]
.LBB2_5458:
	s_or_b64 exec, exec, s[6:7]
	s_and_saveexec_b64 s[6:7], s[4:5]
	s_cbranch_execz .LBB2_5460
.LBB2_5459:
	v_bfe_u32 v2, v8, 16, 3
	v_ffbh_u32_e32 v7, v2
	v_min_u32_e32 v7, 32, v7
	v_lshrrev_b32_e32 v3, 19, v8
	v_subrev_u32_e32 v12, 28, v7
	v_and_b32_e32 v3, 15, v3
	v_lshlrev_b32_sdwa v12, v12, v8 dst_sel:DWORD dst_unused:UNUSED_PAD src0_sel:DWORD src1_sel:WORD_1
	v_bfe_u32 v6, v8, 19, 4
	v_sub_u32_e32 v7, 29, v7
	v_and_b32_e32 v12, 7, v12
	v_cmp_eq_u16_e32 vcc, 0, v3
	v_cndmask_b32_e32 v2, v2, v12, vcc
	v_cndmask_b32_e32 v3, v6, v7, vcc
	v_lshlrev_b32_e32 v6, 8, v8
	v_mov_b32_e32 v7, 0x3b800000
	v_lshlrev_b32_e32 v2, 20, v2
	v_and_b32_e32 v6, 0x80000000, v6
	v_lshl_add_u32 v3, v3, 23, v7
	v_or3_b32 v2, v6, v3, v2
.LBB2_5460:
	s_or_b64 exec, exec, s[6:7]
	s_movk_i32 s4, 0xff
	v_and_b32_sdwa v3, v4, s4 dst_sel:DWORD dst_unused:UNUSED_PAD src0_sel:WORD_1 src1_sel:DWORD
	s_movk_i32 s4, 0x7f
	v_cmp_lt_i16_e32 vcc, s4, v3
	s_mov_b64 s[4:5], 0
                                        ; implicit-def: $sgpr10
	s_and_saveexec_b64 s[6:7], vcc
	s_xor_b64 s[6:7], exec, s[6:7]
	s_cbranch_execz .LBB2_5461
; %bb.41301:
	s_getpc_b64 s[14:15]
.Lpost_getpc24234:
	s_add_u32 s14, s14, (.LBB2_19797-.Lpost_getpc24234)&4294967295
	s_addc_u32 s15, s15, (.LBB2_19797-.Lpost_getpc24234)>>32
	s_setpc_b64 s[14:15]
.LBB2_5461:
	s_or_saveexec_b64 s[6:7], s[6:7]
	v_mov_b32_e32 v6, s10
	s_xor_b64 exec, exec, s[6:7]
	s_cbranch_execz .LBB2_5462
; %bb.41303:
	s_getpc_b64 s[14:15]
.Lpost_getpc24235:
	s_add_u32 s14, s14, (.LBB2_19800-.Lpost_getpc24235)&4294967295
	s_addc_u32 s15, s15, (.LBB2_19800-.Lpost_getpc24235)>>32
	s_setpc_b64 s[14:15]
.LBB2_5462:
	s_or_b64 exec, exec, s[6:7]
	s_and_saveexec_b64 s[6:7], s[4:5]
	s_cbranch_execz .LBB2_5464
.LBB2_5463:
	v_bfe_u32 v3, v4, 16, 3
	v_ffbh_u32_e32 v12, v3
	v_min_u32_e32 v12, 32, v12
	v_lshrrev_b32_e32 v6, 19, v4
	v_subrev_u32_e32 v13, 28, v12
	v_and_b32_e32 v6, 15, v6
	v_lshlrev_b32_sdwa v13, v13, v4 dst_sel:DWORD dst_unused:UNUSED_PAD src0_sel:DWORD src1_sel:WORD_1
	v_bfe_u32 v7, v4, 19, 4
	v_sub_u32_e32 v12, 29, v12
	v_and_b32_e32 v13, 7, v13
	v_cmp_eq_u16_e32 vcc, 0, v6
	v_cndmask_b32_e32 v3, v3, v13, vcc
	v_cndmask_b32_e32 v6, v7, v12, vcc
	v_lshlrev_b32_e32 v7, 8, v4
	v_mov_b32_e32 v12, 0x3b800000
	v_lshlrev_b32_e32 v3, 20, v3
	v_and_b32_e32 v7, 0x80000000, v7
	v_lshl_add_u32 v6, v6, 23, v12
	v_or3_b32 v6, v7, v6, v3
.LBB2_5464:
	s_or_b64 exec, exec, s[6:7]
	s_nop 0
	v_mfma_f32_16x16x4f32 a[0:3], v2, v6, a[0:3]
	s_movk_i32 s4, 0x7f
	v_cmp_gt_i16_sdwa s[6:7], v8, s4 src0_sel:BYTE_3 src1_sel:DWORD
	s_mov_b64 s[4:5], 0
                                        ; implicit-def: $sgpr10
	s_and_saveexec_b64 s[8:9], s[6:7]
	s_xor_b64 s[6:7], exec, s[8:9]
	s_cbranch_execz .LBB2_5465
; %bb.41305:
	s_getpc_b64 s[14:15]
.Lpost_getpc24236:
	s_add_u32 s14, s14, (.LBB2_19801-.Lpost_getpc24236)&4294967295
	s_addc_u32 s15, s15, (.LBB2_19801-.Lpost_getpc24236)>>32
	s_setpc_b64 s[14:15]
.LBB2_5465:
	s_or_saveexec_b64 s[6:7], s[6:7]
	v_mov_b32_e32 v2, s10
	s_xor_b64 exec, exec, s[6:7]
	s_cbranch_execz .LBB2_5466
; %bb.41307:
	s_getpc_b64 s[14:15]
.Lpost_getpc24237:
	s_add_u32 s14, s14, (.LBB2_19804-.Lpost_getpc24237)&4294967295
	s_addc_u32 s15, s15, (.LBB2_19804-.Lpost_getpc24237)>>32
	s_setpc_b64 s[14:15]
.LBB2_5466:
	s_or_b64 exec, exec, s[6:7]
	s_and_saveexec_b64 s[6:7], s[4:5]
	s_cbranch_execz .LBB2_5468
.LBB2_5467:
	v_bfe_u32 v2, v8, 24, 3
	v_ffbh_u32_e32 v12, v2
	v_min_u32_e32 v12, 32, v12
	v_lshrrev_b32_e32 v6, 27, v8
	v_subrev_u32_e32 v13, 28, v12
	v_and_b32_e32 v3, 0x80000000, v8
	v_and_b32_e32 v6, 15, v6
	v_bfe_u32 v7, v8, 27, 4
	v_lshlrev_b32_sdwa v8, v13, v8 dst_sel:DWORD dst_unused:UNUSED_PAD src0_sel:DWORD src1_sel:BYTE_3
	v_sub_u32_e32 v12, 29, v12
	v_and_b32_e32 v8, 7, v8
	v_cmp_eq_u16_e32 vcc, 0, v6
	v_cndmask_b32_e32 v2, v2, v8, vcc
	v_cndmask_b32_e32 v6, v7, v12, vcc
	v_mov_b32_e32 v7, 0x3b800000
	v_lshlrev_b32_e32 v2, 20, v2
	v_lshl_add_u32 v6, v6, 23, v7
	v_or3_b32 v2, v3, v6, v2
.LBB2_5468:
	s_or_b64 exec, exec, s[6:7]
	s_movk_i32 s4, 0x7f
	v_cmp_gt_i16_sdwa s[6:7], v4, s4 src0_sel:BYTE_3 src1_sel:DWORD
	s_mov_b64 s[4:5], 0
                                        ; implicit-def: $sgpr10
	s_and_saveexec_b64 s[8:9], s[6:7]
	s_xor_b64 s[6:7], exec, s[8:9]
	s_cbranch_execz .LBB2_5469
; %bb.41309:
	s_getpc_b64 s[14:15]
.Lpost_getpc24238:
	s_add_u32 s14, s14, (.LBB2_19805-.Lpost_getpc24238)&4294967295
	s_addc_u32 s15, s15, (.LBB2_19805-.Lpost_getpc24238)>>32
	s_setpc_b64 s[14:15]
.LBB2_5469:
	s_or_saveexec_b64 s[6:7], s[6:7]
	v_mov_b32_e32 v3, s10
	s_xor_b64 exec, exec, s[6:7]
	s_cbranch_execz .LBB2_5470
; %bb.41311:
	s_getpc_b64 s[14:15]
.Lpost_getpc24239:
	s_add_u32 s14, s14, (.LBB2_19808-.Lpost_getpc24239)&4294967295
	s_addc_u32 s15, s15, (.LBB2_19808-.Lpost_getpc24239)>>32
	s_setpc_b64 s[14:15]
.LBB2_5470:
	s_or_b64 exec, exec, s[6:7]
	s_and_saveexec_b64 s[6:7], s[4:5]
	s_cbranch_execz .LBB2_5472
.LBB2_5471:
	v_bfe_u32 v3, v4, 24, 3
	v_ffbh_u32_e32 v12, v3
	v_min_u32_e32 v12, 32, v12
	v_lshrrev_b32_e32 v7, 27, v4
	v_subrev_u32_e32 v13, 28, v12
	v_and_b32_e32 v6, 0x80000000, v4
	v_and_b32_e32 v7, 15, v7
	v_bfe_u32 v8, v4, 27, 4
	v_lshlrev_b32_sdwa v4, v13, v4 dst_sel:DWORD dst_unused:UNUSED_PAD src0_sel:DWORD src1_sel:BYTE_3
	v_sub_u32_e32 v12, 29, v12
	v_and_b32_e32 v4, 7, v4
	v_cmp_eq_u16_e32 vcc, 0, v7
	v_cndmask_b32_e32 v3, v3, v4, vcc
	v_cndmask_b32_e32 v4, v8, v12, vcc
	v_mov_b32_e32 v7, 0x3b800000
	v_lshlrev_b32_e32 v3, 20, v3
	v_lshl_add_u32 v4, v4, 23, v7
	v_or3_b32 v3, v6, v4, v3
.LBB2_5472:
	s_or_b64 exec, exec, s[6:7]
	s_nop 0
	v_mfma_f32_16x16x4f32 a[0:3], v2, v3, a[0:3]
	s_movk_i32 s4, 0x7f
	v_cmp_gt_i16_sdwa s[6:7], v9, s4 src0_sel:BYTE_0 src1_sel:DWORD
	s_mov_b64 s[4:5], 0
                                        ; implicit-def: $sgpr10
	s_and_saveexec_b64 s[8:9], s[6:7]
	s_xor_b64 s[6:7], exec, s[8:9]
	s_cbranch_execz .LBB2_5473
; %bb.41313:
	s_getpc_b64 s[14:15]
.Lpost_getpc24240:
	s_add_u32 s14, s14, (.LBB2_19809-.Lpost_getpc24240)&4294967295
	s_addc_u32 s15, s15, (.LBB2_19809-.Lpost_getpc24240)>>32
	s_setpc_b64 s[14:15]
.LBB2_5473:
	s_or_saveexec_b64 s[6:7], s[6:7]
	v_mov_b32_e32 v2, s10
	s_xor_b64 exec, exec, s[6:7]
	s_cbranch_execz .LBB2_5474
; %bb.41315:
	s_getpc_b64 s[14:15]
.Lpost_getpc24241:
	s_add_u32 s14, s14, (.LBB2_19812-.Lpost_getpc24241)&4294967295
	s_addc_u32 s15, s15, (.LBB2_19812-.Lpost_getpc24241)>>32
	s_setpc_b64 s[14:15]
.LBB2_5474:
	s_or_b64 exec, exec, s[6:7]
	s_and_saveexec_b64 s[6:7], s[4:5]
	s_cbranch_execz .LBB2_5476
.LBB2_5475:
	v_mov_b32_e32 v2, 8
	v_and_b32_e32 v3, 7, v9
	v_lshrrev_b32_sdwa v2, v2, v9 dst_sel:BYTE_1 dst_unused:UNUSED_PAD src0_sel:DWORD src1_sel:DWORD
	v_ffbh_u32_e32 v4, v3
	v_or_b32_sdwa v2, v9, v2 dst_sel:DWORD dst_unused:UNUSED_PAD src0_sel:BYTE_0 src1_sel:DWORD
	v_min_u32_e32 v4, 32, v4
	v_lshrrev_b16_e32 v2, 3, v2
	v_subrev_u32_e32 v6, 28, v4
	v_and_b32_e32 v2, 15, v2
	v_lshlrev_b32_e32 v6, v6, v9
	v_sub_u32_e32 v4, 29, v4
	v_and_b32_e32 v6, 7, v6
	v_cmp_eq_u16_e32 vcc, 0, v2
	v_cndmask_b32_e32 v3, v3, v6, vcc
	v_cndmask_b32_e32 v2, v2, v4, vcc
	v_lshlrev_b32_e32 v4, 24, v9
	v_mov_b32_e32 v6, 0x3b800000
	v_lshlrev_b32_e32 v3, 20, v3
	v_and_b32_e32 v4, 0x80000000, v4
	v_lshl_add_u32 v2, v2, 23, v6
	v_or3_b32 v2, v4, v2, v3
.LBB2_5476:
	s_or_b64 exec, exec, s[6:7]
	s_movk_i32 s4, 0x7f
	v_cmp_gt_i16_sdwa s[6:7], v5, s4 src0_sel:BYTE_0 src1_sel:DWORD
	s_mov_b64 s[4:5], 0
                                        ; implicit-def: $sgpr10
	s_and_saveexec_b64 s[8:9], s[6:7]
	s_xor_b64 s[6:7], exec, s[8:9]
	s_cbranch_execz .LBB2_5477
; %bb.41317:
	s_getpc_b64 s[14:15]
.Lpost_getpc24242:
	s_add_u32 s14, s14, (.LBB2_19813-.Lpost_getpc24242)&4294967295
	s_addc_u32 s15, s15, (.LBB2_19813-.Lpost_getpc24242)>>32
	s_setpc_b64 s[14:15]
.LBB2_5477:
	s_or_saveexec_b64 s[6:7], s[6:7]
	v_mov_b32_e32 v3, s10
	s_xor_b64 exec, exec, s[6:7]
	s_cbranch_execz .LBB2_5478
; %bb.41319:
	s_getpc_b64 s[14:15]
.Lpost_getpc24243:
	s_add_u32 s14, s14, (.LBB2_19816-.Lpost_getpc24243)&4294967295
	s_addc_u32 s15, s15, (.LBB2_19816-.Lpost_getpc24243)>>32
	s_setpc_b64 s[14:15]
.LBB2_5478:
	s_or_b64 exec, exec, s[6:7]
	s_and_saveexec_b64 s[6:7], s[4:5]
	s_cbranch_execz .LBB2_5480
.LBB2_5479:
	v_mov_b32_e32 v3, 8
	v_and_b32_e32 v4, 7, v5
	v_lshrrev_b32_sdwa v3, v3, v5 dst_sel:BYTE_1 dst_unused:UNUSED_PAD src0_sel:DWORD src1_sel:DWORD
	v_ffbh_u32_e32 v6, v4
	v_or_b32_sdwa v3, v5, v3 dst_sel:DWORD dst_unused:UNUSED_PAD src0_sel:BYTE_0 src1_sel:DWORD
	v_min_u32_e32 v6, 32, v6
	v_lshrrev_b16_e32 v3, 3, v3
	v_subrev_u32_e32 v7, 28, v6
	v_and_b32_e32 v3, 15, v3
	v_lshlrev_b32_e32 v7, v7, v5
	v_sub_u32_e32 v6, 29, v6
	v_and_b32_e32 v7, 7, v7
	v_cmp_eq_u16_e32 vcc, 0, v3
	v_cndmask_b32_e32 v4, v4, v7, vcc
	v_cndmask_b32_e32 v3, v3, v6, vcc
	v_lshlrev_b32_e32 v6, 24, v5
	v_mov_b32_e32 v7, 0x3b800000
	v_lshlrev_b32_e32 v4, 20, v4
	v_and_b32_e32 v6, 0x80000000, v6
	v_lshl_add_u32 v3, v3, 23, v7
	v_or3_b32 v3, v6, v3, v4
.LBB2_5480:
	s_or_b64 exec, exec, s[6:7]
	s_nop 0
	v_mfma_f32_16x16x4f32 a[0:3], v2, v3, a[0:3]
	v_lshrrev_b32_e32 v3, 8, v9
	s_movk_i32 s4, 0x7f
	v_cmp_gt_i16_sdwa s[6:7], v3, s4 src0_sel:BYTE_0 src1_sel:DWORD
	s_mov_b64 s[4:5], 0
                                        ; implicit-def: $sgpr10
	s_and_saveexec_b64 s[8:9], s[6:7]
	s_xor_b64 s[6:7], exec, s[8:9]
	s_cbranch_execz .LBB2_5481
; %bb.41321:
	s_getpc_b64 s[14:15]
.Lpost_getpc24244:
	s_add_u32 s14, s14, (.LBB2_19817-.Lpost_getpc24244)&4294967295
	s_addc_u32 s15, s15, (.LBB2_19817-.Lpost_getpc24244)>>32
	s_setpc_b64 s[14:15]
.LBB2_5481:
	s_or_saveexec_b64 s[6:7], s[6:7]
	v_mov_b32_e32 v2, s10
	s_xor_b64 exec, exec, s[6:7]
	s_cbranch_execz .LBB2_5482
; %bb.41323:
	s_getpc_b64 s[14:15]
.Lpost_getpc24245:
	s_add_u32 s14, s14, (.LBB2_19820-.Lpost_getpc24245)&4294967295
	s_addc_u32 s15, s15, (.LBB2_19820-.Lpost_getpc24245)>>32
	s_setpc_b64 s[14:15]
.LBB2_5482:
	s_or_b64 exec, exec, s[6:7]
	s_and_saveexec_b64 s[6:7], s[4:5]
	s_cbranch_execz .LBB2_5484
.LBB2_5483:
	v_bfe_u32 v2, v9, 8, 3
	v_ffbh_u32_e32 v6, v2
	v_min_u32_e32 v6, 32, v6
	v_lshrrev_b16_e32 v4, 3, v3
	v_subrev_u32_e32 v7, 28, v6
	v_and_b32_e32 v4, 15, v4
	v_lshlrev_b32_e32 v3, v7, v3
	v_sub_u32_e32 v6, 29, v6
	v_and_b32_e32 v3, 7, v3
	v_cmp_eq_u16_e32 vcc, 0, v4
	v_cndmask_b32_e32 v2, v2, v3, vcc
	v_cndmask_b32_e32 v3, v4, v6, vcc
	v_lshlrev_b32_e32 v4, 16, v9
	v_mov_b32_e32 v6, 0x3b800000
	v_lshlrev_b32_e32 v2, 20, v2
	v_and_b32_e32 v4, 0x80000000, v4
	v_lshl_add_u32 v3, v3, 23, v6
	v_or3_b32 v2, v4, v3, v2
.LBB2_5484:
	s_or_b64 exec, exec, s[6:7]
	v_lshrrev_b32_e32 v3, 8, v5
	s_movk_i32 s4, 0x7f
	v_cmp_gt_i16_sdwa s[6:7], v3, s4 src0_sel:BYTE_0 src1_sel:DWORD
	s_mov_b64 s[4:5], 0
                                        ; implicit-def: $sgpr10
	s_and_saveexec_b64 s[8:9], s[6:7]
	s_xor_b64 s[6:7], exec, s[8:9]
	s_cbranch_execz .LBB2_5485
; %bb.41325:
	s_getpc_b64 s[14:15]
.Lpost_getpc24246:
	s_add_u32 s14, s14, (.LBB2_19821-.Lpost_getpc24246)&4294967295
	s_addc_u32 s15, s15, (.LBB2_19821-.Lpost_getpc24246)>>32
	s_setpc_b64 s[14:15]
.LBB2_5485:
	s_or_saveexec_b64 s[6:7], s[6:7]
	v_mov_b32_e32 v4, s10
	s_xor_b64 exec, exec, s[6:7]
	s_cbranch_execz .LBB2_5486
; %bb.41327:
	s_getpc_b64 s[14:15]
.Lpost_getpc24247:
	s_add_u32 s14, s14, (.LBB2_19824-.Lpost_getpc24247)&4294967295
	s_addc_u32 s15, s15, (.LBB2_19824-.Lpost_getpc24247)>>32
	s_setpc_b64 s[14:15]
.LBB2_5486:
	s_or_b64 exec, exec, s[6:7]
	s_and_saveexec_b64 s[6:7], s[4:5]
	s_cbranch_execz .LBB2_5488
.LBB2_5487:
	v_bfe_u32 v4, v5, 8, 3
	v_ffbh_u32_e32 v7, v4
	v_min_u32_e32 v7, 32, v7
	v_lshrrev_b16_e32 v6, 3, v3
	v_subrev_u32_e32 v8, 28, v7
	v_and_b32_e32 v6, 15, v6
	v_lshlrev_b32_e32 v3, v8, v3
	v_sub_u32_e32 v7, 29, v7
	v_and_b32_e32 v3, 7, v3
	v_cmp_eq_u16_e32 vcc, 0, v6
	v_cndmask_b32_e32 v3, v4, v3, vcc
	v_cndmask_b32_e32 v4, v6, v7, vcc
	v_lshlrev_b32_e32 v6, 16, v5
	v_mov_b32_e32 v7, 0x3b800000
	v_lshlrev_b32_e32 v3, 20, v3
	v_and_b32_e32 v6, 0x80000000, v6
	v_lshl_add_u32 v4, v4, 23, v7
	v_or3_b32 v4, v6, v4, v3
.LBB2_5488:
	s_or_b64 exec, exec, s[6:7]
	s_nop 0
	v_mfma_f32_16x16x4f32 a[0:3], v2, v4, a[0:3]
	s_movk_i32 s4, 0xff
	v_and_b32_sdwa v3, v9, s4 dst_sel:DWORD dst_unused:UNUSED_PAD src0_sel:WORD_1 src1_sel:DWORD
	s_movk_i32 s4, 0x7f
	v_cmp_lt_i16_e32 vcc, s4, v3
	s_mov_b64 s[4:5], 0
                                        ; implicit-def: $sgpr10
	s_and_saveexec_b64 s[6:7], vcc
	s_xor_b64 s[6:7], exec, s[6:7]
	s_cbranch_execz .LBB2_5489
; %bb.41329:
	s_getpc_b64 s[14:15]
.Lpost_getpc24248:
	s_add_u32 s14, s14, (.LBB2_19825-.Lpost_getpc24248)&4294967295
	s_addc_u32 s15, s15, (.LBB2_19825-.Lpost_getpc24248)>>32
	s_setpc_b64 s[14:15]
.LBB2_5489:
	s_or_saveexec_b64 s[6:7], s[6:7]
	v_mov_b32_e32 v2, s10
	s_xor_b64 exec, exec, s[6:7]
	s_cbranch_execz .LBB2_5490
; %bb.41331:
	s_getpc_b64 s[14:15]
.Lpost_getpc24249:
	s_add_u32 s14, s14, (.LBB2_19828-.Lpost_getpc24249)&4294967295
	s_addc_u32 s15, s15, (.LBB2_19828-.Lpost_getpc24249)>>32
	s_setpc_b64 s[14:15]
.LBB2_5490:
	s_or_b64 exec, exec, s[6:7]
	s_and_saveexec_b64 s[6:7], s[4:5]
	s_cbranch_execz .LBB2_5492
.LBB2_5491:
	v_bfe_u32 v2, v9, 16, 3
	v_ffbh_u32_e32 v6, v2
	v_min_u32_e32 v6, 32, v6
	v_lshrrev_b32_e32 v3, 19, v9
	v_subrev_u32_e32 v7, 28, v6
	v_and_b32_e32 v3, 15, v3
	v_lshlrev_b32_sdwa v7, v7, v9 dst_sel:DWORD dst_unused:UNUSED_PAD src0_sel:DWORD src1_sel:WORD_1
	v_bfe_u32 v4, v9, 19, 4
	v_sub_u32_e32 v6, 29, v6
	v_and_b32_e32 v7, 7, v7
	v_cmp_eq_u16_e32 vcc, 0, v3
	v_cndmask_b32_e32 v2, v2, v7, vcc
	v_cndmask_b32_e32 v3, v4, v6, vcc
	v_lshlrev_b32_e32 v4, 8, v9
	v_mov_b32_e32 v6, 0x3b800000
	v_lshlrev_b32_e32 v2, 20, v2
	v_and_b32_e32 v4, 0x80000000, v4
	v_lshl_add_u32 v3, v3, 23, v6
	v_or3_b32 v2, v4, v3, v2
.LBB2_5492:
	s_or_b64 exec, exec, s[6:7]
	s_movk_i32 s4, 0xff
	v_and_b32_sdwa v3, v5, s4 dst_sel:DWORD dst_unused:UNUSED_PAD src0_sel:WORD_1 src1_sel:DWORD
	s_movk_i32 s4, 0x7f
	v_cmp_lt_i16_e32 vcc, s4, v3
	s_mov_b64 s[4:5], 0
                                        ; implicit-def: $sgpr10
	s_and_saveexec_b64 s[6:7], vcc
	s_xor_b64 s[6:7], exec, s[6:7]
	s_cbranch_execz .LBB2_5493
; %bb.41333:
	s_getpc_b64 s[14:15]
.Lpost_getpc24250:
	s_add_u32 s14, s14, (.LBB2_19829-.Lpost_getpc24250)&4294967295
	s_addc_u32 s15, s15, (.LBB2_19829-.Lpost_getpc24250)>>32
	s_setpc_b64 s[14:15]
.LBB2_5493:
	s_or_saveexec_b64 s[6:7], s[6:7]
	v_mov_b32_e32 v4, s10
	s_xor_b64 exec, exec, s[6:7]
	s_cbranch_execz .LBB2_5494
; %bb.41335:
	s_getpc_b64 s[14:15]
.Lpost_getpc24251:
	s_add_u32 s14, s14, (.LBB2_19832-.Lpost_getpc24251)&4294967295
	s_addc_u32 s15, s15, (.LBB2_19832-.Lpost_getpc24251)>>32
	s_setpc_b64 s[14:15]
.LBB2_5494:
	s_or_b64 exec, exec, s[6:7]
	s_and_saveexec_b64 s[6:7], s[4:5]
	s_cbranch_execz .LBB2_5496
.LBB2_5495:
	v_bfe_u32 v3, v5, 16, 3
	v_ffbh_u32_e32 v7, v3
	v_min_u32_e32 v7, 32, v7
	v_lshrrev_b32_e32 v4, 19, v5
	v_subrev_u32_e32 v8, 28, v7
	v_and_b32_e32 v4, 15, v4
	v_lshlrev_b32_sdwa v8, v8, v5 dst_sel:DWORD dst_unused:UNUSED_PAD src0_sel:DWORD src1_sel:WORD_1
	v_bfe_u32 v6, v5, 19, 4
	v_sub_u32_e32 v7, 29, v7
	v_and_b32_e32 v8, 7, v8
	v_cmp_eq_u16_e32 vcc, 0, v4
	v_cndmask_b32_e32 v3, v3, v8, vcc
	v_cndmask_b32_e32 v4, v6, v7, vcc
	v_lshlrev_b32_e32 v6, 8, v5
	v_mov_b32_e32 v7, 0x3b800000
	v_lshlrev_b32_e32 v3, 20, v3
	v_and_b32_e32 v6, 0x80000000, v6
	v_lshl_add_u32 v4, v4, 23, v7
	v_or3_b32 v4, v6, v4, v3
.LBB2_5496:
	s_or_b64 exec, exec, s[6:7]
	s_nop 0
	v_mfma_f32_16x16x4f32 a[0:3], v2, v4, a[0:3]
	s_movk_i32 s4, 0x7f
	v_cmp_gt_i16_sdwa s[6:7], v9, s4 src0_sel:BYTE_3 src1_sel:DWORD
	s_mov_b64 s[4:5], 0
                                        ; implicit-def: $sgpr10
	s_and_saveexec_b64 s[8:9], s[6:7]
	s_xor_b64 s[6:7], exec, s[8:9]
	s_cbranch_execz .LBB2_5497
; %bb.41337:
	s_getpc_b64 s[14:15]
.Lpost_getpc24252:
	s_add_u32 s14, s14, (.LBB2_19833-.Lpost_getpc24252)&4294967295
	s_addc_u32 s15, s15, (.LBB2_19833-.Lpost_getpc24252)>>32
	s_setpc_b64 s[14:15]
.LBB2_5497:
	s_or_saveexec_b64 s[6:7], s[6:7]
	v_mov_b32_e32 v2, s10
	s_xor_b64 exec, exec, s[6:7]
	s_cbranch_execz .LBB2_5498
; %bb.41339:
	s_getpc_b64 s[14:15]
.Lpost_getpc24253:
	s_add_u32 s14, s14, (.LBB2_19836-.Lpost_getpc24253)&4294967295
	s_addc_u32 s15, s15, (.LBB2_19836-.Lpost_getpc24253)>>32
	s_setpc_b64 s[14:15]
.LBB2_5498:
	s_or_b64 exec, exec, s[6:7]
	s_and_saveexec_b64 s[6:7], s[4:5]
	s_cbranch_execz .LBB2_5500
.LBB2_5499:
	v_bfe_u32 v2, v9, 24, 3
	v_ffbh_u32_e32 v7, v2
	v_min_u32_e32 v7, 32, v7
	v_lshrrev_b32_e32 v4, 27, v9
	v_subrev_u32_e32 v8, 28, v7
	v_and_b32_e32 v4, 15, v4
	v_lshlrev_b32_sdwa v8, v8, v9 dst_sel:DWORD dst_unused:UNUSED_PAD src0_sel:DWORD src1_sel:BYTE_3
	v_bfe_u32 v6, v9, 27, 4
	v_sub_u32_e32 v7, 29, v7
	v_and_b32_e32 v8, 7, v8
	v_cmp_eq_u16_e32 vcc, 0, v4
	v_cndmask_b32_e32 v2, v2, v8, vcc
	v_cndmask_b32_e32 v4, v6, v7, vcc
	v_mov_b32_e32 v6, 0x3b800000
	v_and_b32_e32 v3, 0x80000000, v9
	v_lshlrev_b32_e32 v2, 20, v2
	v_lshl_add_u32 v4, v4, 23, v6
	v_or3_b32 v2, v3, v4, v2
.LBB2_5500:
	s_or_b64 exec, exec, s[6:7]
	s_movk_i32 s4, 0x7f
	v_cmp_gt_i16_sdwa s[6:7], v5, s4 src0_sel:BYTE_3 src1_sel:DWORD
	s_mov_b64 s[4:5], 0
                                        ; implicit-def: $sgpr10
	s_and_saveexec_b64 s[8:9], s[6:7]
	s_xor_b64 s[6:7], exec, s[8:9]
	s_cbranch_execz .LBB2_5501
; %bb.41341:
	s_getpc_b64 s[14:15]
.Lpost_getpc24254:
	s_add_u32 s14, s14, (.LBB2_19837-.Lpost_getpc24254)&4294967295
	s_addc_u32 s15, s15, (.LBB2_19837-.Lpost_getpc24254)>>32
	s_setpc_b64 s[14:15]
.LBB2_5501:
	s_or_saveexec_b64 s[6:7], s[6:7]
	v_mov_b32_e32 v3, s10
	s_xor_b64 exec, exec, s[6:7]
	s_cbranch_execz .LBB2_5502
; %bb.41343:
	s_getpc_b64 s[14:15]
.Lpost_getpc24255:
	s_add_u32 s14, s14, (.LBB2_19840-.Lpost_getpc24255)&4294967295
	s_addc_u32 s15, s15, (.LBB2_19840-.Lpost_getpc24255)>>32
	s_setpc_b64 s[14:15]
.LBB2_5502:
	s_or_b64 exec, exec, s[6:7]
	s_and_saveexec_b64 s[6:7], s[4:5]
	s_cbranch_execz .LBB2_5504
.LBB2_5503:
	v_bfe_u32 v3, v5, 24, 3
	v_ffbh_u32_e32 v8, v3
	v_min_u32_e32 v8, 32, v8
	v_lshrrev_b32_e32 v6, 27, v5
	v_subrev_u32_e32 v9, 28, v8
	v_and_b32_e32 v4, 0x80000000, v5
	v_and_b32_e32 v6, 15, v6
	v_bfe_u32 v7, v5, 27, 4
	v_lshlrev_b32_sdwa v5, v9, v5 dst_sel:DWORD dst_unused:UNUSED_PAD src0_sel:DWORD src1_sel:BYTE_3
	v_sub_u32_e32 v8, 29, v8
	v_and_b32_e32 v5, 7, v5
	v_cmp_eq_u16_e32 vcc, 0, v6
	v_cndmask_b32_e32 v3, v3, v5, vcc
	v_cndmask_b32_e32 v5, v7, v8, vcc
	v_mov_b32_e32 v6, 0x3b800000
	v_lshlrev_b32_e32 v3, 20, v3
	v_lshl_add_u32 v5, v5, 23, v6
	v_or3_b32 v3, v4, v5, v3
.LBB2_5504:
	s_or_b64 exec, exec, s[6:7]
	s_nop 0
	v_mfma_f32_16x16x4f32 a[0:3], v2, v3, a[0:3]
	s_movk_i32 s4, 0x7f
                                        ; implicit-def: $sgpr10
	s_nop 7
	s_nop 1
	flat_store_dwordx4 v[10:11], a[0:3] offset:672
	flat_load_dwordx4 v[12:15], v[0:1]
	s_nop 0
	flat_load_dwordx2 v[10:11], v[0:1] offset:16
	s_waitcnt vmcnt(0) lgkmcnt(0)
	flat_load_dwordx4 v[6:9], v[12:13] offset:80
	flat_load_dwordx4 v[2:5], v[14:15] offset:48
	s_waitcnt vmcnt(0) lgkmcnt(0)
	v_cmp_gt_i16_sdwa s[6:7], v6, s4 src0_sel:BYTE_0 src1_sel:DWORD
	s_mov_b64 s[4:5], 0
	s_and_saveexec_b64 s[8:9], s[6:7]
	s_xor_b64 s[6:7], exec, s[8:9]
	s_cbranch_execz .LBB2_5505
; %bb.41345:
	s_getpc_b64 s[14:15]
.Lpost_getpc24256:
	s_add_u32 s14, s14, (.LBB2_19841-.Lpost_getpc24256)&4294967295
	s_addc_u32 s15, s15, (.LBB2_19841-.Lpost_getpc24256)>>32
	s_setpc_b64 s[14:15]
.LBB2_5505:
	s_or_saveexec_b64 s[6:7], s[6:7]
	v_mov_b32_e32 v12, s10
	s_xor_b64 exec, exec, s[6:7]
	s_cbranch_execz .LBB2_5506
; %bb.41347:
	s_getpc_b64 s[14:15]
.Lpost_getpc24257:
	s_add_u32 s14, s14, (.LBB2_19844-.Lpost_getpc24257)&4294967295
	s_addc_u32 s15, s15, (.LBB2_19844-.Lpost_getpc24257)>>32
	s_setpc_b64 s[14:15]
.LBB2_5506:
	s_or_b64 exec, exec, s[6:7]
	s_and_saveexec_b64 s[6:7], s[4:5]
	s_cbranch_execz .LBB2_5508
.LBB2_5507:
	v_and_b32_e32 v12, 7, v6
	v_ffbh_u32_e32 v14, v12
	v_min_u32_e32 v14, 32, v14
	v_lshrrev_b16_e32 v13, 3, v6
	v_subrev_u32_e32 v15, 28, v14
	v_and_b32_e32 v13, 15, v13
	v_lshlrev_b32_e32 v15, v15, v6
	v_sub_u32_e32 v14, 29, v14
	v_and_b32_e32 v15, 7, v15
	v_cmp_eq_u16_e32 vcc, 0, v13
	v_cndmask_b32_e32 v12, v12, v15, vcc
	v_cndmask_b32_e32 v13, v13, v14, vcc
	v_lshlrev_b32_e32 v14, 24, v6
	v_mov_b32_e32 v15, 0x3b800000
	v_lshlrev_b32_e32 v12, 20, v12
	v_and_b32_e32 v14, 0x80000000, v14
	v_lshl_add_u32 v13, v13, 23, v15
	v_or3_b32 v12, v14, v13, v12
.LBB2_5508:
	s_or_b64 exec, exec, s[6:7]
	s_movk_i32 s4, 0x7f
	v_cmp_gt_i16_sdwa s[6:7], v2, s4 src0_sel:BYTE_0 src1_sel:DWORD
	s_mov_b64 s[4:5], 0
                                        ; implicit-def: $sgpr10
	s_and_saveexec_b64 s[8:9], s[6:7]
	s_xor_b64 s[6:7], exec, s[8:9]
	s_cbranch_execz .LBB2_5509
; %bb.41349:
	s_getpc_b64 s[14:15]
.Lpost_getpc24258:
	s_add_u32 s14, s14, (.LBB2_19845-.Lpost_getpc24258)&4294967295
	s_addc_u32 s15, s15, (.LBB2_19845-.Lpost_getpc24258)>>32
	s_setpc_b64 s[14:15]
.LBB2_5509:
	s_or_saveexec_b64 s[6:7], s[6:7]
	v_mov_b32_e32 v13, s10
	s_xor_b64 exec, exec, s[6:7]
	s_cbranch_execz .LBB2_5510
; %bb.41351:
	s_getpc_b64 s[14:15]
.Lpost_getpc24259:
	s_add_u32 s14, s14, (.LBB2_19848-.Lpost_getpc24259)&4294967295
	s_addc_u32 s15, s15, (.LBB2_19848-.Lpost_getpc24259)>>32
	s_setpc_b64 s[14:15]
.LBB2_5510:
	s_or_b64 exec, exec, s[6:7]
	s_and_saveexec_b64 s[6:7], s[4:5]
	s_cbranch_execz .LBB2_5512
.LBB2_5511:
	v_and_b32_e32 v13, 7, v2
	v_ffbh_u32_e32 v15, v13
	v_min_u32_e32 v15, 32, v15
	v_lshrrev_b16_e32 v14, 3, v2
	v_subrev_u32_e32 v16, 28, v15
	v_and_b32_e32 v14, 15, v14
	v_lshlrev_b32_e32 v16, v16, v2
	v_sub_u32_e32 v15, 29, v15
	v_and_b32_e32 v16, 7, v16
	v_cmp_eq_u16_e32 vcc, 0, v14
	v_cndmask_b32_e32 v13, v13, v16, vcc
	v_cndmask_b32_e32 v14, v14, v15, vcc
	v_lshlrev_b32_e32 v15, 24, v2
	v_mov_b32_e32 v16, 0x3b800000
	v_lshlrev_b32_e32 v13, 20, v13
	v_and_b32_e32 v15, 0x80000000, v15
	v_lshl_add_u32 v14, v14, 23, v16
	v_or3_b32 v13, v15, v14, v13
.LBB2_5512:
	s_or_b64 exec, exec, s[6:7]
	flat_load_dwordx4 a[0:3], v[10:11] offset:688
	s_movk_i32 s4, 0x7f
                                        ; implicit-def: $sgpr10
	s_waitcnt vmcnt(0) lgkmcnt(0)
	v_mfma_f32_16x16x4f32 a[0:3], v12, v13, a[0:3]
	v_lshrrev_b32_e32 v13, 8, v6
	v_cmp_gt_i16_sdwa s[6:7], v13, s4 src0_sel:BYTE_0 src1_sel:DWORD
	s_mov_b64 s[4:5], 0
	s_and_saveexec_b64 s[8:9], s[6:7]
	s_xor_b64 s[6:7], exec, s[8:9]
	s_cbranch_execz .LBB2_5513
; %bb.41353:
	s_getpc_b64 s[14:15]
.Lpost_getpc24260:
	s_add_u32 s14, s14, (.LBB2_19849-.Lpost_getpc24260)&4294967295
	s_addc_u32 s15, s15, (.LBB2_19849-.Lpost_getpc24260)>>32
	s_setpc_b64 s[14:15]
.LBB2_5513:
	s_or_saveexec_b64 s[6:7], s[6:7]
	v_mov_b32_e32 v12, s10
	s_xor_b64 exec, exec, s[6:7]
	s_cbranch_execz .LBB2_5514
; %bb.41355:
	s_getpc_b64 s[14:15]
.Lpost_getpc24261:
	s_add_u32 s14, s14, (.LBB2_19852-.Lpost_getpc24261)&4294967295
	s_addc_u32 s15, s15, (.LBB2_19852-.Lpost_getpc24261)>>32
	s_setpc_b64 s[14:15]
.LBB2_5514:
	s_or_b64 exec, exec, s[6:7]
	s_and_saveexec_b64 s[6:7], s[4:5]
	s_cbranch_execz .LBB2_5516
.LBB2_5515:
	v_bfe_u32 v12, v6, 8, 3
	v_ffbh_u32_e32 v15, v12
	v_min_u32_e32 v15, 32, v15
	v_lshrrev_b16_e32 v14, 3, v13
	v_subrev_u32_e32 v16, 28, v15
	v_and_b32_e32 v14, 15, v14
	v_lshlrev_b32_e32 v13, v16, v13
	v_sub_u32_e32 v15, 29, v15
	v_and_b32_e32 v13, 7, v13
	v_cmp_eq_u16_e32 vcc, 0, v14
	v_cndmask_b32_e32 v12, v12, v13, vcc
	v_cndmask_b32_e32 v13, v14, v15, vcc
	v_lshlrev_b32_e32 v14, 16, v6
	v_mov_b32_e32 v15, 0x3b800000
	v_lshlrev_b32_e32 v12, 20, v12
	v_and_b32_e32 v14, 0x80000000, v14
	v_lshl_add_u32 v13, v13, 23, v15
	v_or3_b32 v12, v14, v13, v12
.LBB2_5516:
	s_or_b64 exec, exec, s[6:7]
	v_lshrrev_b32_e32 v13, 8, v2
	s_movk_i32 s4, 0x7f
	v_cmp_gt_i16_sdwa s[6:7], v13, s4 src0_sel:BYTE_0 src1_sel:DWORD
	s_mov_b64 s[4:5], 0
                                        ; implicit-def: $sgpr10
	s_and_saveexec_b64 s[8:9], s[6:7]
	s_xor_b64 s[6:7], exec, s[8:9]
	s_cbranch_execz .LBB2_5517
; %bb.41357:
	s_getpc_b64 s[14:15]
.Lpost_getpc24262:
	s_add_u32 s14, s14, (.LBB2_19853-.Lpost_getpc24262)&4294967295
	s_addc_u32 s15, s15, (.LBB2_19853-.Lpost_getpc24262)>>32
	s_setpc_b64 s[14:15]
.LBB2_5517:
	s_or_saveexec_b64 s[6:7], s[6:7]
	v_mov_b32_e32 v14, s10
	s_xor_b64 exec, exec, s[6:7]
	s_cbranch_execz .LBB2_5518
; %bb.41359:
	s_getpc_b64 s[14:15]
.Lpost_getpc24263:
	s_add_u32 s14, s14, (.LBB2_19856-.Lpost_getpc24263)&4294967295
	s_addc_u32 s15, s15, (.LBB2_19856-.Lpost_getpc24263)>>32
	s_setpc_b64 s[14:15]
.LBB2_5518:
	s_or_b64 exec, exec, s[6:7]
	s_and_saveexec_b64 s[6:7], s[4:5]
	s_cbranch_execz .LBB2_5520
.LBB2_5519:
	v_bfe_u32 v14, v2, 8, 3
	v_ffbh_u32_e32 v16, v14
	v_min_u32_e32 v16, 32, v16
	v_lshrrev_b16_e32 v15, 3, v13
	v_subrev_u32_e32 v17, 28, v16
	v_and_b32_e32 v15, 15, v15
	v_lshlrev_b32_e32 v13, v17, v13
	v_sub_u32_e32 v16, 29, v16
	v_and_b32_e32 v13, 7, v13
	v_cmp_eq_u16_e32 vcc, 0, v15
	v_cndmask_b32_e32 v13, v14, v13, vcc
	v_cndmask_b32_e32 v14, v15, v16, vcc
	v_lshlrev_b32_e32 v15, 16, v2
	v_mov_b32_e32 v16, 0x3b800000
	v_lshlrev_b32_e32 v13, 20, v13
	v_and_b32_e32 v15, 0x80000000, v15
	v_lshl_add_u32 v14, v14, 23, v16
	v_or3_b32 v14, v15, v14, v13
.LBB2_5520:
	s_or_b64 exec, exec, s[6:7]
	s_nop 0
	v_mfma_f32_16x16x4f32 a[0:3], v12, v14, a[0:3]
	s_movk_i32 s4, 0xff
	v_and_b32_sdwa v13, v6, s4 dst_sel:DWORD dst_unused:UNUSED_PAD src0_sel:WORD_1 src1_sel:DWORD
	s_movk_i32 s4, 0x7f
	v_cmp_lt_i16_e32 vcc, s4, v13
	s_mov_b64 s[4:5], 0
                                        ; implicit-def: $sgpr10
	s_and_saveexec_b64 s[6:7], vcc
	s_xor_b64 s[6:7], exec, s[6:7]
	s_cbranch_execz .LBB2_5521
; %bb.41361:
	s_getpc_b64 s[14:15]
.Lpost_getpc24264:
	s_add_u32 s14, s14, (.LBB2_19857-.Lpost_getpc24264)&4294967295
	s_addc_u32 s15, s15, (.LBB2_19857-.Lpost_getpc24264)>>32
	s_setpc_b64 s[14:15]
.LBB2_5521:
	s_or_saveexec_b64 s[6:7], s[6:7]
	v_mov_b32_e32 v12, s10
	s_xor_b64 exec, exec, s[6:7]
	s_cbranch_execz .LBB2_5522
; %bb.41363:
	s_getpc_b64 s[14:15]
.Lpost_getpc24265:
	s_add_u32 s14, s14, (.LBB2_19860-.Lpost_getpc24265)&4294967295
	s_addc_u32 s15, s15, (.LBB2_19860-.Lpost_getpc24265)>>32
	s_setpc_b64 s[14:15]
.LBB2_5522:
	s_or_b64 exec, exec, s[6:7]
	s_and_saveexec_b64 s[6:7], s[4:5]
	s_cbranch_execz .LBB2_5524
.LBB2_5523:
	v_bfe_u32 v12, v6, 16, 3
	v_ffbh_u32_e32 v15, v12
	v_min_u32_e32 v15, 32, v15
	v_lshrrev_b32_e32 v13, 19, v6
	v_subrev_u32_e32 v16, 28, v15
	v_and_b32_e32 v13, 15, v13
	v_lshlrev_b32_sdwa v16, v16, v6 dst_sel:DWORD dst_unused:UNUSED_PAD src0_sel:DWORD src1_sel:WORD_1
	v_bfe_u32 v14, v6, 19, 4
	v_sub_u32_e32 v15, 29, v15
	v_and_b32_e32 v16, 7, v16
	v_cmp_eq_u16_e32 vcc, 0, v13
	v_cndmask_b32_e32 v12, v12, v16, vcc
	v_cndmask_b32_e32 v13, v14, v15, vcc
	v_lshlrev_b32_e32 v14, 8, v6
	v_mov_b32_e32 v15, 0x3b800000
	v_lshlrev_b32_e32 v12, 20, v12
	v_and_b32_e32 v14, 0x80000000, v14
	v_lshl_add_u32 v13, v13, 23, v15
	v_or3_b32 v12, v14, v13, v12
.LBB2_5524:
	s_or_b64 exec, exec, s[6:7]
	s_movk_i32 s4, 0xff
	v_and_b32_sdwa v13, v2, s4 dst_sel:DWORD dst_unused:UNUSED_PAD src0_sel:WORD_1 src1_sel:DWORD
	s_movk_i32 s4, 0x7f
	v_cmp_lt_i16_e32 vcc, s4, v13
	s_mov_b64 s[4:5], 0
                                        ; implicit-def: $sgpr10
	s_and_saveexec_b64 s[6:7], vcc
	s_xor_b64 s[6:7], exec, s[6:7]
	s_cbranch_execz .LBB2_5525
; %bb.41365:
	s_getpc_b64 s[14:15]
.Lpost_getpc24266:
	s_add_u32 s14, s14, (.LBB2_19861-.Lpost_getpc24266)&4294967295
	s_addc_u32 s15, s15, (.LBB2_19861-.Lpost_getpc24266)>>32
	s_setpc_b64 s[14:15]
.LBB2_5525:
	s_or_saveexec_b64 s[6:7], s[6:7]
	v_mov_b32_e32 v14, s10
	s_xor_b64 exec, exec, s[6:7]
	s_cbranch_execz .LBB2_5526
; %bb.41367:
	s_getpc_b64 s[14:15]
.Lpost_getpc24267:
	s_add_u32 s14, s14, (.LBB2_19864-.Lpost_getpc24267)&4294967295
	s_addc_u32 s15, s15, (.LBB2_19864-.Lpost_getpc24267)>>32
	s_setpc_b64 s[14:15]
.LBB2_5526:
	s_or_b64 exec, exec, s[6:7]
	s_and_saveexec_b64 s[6:7], s[4:5]
	s_cbranch_execz .LBB2_5528
.LBB2_5527:
	v_bfe_u32 v13, v2, 16, 3
	v_ffbh_u32_e32 v16, v13
	v_min_u32_e32 v16, 32, v16
	v_lshrrev_b32_e32 v14, 19, v2
	v_subrev_u32_e32 v17, 28, v16
	v_and_b32_e32 v14, 15, v14
	v_lshlrev_b32_sdwa v17, v17, v2 dst_sel:DWORD dst_unused:UNUSED_PAD src0_sel:DWORD src1_sel:WORD_1
	v_bfe_u32 v15, v2, 19, 4
	v_sub_u32_e32 v16, 29, v16
	v_and_b32_e32 v17, 7, v17
	v_cmp_eq_u16_e32 vcc, 0, v14
	v_cndmask_b32_e32 v13, v13, v17, vcc
	v_cndmask_b32_e32 v14, v15, v16, vcc
	v_lshlrev_b32_e32 v15, 8, v2
	v_mov_b32_e32 v16, 0x3b800000
	v_lshlrev_b32_e32 v13, 20, v13
	v_and_b32_e32 v15, 0x80000000, v15
	v_lshl_add_u32 v14, v14, 23, v16
	v_or3_b32 v14, v15, v14, v13
.LBB2_5528:
	s_or_b64 exec, exec, s[6:7]
	s_nop 0
	v_mfma_f32_16x16x4f32 a[0:3], v12, v14, a[0:3]
	s_movk_i32 s4, 0x7f
	v_cmp_gt_i16_sdwa s[6:7], v6, s4 src0_sel:BYTE_3 src1_sel:DWORD
	s_mov_b64 s[4:5], 0
                                        ; implicit-def: $sgpr10
	s_and_saveexec_b64 s[8:9], s[6:7]
	s_xor_b64 s[6:7], exec, s[8:9]
	s_cbranch_execz .LBB2_5529
; %bb.41369:
	s_getpc_b64 s[14:15]
.Lpost_getpc24268:
	s_add_u32 s14, s14, (.LBB2_19865-.Lpost_getpc24268)&4294967295
	s_addc_u32 s15, s15, (.LBB2_19865-.Lpost_getpc24268)>>32
	s_setpc_b64 s[14:15]
.LBB2_5529:
	s_or_saveexec_b64 s[6:7], s[6:7]
	v_mov_b32_e32 v12, s10
	s_xor_b64 exec, exec, s[6:7]
	s_cbranch_execz .LBB2_5530
; %bb.41371:
	s_getpc_b64 s[14:15]
.Lpost_getpc24269:
	s_add_u32 s14, s14, (.LBB2_19868-.Lpost_getpc24269)&4294967295
	s_addc_u32 s15, s15, (.LBB2_19868-.Lpost_getpc24269)>>32
	s_setpc_b64 s[14:15]
.LBB2_5530:
	s_or_b64 exec, exec, s[6:7]
	s_and_saveexec_b64 s[6:7], s[4:5]
	s_cbranch_execz .LBB2_5532
.LBB2_5531:
	v_bfe_u32 v12, v6, 24, 3
	v_ffbh_u32_e32 v16, v12
	v_min_u32_e32 v16, 32, v16
	v_lshrrev_b32_e32 v14, 27, v6
	v_subrev_u32_e32 v17, 28, v16
	v_and_b32_e32 v13, 0x80000000, v6
	v_and_b32_e32 v14, 15, v14
	v_bfe_u32 v15, v6, 27, 4
	v_lshlrev_b32_sdwa v6, v17, v6 dst_sel:DWORD dst_unused:UNUSED_PAD src0_sel:DWORD src1_sel:BYTE_3
	v_sub_u32_e32 v16, 29, v16
	v_and_b32_e32 v6, 7, v6
	v_cmp_eq_u16_e32 vcc, 0, v14
	v_cndmask_b32_e32 v6, v12, v6, vcc
	v_cndmask_b32_e32 v12, v15, v16, vcc
	v_mov_b32_e32 v14, 0x3b800000
	v_lshlrev_b32_e32 v6, 20, v6
	v_lshl_add_u32 v12, v12, 23, v14
	v_or3_b32 v12, v13, v12, v6
.LBB2_5532:
	s_or_b64 exec, exec, s[6:7]
	s_movk_i32 s4, 0x7f
	v_cmp_gt_i16_sdwa s[6:7], v2, s4 src0_sel:BYTE_3 src1_sel:DWORD
	s_mov_b64 s[4:5], 0
                                        ; implicit-def: $sgpr10
	s_and_saveexec_b64 s[8:9], s[6:7]
	s_xor_b64 s[6:7], exec, s[8:9]
	s_cbranch_execz .LBB2_5533
; %bb.41373:
	s_getpc_b64 s[14:15]
.Lpost_getpc24270:
	s_add_u32 s14, s14, (.LBB2_19869-.Lpost_getpc24270)&4294967295
	s_addc_u32 s15, s15, (.LBB2_19869-.Lpost_getpc24270)>>32
	s_setpc_b64 s[14:15]
.LBB2_5533:
	s_or_saveexec_b64 s[6:7], s[6:7]
	v_mov_b32_e32 v6, s10
	s_xor_b64 exec, exec, s[6:7]
	s_cbranch_execz .LBB2_5534
; %bb.41375:
	s_getpc_b64 s[14:15]
.Lpost_getpc24271:
	s_add_u32 s14, s14, (.LBB2_19872-.Lpost_getpc24271)&4294967295
	s_addc_u32 s15, s15, (.LBB2_19872-.Lpost_getpc24271)>>32
	s_setpc_b64 s[14:15]
.LBB2_5534:
	s_or_b64 exec, exec, s[6:7]
	s_and_saveexec_b64 s[6:7], s[4:5]
	s_cbranch_execz .LBB2_5536
.LBB2_5535:
	v_bfe_u32 v6, v2, 24, 3
	v_ffbh_u32_e32 v16, v6
	v_min_u32_e32 v16, 32, v16
	v_lshrrev_b32_e32 v14, 27, v2
	v_subrev_u32_e32 v17, 28, v16
	v_and_b32_e32 v13, 0x80000000, v2
	v_and_b32_e32 v14, 15, v14
	v_bfe_u32 v15, v2, 27, 4
	v_lshlrev_b32_sdwa v2, v17, v2 dst_sel:DWORD dst_unused:UNUSED_PAD src0_sel:DWORD src1_sel:BYTE_3
	v_sub_u32_e32 v16, 29, v16
	v_and_b32_e32 v2, 7, v2
	v_cmp_eq_u16_e32 vcc, 0, v14
	v_cndmask_b32_e32 v2, v6, v2, vcc
	v_cndmask_b32_e32 v6, v15, v16, vcc
	v_mov_b32_e32 v14, 0x3b800000
	v_lshlrev_b32_e32 v2, 20, v2
	v_lshl_add_u32 v6, v6, 23, v14
	v_or3_b32 v6, v13, v6, v2
.LBB2_5536:
	s_or_b64 exec, exec, s[6:7]
	s_nop 0
	v_mfma_f32_16x16x4f32 a[0:3], v12, v6, a[0:3]
	s_movk_i32 s4, 0x7f
	v_cmp_gt_i16_sdwa s[6:7], v7, s4 src0_sel:BYTE_0 src1_sel:DWORD
	s_mov_b64 s[4:5], 0
                                        ; implicit-def: $sgpr10
	s_and_saveexec_b64 s[8:9], s[6:7]
	s_xor_b64 s[6:7], exec, s[8:9]
	s_cbranch_execz .LBB2_5537
; %bb.41377:
	s_getpc_b64 s[14:15]
.Lpost_getpc24272:
	s_add_u32 s14, s14, (.LBB2_19873-.Lpost_getpc24272)&4294967295
	s_addc_u32 s15, s15, (.LBB2_19873-.Lpost_getpc24272)>>32
	s_setpc_b64 s[14:15]
.LBB2_5537:
	s_or_saveexec_b64 s[6:7], s[6:7]
	v_mov_b32_e32 v2, s10
	s_xor_b64 exec, exec, s[6:7]
	s_cbranch_execz .LBB2_5538
; %bb.41379:
	s_getpc_b64 s[14:15]
.Lpost_getpc24273:
	s_add_u32 s14, s14, (.LBB2_19876-.Lpost_getpc24273)&4294967295
	s_addc_u32 s15, s15, (.LBB2_19876-.Lpost_getpc24273)>>32
	s_setpc_b64 s[14:15]
.LBB2_5538:
	s_or_b64 exec, exec, s[6:7]
	s_and_saveexec_b64 s[6:7], s[4:5]
	s_cbranch_execz .LBB2_5540
.LBB2_5539:
	v_and_b32_e32 v2, 7, v7
	v_ffbh_u32_e32 v12, v2
	v_min_u32_e32 v12, 32, v12
	v_lshrrev_b16_e32 v6, 3, v7
	v_subrev_u32_e32 v13, 28, v12
	v_and_b32_e32 v6, 15, v6
	v_lshlrev_b32_e32 v13, v13, v7
	v_sub_u32_e32 v12, 29, v12
	v_and_b32_e32 v13, 7, v13
	v_cmp_eq_u16_e32 vcc, 0, v6
	v_cndmask_b32_e32 v2, v2, v13, vcc
	v_cndmask_b32_e32 v6, v6, v12, vcc
	v_lshlrev_b32_e32 v12, 24, v7
	v_mov_b32_e32 v13, 0x3b800000
	v_lshlrev_b32_e32 v2, 20, v2
	v_and_b32_e32 v12, 0x80000000, v12
	v_lshl_add_u32 v6, v6, 23, v13
	v_or3_b32 v2, v12, v6, v2
.LBB2_5540:
	s_or_b64 exec, exec, s[6:7]
	s_movk_i32 s4, 0x7f
	v_cmp_gt_i16_sdwa s[6:7], v3, s4 src0_sel:BYTE_0 src1_sel:DWORD
	s_mov_b64 s[4:5], 0
                                        ; implicit-def: $sgpr10
	s_and_saveexec_b64 s[8:9], s[6:7]
	s_xor_b64 s[6:7], exec, s[8:9]
	s_cbranch_execz .LBB2_5541
; %bb.41381:
	s_getpc_b64 s[14:15]
.Lpost_getpc24274:
	s_add_u32 s14, s14, (.LBB2_19877-.Lpost_getpc24274)&4294967295
	s_addc_u32 s15, s15, (.LBB2_19877-.Lpost_getpc24274)>>32
	s_setpc_b64 s[14:15]
.LBB2_5541:
	s_or_saveexec_b64 s[6:7], s[6:7]
	v_mov_b32_e32 v6, s10
	s_xor_b64 exec, exec, s[6:7]
	s_cbranch_execz .LBB2_5542
; %bb.41383:
	s_getpc_b64 s[14:15]
.Lpost_getpc24275:
	s_add_u32 s14, s14, (.LBB2_19880-.Lpost_getpc24275)&4294967295
	s_addc_u32 s15, s15, (.LBB2_19880-.Lpost_getpc24275)>>32
	s_setpc_b64 s[14:15]
.LBB2_5542:
	s_or_b64 exec, exec, s[6:7]
	s_and_saveexec_b64 s[6:7], s[4:5]
	s_cbranch_execz .LBB2_5544
.LBB2_5543:
	v_and_b32_e32 v6, 7, v3
	v_ffbh_u32_e32 v13, v6
	v_min_u32_e32 v13, 32, v13
	v_lshrrev_b16_e32 v12, 3, v3
	v_subrev_u32_e32 v14, 28, v13
	v_and_b32_e32 v12, 15, v12
	v_lshlrev_b32_e32 v14, v14, v3
	v_sub_u32_e32 v13, 29, v13
	v_and_b32_e32 v14, 7, v14
	v_cmp_eq_u16_e32 vcc, 0, v12
	v_cndmask_b32_e32 v6, v6, v14, vcc
	v_cndmask_b32_e32 v12, v12, v13, vcc
	v_lshlrev_b32_e32 v13, 24, v3
	v_mov_b32_e32 v14, 0x3b800000
	v_lshlrev_b32_e32 v6, 20, v6
	v_and_b32_e32 v13, 0x80000000, v13
	v_lshl_add_u32 v12, v12, 23, v14
	v_or3_b32 v6, v13, v12, v6
.LBB2_5544:
	s_or_b64 exec, exec, s[6:7]
	s_nop 0
	v_mfma_f32_16x16x4f32 a[0:3], v2, v6, a[0:3]
	v_lshrrev_b32_e32 v6, 8, v7
	s_movk_i32 s4, 0x7f
	v_cmp_gt_i16_sdwa s[6:7], v6, s4 src0_sel:BYTE_0 src1_sel:DWORD
	s_mov_b64 s[4:5], 0
                                        ; implicit-def: $sgpr10
	s_and_saveexec_b64 s[8:9], s[6:7]
	s_xor_b64 s[6:7], exec, s[8:9]
	s_cbranch_execz .LBB2_5545
; %bb.41385:
	s_getpc_b64 s[14:15]
.Lpost_getpc24276:
	s_add_u32 s14, s14, (.LBB2_19881-.Lpost_getpc24276)&4294967295
	s_addc_u32 s15, s15, (.LBB2_19881-.Lpost_getpc24276)>>32
	s_setpc_b64 s[14:15]
.LBB2_5545:
	s_or_saveexec_b64 s[6:7], s[6:7]
	v_mov_b32_e32 v2, s10
	s_xor_b64 exec, exec, s[6:7]
	s_cbranch_execz .LBB2_5546
; %bb.41387:
	s_getpc_b64 s[14:15]
.Lpost_getpc24277:
	s_add_u32 s14, s14, (.LBB2_19884-.Lpost_getpc24277)&4294967295
	s_addc_u32 s15, s15, (.LBB2_19884-.Lpost_getpc24277)>>32
	s_setpc_b64 s[14:15]
.LBB2_5546:
	s_or_b64 exec, exec, s[6:7]
	s_and_saveexec_b64 s[6:7], s[4:5]
	s_cbranch_execz .LBB2_5548
.LBB2_5547:
	v_bfe_u32 v2, v7, 8, 3
	v_ffbh_u32_e32 v13, v2
	v_min_u32_e32 v13, 32, v13
	v_lshrrev_b16_e32 v12, 3, v6
	v_subrev_u32_e32 v14, 28, v13
	v_and_b32_e32 v12, 15, v12
	v_lshlrev_b32_e32 v6, v14, v6
	v_sub_u32_e32 v13, 29, v13
	v_and_b32_e32 v6, 7, v6
	v_cmp_eq_u16_e32 vcc, 0, v12
	v_cndmask_b32_e32 v2, v2, v6, vcc
	v_cndmask_b32_e32 v6, v12, v13, vcc
	v_lshlrev_b32_e32 v12, 16, v7
	v_mov_b32_e32 v13, 0x3b800000
	v_lshlrev_b32_e32 v2, 20, v2
	v_and_b32_e32 v12, 0x80000000, v12
	v_lshl_add_u32 v6, v6, 23, v13
	v_or3_b32 v2, v12, v6, v2
.LBB2_5548:
	s_or_b64 exec, exec, s[6:7]
	v_lshrrev_b32_e32 v6, 8, v3
	s_movk_i32 s4, 0x7f
	v_cmp_gt_i16_sdwa s[6:7], v6, s4 src0_sel:BYTE_0 src1_sel:DWORD
	s_mov_b64 s[4:5], 0
                                        ; implicit-def: $sgpr10
	s_and_saveexec_b64 s[8:9], s[6:7]
	s_xor_b64 s[6:7], exec, s[8:9]
	s_cbranch_execz .LBB2_5549
; %bb.41389:
	s_getpc_b64 s[14:15]
.Lpost_getpc24278:
	s_add_u32 s14, s14, (.LBB2_19885-.Lpost_getpc24278)&4294967295
	s_addc_u32 s15, s15, (.LBB2_19885-.Lpost_getpc24278)>>32
	s_setpc_b64 s[14:15]
.LBB2_5549:
	s_or_saveexec_b64 s[6:7], s[6:7]
	v_mov_b32_e32 v12, s10
	s_xor_b64 exec, exec, s[6:7]
	s_cbranch_execz .LBB2_5550
; %bb.41391:
	s_getpc_b64 s[14:15]
.Lpost_getpc24279:
	s_add_u32 s14, s14, (.LBB2_19888-.Lpost_getpc24279)&4294967295
	s_addc_u32 s15, s15, (.LBB2_19888-.Lpost_getpc24279)>>32
	s_setpc_b64 s[14:15]
.LBB2_5550:
	s_or_b64 exec, exec, s[6:7]
	s_and_saveexec_b64 s[6:7], s[4:5]
	s_cbranch_execz .LBB2_5552
.LBB2_5551:
	v_bfe_u32 v12, v3, 8, 3
	v_ffbh_u32_e32 v14, v12
	v_min_u32_e32 v14, 32, v14
	v_lshrrev_b16_e32 v13, 3, v6
	v_subrev_u32_e32 v15, 28, v14
	v_and_b32_e32 v13, 15, v13
	v_lshlrev_b32_e32 v6, v15, v6
	v_sub_u32_e32 v14, 29, v14
	v_and_b32_e32 v6, 7, v6
	v_cmp_eq_u16_e32 vcc, 0, v13
	v_cndmask_b32_e32 v6, v12, v6, vcc
	v_cndmask_b32_e32 v12, v13, v14, vcc
	v_lshlrev_b32_e32 v13, 16, v3
	v_mov_b32_e32 v14, 0x3b800000
	v_lshlrev_b32_e32 v6, 20, v6
	v_and_b32_e32 v13, 0x80000000, v13
	v_lshl_add_u32 v12, v12, 23, v14
	v_or3_b32 v12, v13, v12, v6
.LBB2_5552:
	s_or_b64 exec, exec, s[6:7]
	s_nop 0
	v_mfma_f32_16x16x4f32 a[0:3], v2, v12, a[0:3]
	s_movk_i32 s4, 0xff
	v_and_b32_sdwa v6, v7, s4 dst_sel:DWORD dst_unused:UNUSED_PAD src0_sel:WORD_1 src1_sel:DWORD
	s_movk_i32 s4, 0x7f
	v_cmp_lt_i16_e32 vcc, s4, v6
	s_mov_b64 s[4:5], 0
                                        ; implicit-def: $sgpr10
	s_and_saveexec_b64 s[6:7], vcc
	s_xor_b64 s[6:7], exec, s[6:7]
	s_cbranch_execz .LBB2_5553
; %bb.41393:
	s_getpc_b64 s[14:15]
.Lpost_getpc24280:
	s_add_u32 s14, s14, (.LBB2_19889-.Lpost_getpc24280)&4294967295
	s_addc_u32 s15, s15, (.LBB2_19889-.Lpost_getpc24280)>>32
	s_setpc_b64 s[14:15]
.LBB2_5553:
	s_or_saveexec_b64 s[6:7], s[6:7]
	v_mov_b32_e32 v2, s10
	s_xor_b64 exec, exec, s[6:7]
	s_cbranch_execz .LBB2_5554
; %bb.41395:
	s_getpc_b64 s[14:15]
.Lpost_getpc24281:
	s_add_u32 s14, s14, (.LBB2_19892-.Lpost_getpc24281)&4294967295
	s_addc_u32 s15, s15, (.LBB2_19892-.Lpost_getpc24281)>>32
	s_setpc_b64 s[14:15]
.LBB2_5554:
	s_or_b64 exec, exec, s[6:7]
	s_and_saveexec_b64 s[6:7], s[4:5]
	s_cbranch_execz .LBB2_5556
.LBB2_5555:
	v_bfe_u32 v2, v7, 16, 3
	v_ffbh_u32_e32 v13, v2
	v_min_u32_e32 v13, 32, v13
	v_lshrrev_b32_e32 v6, 19, v7
	v_subrev_u32_e32 v14, 28, v13
	v_and_b32_e32 v6, 15, v6
	v_lshlrev_b32_sdwa v14, v14, v7 dst_sel:DWORD dst_unused:UNUSED_PAD src0_sel:DWORD src1_sel:WORD_1
	v_bfe_u32 v12, v7, 19, 4
	v_sub_u32_e32 v13, 29, v13
	v_and_b32_e32 v14, 7, v14
	v_cmp_eq_u16_e32 vcc, 0, v6
	v_cndmask_b32_e32 v2, v2, v14, vcc
	v_cndmask_b32_e32 v6, v12, v13, vcc
	v_lshlrev_b32_e32 v12, 8, v7
	v_mov_b32_e32 v13, 0x3b800000
	v_lshlrev_b32_e32 v2, 20, v2
	v_and_b32_e32 v12, 0x80000000, v12
	v_lshl_add_u32 v6, v6, 23, v13
	v_or3_b32 v2, v12, v6, v2
.LBB2_5556:
	s_or_b64 exec, exec, s[6:7]
	s_movk_i32 s4, 0xff
	v_and_b32_sdwa v6, v3, s4 dst_sel:DWORD dst_unused:UNUSED_PAD src0_sel:WORD_1 src1_sel:DWORD
	s_movk_i32 s4, 0x7f
	v_cmp_lt_i16_e32 vcc, s4, v6
	s_mov_b64 s[4:5], 0
                                        ; implicit-def: $sgpr10
	s_and_saveexec_b64 s[6:7], vcc
	s_xor_b64 s[6:7], exec, s[6:7]
	s_cbranch_execz .LBB2_5557
; %bb.41397:
	s_getpc_b64 s[14:15]
.Lpost_getpc24282:
	s_add_u32 s14, s14, (.LBB2_19893-.Lpost_getpc24282)&4294967295
	s_addc_u32 s15, s15, (.LBB2_19893-.Lpost_getpc24282)>>32
	s_setpc_b64 s[14:15]
.LBB2_5557:
	s_or_saveexec_b64 s[6:7], s[6:7]
	v_mov_b32_e32 v12, s10
	s_xor_b64 exec, exec, s[6:7]
	s_cbranch_execz .LBB2_5558
; %bb.41399:
	s_getpc_b64 s[14:15]
.Lpost_getpc24283:
	s_add_u32 s14, s14, (.LBB2_19896-.Lpost_getpc24283)&4294967295
	s_addc_u32 s15, s15, (.LBB2_19896-.Lpost_getpc24283)>>32
	s_setpc_b64 s[14:15]
.LBB2_5558:
	s_or_b64 exec, exec, s[6:7]
	s_and_saveexec_b64 s[6:7], s[4:5]
	s_cbranch_execz .LBB2_5560
.LBB2_5559:
	v_bfe_u32 v6, v3, 16, 3
	v_ffbh_u32_e32 v14, v6
	v_min_u32_e32 v14, 32, v14
	v_lshrrev_b32_e32 v12, 19, v3
	v_subrev_u32_e32 v15, 28, v14
	v_and_b32_e32 v12, 15, v12
	v_lshlrev_b32_sdwa v15, v15, v3 dst_sel:DWORD dst_unused:UNUSED_PAD src0_sel:DWORD src1_sel:WORD_1
	v_bfe_u32 v13, v3, 19, 4
	v_sub_u32_e32 v14, 29, v14
	v_and_b32_e32 v15, 7, v15
	v_cmp_eq_u16_e32 vcc, 0, v12
	v_cndmask_b32_e32 v6, v6, v15, vcc
	v_cndmask_b32_e32 v12, v13, v14, vcc
	v_lshlrev_b32_e32 v13, 8, v3
	v_mov_b32_e32 v14, 0x3b800000
	v_lshlrev_b32_e32 v6, 20, v6
	v_and_b32_e32 v13, 0x80000000, v13
	v_lshl_add_u32 v12, v12, 23, v14
	v_or3_b32 v12, v13, v12, v6
.LBB2_5560:
	s_or_b64 exec, exec, s[6:7]
	s_nop 0
	v_mfma_f32_16x16x4f32 a[0:3], v2, v12, a[0:3]
	s_movk_i32 s4, 0x7f
	v_cmp_gt_i16_sdwa s[6:7], v7, s4 src0_sel:BYTE_3 src1_sel:DWORD
	s_mov_b64 s[4:5], 0
                                        ; implicit-def: $sgpr10
	s_and_saveexec_b64 s[8:9], s[6:7]
	s_xor_b64 s[6:7], exec, s[8:9]
	s_cbranch_execz .LBB2_5561
; %bb.41401:
	s_getpc_b64 s[14:15]
.Lpost_getpc24284:
	s_add_u32 s14, s14, (.LBB2_19897-.Lpost_getpc24284)&4294967295
	s_addc_u32 s15, s15, (.LBB2_19897-.Lpost_getpc24284)>>32
	s_setpc_b64 s[14:15]
.LBB2_5561:
	s_or_saveexec_b64 s[6:7], s[6:7]
	v_mov_b32_e32 v2, s10
	s_xor_b64 exec, exec, s[6:7]
	s_cbranch_execz .LBB2_5562
; %bb.41403:
	s_getpc_b64 s[14:15]
.Lpost_getpc24285:
	s_add_u32 s14, s14, (.LBB2_19900-.Lpost_getpc24285)&4294967295
	s_addc_u32 s15, s15, (.LBB2_19900-.Lpost_getpc24285)>>32
	s_setpc_b64 s[14:15]
.LBB2_5562:
	s_or_b64 exec, exec, s[6:7]
	s_and_saveexec_b64 s[6:7], s[4:5]
	s_cbranch_execz .LBB2_5564
.LBB2_5563:
	v_bfe_u32 v2, v7, 24, 3
	v_ffbh_u32_e32 v14, v2
	v_min_u32_e32 v14, 32, v14
	v_lshrrev_b32_e32 v12, 27, v7
	v_subrev_u32_e32 v15, 28, v14
	v_and_b32_e32 v6, 0x80000000, v7
	v_and_b32_e32 v12, 15, v12
	v_bfe_u32 v13, v7, 27, 4
	v_lshlrev_b32_sdwa v7, v15, v7 dst_sel:DWORD dst_unused:UNUSED_PAD src0_sel:DWORD src1_sel:BYTE_3
	v_sub_u32_e32 v14, 29, v14
	v_and_b32_e32 v7, 7, v7
	v_cmp_eq_u16_e32 vcc, 0, v12
	v_cndmask_b32_e32 v2, v2, v7, vcc
	v_cndmask_b32_e32 v7, v13, v14, vcc
	v_mov_b32_e32 v12, 0x3b800000
	v_lshlrev_b32_e32 v2, 20, v2
	v_lshl_add_u32 v7, v7, 23, v12
	v_or3_b32 v2, v6, v7, v2
.LBB2_5564:
	s_or_b64 exec, exec, s[6:7]
	s_movk_i32 s4, 0x7f
	v_cmp_gt_i16_sdwa s[6:7], v3, s4 src0_sel:BYTE_3 src1_sel:DWORD
	s_mov_b64 s[4:5], 0
                                        ; implicit-def: $sgpr10
	s_and_saveexec_b64 s[8:9], s[6:7]
	s_xor_b64 s[6:7], exec, s[8:9]
	s_cbranch_execz .LBB2_5565
; %bb.41405:
	s_getpc_b64 s[14:15]
.Lpost_getpc24286:
	s_add_u32 s14, s14, (.LBB2_19901-.Lpost_getpc24286)&4294967295
	s_addc_u32 s15, s15, (.LBB2_19901-.Lpost_getpc24286)>>32
	s_setpc_b64 s[14:15]
.LBB2_5565:
	s_or_saveexec_b64 s[6:7], s[6:7]
	v_mov_b32_e32 v6, s10
	s_xor_b64 exec, exec, s[6:7]
	s_cbranch_execz .LBB2_5566
; %bb.41407:
	s_getpc_b64 s[14:15]
.Lpost_getpc24287:
	s_add_u32 s14, s14, (.LBB2_19904-.Lpost_getpc24287)&4294967295
	s_addc_u32 s15, s15, (.LBB2_19904-.Lpost_getpc24287)>>32
	s_setpc_b64 s[14:15]
.LBB2_5566:
	s_or_b64 exec, exec, s[6:7]
	s_and_saveexec_b64 s[6:7], s[4:5]
	s_cbranch_execz .LBB2_5568
.LBB2_5567:
	v_bfe_u32 v6, v3, 24, 3
	v_ffbh_u32_e32 v14, v6
	v_min_u32_e32 v14, 32, v14
	v_lshrrev_b32_e32 v12, 27, v3
	v_subrev_u32_e32 v15, 28, v14
	v_and_b32_e32 v7, 0x80000000, v3
	v_and_b32_e32 v12, 15, v12
	v_bfe_u32 v13, v3, 27, 4
	v_lshlrev_b32_sdwa v3, v15, v3 dst_sel:DWORD dst_unused:UNUSED_PAD src0_sel:DWORD src1_sel:BYTE_3
	v_sub_u32_e32 v14, 29, v14
	v_and_b32_e32 v3, 7, v3
	v_cmp_eq_u16_e32 vcc, 0, v12
	v_cndmask_b32_e32 v3, v6, v3, vcc
	v_cndmask_b32_e32 v6, v13, v14, vcc
	v_mov_b32_e32 v12, 0x3b800000
	v_lshlrev_b32_e32 v3, 20, v3
	v_lshl_add_u32 v6, v6, 23, v12
	v_or3_b32 v6, v7, v6, v3
.LBB2_5568:
	s_or_b64 exec, exec, s[6:7]
	s_nop 0
	v_mfma_f32_16x16x4f32 a[0:3], v2, v6, a[0:3]
	s_movk_i32 s4, 0x7f
	v_cmp_gt_i16_sdwa s[6:7], v8, s4 src0_sel:BYTE_0 src1_sel:DWORD
	s_mov_b64 s[4:5], 0
                                        ; implicit-def: $sgpr10
	s_and_saveexec_b64 s[8:9], s[6:7]
	s_xor_b64 s[6:7], exec, s[8:9]
	s_cbranch_execz .LBB2_5569
; %bb.41409:
	s_getpc_b64 s[14:15]
.Lpost_getpc24288:
	s_add_u32 s14, s14, (.LBB2_19905-.Lpost_getpc24288)&4294967295
	s_addc_u32 s15, s15, (.LBB2_19905-.Lpost_getpc24288)>>32
	s_setpc_b64 s[14:15]
.LBB2_5569:
	s_or_saveexec_b64 s[6:7], s[6:7]
	v_mov_b32_e32 v2, s10
	s_xor_b64 exec, exec, s[6:7]
	s_cbranch_execz .LBB2_5570
; %bb.41411:
	s_getpc_b64 s[14:15]
.Lpost_getpc24289:
	s_add_u32 s14, s14, (.LBB2_19908-.Lpost_getpc24289)&4294967295
	s_addc_u32 s15, s15, (.LBB2_19908-.Lpost_getpc24289)>>32
	s_setpc_b64 s[14:15]
.LBB2_5570:
	s_or_b64 exec, exec, s[6:7]
	s_and_saveexec_b64 s[6:7], s[4:5]
	s_cbranch_execz .LBB2_5572
.LBB2_5571:
	v_and_b32_e32 v2, 7, v8
	v_ffbh_u32_e32 v6, v2
	v_min_u32_e32 v6, 32, v6
	v_lshrrev_b16_e32 v3, 3, v8
	v_subrev_u32_e32 v7, 28, v6
	v_and_b32_e32 v3, 15, v3
	v_lshlrev_b32_e32 v7, v7, v8
	v_sub_u32_e32 v6, 29, v6
	v_and_b32_e32 v7, 7, v7
	v_cmp_eq_u16_e32 vcc, 0, v3
	v_cndmask_b32_e32 v2, v2, v7, vcc
	v_cndmask_b32_e32 v3, v3, v6, vcc
	v_lshlrev_b32_e32 v6, 24, v8
	v_mov_b32_e32 v7, 0x3b800000
	v_lshlrev_b32_e32 v2, 20, v2
	v_and_b32_e32 v6, 0x80000000, v6
	v_lshl_add_u32 v3, v3, 23, v7
	v_or3_b32 v2, v6, v3, v2
.LBB2_5572:
	s_or_b64 exec, exec, s[6:7]
	s_movk_i32 s4, 0x7f
	v_cmp_gt_i16_sdwa s[6:7], v4, s4 src0_sel:BYTE_0 src1_sel:DWORD
	s_mov_b64 s[4:5], 0
                                        ; implicit-def: $sgpr10
	s_and_saveexec_b64 s[8:9], s[6:7]
	s_xor_b64 s[6:7], exec, s[8:9]
	s_cbranch_execz .LBB2_5573
; %bb.41413:
	s_getpc_b64 s[14:15]
.Lpost_getpc24290:
	s_add_u32 s14, s14, (.LBB2_19909-.Lpost_getpc24290)&4294967295
	s_addc_u32 s15, s15, (.LBB2_19909-.Lpost_getpc24290)>>32
	s_setpc_b64 s[14:15]
.LBB2_5573:
	s_or_saveexec_b64 s[6:7], s[6:7]
	v_mov_b32_e32 v3, s10
	s_xor_b64 exec, exec, s[6:7]
	s_cbranch_execz .LBB2_5574
; %bb.41415:
	s_getpc_b64 s[14:15]
.Lpost_getpc24291:
	s_add_u32 s14, s14, (.LBB2_19912-.Lpost_getpc24291)&4294967295
	s_addc_u32 s15, s15, (.LBB2_19912-.Lpost_getpc24291)>>32
	s_setpc_b64 s[14:15]
.LBB2_5574:
	s_or_b64 exec, exec, s[6:7]
	s_and_saveexec_b64 s[6:7], s[4:5]
	s_cbranch_execz .LBB2_5576
.LBB2_5575:
	v_and_b32_e32 v3, 7, v4
	v_ffbh_u32_e32 v7, v3
	v_min_u32_e32 v7, 32, v7
	v_lshrrev_b16_e32 v6, 3, v4
	v_subrev_u32_e32 v12, 28, v7
	v_and_b32_e32 v6, 15, v6
	v_lshlrev_b32_e32 v12, v12, v4
	v_sub_u32_e32 v7, 29, v7
	v_and_b32_e32 v12, 7, v12
	v_cmp_eq_u16_e32 vcc, 0, v6
	v_cndmask_b32_e32 v3, v3, v12, vcc
	v_cndmask_b32_e32 v6, v6, v7, vcc
	v_lshlrev_b32_e32 v7, 24, v4
	v_mov_b32_e32 v12, 0x3b800000
	v_lshlrev_b32_e32 v3, 20, v3
	v_and_b32_e32 v7, 0x80000000, v7
	v_lshl_add_u32 v6, v6, 23, v12
	v_or3_b32 v3, v7, v6, v3
.LBB2_5576:
	s_or_b64 exec, exec, s[6:7]
	s_nop 0
	v_mfma_f32_16x16x4f32 a[0:3], v2, v3, a[0:3]
	v_lshrrev_b32_e32 v3, 8, v8
	s_movk_i32 s4, 0x7f
	v_cmp_gt_i16_sdwa s[6:7], v3, s4 src0_sel:BYTE_0 src1_sel:DWORD
	s_mov_b64 s[4:5], 0
                                        ; implicit-def: $sgpr10
	s_and_saveexec_b64 s[8:9], s[6:7]
	s_xor_b64 s[6:7], exec, s[8:9]
	s_cbranch_execz .LBB2_5577
; %bb.41417:
	s_getpc_b64 s[14:15]
.Lpost_getpc24292:
	s_add_u32 s14, s14, (.LBB2_19913-.Lpost_getpc24292)&4294967295
	s_addc_u32 s15, s15, (.LBB2_19913-.Lpost_getpc24292)>>32
	s_setpc_b64 s[14:15]
.LBB2_5577:
	s_or_saveexec_b64 s[6:7], s[6:7]
	v_mov_b32_e32 v2, s10
	s_xor_b64 exec, exec, s[6:7]
	s_cbranch_execz .LBB2_5578
; %bb.41419:
	s_getpc_b64 s[14:15]
.Lpost_getpc24293:
	s_add_u32 s14, s14, (.LBB2_19916-.Lpost_getpc24293)&4294967295
	s_addc_u32 s15, s15, (.LBB2_19916-.Lpost_getpc24293)>>32
	s_setpc_b64 s[14:15]
.LBB2_5578:
	s_or_b64 exec, exec, s[6:7]
	s_and_saveexec_b64 s[6:7], s[4:5]
	s_cbranch_execz .LBB2_5580
.LBB2_5579:
	v_bfe_u32 v2, v8, 8, 3
	v_ffbh_u32_e32 v7, v2
	v_min_u32_e32 v7, 32, v7
	v_lshrrev_b16_e32 v6, 3, v3
	v_subrev_u32_e32 v12, 28, v7
	v_and_b32_e32 v6, 15, v6
	v_lshlrev_b32_e32 v3, v12, v3
	v_sub_u32_e32 v7, 29, v7
	v_and_b32_e32 v3, 7, v3
	v_cmp_eq_u16_e32 vcc, 0, v6
	v_cndmask_b32_e32 v2, v2, v3, vcc
	v_cndmask_b32_e32 v3, v6, v7, vcc
	v_lshlrev_b32_e32 v6, 16, v8
	v_mov_b32_e32 v7, 0x3b800000
	v_lshlrev_b32_e32 v2, 20, v2
	v_and_b32_e32 v6, 0x80000000, v6
	v_lshl_add_u32 v3, v3, 23, v7
	v_or3_b32 v2, v6, v3, v2
.LBB2_5580:
	s_or_b64 exec, exec, s[6:7]
	v_lshrrev_b32_e32 v3, 8, v4
	s_movk_i32 s4, 0x7f
	v_cmp_gt_i16_sdwa s[6:7], v3, s4 src0_sel:BYTE_0 src1_sel:DWORD
	s_mov_b64 s[4:5], 0
                                        ; implicit-def: $sgpr10
	s_and_saveexec_b64 s[8:9], s[6:7]
	s_xor_b64 s[6:7], exec, s[8:9]
	s_cbranch_execz .LBB2_5581
; %bb.41421:
	s_getpc_b64 s[14:15]
.Lpost_getpc24294:
	s_add_u32 s14, s14, (.LBB2_19917-.Lpost_getpc24294)&4294967295
	s_addc_u32 s15, s15, (.LBB2_19917-.Lpost_getpc24294)>>32
	s_setpc_b64 s[14:15]
.LBB2_5581:
	s_or_saveexec_b64 s[6:7], s[6:7]
	v_mov_b32_e32 v6, s10
	s_xor_b64 exec, exec, s[6:7]
	s_cbranch_execz .LBB2_5582
; %bb.41423:
	s_getpc_b64 s[14:15]
.Lpost_getpc24295:
	s_add_u32 s14, s14, (.LBB2_19920-.Lpost_getpc24295)&4294967295
	s_addc_u32 s15, s15, (.LBB2_19920-.Lpost_getpc24295)>>32
	s_setpc_b64 s[14:15]
.LBB2_5582:
	s_or_b64 exec, exec, s[6:7]
	s_and_saveexec_b64 s[6:7], s[4:5]
	s_cbranch_execz .LBB2_5584
.LBB2_5583:
	v_bfe_u32 v6, v4, 8, 3
	v_ffbh_u32_e32 v12, v6
	v_min_u32_e32 v12, 32, v12
	v_lshrrev_b16_e32 v7, 3, v3
	v_subrev_u32_e32 v13, 28, v12
	v_and_b32_e32 v7, 15, v7
	v_lshlrev_b32_e32 v3, v13, v3
	v_sub_u32_e32 v12, 29, v12
	v_and_b32_e32 v3, 7, v3
	v_cmp_eq_u16_e32 vcc, 0, v7
	v_cndmask_b32_e32 v3, v6, v3, vcc
	v_cndmask_b32_e32 v6, v7, v12, vcc
	v_lshlrev_b32_e32 v7, 16, v4
	v_mov_b32_e32 v12, 0x3b800000
	v_lshlrev_b32_e32 v3, 20, v3
	v_and_b32_e32 v7, 0x80000000, v7
	v_lshl_add_u32 v6, v6, 23, v12
	v_or3_b32 v6, v7, v6, v3
.LBB2_5584:
	s_or_b64 exec, exec, s[6:7]
	s_nop 0
	v_mfma_f32_16x16x4f32 a[0:3], v2, v6, a[0:3]
	s_movk_i32 s4, 0xff
	v_and_b32_sdwa v3, v8, s4 dst_sel:DWORD dst_unused:UNUSED_PAD src0_sel:WORD_1 src1_sel:DWORD
	s_movk_i32 s4, 0x7f
	v_cmp_lt_i16_e32 vcc, s4, v3
	s_mov_b64 s[4:5], 0
                                        ; implicit-def: $sgpr10
	s_and_saveexec_b64 s[6:7], vcc
	s_xor_b64 s[6:7], exec, s[6:7]
	s_cbranch_execz .LBB2_5585
; %bb.41425:
	s_getpc_b64 s[14:15]
.Lpost_getpc24296:
	s_add_u32 s14, s14, (.LBB2_19921-.Lpost_getpc24296)&4294967295
	s_addc_u32 s15, s15, (.LBB2_19921-.Lpost_getpc24296)>>32
	s_setpc_b64 s[14:15]
.LBB2_5585:
	s_or_saveexec_b64 s[6:7], s[6:7]
	v_mov_b32_e32 v2, s10
	s_xor_b64 exec, exec, s[6:7]
	s_cbranch_execz .LBB2_5586
; %bb.41427:
	s_getpc_b64 s[14:15]
.Lpost_getpc24297:
	s_add_u32 s14, s14, (.LBB2_19924-.Lpost_getpc24297)&4294967295
	s_addc_u32 s15, s15, (.LBB2_19924-.Lpost_getpc24297)>>32
	s_setpc_b64 s[14:15]
.LBB2_5586:
	s_or_b64 exec, exec, s[6:7]
	s_and_saveexec_b64 s[6:7], s[4:5]
	s_cbranch_execz .LBB2_5588
.LBB2_5587:
	v_bfe_u32 v2, v8, 16, 3
	v_ffbh_u32_e32 v7, v2
	v_min_u32_e32 v7, 32, v7
	v_lshrrev_b32_e32 v3, 19, v8
	v_subrev_u32_e32 v12, 28, v7
	v_and_b32_e32 v3, 15, v3
	v_lshlrev_b32_sdwa v12, v12, v8 dst_sel:DWORD dst_unused:UNUSED_PAD src0_sel:DWORD src1_sel:WORD_1
	v_bfe_u32 v6, v8, 19, 4
	v_sub_u32_e32 v7, 29, v7
	v_and_b32_e32 v12, 7, v12
	v_cmp_eq_u16_e32 vcc, 0, v3
	v_cndmask_b32_e32 v2, v2, v12, vcc
	v_cndmask_b32_e32 v3, v6, v7, vcc
	v_lshlrev_b32_e32 v6, 8, v8
	v_mov_b32_e32 v7, 0x3b800000
	v_lshlrev_b32_e32 v2, 20, v2
	v_and_b32_e32 v6, 0x80000000, v6
	v_lshl_add_u32 v3, v3, 23, v7
	v_or3_b32 v2, v6, v3, v2
.LBB2_5588:
	s_or_b64 exec, exec, s[6:7]
	s_movk_i32 s4, 0xff
	v_and_b32_sdwa v3, v4, s4 dst_sel:DWORD dst_unused:UNUSED_PAD src0_sel:WORD_1 src1_sel:DWORD
	s_movk_i32 s4, 0x7f
	v_cmp_lt_i16_e32 vcc, s4, v3
	s_mov_b64 s[4:5], 0
                                        ; implicit-def: $sgpr10
	s_and_saveexec_b64 s[6:7], vcc
	s_xor_b64 s[6:7], exec, s[6:7]
	s_cbranch_execz .LBB2_5589
; %bb.41429:
	s_getpc_b64 s[14:15]
.Lpost_getpc24298:
	s_add_u32 s14, s14, (.LBB2_19925-.Lpost_getpc24298)&4294967295
	s_addc_u32 s15, s15, (.LBB2_19925-.Lpost_getpc24298)>>32
	s_setpc_b64 s[14:15]
.LBB2_5589:
	s_or_saveexec_b64 s[6:7], s[6:7]
	v_mov_b32_e32 v6, s10
	s_xor_b64 exec, exec, s[6:7]
	s_cbranch_execz .LBB2_5590
; %bb.41431:
	s_getpc_b64 s[14:15]
.Lpost_getpc24299:
	s_add_u32 s14, s14, (.LBB2_19928-.Lpost_getpc24299)&4294967295
	s_addc_u32 s15, s15, (.LBB2_19928-.Lpost_getpc24299)>>32
	s_setpc_b64 s[14:15]
.LBB2_5590:
	s_or_b64 exec, exec, s[6:7]
	s_and_saveexec_b64 s[6:7], s[4:5]
	s_cbranch_execz .LBB2_5592
.LBB2_5591:
	v_bfe_u32 v3, v4, 16, 3
	v_ffbh_u32_e32 v12, v3
	v_min_u32_e32 v12, 32, v12
	v_lshrrev_b32_e32 v6, 19, v4
	v_subrev_u32_e32 v13, 28, v12
	v_and_b32_e32 v6, 15, v6
	v_lshlrev_b32_sdwa v13, v13, v4 dst_sel:DWORD dst_unused:UNUSED_PAD src0_sel:DWORD src1_sel:WORD_1
	v_bfe_u32 v7, v4, 19, 4
	v_sub_u32_e32 v12, 29, v12
	v_and_b32_e32 v13, 7, v13
	v_cmp_eq_u16_e32 vcc, 0, v6
	v_cndmask_b32_e32 v3, v3, v13, vcc
	v_cndmask_b32_e32 v6, v7, v12, vcc
	v_lshlrev_b32_e32 v7, 8, v4
	v_mov_b32_e32 v12, 0x3b800000
	v_lshlrev_b32_e32 v3, 20, v3
	v_and_b32_e32 v7, 0x80000000, v7
	v_lshl_add_u32 v6, v6, 23, v12
	v_or3_b32 v6, v7, v6, v3
.LBB2_5592:
	s_or_b64 exec, exec, s[6:7]
	s_nop 0
	v_mfma_f32_16x16x4f32 a[0:3], v2, v6, a[0:3]
	s_movk_i32 s4, 0x7f
	v_cmp_gt_i16_sdwa s[6:7], v8, s4 src0_sel:BYTE_3 src1_sel:DWORD
	s_mov_b64 s[4:5], 0
                                        ; implicit-def: $sgpr10
	s_and_saveexec_b64 s[8:9], s[6:7]
	s_xor_b64 s[6:7], exec, s[8:9]
	s_cbranch_execz .LBB2_5593
; %bb.41433:
	s_getpc_b64 s[14:15]
.Lpost_getpc24300:
	s_add_u32 s14, s14, (.LBB2_19929-.Lpost_getpc24300)&4294967295
	s_addc_u32 s15, s15, (.LBB2_19929-.Lpost_getpc24300)>>32
	s_setpc_b64 s[14:15]
.LBB2_5593:
	s_or_saveexec_b64 s[6:7], s[6:7]
	v_mov_b32_e32 v2, s10
	s_xor_b64 exec, exec, s[6:7]
	s_cbranch_execz .LBB2_5594
; %bb.41435:
	s_getpc_b64 s[14:15]
.Lpost_getpc24301:
	s_add_u32 s14, s14, (.LBB2_19932-.Lpost_getpc24301)&4294967295
	s_addc_u32 s15, s15, (.LBB2_19932-.Lpost_getpc24301)>>32
	s_setpc_b64 s[14:15]
.LBB2_5594:
	s_or_b64 exec, exec, s[6:7]
	s_and_saveexec_b64 s[6:7], s[4:5]
	s_cbranch_execz .LBB2_5596
.LBB2_5595:
	v_bfe_u32 v2, v8, 24, 3
	v_ffbh_u32_e32 v12, v2
	v_min_u32_e32 v12, 32, v12
	v_lshrrev_b32_e32 v6, 27, v8
	v_subrev_u32_e32 v13, 28, v12
	v_and_b32_e32 v3, 0x80000000, v8
	v_and_b32_e32 v6, 15, v6
	v_bfe_u32 v7, v8, 27, 4
	v_lshlrev_b32_sdwa v8, v13, v8 dst_sel:DWORD dst_unused:UNUSED_PAD src0_sel:DWORD src1_sel:BYTE_3
	v_sub_u32_e32 v12, 29, v12
	v_and_b32_e32 v8, 7, v8
	v_cmp_eq_u16_e32 vcc, 0, v6
	v_cndmask_b32_e32 v2, v2, v8, vcc
	v_cndmask_b32_e32 v6, v7, v12, vcc
	v_mov_b32_e32 v7, 0x3b800000
	v_lshlrev_b32_e32 v2, 20, v2
	v_lshl_add_u32 v6, v6, 23, v7
	v_or3_b32 v2, v3, v6, v2
.LBB2_5596:
	s_or_b64 exec, exec, s[6:7]
	s_movk_i32 s4, 0x7f
	v_cmp_gt_i16_sdwa s[6:7], v4, s4 src0_sel:BYTE_3 src1_sel:DWORD
	s_mov_b64 s[4:5], 0
                                        ; implicit-def: $sgpr10
	s_and_saveexec_b64 s[8:9], s[6:7]
	s_xor_b64 s[6:7], exec, s[8:9]
	s_cbranch_execz .LBB2_5597
; %bb.41437:
	s_getpc_b64 s[14:15]
.Lpost_getpc24302:
	s_add_u32 s14, s14, (.LBB2_19933-.Lpost_getpc24302)&4294967295
	s_addc_u32 s15, s15, (.LBB2_19933-.Lpost_getpc24302)>>32
	s_setpc_b64 s[14:15]
.LBB2_5597:
	s_or_saveexec_b64 s[6:7], s[6:7]
	v_mov_b32_e32 v3, s10
	s_xor_b64 exec, exec, s[6:7]
	s_cbranch_execz .LBB2_5598
; %bb.41439:
	s_getpc_b64 s[14:15]
.Lpost_getpc24303:
	s_add_u32 s14, s14, (.LBB2_19936-.Lpost_getpc24303)&4294967295
	s_addc_u32 s15, s15, (.LBB2_19936-.Lpost_getpc24303)>>32
	s_setpc_b64 s[14:15]
.LBB2_5598:
	s_or_b64 exec, exec, s[6:7]
	s_and_saveexec_b64 s[6:7], s[4:5]
	s_cbranch_execz .LBB2_5600
.LBB2_5599:
	v_bfe_u32 v3, v4, 24, 3
	v_ffbh_u32_e32 v12, v3
	v_min_u32_e32 v12, 32, v12
	v_lshrrev_b32_e32 v7, 27, v4
	v_subrev_u32_e32 v13, 28, v12
	v_and_b32_e32 v6, 0x80000000, v4
	v_and_b32_e32 v7, 15, v7
	v_bfe_u32 v8, v4, 27, 4
	v_lshlrev_b32_sdwa v4, v13, v4 dst_sel:DWORD dst_unused:UNUSED_PAD src0_sel:DWORD src1_sel:BYTE_3
	v_sub_u32_e32 v12, 29, v12
	v_and_b32_e32 v4, 7, v4
	v_cmp_eq_u16_e32 vcc, 0, v7
	v_cndmask_b32_e32 v3, v3, v4, vcc
	v_cndmask_b32_e32 v4, v8, v12, vcc
	v_mov_b32_e32 v7, 0x3b800000
	v_lshlrev_b32_e32 v3, 20, v3
	v_lshl_add_u32 v4, v4, 23, v7
	v_or3_b32 v3, v6, v4, v3
.LBB2_5600:
	s_or_b64 exec, exec, s[6:7]
	s_nop 0
	v_mfma_f32_16x16x4f32 a[0:3], v2, v3, a[0:3]
	s_movk_i32 s4, 0x7f
	v_cmp_gt_i16_sdwa s[6:7], v9, s4 src0_sel:BYTE_0 src1_sel:DWORD
	s_mov_b64 s[4:5], 0
                                        ; implicit-def: $sgpr10
	s_and_saveexec_b64 s[8:9], s[6:7]
	s_xor_b64 s[6:7], exec, s[8:9]
	s_cbranch_execz .LBB2_5601
; %bb.41441:
	s_getpc_b64 s[14:15]
.Lpost_getpc24304:
	s_add_u32 s14, s14, (.LBB2_19937-.Lpost_getpc24304)&4294967295
	s_addc_u32 s15, s15, (.LBB2_19937-.Lpost_getpc24304)>>32
	s_setpc_b64 s[14:15]
.LBB2_5601:
	s_or_saveexec_b64 s[6:7], s[6:7]
	v_mov_b32_e32 v2, s10
	s_xor_b64 exec, exec, s[6:7]
	s_cbranch_execz .LBB2_5602
; %bb.41443:
	s_getpc_b64 s[14:15]
.Lpost_getpc24305:
	s_add_u32 s14, s14, (.LBB2_19940-.Lpost_getpc24305)&4294967295
	s_addc_u32 s15, s15, (.LBB2_19940-.Lpost_getpc24305)>>32
	s_setpc_b64 s[14:15]
.LBB2_5602:
	s_or_b64 exec, exec, s[6:7]
	s_and_saveexec_b64 s[6:7], s[4:5]
	s_cbranch_execz .LBB2_5604
.LBB2_5603:
	v_mov_b32_e32 v2, 8
	v_and_b32_e32 v3, 7, v9
	v_lshrrev_b32_sdwa v2, v2, v9 dst_sel:BYTE_1 dst_unused:UNUSED_PAD src0_sel:DWORD src1_sel:DWORD
	v_ffbh_u32_e32 v4, v3
	v_or_b32_sdwa v2, v9, v2 dst_sel:DWORD dst_unused:UNUSED_PAD src0_sel:BYTE_0 src1_sel:DWORD
	v_min_u32_e32 v4, 32, v4
	v_lshrrev_b16_e32 v2, 3, v2
	v_subrev_u32_e32 v6, 28, v4
	v_and_b32_e32 v2, 15, v2
	v_lshlrev_b32_e32 v6, v6, v9
	v_sub_u32_e32 v4, 29, v4
	v_and_b32_e32 v6, 7, v6
	v_cmp_eq_u16_e32 vcc, 0, v2
	v_cndmask_b32_e32 v3, v3, v6, vcc
	v_cndmask_b32_e32 v2, v2, v4, vcc
	v_lshlrev_b32_e32 v4, 24, v9
	v_mov_b32_e32 v6, 0x3b800000
	v_lshlrev_b32_e32 v3, 20, v3
	v_and_b32_e32 v4, 0x80000000, v4
	v_lshl_add_u32 v2, v2, 23, v6
	v_or3_b32 v2, v4, v2, v3
.LBB2_5604:
	s_or_b64 exec, exec, s[6:7]
	s_movk_i32 s4, 0x7f
	v_cmp_gt_i16_sdwa s[6:7], v5, s4 src0_sel:BYTE_0 src1_sel:DWORD
	s_mov_b64 s[4:5], 0
                                        ; implicit-def: $sgpr10
	s_and_saveexec_b64 s[8:9], s[6:7]
	s_xor_b64 s[6:7], exec, s[8:9]
	s_cbranch_execz .LBB2_5605
; %bb.41445:
	s_getpc_b64 s[14:15]
.Lpost_getpc24306:
	s_add_u32 s14, s14, (.LBB2_19941-.Lpost_getpc24306)&4294967295
	s_addc_u32 s15, s15, (.LBB2_19941-.Lpost_getpc24306)>>32
	s_setpc_b64 s[14:15]
.LBB2_5605:
	s_or_saveexec_b64 s[6:7], s[6:7]
	v_mov_b32_e32 v3, s10
	s_xor_b64 exec, exec, s[6:7]
	s_cbranch_execz .LBB2_5606
; %bb.41447:
	s_getpc_b64 s[14:15]
.Lpost_getpc24307:
	s_add_u32 s14, s14, (.LBB2_19944-.Lpost_getpc24307)&4294967295
	s_addc_u32 s15, s15, (.LBB2_19944-.Lpost_getpc24307)>>32
	s_setpc_b64 s[14:15]
.LBB2_5606:
	s_or_b64 exec, exec, s[6:7]
	s_and_saveexec_b64 s[6:7], s[4:5]
	s_cbranch_execz .LBB2_5608
.LBB2_5607:
	v_mov_b32_e32 v3, 8
	v_and_b32_e32 v4, 7, v5
	v_lshrrev_b32_sdwa v3, v3, v5 dst_sel:BYTE_1 dst_unused:UNUSED_PAD src0_sel:DWORD src1_sel:DWORD
	v_ffbh_u32_e32 v6, v4
	v_or_b32_sdwa v3, v5, v3 dst_sel:DWORD dst_unused:UNUSED_PAD src0_sel:BYTE_0 src1_sel:DWORD
	v_min_u32_e32 v6, 32, v6
	v_lshrrev_b16_e32 v3, 3, v3
	v_subrev_u32_e32 v7, 28, v6
	v_and_b32_e32 v3, 15, v3
	v_lshlrev_b32_e32 v7, v7, v5
	v_sub_u32_e32 v6, 29, v6
	v_and_b32_e32 v7, 7, v7
	v_cmp_eq_u16_e32 vcc, 0, v3
	v_cndmask_b32_e32 v4, v4, v7, vcc
	v_cndmask_b32_e32 v3, v3, v6, vcc
	v_lshlrev_b32_e32 v6, 24, v5
	v_mov_b32_e32 v7, 0x3b800000
	v_lshlrev_b32_e32 v4, 20, v4
	v_and_b32_e32 v6, 0x80000000, v6
	v_lshl_add_u32 v3, v3, 23, v7
	v_or3_b32 v3, v6, v3, v4
.LBB2_5608:
	s_or_b64 exec, exec, s[6:7]
	s_nop 0
	v_mfma_f32_16x16x4f32 a[0:3], v2, v3, a[0:3]
	v_lshrrev_b32_e32 v3, 8, v9
	s_movk_i32 s4, 0x7f
	v_cmp_gt_i16_sdwa s[6:7], v3, s4 src0_sel:BYTE_0 src1_sel:DWORD
	s_mov_b64 s[4:5], 0
                                        ; implicit-def: $sgpr10
	s_and_saveexec_b64 s[8:9], s[6:7]
	s_xor_b64 s[6:7], exec, s[8:9]
	s_cbranch_execz .LBB2_5609
; %bb.41449:
	s_getpc_b64 s[14:15]
.Lpost_getpc24308:
	s_add_u32 s14, s14, (.LBB2_19945-.Lpost_getpc24308)&4294967295
	s_addc_u32 s15, s15, (.LBB2_19945-.Lpost_getpc24308)>>32
	s_setpc_b64 s[14:15]
.LBB2_5609:
	s_or_saveexec_b64 s[6:7], s[6:7]
	v_mov_b32_e32 v2, s10
	s_xor_b64 exec, exec, s[6:7]
	s_cbranch_execz .LBB2_5610
; %bb.41451:
	s_getpc_b64 s[14:15]
.Lpost_getpc24309:
	s_add_u32 s14, s14, (.LBB2_19948-.Lpost_getpc24309)&4294967295
	s_addc_u32 s15, s15, (.LBB2_19948-.Lpost_getpc24309)>>32
	s_setpc_b64 s[14:15]
.LBB2_5610:
	s_or_b64 exec, exec, s[6:7]
	s_and_saveexec_b64 s[6:7], s[4:5]
	s_cbranch_execz .LBB2_5612
.LBB2_5611:
	v_bfe_u32 v2, v9, 8, 3
	v_ffbh_u32_e32 v6, v2
	v_min_u32_e32 v6, 32, v6
	v_lshrrev_b16_e32 v4, 3, v3
	v_subrev_u32_e32 v7, 28, v6
	v_and_b32_e32 v4, 15, v4
	v_lshlrev_b32_e32 v3, v7, v3
	v_sub_u32_e32 v6, 29, v6
	v_and_b32_e32 v3, 7, v3
	v_cmp_eq_u16_e32 vcc, 0, v4
	v_cndmask_b32_e32 v2, v2, v3, vcc
	v_cndmask_b32_e32 v3, v4, v6, vcc
	v_lshlrev_b32_e32 v4, 16, v9
	v_mov_b32_e32 v6, 0x3b800000
	v_lshlrev_b32_e32 v2, 20, v2
	v_and_b32_e32 v4, 0x80000000, v4
	v_lshl_add_u32 v3, v3, 23, v6
	v_or3_b32 v2, v4, v3, v2
.LBB2_5612:
	s_or_b64 exec, exec, s[6:7]
	v_lshrrev_b32_e32 v3, 8, v5
	s_movk_i32 s4, 0x7f
	v_cmp_gt_i16_sdwa s[6:7], v3, s4 src0_sel:BYTE_0 src1_sel:DWORD
	s_mov_b64 s[4:5], 0
                                        ; implicit-def: $sgpr10
	s_and_saveexec_b64 s[8:9], s[6:7]
	s_xor_b64 s[6:7], exec, s[8:9]
	s_cbranch_execz .LBB2_5613
; %bb.41453:
	s_getpc_b64 s[14:15]
.Lpost_getpc24310:
	s_add_u32 s14, s14, (.LBB2_19949-.Lpost_getpc24310)&4294967295
	s_addc_u32 s15, s15, (.LBB2_19949-.Lpost_getpc24310)>>32
	s_setpc_b64 s[14:15]
.LBB2_5613:
	s_or_saveexec_b64 s[6:7], s[6:7]
	v_mov_b32_e32 v4, s10
	s_xor_b64 exec, exec, s[6:7]
	s_cbranch_execz .LBB2_5614
; %bb.41455:
	s_getpc_b64 s[14:15]
.Lpost_getpc24311:
	s_add_u32 s14, s14, (.LBB2_19952-.Lpost_getpc24311)&4294967295
	s_addc_u32 s15, s15, (.LBB2_19952-.Lpost_getpc24311)>>32
	s_setpc_b64 s[14:15]
.LBB2_5614:
	s_or_b64 exec, exec, s[6:7]
	s_and_saveexec_b64 s[6:7], s[4:5]
	s_cbranch_execz .LBB2_5616
.LBB2_5615:
	v_bfe_u32 v4, v5, 8, 3
	v_ffbh_u32_e32 v7, v4
	v_min_u32_e32 v7, 32, v7
	v_lshrrev_b16_e32 v6, 3, v3
	v_subrev_u32_e32 v8, 28, v7
	v_and_b32_e32 v6, 15, v6
	v_lshlrev_b32_e32 v3, v8, v3
	v_sub_u32_e32 v7, 29, v7
	v_and_b32_e32 v3, 7, v3
	v_cmp_eq_u16_e32 vcc, 0, v6
	v_cndmask_b32_e32 v3, v4, v3, vcc
	v_cndmask_b32_e32 v4, v6, v7, vcc
	v_lshlrev_b32_e32 v6, 16, v5
	v_mov_b32_e32 v7, 0x3b800000
	v_lshlrev_b32_e32 v3, 20, v3
	v_and_b32_e32 v6, 0x80000000, v6
	v_lshl_add_u32 v4, v4, 23, v7
	v_or3_b32 v4, v6, v4, v3
.LBB2_5616:
	s_or_b64 exec, exec, s[6:7]
	s_nop 0
	v_mfma_f32_16x16x4f32 a[0:3], v2, v4, a[0:3]
	s_movk_i32 s4, 0xff
	v_and_b32_sdwa v3, v9, s4 dst_sel:DWORD dst_unused:UNUSED_PAD src0_sel:WORD_1 src1_sel:DWORD
	s_movk_i32 s4, 0x7f
	v_cmp_lt_i16_e32 vcc, s4, v3
	s_mov_b64 s[4:5], 0
                                        ; implicit-def: $sgpr10
	s_and_saveexec_b64 s[6:7], vcc
	s_xor_b64 s[6:7], exec, s[6:7]
	s_cbranch_execz .LBB2_5617
; %bb.41457:
	s_getpc_b64 s[14:15]
.Lpost_getpc24312:
	s_add_u32 s14, s14, (.LBB2_19953-.Lpost_getpc24312)&4294967295
	s_addc_u32 s15, s15, (.LBB2_19953-.Lpost_getpc24312)>>32
	s_setpc_b64 s[14:15]
.LBB2_5617:
	s_or_saveexec_b64 s[6:7], s[6:7]
	v_mov_b32_e32 v2, s10
	s_xor_b64 exec, exec, s[6:7]
	s_cbranch_execz .LBB2_5618
; %bb.41459:
	s_getpc_b64 s[14:15]
.Lpost_getpc24313:
	s_add_u32 s14, s14, (.LBB2_19956-.Lpost_getpc24313)&4294967295
	s_addc_u32 s15, s15, (.LBB2_19956-.Lpost_getpc24313)>>32
	s_setpc_b64 s[14:15]
.LBB2_5618:
	s_or_b64 exec, exec, s[6:7]
	s_and_saveexec_b64 s[6:7], s[4:5]
	s_cbranch_execz .LBB2_5620
.LBB2_5619:
	v_bfe_u32 v2, v9, 16, 3
	v_ffbh_u32_e32 v6, v2
	v_min_u32_e32 v6, 32, v6
	v_lshrrev_b32_e32 v3, 19, v9
	v_subrev_u32_e32 v7, 28, v6
	v_and_b32_e32 v3, 15, v3
	v_lshlrev_b32_sdwa v7, v7, v9 dst_sel:DWORD dst_unused:UNUSED_PAD src0_sel:DWORD src1_sel:WORD_1
	v_bfe_u32 v4, v9, 19, 4
	v_sub_u32_e32 v6, 29, v6
	v_and_b32_e32 v7, 7, v7
	v_cmp_eq_u16_e32 vcc, 0, v3
	v_cndmask_b32_e32 v2, v2, v7, vcc
	v_cndmask_b32_e32 v3, v4, v6, vcc
	v_lshlrev_b32_e32 v4, 8, v9
	v_mov_b32_e32 v6, 0x3b800000
	v_lshlrev_b32_e32 v2, 20, v2
	v_and_b32_e32 v4, 0x80000000, v4
	v_lshl_add_u32 v3, v3, 23, v6
	v_or3_b32 v2, v4, v3, v2
.LBB2_5620:
	s_or_b64 exec, exec, s[6:7]
	s_movk_i32 s4, 0xff
	v_and_b32_sdwa v3, v5, s4 dst_sel:DWORD dst_unused:UNUSED_PAD src0_sel:WORD_1 src1_sel:DWORD
	s_movk_i32 s4, 0x7f
	v_cmp_lt_i16_e32 vcc, s4, v3
	s_mov_b64 s[4:5], 0
                                        ; implicit-def: $sgpr10
	s_and_saveexec_b64 s[6:7], vcc
	s_xor_b64 s[6:7], exec, s[6:7]
	s_cbranch_execz .LBB2_5621
; %bb.41461:
	s_getpc_b64 s[14:15]
.Lpost_getpc24314:
	s_add_u32 s14, s14, (.LBB2_19957-.Lpost_getpc24314)&4294967295
	s_addc_u32 s15, s15, (.LBB2_19957-.Lpost_getpc24314)>>32
	s_setpc_b64 s[14:15]
.LBB2_5621:
	s_or_saveexec_b64 s[6:7], s[6:7]
	v_mov_b32_e32 v4, s10
	s_xor_b64 exec, exec, s[6:7]
	s_cbranch_execz .LBB2_5622
; %bb.41463:
	s_getpc_b64 s[14:15]
.Lpost_getpc24315:
	s_add_u32 s14, s14, (.LBB2_19960-.Lpost_getpc24315)&4294967295
	s_addc_u32 s15, s15, (.LBB2_19960-.Lpost_getpc24315)>>32
	s_setpc_b64 s[14:15]
.LBB2_5622:
	s_or_b64 exec, exec, s[6:7]
	s_and_saveexec_b64 s[6:7], s[4:5]
	s_cbranch_execz .LBB2_5624
.LBB2_5623:
	v_bfe_u32 v3, v5, 16, 3
	v_ffbh_u32_e32 v7, v3
	v_min_u32_e32 v7, 32, v7
	v_lshrrev_b32_e32 v4, 19, v5
	v_subrev_u32_e32 v8, 28, v7
	v_and_b32_e32 v4, 15, v4
	v_lshlrev_b32_sdwa v8, v8, v5 dst_sel:DWORD dst_unused:UNUSED_PAD src0_sel:DWORD src1_sel:WORD_1
	v_bfe_u32 v6, v5, 19, 4
	v_sub_u32_e32 v7, 29, v7
	v_and_b32_e32 v8, 7, v8
	v_cmp_eq_u16_e32 vcc, 0, v4
	v_cndmask_b32_e32 v3, v3, v8, vcc
	v_cndmask_b32_e32 v4, v6, v7, vcc
	v_lshlrev_b32_e32 v6, 8, v5
	v_mov_b32_e32 v7, 0x3b800000
	v_lshlrev_b32_e32 v3, 20, v3
	v_and_b32_e32 v6, 0x80000000, v6
	v_lshl_add_u32 v4, v4, 23, v7
	v_or3_b32 v4, v6, v4, v3
.LBB2_5624:
	s_or_b64 exec, exec, s[6:7]
	s_nop 0
	v_mfma_f32_16x16x4f32 a[0:3], v2, v4, a[0:3]
	s_movk_i32 s4, 0x7f
	v_cmp_gt_i16_sdwa s[6:7], v9, s4 src0_sel:BYTE_3 src1_sel:DWORD
	s_mov_b64 s[4:5], 0
                                        ; implicit-def: $sgpr10
	s_and_saveexec_b64 s[8:9], s[6:7]
	s_xor_b64 s[6:7], exec, s[8:9]
	s_cbranch_execz .LBB2_5625
; %bb.41465:
	s_getpc_b64 s[14:15]
.Lpost_getpc24316:
	s_add_u32 s14, s14, (.LBB2_19961-.Lpost_getpc24316)&4294967295
	s_addc_u32 s15, s15, (.LBB2_19961-.Lpost_getpc24316)>>32
	s_setpc_b64 s[14:15]
.LBB2_5625:
	s_or_saveexec_b64 s[6:7], s[6:7]
	v_mov_b32_e32 v2, s10
	s_xor_b64 exec, exec, s[6:7]
	s_cbranch_execz .LBB2_5626
; %bb.41467:
	s_getpc_b64 s[14:15]
.Lpost_getpc24317:
	s_add_u32 s14, s14, (.LBB2_19964-.Lpost_getpc24317)&4294967295
	s_addc_u32 s15, s15, (.LBB2_19964-.Lpost_getpc24317)>>32
	s_setpc_b64 s[14:15]
.LBB2_5626:
	s_or_b64 exec, exec, s[6:7]
	s_and_saveexec_b64 s[6:7], s[4:5]
	s_cbranch_execz .LBB2_5628
.LBB2_5627:
	v_bfe_u32 v2, v9, 24, 3
	v_ffbh_u32_e32 v7, v2
	v_min_u32_e32 v7, 32, v7
	v_lshrrev_b32_e32 v4, 27, v9
	v_subrev_u32_e32 v8, 28, v7
	v_and_b32_e32 v4, 15, v4
	v_lshlrev_b32_sdwa v8, v8, v9 dst_sel:DWORD dst_unused:UNUSED_PAD src0_sel:DWORD src1_sel:BYTE_3
	v_bfe_u32 v6, v9, 27, 4
	v_sub_u32_e32 v7, 29, v7
	v_and_b32_e32 v8, 7, v8
	v_cmp_eq_u16_e32 vcc, 0, v4
	v_cndmask_b32_e32 v2, v2, v8, vcc
	v_cndmask_b32_e32 v4, v6, v7, vcc
	v_mov_b32_e32 v6, 0x3b800000
	v_and_b32_e32 v3, 0x80000000, v9
	v_lshlrev_b32_e32 v2, 20, v2
	v_lshl_add_u32 v4, v4, 23, v6
	v_or3_b32 v2, v3, v4, v2
.LBB2_5628:
	s_or_b64 exec, exec, s[6:7]
	s_movk_i32 s4, 0x7f
	v_cmp_gt_i16_sdwa s[6:7], v5, s4 src0_sel:BYTE_3 src1_sel:DWORD
	s_mov_b64 s[4:5], 0
                                        ; implicit-def: $sgpr10
	s_and_saveexec_b64 s[8:9], s[6:7]
	s_xor_b64 s[6:7], exec, s[8:9]
	s_cbranch_execz .LBB2_5629
; %bb.41469:
	s_getpc_b64 s[14:15]
.Lpost_getpc24318:
	s_add_u32 s14, s14, (.LBB2_19965-.Lpost_getpc24318)&4294967295
	s_addc_u32 s15, s15, (.LBB2_19965-.Lpost_getpc24318)>>32
	s_setpc_b64 s[14:15]
.LBB2_5629:
	s_or_saveexec_b64 s[6:7], s[6:7]
	v_mov_b32_e32 v3, s10
	s_xor_b64 exec, exec, s[6:7]
	s_cbranch_execz .LBB2_5630
; %bb.41471:
	s_getpc_b64 s[14:15]
.Lpost_getpc24319:
	s_add_u32 s14, s14, (.LBB2_19968-.Lpost_getpc24319)&4294967295
	s_addc_u32 s15, s15, (.LBB2_19968-.Lpost_getpc24319)>>32
	s_setpc_b64 s[14:15]
.LBB2_5630:
	s_or_b64 exec, exec, s[6:7]
	s_and_saveexec_b64 s[6:7], s[4:5]
	s_cbranch_execz .LBB2_5632
.LBB2_5631:
	v_bfe_u32 v3, v5, 24, 3
	v_ffbh_u32_e32 v8, v3
	v_min_u32_e32 v8, 32, v8
	v_lshrrev_b32_e32 v6, 27, v5
	v_subrev_u32_e32 v9, 28, v8
	v_and_b32_e32 v4, 0x80000000, v5
	v_and_b32_e32 v6, 15, v6
	v_bfe_u32 v7, v5, 27, 4
	v_lshlrev_b32_sdwa v5, v9, v5 dst_sel:DWORD dst_unused:UNUSED_PAD src0_sel:DWORD src1_sel:BYTE_3
	v_sub_u32_e32 v8, 29, v8
	v_and_b32_e32 v5, 7, v5
	v_cmp_eq_u16_e32 vcc, 0, v6
	v_cndmask_b32_e32 v3, v3, v5, vcc
	v_cndmask_b32_e32 v5, v7, v8, vcc
	v_mov_b32_e32 v6, 0x3b800000
	v_lshlrev_b32_e32 v3, 20, v3
	v_lshl_add_u32 v5, v5, 23, v6
	v_or3_b32 v3, v4, v5, v3
.LBB2_5632:
	s_or_b64 exec, exec, s[6:7]
	s_nop 0
	v_mfma_f32_16x16x4f32 a[0:3], v2, v3, a[0:3]
	s_movk_i32 s4, 0x7f
                                        ; implicit-def: $sgpr10
	s_nop 7
	s_nop 1
	flat_store_dwordx4 v[10:11], a[0:3] offset:688
	flat_load_dwordx4 v[12:15], v[0:1]
	s_nop 0
	flat_load_dwordx2 v[10:11], v[0:1] offset:16
	s_waitcnt vmcnt(0) lgkmcnt(0)
	flat_load_dwordx4 v[6:9], v[12:13] offset:80
	flat_load_dwordx4 v[2:5], v[14:15] offset:64
	s_waitcnt vmcnt(0) lgkmcnt(0)
	v_cmp_gt_i16_sdwa s[6:7], v6, s4 src0_sel:BYTE_0 src1_sel:DWORD
	s_mov_b64 s[4:5], 0
	s_and_saveexec_b64 s[8:9], s[6:7]
	s_xor_b64 s[6:7], exec, s[8:9]
	s_cbranch_execz .LBB2_5633
; %bb.41473:
	s_getpc_b64 s[14:15]
.Lpost_getpc24320:
	s_add_u32 s14, s14, (.LBB2_19969-.Lpost_getpc24320)&4294967295
	s_addc_u32 s15, s15, (.LBB2_19969-.Lpost_getpc24320)>>32
	s_setpc_b64 s[14:15]
.LBB2_5633:
	s_or_saveexec_b64 s[6:7], s[6:7]
	v_mov_b32_e32 v12, s10
	s_xor_b64 exec, exec, s[6:7]
	s_cbranch_execz .LBB2_5634
; %bb.41475:
	s_getpc_b64 s[14:15]
.Lpost_getpc24321:
	s_add_u32 s14, s14, (.LBB2_19972-.Lpost_getpc24321)&4294967295
	s_addc_u32 s15, s15, (.LBB2_19972-.Lpost_getpc24321)>>32
	s_setpc_b64 s[14:15]
.LBB2_5634:
	s_or_b64 exec, exec, s[6:7]
	s_and_saveexec_b64 s[6:7], s[4:5]
	s_cbranch_execz .LBB2_5636
.LBB2_5635:
	v_and_b32_e32 v12, 7, v6
	v_ffbh_u32_e32 v14, v12
	v_min_u32_e32 v14, 32, v14
	v_lshrrev_b16_e32 v13, 3, v6
	v_subrev_u32_e32 v15, 28, v14
	v_and_b32_e32 v13, 15, v13
	v_lshlrev_b32_e32 v15, v15, v6
	v_sub_u32_e32 v14, 29, v14
	v_and_b32_e32 v15, 7, v15
	v_cmp_eq_u16_e32 vcc, 0, v13
	v_cndmask_b32_e32 v12, v12, v15, vcc
	v_cndmask_b32_e32 v13, v13, v14, vcc
	v_lshlrev_b32_e32 v14, 24, v6
	v_mov_b32_e32 v15, 0x3b800000
	v_lshlrev_b32_e32 v12, 20, v12
	v_and_b32_e32 v14, 0x80000000, v14
	v_lshl_add_u32 v13, v13, 23, v15
	v_or3_b32 v12, v14, v13, v12
.LBB2_5636:
	s_or_b64 exec, exec, s[6:7]
	s_movk_i32 s4, 0x7f
	v_cmp_gt_i16_sdwa s[6:7], v2, s4 src0_sel:BYTE_0 src1_sel:DWORD
	s_mov_b64 s[4:5], 0
                                        ; implicit-def: $sgpr10
	s_and_saveexec_b64 s[8:9], s[6:7]
	s_xor_b64 s[6:7], exec, s[8:9]
	s_cbranch_execz .LBB2_5637
; %bb.41477:
	s_getpc_b64 s[14:15]
.Lpost_getpc24322:
	s_add_u32 s14, s14, (.LBB2_19973-.Lpost_getpc24322)&4294967295
	s_addc_u32 s15, s15, (.LBB2_19973-.Lpost_getpc24322)>>32
	s_setpc_b64 s[14:15]
.LBB2_5637:
	s_or_saveexec_b64 s[6:7], s[6:7]
	v_mov_b32_e32 v13, s10
	s_xor_b64 exec, exec, s[6:7]
	s_cbranch_execz .LBB2_5638
; %bb.41479:
	s_getpc_b64 s[14:15]
.Lpost_getpc24323:
	s_add_u32 s14, s14, (.LBB2_19976-.Lpost_getpc24323)&4294967295
	s_addc_u32 s15, s15, (.LBB2_19976-.Lpost_getpc24323)>>32
	s_setpc_b64 s[14:15]
.LBB2_5638:
	s_or_b64 exec, exec, s[6:7]
	s_and_saveexec_b64 s[6:7], s[4:5]
	s_cbranch_execz .LBB2_5640
.LBB2_5639:
	v_and_b32_e32 v13, 7, v2
	v_ffbh_u32_e32 v15, v13
	v_min_u32_e32 v15, 32, v15
	v_lshrrev_b16_e32 v14, 3, v2
	v_subrev_u32_e32 v16, 28, v15
	v_and_b32_e32 v14, 15, v14
	v_lshlrev_b32_e32 v16, v16, v2
	v_sub_u32_e32 v15, 29, v15
	v_and_b32_e32 v16, 7, v16
	v_cmp_eq_u16_e32 vcc, 0, v14
	v_cndmask_b32_e32 v13, v13, v16, vcc
	v_cndmask_b32_e32 v14, v14, v15, vcc
	v_lshlrev_b32_e32 v15, 24, v2
	v_mov_b32_e32 v16, 0x3b800000
	v_lshlrev_b32_e32 v13, 20, v13
	v_and_b32_e32 v15, 0x80000000, v15
	v_lshl_add_u32 v14, v14, 23, v16
	v_or3_b32 v13, v15, v14, v13
.LBB2_5640:
	s_or_b64 exec, exec, s[6:7]
	flat_load_dwordx4 a[0:3], v[10:11] offset:704
	s_movk_i32 s4, 0x7f
                                        ; implicit-def: $sgpr10
	s_waitcnt vmcnt(0) lgkmcnt(0)
	v_mfma_f32_16x16x4f32 a[0:3], v12, v13, a[0:3]
	v_lshrrev_b32_e32 v13, 8, v6
	v_cmp_gt_i16_sdwa s[6:7], v13, s4 src0_sel:BYTE_0 src1_sel:DWORD
	s_mov_b64 s[4:5], 0
	s_and_saveexec_b64 s[8:9], s[6:7]
	s_xor_b64 s[6:7], exec, s[8:9]
	s_cbranch_execz .LBB2_5641
; %bb.41481:
	s_getpc_b64 s[14:15]
.Lpost_getpc24324:
	s_add_u32 s14, s14, (.LBB2_19977-.Lpost_getpc24324)&4294967295
	s_addc_u32 s15, s15, (.LBB2_19977-.Lpost_getpc24324)>>32
	s_setpc_b64 s[14:15]
.LBB2_5641:
	s_or_saveexec_b64 s[6:7], s[6:7]
	v_mov_b32_e32 v12, s10
	s_xor_b64 exec, exec, s[6:7]
	s_cbranch_execz .LBB2_5642
; %bb.41483:
	s_getpc_b64 s[14:15]
.Lpost_getpc24325:
	s_add_u32 s14, s14, (.LBB2_19980-.Lpost_getpc24325)&4294967295
	s_addc_u32 s15, s15, (.LBB2_19980-.Lpost_getpc24325)>>32
	s_setpc_b64 s[14:15]
.LBB2_5642:
	s_or_b64 exec, exec, s[6:7]
	s_and_saveexec_b64 s[6:7], s[4:5]
	s_cbranch_execz .LBB2_5644
.LBB2_5643:
	v_bfe_u32 v12, v6, 8, 3
	v_ffbh_u32_e32 v15, v12
	v_min_u32_e32 v15, 32, v15
	v_lshrrev_b16_e32 v14, 3, v13
	v_subrev_u32_e32 v16, 28, v15
	v_and_b32_e32 v14, 15, v14
	v_lshlrev_b32_e32 v13, v16, v13
	v_sub_u32_e32 v15, 29, v15
	v_and_b32_e32 v13, 7, v13
	v_cmp_eq_u16_e32 vcc, 0, v14
	v_cndmask_b32_e32 v12, v12, v13, vcc
	v_cndmask_b32_e32 v13, v14, v15, vcc
	v_lshlrev_b32_e32 v14, 16, v6
	v_mov_b32_e32 v15, 0x3b800000
	v_lshlrev_b32_e32 v12, 20, v12
	v_and_b32_e32 v14, 0x80000000, v14
	v_lshl_add_u32 v13, v13, 23, v15
	v_or3_b32 v12, v14, v13, v12
.LBB2_5644:
	s_or_b64 exec, exec, s[6:7]
	v_lshrrev_b32_e32 v13, 8, v2
	s_movk_i32 s4, 0x7f
	v_cmp_gt_i16_sdwa s[6:7], v13, s4 src0_sel:BYTE_0 src1_sel:DWORD
	s_mov_b64 s[4:5], 0
                                        ; implicit-def: $sgpr10
	s_and_saveexec_b64 s[8:9], s[6:7]
	s_xor_b64 s[6:7], exec, s[8:9]
	s_cbranch_execz .LBB2_5645
; %bb.41485:
	s_getpc_b64 s[14:15]
.Lpost_getpc24326:
	s_add_u32 s14, s14, (.LBB2_19981-.Lpost_getpc24326)&4294967295
	s_addc_u32 s15, s15, (.LBB2_19981-.Lpost_getpc24326)>>32
	s_setpc_b64 s[14:15]
.LBB2_5645:
	s_or_saveexec_b64 s[6:7], s[6:7]
	v_mov_b32_e32 v14, s10
	s_xor_b64 exec, exec, s[6:7]
	s_cbranch_execz .LBB2_5646
; %bb.41487:
	s_getpc_b64 s[14:15]
.Lpost_getpc24327:
	s_add_u32 s14, s14, (.LBB2_19984-.Lpost_getpc24327)&4294967295
	s_addc_u32 s15, s15, (.LBB2_19984-.Lpost_getpc24327)>>32
	s_setpc_b64 s[14:15]
.LBB2_5646:
	s_or_b64 exec, exec, s[6:7]
	s_and_saveexec_b64 s[6:7], s[4:5]
	s_cbranch_execz .LBB2_5648
.LBB2_5647:
	v_bfe_u32 v14, v2, 8, 3
	v_ffbh_u32_e32 v16, v14
	v_min_u32_e32 v16, 32, v16
	v_lshrrev_b16_e32 v15, 3, v13
	v_subrev_u32_e32 v17, 28, v16
	v_and_b32_e32 v15, 15, v15
	v_lshlrev_b32_e32 v13, v17, v13
	v_sub_u32_e32 v16, 29, v16
	v_and_b32_e32 v13, 7, v13
	v_cmp_eq_u16_e32 vcc, 0, v15
	v_cndmask_b32_e32 v13, v14, v13, vcc
	v_cndmask_b32_e32 v14, v15, v16, vcc
	v_lshlrev_b32_e32 v15, 16, v2
	v_mov_b32_e32 v16, 0x3b800000
	v_lshlrev_b32_e32 v13, 20, v13
	v_and_b32_e32 v15, 0x80000000, v15
	v_lshl_add_u32 v14, v14, 23, v16
	v_or3_b32 v14, v15, v14, v13
.LBB2_5648:
	s_or_b64 exec, exec, s[6:7]
	s_nop 0
	v_mfma_f32_16x16x4f32 a[0:3], v12, v14, a[0:3]
	s_movk_i32 s4, 0xff
	v_and_b32_sdwa v13, v6, s4 dst_sel:DWORD dst_unused:UNUSED_PAD src0_sel:WORD_1 src1_sel:DWORD
	s_movk_i32 s4, 0x7f
	v_cmp_lt_i16_e32 vcc, s4, v13
	s_mov_b64 s[4:5], 0
                                        ; implicit-def: $sgpr10
	s_and_saveexec_b64 s[6:7], vcc
	s_xor_b64 s[6:7], exec, s[6:7]
	s_cbranch_execz .LBB2_5649
; %bb.41489:
	s_getpc_b64 s[14:15]
.Lpost_getpc24328:
	s_add_u32 s14, s14, (.LBB2_19985-.Lpost_getpc24328)&4294967295
	s_addc_u32 s15, s15, (.LBB2_19985-.Lpost_getpc24328)>>32
	s_setpc_b64 s[14:15]
.LBB2_5649:
	s_or_saveexec_b64 s[6:7], s[6:7]
	v_mov_b32_e32 v12, s10
	s_xor_b64 exec, exec, s[6:7]
	s_cbranch_execz .LBB2_5650
; %bb.41491:
	s_getpc_b64 s[14:15]
.Lpost_getpc24329:
	s_add_u32 s14, s14, (.LBB2_19988-.Lpost_getpc24329)&4294967295
	s_addc_u32 s15, s15, (.LBB2_19988-.Lpost_getpc24329)>>32
	s_setpc_b64 s[14:15]
.LBB2_5650:
	s_or_b64 exec, exec, s[6:7]
	s_and_saveexec_b64 s[6:7], s[4:5]
	s_cbranch_execz .LBB2_5652
.LBB2_5651:
	v_bfe_u32 v12, v6, 16, 3
	v_ffbh_u32_e32 v15, v12
	v_min_u32_e32 v15, 32, v15
	v_lshrrev_b32_e32 v13, 19, v6
	v_subrev_u32_e32 v16, 28, v15
	v_and_b32_e32 v13, 15, v13
	v_lshlrev_b32_sdwa v16, v16, v6 dst_sel:DWORD dst_unused:UNUSED_PAD src0_sel:DWORD src1_sel:WORD_1
	v_bfe_u32 v14, v6, 19, 4
	v_sub_u32_e32 v15, 29, v15
	v_and_b32_e32 v16, 7, v16
	v_cmp_eq_u16_e32 vcc, 0, v13
	v_cndmask_b32_e32 v12, v12, v16, vcc
	v_cndmask_b32_e32 v13, v14, v15, vcc
	v_lshlrev_b32_e32 v14, 8, v6
	v_mov_b32_e32 v15, 0x3b800000
	v_lshlrev_b32_e32 v12, 20, v12
	v_and_b32_e32 v14, 0x80000000, v14
	v_lshl_add_u32 v13, v13, 23, v15
	v_or3_b32 v12, v14, v13, v12
.LBB2_5652:
	s_or_b64 exec, exec, s[6:7]
	s_movk_i32 s4, 0xff
	v_and_b32_sdwa v13, v2, s4 dst_sel:DWORD dst_unused:UNUSED_PAD src0_sel:WORD_1 src1_sel:DWORD
	s_movk_i32 s4, 0x7f
	v_cmp_lt_i16_e32 vcc, s4, v13
	s_mov_b64 s[4:5], 0
                                        ; implicit-def: $sgpr10
	s_and_saveexec_b64 s[6:7], vcc
	s_xor_b64 s[6:7], exec, s[6:7]
	s_cbranch_execz .LBB2_5653
; %bb.41493:
	s_getpc_b64 s[14:15]
.Lpost_getpc24330:
	s_add_u32 s14, s14, (.LBB2_19989-.Lpost_getpc24330)&4294967295
	s_addc_u32 s15, s15, (.LBB2_19989-.Lpost_getpc24330)>>32
	s_setpc_b64 s[14:15]
.LBB2_5653:
	s_or_saveexec_b64 s[6:7], s[6:7]
	v_mov_b32_e32 v14, s10
	s_xor_b64 exec, exec, s[6:7]
	s_cbranch_execz .LBB2_5654
; %bb.41495:
	s_getpc_b64 s[14:15]
.Lpost_getpc24331:
	s_add_u32 s14, s14, (.LBB2_19992-.Lpost_getpc24331)&4294967295
	s_addc_u32 s15, s15, (.LBB2_19992-.Lpost_getpc24331)>>32
	s_setpc_b64 s[14:15]
.LBB2_5654:
	s_or_b64 exec, exec, s[6:7]
	s_and_saveexec_b64 s[6:7], s[4:5]
	s_cbranch_execz .LBB2_5656
.LBB2_5655:
	v_bfe_u32 v13, v2, 16, 3
	v_ffbh_u32_e32 v16, v13
	v_min_u32_e32 v16, 32, v16
	v_lshrrev_b32_e32 v14, 19, v2
	v_subrev_u32_e32 v17, 28, v16
	v_and_b32_e32 v14, 15, v14
	v_lshlrev_b32_sdwa v17, v17, v2 dst_sel:DWORD dst_unused:UNUSED_PAD src0_sel:DWORD src1_sel:WORD_1
	v_bfe_u32 v15, v2, 19, 4
	v_sub_u32_e32 v16, 29, v16
	v_and_b32_e32 v17, 7, v17
	v_cmp_eq_u16_e32 vcc, 0, v14
	v_cndmask_b32_e32 v13, v13, v17, vcc
	v_cndmask_b32_e32 v14, v15, v16, vcc
	v_lshlrev_b32_e32 v15, 8, v2
	v_mov_b32_e32 v16, 0x3b800000
	v_lshlrev_b32_e32 v13, 20, v13
	v_and_b32_e32 v15, 0x80000000, v15
	v_lshl_add_u32 v14, v14, 23, v16
	v_or3_b32 v14, v15, v14, v13
.LBB2_5656:
	s_or_b64 exec, exec, s[6:7]
	s_nop 0
	v_mfma_f32_16x16x4f32 a[0:3], v12, v14, a[0:3]
	s_movk_i32 s4, 0x7f
	v_cmp_gt_i16_sdwa s[6:7], v6, s4 src0_sel:BYTE_3 src1_sel:DWORD
	s_mov_b64 s[4:5], 0
                                        ; implicit-def: $sgpr10
	s_and_saveexec_b64 s[8:9], s[6:7]
	s_xor_b64 s[6:7], exec, s[8:9]
	s_cbranch_execz .LBB2_5657
; %bb.41497:
	s_getpc_b64 s[14:15]
.Lpost_getpc24332:
	s_add_u32 s14, s14, (.LBB2_19993-.Lpost_getpc24332)&4294967295
	s_addc_u32 s15, s15, (.LBB2_19993-.Lpost_getpc24332)>>32
	s_setpc_b64 s[14:15]
.LBB2_5657:
	s_or_saveexec_b64 s[6:7], s[6:7]
	v_mov_b32_e32 v12, s10
	s_xor_b64 exec, exec, s[6:7]
	s_cbranch_execz .LBB2_5658
; %bb.41499:
	s_getpc_b64 s[14:15]
.Lpost_getpc24333:
	s_add_u32 s14, s14, (.LBB2_19996-.Lpost_getpc24333)&4294967295
	s_addc_u32 s15, s15, (.LBB2_19996-.Lpost_getpc24333)>>32
	s_setpc_b64 s[14:15]
.LBB2_5658:
	s_or_b64 exec, exec, s[6:7]
	s_and_saveexec_b64 s[6:7], s[4:5]
	s_cbranch_execz .LBB2_5660
.LBB2_5659:
	v_bfe_u32 v12, v6, 24, 3
	v_ffbh_u32_e32 v16, v12
	v_min_u32_e32 v16, 32, v16
	v_lshrrev_b32_e32 v14, 27, v6
	v_subrev_u32_e32 v17, 28, v16
	v_and_b32_e32 v13, 0x80000000, v6
	v_and_b32_e32 v14, 15, v14
	v_bfe_u32 v15, v6, 27, 4
	v_lshlrev_b32_sdwa v6, v17, v6 dst_sel:DWORD dst_unused:UNUSED_PAD src0_sel:DWORD src1_sel:BYTE_3
	v_sub_u32_e32 v16, 29, v16
	v_and_b32_e32 v6, 7, v6
	v_cmp_eq_u16_e32 vcc, 0, v14
	v_cndmask_b32_e32 v6, v12, v6, vcc
	v_cndmask_b32_e32 v12, v15, v16, vcc
	v_mov_b32_e32 v14, 0x3b800000
	v_lshlrev_b32_e32 v6, 20, v6
	v_lshl_add_u32 v12, v12, 23, v14
	v_or3_b32 v12, v13, v12, v6
.LBB2_5660:
	s_or_b64 exec, exec, s[6:7]
	s_movk_i32 s4, 0x7f
	v_cmp_gt_i16_sdwa s[6:7], v2, s4 src0_sel:BYTE_3 src1_sel:DWORD
	s_mov_b64 s[4:5], 0
                                        ; implicit-def: $sgpr10
	s_and_saveexec_b64 s[8:9], s[6:7]
	s_xor_b64 s[6:7], exec, s[8:9]
	s_cbranch_execz .LBB2_5661
; %bb.41501:
	s_getpc_b64 s[14:15]
.Lpost_getpc24334:
	s_add_u32 s14, s14, (.LBB2_19997-.Lpost_getpc24334)&4294967295
	s_addc_u32 s15, s15, (.LBB2_19997-.Lpost_getpc24334)>>32
	s_setpc_b64 s[14:15]
.LBB2_5661:
	s_or_saveexec_b64 s[6:7], s[6:7]
	v_mov_b32_e32 v6, s10
	s_xor_b64 exec, exec, s[6:7]
	s_cbranch_execz .LBB2_5662
; %bb.41503:
	s_getpc_b64 s[14:15]
.Lpost_getpc24335:
	s_add_u32 s14, s14, (.LBB2_20000-.Lpost_getpc24335)&4294967295
	s_addc_u32 s15, s15, (.LBB2_20000-.Lpost_getpc24335)>>32
	s_setpc_b64 s[14:15]
.LBB2_5662:
	s_or_b64 exec, exec, s[6:7]
	s_and_saveexec_b64 s[6:7], s[4:5]
	s_cbranch_execz .LBB2_5664
.LBB2_5663:
	v_bfe_u32 v6, v2, 24, 3
	v_ffbh_u32_e32 v16, v6
	v_min_u32_e32 v16, 32, v16
	v_lshrrev_b32_e32 v14, 27, v2
	v_subrev_u32_e32 v17, 28, v16
	v_and_b32_e32 v13, 0x80000000, v2
	v_and_b32_e32 v14, 15, v14
	v_bfe_u32 v15, v2, 27, 4
	v_lshlrev_b32_sdwa v2, v17, v2 dst_sel:DWORD dst_unused:UNUSED_PAD src0_sel:DWORD src1_sel:BYTE_3
	v_sub_u32_e32 v16, 29, v16
	v_and_b32_e32 v2, 7, v2
	v_cmp_eq_u16_e32 vcc, 0, v14
	v_cndmask_b32_e32 v2, v6, v2, vcc
	v_cndmask_b32_e32 v6, v15, v16, vcc
	v_mov_b32_e32 v14, 0x3b800000
	v_lshlrev_b32_e32 v2, 20, v2
	v_lshl_add_u32 v6, v6, 23, v14
	v_or3_b32 v6, v13, v6, v2
.LBB2_5664:
	s_or_b64 exec, exec, s[6:7]
	s_nop 0
	v_mfma_f32_16x16x4f32 a[0:3], v12, v6, a[0:3]
	s_movk_i32 s4, 0x7f
	v_cmp_gt_i16_sdwa s[6:7], v7, s4 src0_sel:BYTE_0 src1_sel:DWORD
	s_mov_b64 s[4:5], 0
                                        ; implicit-def: $sgpr10
	s_and_saveexec_b64 s[8:9], s[6:7]
	s_xor_b64 s[6:7], exec, s[8:9]
	s_cbranch_execz .LBB2_5665
; %bb.41505:
	s_getpc_b64 s[14:15]
.Lpost_getpc24336:
	s_add_u32 s14, s14, (.LBB2_20001-.Lpost_getpc24336)&4294967295
	s_addc_u32 s15, s15, (.LBB2_20001-.Lpost_getpc24336)>>32
	s_setpc_b64 s[14:15]
.LBB2_5665:
	s_or_saveexec_b64 s[6:7], s[6:7]
	v_mov_b32_e32 v2, s10
	s_xor_b64 exec, exec, s[6:7]
	s_cbranch_execz .LBB2_5666
; %bb.41507:
	s_getpc_b64 s[14:15]
.Lpost_getpc24337:
	s_add_u32 s14, s14, (.LBB2_20004-.Lpost_getpc24337)&4294967295
	s_addc_u32 s15, s15, (.LBB2_20004-.Lpost_getpc24337)>>32
	s_setpc_b64 s[14:15]
.LBB2_5666:
	s_or_b64 exec, exec, s[6:7]
	s_and_saveexec_b64 s[6:7], s[4:5]
	s_cbranch_execz .LBB2_5668
.LBB2_5667:
	v_and_b32_e32 v2, 7, v7
	v_ffbh_u32_e32 v12, v2
	v_min_u32_e32 v12, 32, v12
	v_lshrrev_b16_e32 v6, 3, v7
	v_subrev_u32_e32 v13, 28, v12
	v_and_b32_e32 v6, 15, v6
	v_lshlrev_b32_e32 v13, v13, v7
	v_sub_u32_e32 v12, 29, v12
	v_and_b32_e32 v13, 7, v13
	v_cmp_eq_u16_e32 vcc, 0, v6
	v_cndmask_b32_e32 v2, v2, v13, vcc
	v_cndmask_b32_e32 v6, v6, v12, vcc
	v_lshlrev_b32_e32 v12, 24, v7
	v_mov_b32_e32 v13, 0x3b800000
	v_lshlrev_b32_e32 v2, 20, v2
	v_and_b32_e32 v12, 0x80000000, v12
	v_lshl_add_u32 v6, v6, 23, v13
	v_or3_b32 v2, v12, v6, v2
.LBB2_5668:
	s_or_b64 exec, exec, s[6:7]
	s_movk_i32 s4, 0x7f
	v_cmp_gt_i16_sdwa s[6:7], v3, s4 src0_sel:BYTE_0 src1_sel:DWORD
	s_mov_b64 s[4:5], 0
                                        ; implicit-def: $sgpr10
	s_and_saveexec_b64 s[8:9], s[6:7]
	s_xor_b64 s[6:7], exec, s[8:9]
	s_cbranch_execz .LBB2_5669
; %bb.41509:
	s_getpc_b64 s[14:15]
.Lpost_getpc24338:
	s_add_u32 s14, s14, (.LBB2_20005-.Lpost_getpc24338)&4294967295
	s_addc_u32 s15, s15, (.LBB2_20005-.Lpost_getpc24338)>>32
	s_setpc_b64 s[14:15]
.LBB2_5669:
	s_or_saveexec_b64 s[6:7], s[6:7]
	v_mov_b32_e32 v6, s10
	s_xor_b64 exec, exec, s[6:7]
	s_cbranch_execz .LBB2_5670
; %bb.41511:
	s_getpc_b64 s[14:15]
.Lpost_getpc24339:
	s_add_u32 s14, s14, (.LBB2_20008-.Lpost_getpc24339)&4294967295
	s_addc_u32 s15, s15, (.LBB2_20008-.Lpost_getpc24339)>>32
	s_setpc_b64 s[14:15]
.LBB2_5670:
	s_or_b64 exec, exec, s[6:7]
	s_and_saveexec_b64 s[6:7], s[4:5]
	s_cbranch_execz .LBB2_5672
.LBB2_5671:
	v_and_b32_e32 v6, 7, v3
	v_ffbh_u32_e32 v13, v6
	v_min_u32_e32 v13, 32, v13
	v_lshrrev_b16_e32 v12, 3, v3
	v_subrev_u32_e32 v14, 28, v13
	v_and_b32_e32 v12, 15, v12
	v_lshlrev_b32_e32 v14, v14, v3
	v_sub_u32_e32 v13, 29, v13
	v_and_b32_e32 v14, 7, v14
	v_cmp_eq_u16_e32 vcc, 0, v12
	v_cndmask_b32_e32 v6, v6, v14, vcc
	v_cndmask_b32_e32 v12, v12, v13, vcc
	v_lshlrev_b32_e32 v13, 24, v3
	v_mov_b32_e32 v14, 0x3b800000
	v_lshlrev_b32_e32 v6, 20, v6
	v_and_b32_e32 v13, 0x80000000, v13
	v_lshl_add_u32 v12, v12, 23, v14
	v_or3_b32 v6, v13, v12, v6
.LBB2_5672:
	s_or_b64 exec, exec, s[6:7]
	s_nop 0
	v_mfma_f32_16x16x4f32 a[0:3], v2, v6, a[0:3]
	v_lshrrev_b32_e32 v6, 8, v7
	s_movk_i32 s4, 0x7f
	v_cmp_gt_i16_sdwa s[6:7], v6, s4 src0_sel:BYTE_0 src1_sel:DWORD
	s_mov_b64 s[4:5], 0
                                        ; implicit-def: $sgpr10
	s_and_saveexec_b64 s[8:9], s[6:7]
	s_xor_b64 s[6:7], exec, s[8:9]
	s_cbranch_execz .LBB2_5673
; %bb.41513:
	s_getpc_b64 s[14:15]
.Lpost_getpc24340:
	s_add_u32 s14, s14, (.LBB2_20009-.Lpost_getpc24340)&4294967295
	s_addc_u32 s15, s15, (.LBB2_20009-.Lpost_getpc24340)>>32
	s_setpc_b64 s[14:15]
.LBB2_5673:
	s_or_saveexec_b64 s[6:7], s[6:7]
	v_mov_b32_e32 v2, s10
	s_xor_b64 exec, exec, s[6:7]
	s_cbranch_execz .LBB2_5674
; %bb.41515:
	s_getpc_b64 s[14:15]
.Lpost_getpc24341:
	s_add_u32 s14, s14, (.LBB2_20012-.Lpost_getpc24341)&4294967295
	s_addc_u32 s15, s15, (.LBB2_20012-.Lpost_getpc24341)>>32
	s_setpc_b64 s[14:15]
.LBB2_5674:
	s_or_b64 exec, exec, s[6:7]
	s_and_saveexec_b64 s[6:7], s[4:5]
	s_cbranch_execz .LBB2_5676
.LBB2_5675:
	v_bfe_u32 v2, v7, 8, 3
	v_ffbh_u32_e32 v13, v2
	v_min_u32_e32 v13, 32, v13
	v_lshrrev_b16_e32 v12, 3, v6
	v_subrev_u32_e32 v14, 28, v13
	v_and_b32_e32 v12, 15, v12
	v_lshlrev_b32_e32 v6, v14, v6
	v_sub_u32_e32 v13, 29, v13
	v_and_b32_e32 v6, 7, v6
	v_cmp_eq_u16_e32 vcc, 0, v12
	v_cndmask_b32_e32 v2, v2, v6, vcc
	v_cndmask_b32_e32 v6, v12, v13, vcc
	v_lshlrev_b32_e32 v12, 16, v7
	v_mov_b32_e32 v13, 0x3b800000
	v_lshlrev_b32_e32 v2, 20, v2
	v_and_b32_e32 v12, 0x80000000, v12
	v_lshl_add_u32 v6, v6, 23, v13
	v_or3_b32 v2, v12, v6, v2
.LBB2_5676:
	s_or_b64 exec, exec, s[6:7]
	v_lshrrev_b32_e32 v6, 8, v3
	s_movk_i32 s4, 0x7f
	v_cmp_gt_i16_sdwa s[6:7], v6, s4 src0_sel:BYTE_0 src1_sel:DWORD
	s_mov_b64 s[4:5], 0
                                        ; implicit-def: $sgpr10
	s_and_saveexec_b64 s[8:9], s[6:7]
	s_xor_b64 s[6:7], exec, s[8:9]
	s_cbranch_execz .LBB2_5677
; %bb.41517:
	s_getpc_b64 s[14:15]
.Lpost_getpc24342:
	s_add_u32 s14, s14, (.LBB2_20013-.Lpost_getpc24342)&4294967295
	s_addc_u32 s15, s15, (.LBB2_20013-.Lpost_getpc24342)>>32
	s_setpc_b64 s[14:15]
.LBB2_5677:
	s_or_saveexec_b64 s[6:7], s[6:7]
	v_mov_b32_e32 v12, s10
	s_xor_b64 exec, exec, s[6:7]
	s_cbranch_execz .LBB2_5678
; %bb.41519:
	s_getpc_b64 s[14:15]
.Lpost_getpc24343:
	s_add_u32 s14, s14, (.LBB2_20016-.Lpost_getpc24343)&4294967295
	s_addc_u32 s15, s15, (.LBB2_20016-.Lpost_getpc24343)>>32
	s_setpc_b64 s[14:15]
.LBB2_5678:
	s_or_b64 exec, exec, s[6:7]
	s_and_saveexec_b64 s[6:7], s[4:5]
	s_cbranch_execz .LBB2_5680
.LBB2_5679:
	v_bfe_u32 v12, v3, 8, 3
	v_ffbh_u32_e32 v14, v12
	v_min_u32_e32 v14, 32, v14
	v_lshrrev_b16_e32 v13, 3, v6
	v_subrev_u32_e32 v15, 28, v14
	v_and_b32_e32 v13, 15, v13
	v_lshlrev_b32_e32 v6, v15, v6
	v_sub_u32_e32 v14, 29, v14
	v_and_b32_e32 v6, 7, v6
	v_cmp_eq_u16_e32 vcc, 0, v13
	v_cndmask_b32_e32 v6, v12, v6, vcc
	v_cndmask_b32_e32 v12, v13, v14, vcc
	v_lshlrev_b32_e32 v13, 16, v3
	v_mov_b32_e32 v14, 0x3b800000
	v_lshlrev_b32_e32 v6, 20, v6
	v_and_b32_e32 v13, 0x80000000, v13
	v_lshl_add_u32 v12, v12, 23, v14
	v_or3_b32 v12, v13, v12, v6
.LBB2_5680:
	s_or_b64 exec, exec, s[6:7]
	s_nop 0
	v_mfma_f32_16x16x4f32 a[0:3], v2, v12, a[0:3]
	s_movk_i32 s4, 0xff
	v_and_b32_sdwa v6, v7, s4 dst_sel:DWORD dst_unused:UNUSED_PAD src0_sel:WORD_1 src1_sel:DWORD
	s_movk_i32 s4, 0x7f
	v_cmp_lt_i16_e32 vcc, s4, v6
	s_mov_b64 s[4:5], 0
                                        ; implicit-def: $sgpr10
	s_and_saveexec_b64 s[6:7], vcc
	s_xor_b64 s[6:7], exec, s[6:7]
	s_cbranch_execz .LBB2_5681
; %bb.41521:
	s_getpc_b64 s[14:15]
.Lpost_getpc24344:
	s_add_u32 s14, s14, (.LBB2_20017-.Lpost_getpc24344)&4294967295
	s_addc_u32 s15, s15, (.LBB2_20017-.Lpost_getpc24344)>>32
	s_setpc_b64 s[14:15]
.LBB2_5681:
	s_or_saveexec_b64 s[6:7], s[6:7]
	v_mov_b32_e32 v2, s10
	s_xor_b64 exec, exec, s[6:7]
	s_cbranch_execz .LBB2_5682
; %bb.41523:
	s_getpc_b64 s[14:15]
.Lpost_getpc24345:
	s_add_u32 s14, s14, (.LBB2_20020-.Lpost_getpc24345)&4294967295
	s_addc_u32 s15, s15, (.LBB2_20020-.Lpost_getpc24345)>>32
	s_setpc_b64 s[14:15]
.LBB2_5682:
	s_or_b64 exec, exec, s[6:7]
	s_and_saveexec_b64 s[6:7], s[4:5]
	s_cbranch_execz .LBB2_5684
.LBB2_5683:
	v_bfe_u32 v2, v7, 16, 3
	v_ffbh_u32_e32 v13, v2
	v_min_u32_e32 v13, 32, v13
	v_lshrrev_b32_e32 v6, 19, v7
	v_subrev_u32_e32 v14, 28, v13
	v_and_b32_e32 v6, 15, v6
	v_lshlrev_b32_sdwa v14, v14, v7 dst_sel:DWORD dst_unused:UNUSED_PAD src0_sel:DWORD src1_sel:WORD_1
	v_bfe_u32 v12, v7, 19, 4
	v_sub_u32_e32 v13, 29, v13
	v_and_b32_e32 v14, 7, v14
	v_cmp_eq_u16_e32 vcc, 0, v6
	v_cndmask_b32_e32 v2, v2, v14, vcc
	v_cndmask_b32_e32 v6, v12, v13, vcc
	v_lshlrev_b32_e32 v12, 8, v7
	v_mov_b32_e32 v13, 0x3b800000
	v_lshlrev_b32_e32 v2, 20, v2
	v_and_b32_e32 v12, 0x80000000, v12
	v_lshl_add_u32 v6, v6, 23, v13
	v_or3_b32 v2, v12, v6, v2
.LBB2_5684:
	s_or_b64 exec, exec, s[6:7]
	s_movk_i32 s4, 0xff
	v_and_b32_sdwa v6, v3, s4 dst_sel:DWORD dst_unused:UNUSED_PAD src0_sel:WORD_1 src1_sel:DWORD
	s_movk_i32 s4, 0x7f
	v_cmp_lt_i16_e32 vcc, s4, v6
	s_mov_b64 s[4:5], 0
                                        ; implicit-def: $sgpr10
	s_and_saveexec_b64 s[6:7], vcc
	s_xor_b64 s[6:7], exec, s[6:7]
	s_cbranch_execz .LBB2_5685
; %bb.41525:
	s_getpc_b64 s[14:15]
.Lpost_getpc24346:
	s_add_u32 s14, s14, (.LBB2_20021-.Lpost_getpc24346)&4294967295
	s_addc_u32 s15, s15, (.LBB2_20021-.Lpost_getpc24346)>>32
	s_setpc_b64 s[14:15]
.LBB2_5685:
	s_or_saveexec_b64 s[6:7], s[6:7]
	v_mov_b32_e32 v12, s10
	s_xor_b64 exec, exec, s[6:7]
	s_cbranch_execz .LBB2_5686
; %bb.41527:
	s_getpc_b64 s[14:15]
.Lpost_getpc24347:
	s_add_u32 s14, s14, (.LBB2_20024-.Lpost_getpc24347)&4294967295
	s_addc_u32 s15, s15, (.LBB2_20024-.Lpost_getpc24347)>>32
	s_setpc_b64 s[14:15]
.LBB2_5686:
	s_or_b64 exec, exec, s[6:7]
	s_and_saveexec_b64 s[6:7], s[4:5]
	s_cbranch_execz .LBB2_5688
.LBB2_5687:
	v_bfe_u32 v6, v3, 16, 3
	v_ffbh_u32_e32 v14, v6
	v_min_u32_e32 v14, 32, v14
	v_lshrrev_b32_e32 v12, 19, v3
	v_subrev_u32_e32 v15, 28, v14
	v_and_b32_e32 v12, 15, v12
	v_lshlrev_b32_sdwa v15, v15, v3 dst_sel:DWORD dst_unused:UNUSED_PAD src0_sel:DWORD src1_sel:WORD_1
	v_bfe_u32 v13, v3, 19, 4
	v_sub_u32_e32 v14, 29, v14
	v_and_b32_e32 v15, 7, v15
	v_cmp_eq_u16_e32 vcc, 0, v12
	v_cndmask_b32_e32 v6, v6, v15, vcc
	v_cndmask_b32_e32 v12, v13, v14, vcc
	v_lshlrev_b32_e32 v13, 8, v3
	v_mov_b32_e32 v14, 0x3b800000
	v_lshlrev_b32_e32 v6, 20, v6
	v_and_b32_e32 v13, 0x80000000, v13
	v_lshl_add_u32 v12, v12, 23, v14
	v_or3_b32 v12, v13, v12, v6
.LBB2_5688:
	s_or_b64 exec, exec, s[6:7]
	s_nop 0
	v_mfma_f32_16x16x4f32 a[0:3], v2, v12, a[0:3]
	s_movk_i32 s4, 0x7f
	v_cmp_gt_i16_sdwa s[6:7], v7, s4 src0_sel:BYTE_3 src1_sel:DWORD
	s_mov_b64 s[4:5], 0
                                        ; implicit-def: $sgpr10
	s_and_saveexec_b64 s[8:9], s[6:7]
	s_xor_b64 s[6:7], exec, s[8:9]
	s_cbranch_execz .LBB2_5689
; %bb.41529:
	s_getpc_b64 s[14:15]
.Lpost_getpc24348:
	s_add_u32 s14, s14, (.LBB2_20025-.Lpost_getpc24348)&4294967295
	s_addc_u32 s15, s15, (.LBB2_20025-.Lpost_getpc24348)>>32
	s_setpc_b64 s[14:15]
.LBB2_5689:
	s_or_saveexec_b64 s[6:7], s[6:7]
	v_mov_b32_e32 v2, s10
	s_xor_b64 exec, exec, s[6:7]
	s_cbranch_execz .LBB2_5690
; %bb.41531:
	s_getpc_b64 s[14:15]
.Lpost_getpc24349:
	s_add_u32 s14, s14, (.LBB2_20028-.Lpost_getpc24349)&4294967295
	s_addc_u32 s15, s15, (.LBB2_20028-.Lpost_getpc24349)>>32
	s_setpc_b64 s[14:15]
.LBB2_5690:
	s_or_b64 exec, exec, s[6:7]
	s_and_saveexec_b64 s[6:7], s[4:5]
	s_cbranch_execz .LBB2_5692
.LBB2_5691:
	v_bfe_u32 v2, v7, 24, 3
	v_ffbh_u32_e32 v14, v2
	v_min_u32_e32 v14, 32, v14
	v_lshrrev_b32_e32 v12, 27, v7
	v_subrev_u32_e32 v15, 28, v14
	v_and_b32_e32 v6, 0x80000000, v7
	v_and_b32_e32 v12, 15, v12
	v_bfe_u32 v13, v7, 27, 4
	v_lshlrev_b32_sdwa v7, v15, v7 dst_sel:DWORD dst_unused:UNUSED_PAD src0_sel:DWORD src1_sel:BYTE_3
	v_sub_u32_e32 v14, 29, v14
	v_and_b32_e32 v7, 7, v7
	v_cmp_eq_u16_e32 vcc, 0, v12
	v_cndmask_b32_e32 v2, v2, v7, vcc
	v_cndmask_b32_e32 v7, v13, v14, vcc
	v_mov_b32_e32 v12, 0x3b800000
	v_lshlrev_b32_e32 v2, 20, v2
	v_lshl_add_u32 v7, v7, 23, v12
	v_or3_b32 v2, v6, v7, v2
.LBB2_5692:
	s_or_b64 exec, exec, s[6:7]
	s_movk_i32 s4, 0x7f
	v_cmp_gt_i16_sdwa s[6:7], v3, s4 src0_sel:BYTE_3 src1_sel:DWORD
	s_mov_b64 s[4:5], 0
                                        ; implicit-def: $sgpr10
	s_and_saveexec_b64 s[8:9], s[6:7]
	s_xor_b64 s[6:7], exec, s[8:9]
	s_cbranch_execz .LBB2_5693
; %bb.41533:
	s_getpc_b64 s[14:15]
.Lpost_getpc24350:
	s_add_u32 s14, s14, (.LBB2_20029-.Lpost_getpc24350)&4294967295
	s_addc_u32 s15, s15, (.LBB2_20029-.Lpost_getpc24350)>>32
	s_setpc_b64 s[14:15]
.LBB2_5693:
	s_or_saveexec_b64 s[6:7], s[6:7]
	v_mov_b32_e32 v6, s10
	s_xor_b64 exec, exec, s[6:7]
	s_cbranch_execz .LBB2_5694
; %bb.41535:
	s_getpc_b64 s[14:15]
.Lpost_getpc24351:
	s_add_u32 s14, s14, (.LBB2_20032-.Lpost_getpc24351)&4294967295
	s_addc_u32 s15, s15, (.LBB2_20032-.Lpost_getpc24351)>>32
	s_setpc_b64 s[14:15]
.LBB2_5694:
	s_or_b64 exec, exec, s[6:7]
	s_and_saveexec_b64 s[6:7], s[4:5]
	s_cbranch_execz .LBB2_5696
.LBB2_5695:
	v_bfe_u32 v6, v3, 24, 3
	v_ffbh_u32_e32 v14, v6
	v_min_u32_e32 v14, 32, v14
	v_lshrrev_b32_e32 v12, 27, v3
	v_subrev_u32_e32 v15, 28, v14
	v_and_b32_e32 v7, 0x80000000, v3
	v_and_b32_e32 v12, 15, v12
	v_bfe_u32 v13, v3, 27, 4
	v_lshlrev_b32_sdwa v3, v15, v3 dst_sel:DWORD dst_unused:UNUSED_PAD src0_sel:DWORD src1_sel:BYTE_3
	v_sub_u32_e32 v14, 29, v14
	v_and_b32_e32 v3, 7, v3
	v_cmp_eq_u16_e32 vcc, 0, v12
	v_cndmask_b32_e32 v3, v6, v3, vcc
	v_cndmask_b32_e32 v6, v13, v14, vcc
	v_mov_b32_e32 v12, 0x3b800000
	v_lshlrev_b32_e32 v3, 20, v3
	v_lshl_add_u32 v6, v6, 23, v12
	v_or3_b32 v6, v7, v6, v3
.LBB2_5696:
	s_or_b64 exec, exec, s[6:7]
	s_nop 0
	v_mfma_f32_16x16x4f32 a[0:3], v2, v6, a[0:3]
	s_movk_i32 s4, 0x7f
	v_cmp_gt_i16_sdwa s[6:7], v8, s4 src0_sel:BYTE_0 src1_sel:DWORD
	s_mov_b64 s[4:5], 0
                                        ; implicit-def: $sgpr10
	s_and_saveexec_b64 s[8:9], s[6:7]
	s_xor_b64 s[6:7], exec, s[8:9]
	s_cbranch_execz .LBB2_5697
; %bb.41537:
	s_getpc_b64 s[14:15]
.Lpost_getpc24352:
	s_add_u32 s14, s14, (.LBB2_20033-.Lpost_getpc24352)&4294967295
	s_addc_u32 s15, s15, (.LBB2_20033-.Lpost_getpc24352)>>32
	s_setpc_b64 s[14:15]
.LBB2_5697:
	s_or_saveexec_b64 s[6:7], s[6:7]
	v_mov_b32_e32 v2, s10
	s_xor_b64 exec, exec, s[6:7]
	s_cbranch_execz .LBB2_5698
; %bb.41539:
	s_getpc_b64 s[14:15]
.Lpost_getpc24353:
	s_add_u32 s14, s14, (.LBB2_20036-.Lpost_getpc24353)&4294967295
	s_addc_u32 s15, s15, (.LBB2_20036-.Lpost_getpc24353)>>32
	s_setpc_b64 s[14:15]
.LBB2_5698:
	s_or_b64 exec, exec, s[6:7]
	s_and_saveexec_b64 s[6:7], s[4:5]
	s_cbranch_execz .LBB2_5700
.LBB2_5699:
	v_and_b32_e32 v2, 7, v8
	v_ffbh_u32_e32 v6, v2
	v_min_u32_e32 v6, 32, v6
	v_lshrrev_b16_e32 v3, 3, v8
	v_subrev_u32_e32 v7, 28, v6
	v_and_b32_e32 v3, 15, v3
	v_lshlrev_b32_e32 v7, v7, v8
	v_sub_u32_e32 v6, 29, v6
	v_and_b32_e32 v7, 7, v7
	v_cmp_eq_u16_e32 vcc, 0, v3
	v_cndmask_b32_e32 v2, v2, v7, vcc
	v_cndmask_b32_e32 v3, v3, v6, vcc
	v_lshlrev_b32_e32 v6, 24, v8
	v_mov_b32_e32 v7, 0x3b800000
	v_lshlrev_b32_e32 v2, 20, v2
	v_and_b32_e32 v6, 0x80000000, v6
	v_lshl_add_u32 v3, v3, 23, v7
	v_or3_b32 v2, v6, v3, v2
.LBB2_5700:
	s_or_b64 exec, exec, s[6:7]
	s_movk_i32 s4, 0x7f
	v_cmp_gt_i16_sdwa s[6:7], v4, s4 src0_sel:BYTE_0 src1_sel:DWORD
	s_mov_b64 s[4:5], 0
                                        ; implicit-def: $sgpr10
	s_and_saveexec_b64 s[8:9], s[6:7]
	s_xor_b64 s[6:7], exec, s[8:9]
	s_cbranch_execz .LBB2_5701
; %bb.41541:
	s_getpc_b64 s[14:15]
.Lpost_getpc24354:
	s_add_u32 s14, s14, (.LBB2_20037-.Lpost_getpc24354)&4294967295
	s_addc_u32 s15, s15, (.LBB2_20037-.Lpost_getpc24354)>>32
	s_setpc_b64 s[14:15]
.LBB2_5701:
	s_or_saveexec_b64 s[6:7], s[6:7]
	v_mov_b32_e32 v3, s10
	s_xor_b64 exec, exec, s[6:7]
	s_cbranch_execz .LBB2_5702
; %bb.41543:
	s_getpc_b64 s[14:15]
.Lpost_getpc24355:
	s_add_u32 s14, s14, (.LBB2_20040-.Lpost_getpc24355)&4294967295
	s_addc_u32 s15, s15, (.LBB2_20040-.Lpost_getpc24355)>>32
	s_setpc_b64 s[14:15]
.LBB2_5702:
	s_or_b64 exec, exec, s[6:7]
	s_and_saveexec_b64 s[6:7], s[4:5]
	s_cbranch_execz .LBB2_5704
.LBB2_5703:
	v_and_b32_e32 v3, 7, v4
	v_ffbh_u32_e32 v7, v3
	v_min_u32_e32 v7, 32, v7
	v_lshrrev_b16_e32 v6, 3, v4
	v_subrev_u32_e32 v12, 28, v7
	v_and_b32_e32 v6, 15, v6
	v_lshlrev_b32_e32 v12, v12, v4
	v_sub_u32_e32 v7, 29, v7
	v_and_b32_e32 v12, 7, v12
	v_cmp_eq_u16_e32 vcc, 0, v6
	v_cndmask_b32_e32 v3, v3, v12, vcc
	v_cndmask_b32_e32 v6, v6, v7, vcc
	v_lshlrev_b32_e32 v7, 24, v4
	v_mov_b32_e32 v12, 0x3b800000
	v_lshlrev_b32_e32 v3, 20, v3
	v_and_b32_e32 v7, 0x80000000, v7
	v_lshl_add_u32 v6, v6, 23, v12
	v_or3_b32 v3, v7, v6, v3
.LBB2_5704:
	s_or_b64 exec, exec, s[6:7]
	s_nop 0
	v_mfma_f32_16x16x4f32 a[0:3], v2, v3, a[0:3]
	v_lshrrev_b32_e32 v3, 8, v8
	s_movk_i32 s4, 0x7f
	v_cmp_gt_i16_sdwa s[6:7], v3, s4 src0_sel:BYTE_0 src1_sel:DWORD
	s_mov_b64 s[4:5], 0
                                        ; implicit-def: $sgpr10
	s_and_saveexec_b64 s[8:9], s[6:7]
	s_xor_b64 s[6:7], exec, s[8:9]
	s_cbranch_execz .LBB2_5705
; %bb.41545:
	s_getpc_b64 s[14:15]
.Lpost_getpc24356:
	s_add_u32 s14, s14, (.LBB2_20041-.Lpost_getpc24356)&4294967295
	s_addc_u32 s15, s15, (.LBB2_20041-.Lpost_getpc24356)>>32
	s_setpc_b64 s[14:15]
.LBB2_5705:
	s_or_saveexec_b64 s[6:7], s[6:7]
	v_mov_b32_e32 v2, s10
	s_xor_b64 exec, exec, s[6:7]
	s_cbranch_execz .LBB2_5706
; %bb.41547:
	s_getpc_b64 s[14:15]
.Lpost_getpc24357:
	s_add_u32 s14, s14, (.LBB2_20044-.Lpost_getpc24357)&4294967295
	s_addc_u32 s15, s15, (.LBB2_20044-.Lpost_getpc24357)>>32
	s_setpc_b64 s[14:15]
.LBB2_5706:
	s_or_b64 exec, exec, s[6:7]
	s_and_saveexec_b64 s[6:7], s[4:5]
	s_cbranch_execz .LBB2_5708
.LBB2_5707:
	v_bfe_u32 v2, v8, 8, 3
	v_ffbh_u32_e32 v7, v2
	v_min_u32_e32 v7, 32, v7
	v_lshrrev_b16_e32 v6, 3, v3
	v_subrev_u32_e32 v12, 28, v7
	v_and_b32_e32 v6, 15, v6
	v_lshlrev_b32_e32 v3, v12, v3
	v_sub_u32_e32 v7, 29, v7
	v_and_b32_e32 v3, 7, v3
	v_cmp_eq_u16_e32 vcc, 0, v6
	v_cndmask_b32_e32 v2, v2, v3, vcc
	v_cndmask_b32_e32 v3, v6, v7, vcc
	v_lshlrev_b32_e32 v6, 16, v8
	v_mov_b32_e32 v7, 0x3b800000
	v_lshlrev_b32_e32 v2, 20, v2
	v_and_b32_e32 v6, 0x80000000, v6
	v_lshl_add_u32 v3, v3, 23, v7
	v_or3_b32 v2, v6, v3, v2
.LBB2_5708:
	s_or_b64 exec, exec, s[6:7]
	v_lshrrev_b32_e32 v3, 8, v4
	s_movk_i32 s4, 0x7f
	v_cmp_gt_i16_sdwa s[6:7], v3, s4 src0_sel:BYTE_0 src1_sel:DWORD
	s_mov_b64 s[4:5], 0
                                        ; implicit-def: $sgpr10
	s_and_saveexec_b64 s[8:9], s[6:7]
	s_xor_b64 s[6:7], exec, s[8:9]
	s_cbranch_execz .LBB2_5709
; %bb.41549:
	s_getpc_b64 s[14:15]
.Lpost_getpc24358:
	s_add_u32 s14, s14, (.LBB2_20045-.Lpost_getpc24358)&4294967295
	s_addc_u32 s15, s15, (.LBB2_20045-.Lpost_getpc24358)>>32
	s_setpc_b64 s[14:15]
.LBB2_5709:
	s_or_saveexec_b64 s[6:7], s[6:7]
	v_mov_b32_e32 v6, s10
	s_xor_b64 exec, exec, s[6:7]
	s_cbranch_execz .LBB2_5710
; %bb.41551:
	s_getpc_b64 s[14:15]
.Lpost_getpc24359:
	s_add_u32 s14, s14, (.LBB2_20048-.Lpost_getpc24359)&4294967295
	s_addc_u32 s15, s15, (.LBB2_20048-.Lpost_getpc24359)>>32
	s_setpc_b64 s[14:15]
.LBB2_5710:
	s_or_b64 exec, exec, s[6:7]
	s_and_saveexec_b64 s[6:7], s[4:5]
	s_cbranch_execz .LBB2_5712
.LBB2_5711:
	v_bfe_u32 v6, v4, 8, 3
	v_ffbh_u32_e32 v12, v6
	v_min_u32_e32 v12, 32, v12
	v_lshrrev_b16_e32 v7, 3, v3
	v_subrev_u32_e32 v13, 28, v12
	v_and_b32_e32 v7, 15, v7
	v_lshlrev_b32_e32 v3, v13, v3
	v_sub_u32_e32 v12, 29, v12
	v_and_b32_e32 v3, 7, v3
	v_cmp_eq_u16_e32 vcc, 0, v7
	v_cndmask_b32_e32 v3, v6, v3, vcc
	v_cndmask_b32_e32 v6, v7, v12, vcc
	v_lshlrev_b32_e32 v7, 16, v4
	v_mov_b32_e32 v12, 0x3b800000
	v_lshlrev_b32_e32 v3, 20, v3
	v_and_b32_e32 v7, 0x80000000, v7
	v_lshl_add_u32 v6, v6, 23, v12
	v_or3_b32 v6, v7, v6, v3
.LBB2_5712:
	s_or_b64 exec, exec, s[6:7]
	s_nop 0
	v_mfma_f32_16x16x4f32 a[0:3], v2, v6, a[0:3]
	s_movk_i32 s4, 0xff
	v_and_b32_sdwa v3, v8, s4 dst_sel:DWORD dst_unused:UNUSED_PAD src0_sel:WORD_1 src1_sel:DWORD
	s_movk_i32 s4, 0x7f
	v_cmp_lt_i16_e32 vcc, s4, v3
	s_mov_b64 s[4:5], 0
                                        ; implicit-def: $sgpr10
	s_and_saveexec_b64 s[6:7], vcc
	s_xor_b64 s[6:7], exec, s[6:7]
	s_cbranch_execz .LBB2_5713
; %bb.41553:
	s_getpc_b64 s[14:15]
.Lpost_getpc24360:
	s_add_u32 s14, s14, (.LBB2_20049-.Lpost_getpc24360)&4294967295
	s_addc_u32 s15, s15, (.LBB2_20049-.Lpost_getpc24360)>>32
	s_setpc_b64 s[14:15]
.LBB2_5713:
	s_or_saveexec_b64 s[6:7], s[6:7]
	v_mov_b32_e32 v2, s10
	s_xor_b64 exec, exec, s[6:7]
	s_cbranch_execz .LBB2_5714
; %bb.41555:
	s_getpc_b64 s[14:15]
.Lpost_getpc24361:
	s_add_u32 s14, s14, (.LBB2_20052-.Lpost_getpc24361)&4294967295
	s_addc_u32 s15, s15, (.LBB2_20052-.Lpost_getpc24361)>>32
	s_setpc_b64 s[14:15]
.LBB2_5714:
	s_or_b64 exec, exec, s[6:7]
	s_and_saveexec_b64 s[6:7], s[4:5]
	s_cbranch_execz .LBB2_5716
.LBB2_5715:
	v_bfe_u32 v2, v8, 16, 3
	v_ffbh_u32_e32 v7, v2
	v_min_u32_e32 v7, 32, v7
	v_lshrrev_b32_e32 v3, 19, v8
	v_subrev_u32_e32 v12, 28, v7
	v_and_b32_e32 v3, 15, v3
	v_lshlrev_b32_sdwa v12, v12, v8 dst_sel:DWORD dst_unused:UNUSED_PAD src0_sel:DWORD src1_sel:WORD_1
	v_bfe_u32 v6, v8, 19, 4
	v_sub_u32_e32 v7, 29, v7
	v_and_b32_e32 v12, 7, v12
	v_cmp_eq_u16_e32 vcc, 0, v3
	v_cndmask_b32_e32 v2, v2, v12, vcc
	v_cndmask_b32_e32 v3, v6, v7, vcc
	v_lshlrev_b32_e32 v6, 8, v8
	v_mov_b32_e32 v7, 0x3b800000
	v_lshlrev_b32_e32 v2, 20, v2
	v_and_b32_e32 v6, 0x80000000, v6
	v_lshl_add_u32 v3, v3, 23, v7
	v_or3_b32 v2, v6, v3, v2
.LBB2_5716:
	s_or_b64 exec, exec, s[6:7]
	s_movk_i32 s4, 0xff
	v_and_b32_sdwa v3, v4, s4 dst_sel:DWORD dst_unused:UNUSED_PAD src0_sel:WORD_1 src1_sel:DWORD
	s_movk_i32 s4, 0x7f
	v_cmp_lt_i16_e32 vcc, s4, v3
	s_mov_b64 s[4:5], 0
                                        ; implicit-def: $sgpr10
	s_and_saveexec_b64 s[6:7], vcc
	s_xor_b64 s[6:7], exec, s[6:7]
	s_cbranch_execz .LBB2_5717
; %bb.41557:
	s_getpc_b64 s[14:15]
.Lpost_getpc24362:
	s_add_u32 s14, s14, (.LBB2_20053-.Lpost_getpc24362)&4294967295
	s_addc_u32 s15, s15, (.LBB2_20053-.Lpost_getpc24362)>>32
	s_setpc_b64 s[14:15]
.LBB2_5717:
	s_or_saveexec_b64 s[6:7], s[6:7]
	v_mov_b32_e32 v6, s10
	s_xor_b64 exec, exec, s[6:7]
	s_cbranch_execz .LBB2_5718
; %bb.41559:
	s_getpc_b64 s[14:15]
.Lpost_getpc24363:
	s_add_u32 s14, s14, (.LBB2_20056-.Lpost_getpc24363)&4294967295
	s_addc_u32 s15, s15, (.LBB2_20056-.Lpost_getpc24363)>>32
	s_setpc_b64 s[14:15]
.LBB2_5718:
	s_or_b64 exec, exec, s[6:7]
	s_and_saveexec_b64 s[6:7], s[4:5]
	s_cbranch_execz .LBB2_5720
.LBB2_5719:
	v_bfe_u32 v3, v4, 16, 3
	v_ffbh_u32_e32 v12, v3
	v_min_u32_e32 v12, 32, v12
	v_lshrrev_b32_e32 v6, 19, v4
	v_subrev_u32_e32 v13, 28, v12
	v_and_b32_e32 v6, 15, v6
	v_lshlrev_b32_sdwa v13, v13, v4 dst_sel:DWORD dst_unused:UNUSED_PAD src0_sel:DWORD src1_sel:WORD_1
	v_bfe_u32 v7, v4, 19, 4
	v_sub_u32_e32 v12, 29, v12
	v_and_b32_e32 v13, 7, v13
	v_cmp_eq_u16_e32 vcc, 0, v6
	v_cndmask_b32_e32 v3, v3, v13, vcc
	v_cndmask_b32_e32 v6, v7, v12, vcc
	v_lshlrev_b32_e32 v7, 8, v4
	v_mov_b32_e32 v12, 0x3b800000
	v_lshlrev_b32_e32 v3, 20, v3
	v_and_b32_e32 v7, 0x80000000, v7
	v_lshl_add_u32 v6, v6, 23, v12
	v_or3_b32 v6, v7, v6, v3
.LBB2_5720:
	s_or_b64 exec, exec, s[6:7]
	s_nop 0
	v_mfma_f32_16x16x4f32 a[0:3], v2, v6, a[0:3]
	s_movk_i32 s4, 0x7f
	v_cmp_gt_i16_sdwa s[6:7], v8, s4 src0_sel:BYTE_3 src1_sel:DWORD
	s_mov_b64 s[4:5], 0
                                        ; implicit-def: $sgpr10
	s_and_saveexec_b64 s[8:9], s[6:7]
	s_xor_b64 s[6:7], exec, s[8:9]
	s_cbranch_execz .LBB2_5721
; %bb.41561:
	s_getpc_b64 s[14:15]
.Lpost_getpc24364:
	s_add_u32 s14, s14, (.LBB2_20057-.Lpost_getpc24364)&4294967295
	s_addc_u32 s15, s15, (.LBB2_20057-.Lpost_getpc24364)>>32
	s_setpc_b64 s[14:15]
.LBB2_5721:
	s_or_saveexec_b64 s[6:7], s[6:7]
	v_mov_b32_e32 v2, s10
	s_xor_b64 exec, exec, s[6:7]
	s_cbranch_execz .LBB2_5722
; %bb.41563:
	s_getpc_b64 s[14:15]
.Lpost_getpc24365:
	s_add_u32 s14, s14, (.LBB2_20060-.Lpost_getpc24365)&4294967295
	s_addc_u32 s15, s15, (.LBB2_20060-.Lpost_getpc24365)>>32
	s_setpc_b64 s[14:15]
.LBB2_5722:
	s_or_b64 exec, exec, s[6:7]
	s_and_saveexec_b64 s[6:7], s[4:5]
	s_cbranch_execz .LBB2_5724
.LBB2_5723:
	v_bfe_u32 v2, v8, 24, 3
	v_ffbh_u32_e32 v12, v2
	v_min_u32_e32 v12, 32, v12
	v_lshrrev_b32_e32 v6, 27, v8
	v_subrev_u32_e32 v13, 28, v12
	v_and_b32_e32 v3, 0x80000000, v8
	v_and_b32_e32 v6, 15, v6
	v_bfe_u32 v7, v8, 27, 4
	v_lshlrev_b32_sdwa v8, v13, v8 dst_sel:DWORD dst_unused:UNUSED_PAD src0_sel:DWORD src1_sel:BYTE_3
	v_sub_u32_e32 v12, 29, v12
	v_and_b32_e32 v8, 7, v8
	v_cmp_eq_u16_e32 vcc, 0, v6
	v_cndmask_b32_e32 v2, v2, v8, vcc
	v_cndmask_b32_e32 v6, v7, v12, vcc
	v_mov_b32_e32 v7, 0x3b800000
	v_lshlrev_b32_e32 v2, 20, v2
	v_lshl_add_u32 v6, v6, 23, v7
	v_or3_b32 v2, v3, v6, v2
.LBB2_5724:
	s_or_b64 exec, exec, s[6:7]
	s_movk_i32 s4, 0x7f
	v_cmp_gt_i16_sdwa s[6:7], v4, s4 src0_sel:BYTE_3 src1_sel:DWORD
	s_mov_b64 s[4:5], 0
                                        ; implicit-def: $sgpr10
	s_and_saveexec_b64 s[8:9], s[6:7]
	s_xor_b64 s[6:7], exec, s[8:9]
	s_cbranch_execz .LBB2_5725
; %bb.41565:
	s_getpc_b64 s[14:15]
.Lpost_getpc24366:
	s_add_u32 s14, s14, (.LBB2_20061-.Lpost_getpc24366)&4294967295
	s_addc_u32 s15, s15, (.LBB2_20061-.Lpost_getpc24366)>>32
	s_setpc_b64 s[14:15]
.LBB2_5725:
	s_or_saveexec_b64 s[6:7], s[6:7]
	v_mov_b32_e32 v3, s10
	s_xor_b64 exec, exec, s[6:7]
	s_cbranch_execz .LBB2_5726
; %bb.41567:
	s_getpc_b64 s[14:15]
.Lpost_getpc24367:
	s_add_u32 s14, s14, (.LBB2_20064-.Lpost_getpc24367)&4294967295
	s_addc_u32 s15, s15, (.LBB2_20064-.Lpost_getpc24367)>>32
	s_setpc_b64 s[14:15]
.LBB2_5726:
	s_or_b64 exec, exec, s[6:7]
	s_and_saveexec_b64 s[6:7], s[4:5]
	s_cbranch_execz .LBB2_5728
.LBB2_5727:
	v_bfe_u32 v3, v4, 24, 3
	v_ffbh_u32_e32 v12, v3
	v_min_u32_e32 v12, 32, v12
	v_lshrrev_b32_e32 v7, 27, v4
	v_subrev_u32_e32 v13, 28, v12
	v_and_b32_e32 v6, 0x80000000, v4
	v_and_b32_e32 v7, 15, v7
	v_bfe_u32 v8, v4, 27, 4
	v_lshlrev_b32_sdwa v4, v13, v4 dst_sel:DWORD dst_unused:UNUSED_PAD src0_sel:DWORD src1_sel:BYTE_3
	v_sub_u32_e32 v12, 29, v12
	v_and_b32_e32 v4, 7, v4
	v_cmp_eq_u16_e32 vcc, 0, v7
	v_cndmask_b32_e32 v3, v3, v4, vcc
	v_cndmask_b32_e32 v4, v8, v12, vcc
	v_mov_b32_e32 v7, 0x3b800000
	v_lshlrev_b32_e32 v3, 20, v3
	v_lshl_add_u32 v4, v4, 23, v7
	v_or3_b32 v3, v6, v4, v3
.LBB2_5728:
	s_or_b64 exec, exec, s[6:7]
	s_nop 0
	v_mfma_f32_16x16x4f32 a[0:3], v2, v3, a[0:3]
	s_movk_i32 s4, 0x7f
	v_cmp_gt_i16_sdwa s[6:7], v9, s4 src0_sel:BYTE_0 src1_sel:DWORD
	s_mov_b64 s[4:5], 0
                                        ; implicit-def: $sgpr10
	s_and_saveexec_b64 s[8:9], s[6:7]
	s_xor_b64 s[6:7], exec, s[8:9]
	s_cbranch_execz .LBB2_5729
; %bb.41569:
	s_getpc_b64 s[14:15]
.Lpost_getpc24368:
	s_add_u32 s14, s14, (.LBB2_20065-.Lpost_getpc24368)&4294967295
	s_addc_u32 s15, s15, (.LBB2_20065-.Lpost_getpc24368)>>32
	s_setpc_b64 s[14:15]
.LBB2_5729:
	s_or_saveexec_b64 s[6:7], s[6:7]
	v_mov_b32_e32 v2, s10
	s_xor_b64 exec, exec, s[6:7]
	s_cbranch_execz .LBB2_5730
; %bb.41571:
	s_getpc_b64 s[14:15]
.Lpost_getpc24369:
	s_add_u32 s14, s14, (.LBB2_20068-.Lpost_getpc24369)&4294967295
	s_addc_u32 s15, s15, (.LBB2_20068-.Lpost_getpc24369)>>32
	s_setpc_b64 s[14:15]
.LBB2_5730:
	s_or_b64 exec, exec, s[6:7]
	s_and_saveexec_b64 s[6:7], s[4:5]
	s_cbranch_execz .LBB2_5732
.LBB2_5731:
	v_mov_b32_e32 v2, 8
	v_and_b32_e32 v3, 7, v9
	v_lshrrev_b32_sdwa v2, v2, v9 dst_sel:BYTE_1 dst_unused:UNUSED_PAD src0_sel:DWORD src1_sel:DWORD
	v_ffbh_u32_e32 v4, v3
	v_or_b32_sdwa v2, v9, v2 dst_sel:DWORD dst_unused:UNUSED_PAD src0_sel:BYTE_0 src1_sel:DWORD
	v_min_u32_e32 v4, 32, v4
	v_lshrrev_b16_e32 v2, 3, v2
	v_subrev_u32_e32 v6, 28, v4
	v_and_b32_e32 v2, 15, v2
	v_lshlrev_b32_e32 v6, v6, v9
	v_sub_u32_e32 v4, 29, v4
	v_and_b32_e32 v6, 7, v6
	v_cmp_eq_u16_e32 vcc, 0, v2
	v_cndmask_b32_e32 v3, v3, v6, vcc
	v_cndmask_b32_e32 v2, v2, v4, vcc
	v_lshlrev_b32_e32 v4, 24, v9
	v_mov_b32_e32 v6, 0x3b800000
	v_lshlrev_b32_e32 v3, 20, v3
	v_and_b32_e32 v4, 0x80000000, v4
	v_lshl_add_u32 v2, v2, 23, v6
	v_or3_b32 v2, v4, v2, v3
.LBB2_5732:
	s_or_b64 exec, exec, s[6:7]
	s_movk_i32 s4, 0x7f
	v_cmp_gt_i16_sdwa s[6:7], v5, s4 src0_sel:BYTE_0 src1_sel:DWORD
	s_mov_b64 s[4:5], 0
                                        ; implicit-def: $sgpr10
	s_and_saveexec_b64 s[8:9], s[6:7]
	s_xor_b64 s[6:7], exec, s[8:9]
	s_cbranch_execz .LBB2_5733
; %bb.41573:
	s_getpc_b64 s[14:15]
.Lpost_getpc24370:
	s_add_u32 s14, s14, (.LBB2_20069-.Lpost_getpc24370)&4294967295
	s_addc_u32 s15, s15, (.LBB2_20069-.Lpost_getpc24370)>>32
	s_setpc_b64 s[14:15]
.LBB2_5733:
	s_or_saveexec_b64 s[6:7], s[6:7]
	v_mov_b32_e32 v3, s10
	s_xor_b64 exec, exec, s[6:7]
	s_cbranch_execz .LBB2_5734
; %bb.41575:
	s_getpc_b64 s[14:15]
.Lpost_getpc24371:
	s_add_u32 s14, s14, (.LBB2_20072-.Lpost_getpc24371)&4294967295
	s_addc_u32 s15, s15, (.LBB2_20072-.Lpost_getpc24371)>>32
	s_setpc_b64 s[14:15]
.LBB2_5734:
	s_or_b64 exec, exec, s[6:7]
	s_and_saveexec_b64 s[6:7], s[4:5]
	s_cbranch_execz .LBB2_5736
.LBB2_5735:
	v_mov_b32_e32 v3, 8
	v_and_b32_e32 v4, 7, v5
	v_lshrrev_b32_sdwa v3, v3, v5 dst_sel:BYTE_1 dst_unused:UNUSED_PAD src0_sel:DWORD src1_sel:DWORD
	v_ffbh_u32_e32 v6, v4
	v_or_b32_sdwa v3, v5, v3 dst_sel:DWORD dst_unused:UNUSED_PAD src0_sel:BYTE_0 src1_sel:DWORD
	v_min_u32_e32 v6, 32, v6
	v_lshrrev_b16_e32 v3, 3, v3
	v_subrev_u32_e32 v7, 28, v6
	v_and_b32_e32 v3, 15, v3
	v_lshlrev_b32_e32 v7, v7, v5
	v_sub_u32_e32 v6, 29, v6
	v_and_b32_e32 v7, 7, v7
	v_cmp_eq_u16_e32 vcc, 0, v3
	v_cndmask_b32_e32 v4, v4, v7, vcc
	v_cndmask_b32_e32 v3, v3, v6, vcc
	v_lshlrev_b32_e32 v6, 24, v5
	v_mov_b32_e32 v7, 0x3b800000
	v_lshlrev_b32_e32 v4, 20, v4
	v_and_b32_e32 v6, 0x80000000, v6
	v_lshl_add_u32 v3, v3, 23, v7
	v_or3_b32 v3, v6, v3, v4
.LBB2_5736:
	s_or_b64 exec, exec, s[6:7]
	s_nop 0
	v_mfma_f32_16x16x4f32 a[0:3], v2, v3, a[0:3]
	v_lshrrev_b32_e32 v3, 8, v9
	s_movk_i32 s4, 0x7f
	v_cmp_gt_i16_sdwa s[6:7], v3, s4 src0_sel:BYTE_0 src1_sel:DWORD
	s_mov_b64 s[4:5], 0
                                        ; implicit-def: $sgpr10
	s_and_saveexec_b64 s[8:9], s[6:7]
	s_xor_b64 s[6:7], exec, s[8:9]
	s_cbranch_execz .LBB2_5737
; %bb.41577:
	s_getpc_b64 s[14:15]
.Lpost_getpc24372:
	s_add_u32 s14, s14, (.LBB2_20073-.Lpost_getpc24372)&4294967295
	s_addc_u32 s15, s15, (.LBB2_20073-.Lpost_getpc24372)>>32
	s_setpc_b64 s[14:15]
.LBB2_5737:
	s_or_saveexec_b64 s[6:7], s[6:7]
	v_mov_b32_e32 v2, s10
	s_xor_b64 exec, exec, s[6:7]
	s_cbranch_execz .LBB2_5738
; %bb.41579:
	s_getpc_b64 s[14:15]
.Lpost_getpc24373:
	s_add_u32 s14, s14, (.LBB2_20076-.Lpost_getpc24373)&4294967295
	s_addc_u32 s15, s15, (.LBB2_20076-.Lpost_getpc24373)>>32
	s_setpc_b64 s[14:15]
.LBB2_5738:
	s_or_b64 exec, exec, s[6:7]
	s_and_saveexec_b64 s[6:7], s[4:5]
	s_cbranch_execz .LBB2_5740
.LBB2_5739:
	v_bfe_u32 v2, v9, 8, 3
	v_ffbh_u32_e32 v6, v2
	v_min_u32_e32 v6, 32, v6
	v_lshrrev_b16_e32 v4, 3, v3
	v_subrev_u32_e32 v7, 28, v6
	v_and_b32_e32 v4, 15, v4
	v_lshlrev_b32_e32 v3, v7, v3
	v_sub_u32_e32 v6, 29, v6
	v_and_b32_e32 v3, 7, v3
	v_cmp_eq_u16_e32 vcc, 0, v4
	v_cndmask_b32_e32 v2, v2, v3, vcc
	v_cndmask_b32_e32 v3, v4, v6, vcc
	v_lshlrev_b32_e32 v4, 16, v9
	v_mov_b32_e32 v6, 0x3b800000
	v_lshlrev_b32_e32 v2, 20, v2
	v_and_b32_e32 v4, 0x80000000, v4
	v_lshl_add_u32 v3, v3, 23, v6
	v_or3_b32 v2, v4, v3, v2
.LBB2_5740:
	s_or_b64 exec, exec, s[6:7]
	v_lshrrev_b32_e32 v3, 8, v5
	s_movk_i32 s4, 0x7f
	v_cmp_gt_i16_sdwa s[6:7], v3, s4 src0_sel:BYTE_0 src1_sel:DWORD
	s_mov_b64 s[4:5], 0
                                        ; implicit-def: $sgpr10
	s_and_saveexec_b64 s[8:9], s[6:7]
	s_xor_b64 s[6:7], exec, s[8:9]
	s_cbranch_execz .LBB2_5741
; %bb.41581:
	s_getpc_b64 s[14:15]
.Lpost_getpc24374:
	s_add_u32 s14, s14, (.LBB2_20077-.Lpost_getpc24374)&4294967295
	s_addc_u32 s15, s15, (.LBB2_20077-.Lpost_getpc24374)>>32
	s_setpc_b64 s[14:15]
.LBB2_5741:
	s_or_saveexec_b64 s[6:7], s[6:7]
	v_mov_b32_e32 v4, s10
	s_xor_b64 exec, exec, s[6:7]
	s_cbranch_execz .LBB2_5742
; %bb.41583:
	s_getpc_b64 s[14:15]
.Lpost_getpc24375:
	s_add_u32 s14, s14, (.LBB2_20080-.Lpost_getpc24375)&4294967295
	s_addc_u32 s15, s15, (.LBB2_20080-.Lpost_getpc24375)>>32
	s_setpc_b64 s[14:15]
.LBB2_5742:
	s_or_b64 exec, exec, s[6:7]
	s_and_saveexec_b64 s[6:7], s[4:5]
	s_cbranch_execz .LBB2_5744
.LBB2_5743:
	v_bfe_u32 v4, v5, 8, 3
	v_ffbh_u32_e32 v7, v4
	v_min_u32_e32 v7, 32, v7
	v_lshrrev_b16_e32 v6, 3, v3
	v_subrev_u32_e32 v8, 28, v7
	v_and_b32_e32 v6, 15, v6
	v_lshlrev_b32_e32 v3, v8, v3
	v_sub_u32_e32 v7, 29, v7
	v_and_b32_e32 v3, 7, v3
	v_cmp_eq_u16_e32 vcc, 0, v6
	v_cndmask_b32_e32 v3, v4, v3, vcc
	v_cndmask_b32_e32 v4, v6, v7, vcc
	v_lshlrev_b32_e32 v6, 16, v5
	v_mov_b32_e32 v7, 0x3b800000
	v_lshlrev_b32_e32 v3, 20, v3
	v_and_b32_e32 v6, 0x80000000, v6
	v_lshl_add_u32 v4, v4, 23, v7
	v_or3_b32 v4, v6, v4, v3
.LBB2_5744:
	s_or_b64 exec, exec, s[6:7]
	s_nop 0
	v_mfma_f32_16x16x4f32 a[0:3], v2, v4, a[0:3]
	s_movk_i32 s4, 0xff
	v_and_b32_sdwa v3, v9, s4 dst_sel:DWORD dst_unused:UNUSED_PAD src0_sel:WORD_1 src1_sel:DWORD
	s_movk_i32 s4, 0x7f
	v_cmp_lt_i16_e32 vcc, s4, v3
	s_mov_b64 s[4:5], 0
                                        ; implicit-def: $sgpr10
	s_and_saveexec_b64 s[6:7], vcc
	s_xor_b64 s[6:7], exec, s[6:7]
	s_cbranch_execz .LBB2_5745
; %bb.41585:
	s_getpc_b64 s[14:15]
.Lpost_getpc24376:
	s_add_u32 s14, s14, (.LBB2_20081-.Lpost_getpc24376)&4294967295
	s_addc_u32 s15, s15, (.LBB2_20081-.Lpost_getpc24376)>>32
	s_setpc_b64 s[14:15]
.LBB2_5745:
	s_or_saveexec_b64 s[6:7], s[6:7]
	v_mov_b32_e32 v2, s10
	s_xor_b64 exec, exec, s[6:7]
	s_cbranch_execz .LBB2_5746
; %bb.41587:
	s_getpc_b64 s[14:15]
.Lpost_getpc24377:
	s_add_u32 s14, s14, (.LBB2_20084-.Lpost_getpc24377)&4294967295
	s_addc_u32 s15, s15, (.LBB2_20084-.Lpost_getpc24377)>>32
	s_setpc_b64 s[14:15]
.LBB2_5746:
	s_or_b64 exec, exec, s[6:7]
	s_and_saveexec_b64 s[6:7], s[4:5]
	s_cbranch_execz .LBB2_5748
.LBB2_5747:
	v_bfe_u32 v2, v9, 16, 3
	v_ffbh_u32_e32 v6, v2
	v_min_u32_e32 v6, 32, v6
	v_lshrrev_b32_e32 v3, 19, v9
	v_subrev_u32_e32 v7, 28, v6
	v_and_b32_e32 v3, 15, v3
	v_lshlrev_b32_sdwa v7, v7, v9 dst_sel:DWORD dst_unused:UNUSED_PAD src0_sel:DWORD src1_sel:WORD_1
	v_bfe_u32 v4, v9, 19, 4
	v_sub_u32_e32 v6, 29, v6
	v_and_b32_e32 v7, 7, v7
	v_cmp_eq_u16_e32 vcc, 0, v3
	v_cndmask_b32_e32 v2, v2, v7, vcc
	v_cndmask_b32_e32 v3, v4, v6, vcc
	v_lshlrev_b32_e32 v4, 8, v9
	v_mov_b32_e32 v6, 0x3b800000
	v_lshlrev_b32_e32 v2, 20, v2
	v_and_b32_e32 v4, 0x80000000, v4
	v_lshl_add_u32 v3, v3, 23, v6
	v_or3_b32 v2, v4, v3, v2
.LBB2_5748:
	s_or_b64 exec, exec, s[6:7]
	s_movk_i32 s4, 0xff
	v_and_b32_sdwa v3, v5, s4 dst_sel:DWORD dst_unused:UNUSED_PAD src0_sel:WORD_1 src1_sel:DWORD
	s_movk_i32 s4, 0x7f
	v_cmp_lt_i16_e32 vcc, s4, v3
	s_mov_b64 s[4:5], 0
                                        ; implicit-def: $sgpr10
	s_and_saveexec_b64 s[6:7], vcc
	s_xor_b64 s[6:7], exec, s[6:7]
	s_cbranch_execz .LBB2_5749
; %bb.41589:
	s_getpc_b64 s[14:15]
.Lpost_getpc24378:
	s_add_u32 s14, s14, (.LBB2_20085-.Lpost_getpc24378)&4294967295
	s_addc_u32 s15, s15, (.LBB2_20085-.Lpost_getpc24378)>>32
	s_setpc_b64 s[14:15]
.LBB2_5749:
	s_or_saveexec_b64 s[6:7], s[6:7]
	v_mov_b32_e32 v4, s10
	s_xor_b64 exec, exec, s[6:7]
	s_cbranch_execz .LBB2_5750
; %bb.41591:
	s_getpc_b64 s[14:15]
.Lpost_getpc24379:
	s_add_u32 s14, s14, (.LBB2_20088-.Lpost_getpc24379)&4294967295
	s_addc_u32 s15, s15, (.LBB2_20088-.Lpost_getpc24379)>>32
	s_setpc_b64 s[14:15]
.LBB2_5750:
	s_or_b64 exec, exec, s[6:7]
	s_and_saveexec_b64 s[6:7], s[4:5]
	s_cbranch_execz .LBB2_5752
.LBB2_5751:
	v_bfe_u32 v3, v5, 16, 3
	v_ffbh_u32_e32 v7, v3
	v_min_u32_e32 v7, 32, v7
	v_lshrrev_b32_e32 v4, 19, v5
	v_subrev_u32_e32 v8, 28, v7
	v_and_b32_e32 v4, 15, v4
	v_lshlrev_b32_sdwa v8, v8, v5 dst_sel:DWORD dst_unused:UNUSED_PAD src0_sel:DWORD src1_sel:WORD_1
	v_bfe_u32 v6, v5, 19, 4
	v_sub_u32_e32 v7, 29, v7
	v_and_b32_e32 v8, 7, v8
	v_cmp_eq_u16_e32 vcc, 0, v4
	v_cndmask_b32_e32 v3, v3, v8, vcc
	v_cndmask_b32_e32 v4, v6, v7, vcc
	v_lshlrev_b32_e32 v6, 8, v5
	v_mov_b32_e32 v7, 0x3b800000
	v_lshlrev_b32_e32 v3, 20, v3
	v_and_b32_e32 v6, 0x80000000, v6
	v_lshl_add_u32 v4, v4, 23, v7
	v_or3_b32 v4, v6, v4, v3
.LBB2_5752:
	s_or_b64 exec, exec, s[6:7]
	s_nop 0
	v_mfma_f32_16x16x4f32 a[0:3], v2, v4, a[0:3]
	s_movk_i32 s4, 0x7f
	v_cmp_gt_i16_sdwa s[6:7], v9, s4 src0_sel:BYTE_3 src1_sel:DWORD
	s_mov_b64 s[4:5], 0
                                        ; implicit-def: $sgpr10
	s_and_saveexec_b64 s[8:9], s[6:7]
	s_xor_b64 s[6:7], exec, s[8:9]
	s_cbranch_execz .LBB2_5753
; %bb.41593:
	s_getpc_b64 s[14:15]
.Lpost_getpc24380:
	s_add_u32 s14, s14, (.LBB2_20089-.Lpost_getpc24380)&4294967295
	s_addc_u32 s15, s15, (.LBB2_20089-.Lpost_getpc24380)>>32
	s_setpc_b64 s[14:15]
.LBB2_5753:
	s_or_saveexec_b64 s[6:7], s[6:7]
	v_mov_b32_e32 v2, s10
	s_xor_b64 exec, exec, s[6:7]
	s_cbranch_execz .LBB2_5754
; %bb.41595:
	s_getpc_b64 s[14:15]
.Lpost_getpc24381:
	s_add_u32 s14, s14, (.LBB2_20092-.Lpost_getpc24381)&4294967295
	s_addc_u32 s15, s15, (.LBB2_20092-.Lpost_getpc24381)>>32
	s_setpc_b64 s[14:15]
.LBB2_5754:
	s_or_b64 exec, exec, s[6:7]
	s_and_saveexec_b64 s[6:7], s[4:5]
	s_cbranch_execz .LBB2_5756
.LBB2_5755:
	v_bfe_u32 v2, v9, 24, 3
	v_ffbh_u32_e32 v7, v2
	v_min_u32_e32 v7, 32, v7
	v_lshrrev_b32_e32 v4, 27, v9
	v_subrev_u32_e32 v8, 28, v7
	v_and_b32_e32 v4, 15, v4
	v_lshlrev_b32_sdwa v8, v8, v9 dst_sel:DWORD dst_unused:UNUSED_PAD src0_sel:DWORD src1_sel:BYTE_3
	v_bfe_u32 v6, v9, 27, 4
	v_sub_u32_e32 v7, 29, v7
	v_and_b32_e32 v8, 7, v8
	v_cmp_eq_u16_e32 vcc, 0, v4
	v_cndmask_b32_e32 v2, v2, v8, vcc
	v_cndmask_b32_e32 v4, v6, v7, vcc
	v_mov_b32_e32 v6, 0x3b800000
	v_and_b32_e32 v3, 0x80000000, v9
	v_lshlrev_b32_e32 v2, 20, v2
	v_lshl_add_u32 v4, v4, 23, v6
	v_or3_b32 v2, v3, v4, v2
.LBB2_5756:
	s_or_b64 exec, exec, s[6:7]
	s_movk_i32 s4, 0x7f
	v_cmp_gt_i16_sdwa s[6:7], v5, s4 src0_sel:BYTE_3 src1_sel:DWORD
	s_mov_b64 s[4:5], 0
                                        ; implicit-def: $sgpr10
	s_and_saveexec_b64 s[8:9], s[6:7]
	s_xor_b64 s[6:7], exec, s[8:9]
	s_cbranch_execz .LBB2_5757
; %bb.41597:
	s_getpc_b64 s[14:15]
.Lpost_getpc24382:
	s_add_u32 s14, s14, (.LBB2_20093-.Lpost_getpc24382)&4294967295
	s_addc_u32 s15, s15, (.LBB2_20093-.Lpost_getpc24382)>>32
	s_setpc_b64 s[14:15]
.LBB2_5757:
	s_or_saveexec_b64 s[6:7], s[6:7]
	v_mov_b32_e32 v3, s10
	s_xor_b64 exec, exec, s[6:7]
	s_cbranch_execz .LBB2_5758
; %bb.41599:
	s_getpc_b64 s[14:15]
.Lpost_getpc24383:
	s_add_u32 s14, s14, (.LBB2_20096-.Lpost_getpc24383)&4294967295
	s_addc_u32 s15, s15, (.LBB2_20096-.Lpost_getpc24383)>>32
	s_setpc_b64 s[14:15]
.LBB2_5758:
	s_or_b64 exec, exec, s[6:7]
	s_and_saveexec_b64 s[6:7], s[4:5]
	s_cbranch_execz .LBB2_5760
.LBB2_5759:
	v_bfe_u32 v3, v5, 24, 3
	v_ffbh_u32_e32 v8, v3
	v_min_u32_e32 v8, 32, v8
	v_lshrrev_b32_e32 v6, 27, v5
	v_subrev_u32_e32 v9, 28, v8
	v_and_b32_e32 v4, 0x80000000, v5
	v_and_b32_e32 v6, 15, v6
	v_bfe_u32 v7, v5, 27, 4
	v_lshlrev_b32_sdwa v5, v9, v5 dst_sel:DWORD dst_unused:UNUSED_PAD src0_sel:DWORD src1_sel:BYTE_3
	v_sub_u32_e32 v8, 29, v8
	v_and_b32_e32 v5, 7, v5
	v_cmp_eq_u16_e32 vcc, 0, v6
	v_cndmask_b32_e32 v3, v3, v5, vcc
	v_cndmask_b32_e32 v5, v7, v8, vcc
	v_mov_b32_e32 v6, 0x3b800000
	v_lshlrev_b32_e32 v3, 20, v3
	v_lshl_add_u32 v5, v5, 23, v6
	v_or3_b32 v3, v4, v5, v3
.LBB2_5760:
	s_or_b64 exec, exec, s[6:7]
	s_nop 0
	v_mfma_f32_16x16x4f32 a[0:3], v2, v3, a[0:3]
	s_movk_i32 s4, 0x7f
                                        ; implicit-def: $sgpr10
	s_nop 7
	s_nop 1
	flat_store_dwordx4 v[10:11], a[0:3] offset:704
	flat_load_dwordx4 v[12:15], v[0:1]
	s_nop 0
	flat_load_dwordx2 v[10:11], v[0:1] offset:16
	s_waitcnt vmcnt(0) lgkmcnt(0)
	flat_load_dwordx4 v[6:9], v[12:13] offset:80
	flat_load_dwordx4 v[2:5], v[14:15] offset:80
	s_waitcnt vmcnt(0) lgkmcnt(0)
	v_cmp_gt_i16_sdwa s[6:7], v6, s4 src0_sel:BYTE_0 src1_sel:DWORD
	s_mov_b64 s[4:5], 0
	s_and_saveexec_b64 s[8:9], s[6:7]
	s_xor_b64 s[6:7], exec, s[8:9]
	s_cbranch_execz .LBB2_5761
; %bb.41601:
	s_getpc_b64 s[14:15]
.Lpost_getpc24384:
	s_add_u32 s14, s14, (.LBB2_20097-.Lpost_getpc24384)&4294967295
	s_addc_u32 s15, s15, (.LBB2_20097-.Lpost_getpc24384)>>32
	s_setpc_b64 s[14:15]
.LBB2_5761:
	s_or_saveexec_b64 s[6:7], s[6:7]
	v_mov_b32_e32 v12, s10
	s_xor_b64 exec, exec, s[6:7]
	s_cbranch_execz .LBB2_5762
; %bb.41603:
	s_getpc_b64 s[14:15]
.Lpost_getpc24385:
	s_add_u32 s14, s14, (.LBB2_20100-.Lpost_getpc24385)&4294967295
	s_addc_u32 s15, s15, (.LBB2_20100-.Lpost_getpc24385)>>32
	s_setpc_b64 s[14:15]
.LBB2_5762:
	s_or_b64 exec, exec, s[6:7]
	s_and_saveexec_b64 s[6:7], s[4:5]
	s_cbranch_execz .LBB2_5764
.LBB2_5763:
	v_and_b32_e32 v12, 7, v6
	v_ffbh_u32_e32 v14, v12
	v_min_u32_e32 v14, 32, v14
	v_lshrrev_b16_e32 v13, 3, v6
	v_subrev_u32_e32 v15, 28, v14
	v_and_b32_e32 v13, 15, v13
	v_lshlrev_b32_e32 v15, v15, v6
	v_sub_u32_e32 v14, 29, v14
	v_and_b32_e32 v15, 7, v15
	v_cmp_eq_u16_e32 vcc, 0, v13
	v_cndmask_b32_e32 v12, v12, v15, vcc
	v_cndmask_b32_e32 v13, v13, v14, vcc
	v_lshlrev_b32_e32 v14, 24, v6
	v_mov_b32_e32 v15, 0x3b800000
	v_lshlrev_b32_e32 v12, 20, v12
	v_and_b32_e32 v14, 0x80000000, v14
	v_lshl_add_u32 v13, v13, 23, v15
	v_or3_b32 v12, v14, v13, v12
.LBB2_5764:
	s_or_b64 exec, exec, s[6:7]
	s_movk_i32 s4, 0x7f
	v_cmp_gt_i16_sdwa s[6:7], v2, s4 src0_sel:BYTE_0 src1_sel:DWORD
	s_mov_b64 s[4:5], 0
                                        ; implicit-def: $sgpr10
	s_and_saveexec_b64 s[8:9], s[6:7]
	s_xor_b64 s[6:7], exec, s[8:9]
	s_cbranch_execz .LBB2_5765
; %bb.41605:
	s_getpc_b64 s[14:15]
.Lpost_getpc24386:
	s_add_u32 s14, s14, (.LBB2_20101-.Lpost_getpc24386)&4294967295
	s_addc_u32 s15, s15, (.LBB2_20101-.Lpost_getpc24386)>>32
	s_setpc_b64 s[14:15]
.LBB2_5765:
	s_or_saveexec_b64 s[6:7], s[6:7]
	v_mov_b32_e32 v13, s10
	s_xor_b64 exec, exec, s[6:7]
	s_cbranch_execz .LBB2_5766
; %bb.41607:
	s_getpc_b64 s[14:15]
.Lpost_getpc24387:
	s_add_u32 s14, s14, (.LBB2_20104-.Lpost_getpc24387)&4294967295
	s_addc_u32 s15, s15, (.LBB2_20104-.Lpost_getpc24387)>>32
	s_setpc_b64 s[14:15]
.LBB2_5766:
	s_or_b64 exec, exec, s[6:7]
	s_and_saveexec_b64 s[6:7], s[4:5]
	s_cbranch_execz .LBB2_5768
.LBB2_5767:
	v_and_b32_e32 v13, 7, v2
	v_ffbh_u32_e32 v15, v13
	v_min_u32_e32 v15, 32, v15
	v_lshrrev_b16_e32 v14, 3, v2
	v_subrev_u32_e32 v16, 28, v15
	v_and_b32_e32 v14, 15, v14
	v_lshlrev_b32_e32 v16, v16, v2
	v_sub_u32_e32 v15, 29, v15
	v_and_b32_e32 v16, 7, v16
	v_cmp_eq_u16_e32 vcc, 0, v14
	v_cndmask_b32_e32 v13, v13, v16, vcc
	v_cndmask_b32_e32 v14, v14, v15, vcc
	v_lshlrev_b32_e32 v15, 24, v2
	v_mov_b32_e32 v16, 0x3b800000
	v_lshlrev_b32_e32 v13, 20, v13
	v_and_b32_e32 v15, 0x80000000, v15
	v_lshl_add_u32 v14, v14, 23, v16
	v_or3_b32 v13, v15, v14, v13
.LBB2_5768:
	s_or_b64 exec, exec, s[6:7]
	flat_load_dwordx4 a[0:3], v[10:11] offset:720
	s_movk_i32 s4, 0x7f
                                        ; implicit-def: $sgpr10
	s_waitcnt vmcnt(0) lgkmcnt(0)
	v_mfma_f32_16x16x4f32 a[0:3], v12, v13, a[0:3]
	v_lshrrev_b32_e32 v13, 8, v6
	v_cmp_gt_i16_sdwa s[6:7], v13, s4 src0_sel:BYTE_0 src1_sel:DWORD
	s_mov_b64 s[4:5], 0
	s_and_saveexec_b64 s[8:9], s[6:7]
	s_xor_b64 s[6:7], exec, s[8:9]
	s_cbranch_execz .LBB2_5769
; %bb.41609:
	s_getpc_b64 s[14:15]
.Lpost_getpc24388:
	s_add_u32 s14, s14, (.LBB2_20105-.Lpost_getpc24388)&4294967295
	s_addc_u32 s15, s15, (.LBB2_20105-.Lpost_getpc24388)>>32
	s_setpc_b64 s[14:15]
.LBB2_5769:
	s_or_saveexec_b64 s[6:7], s[6:7]
	v_mov_b32_e32 v12, s10
	s_xor_b64 exec, exec, s[6:7]
	s_cbranch_execz .LBB2_5770
; %bb.41611:
	s_getpc_b64 s[14:15]
.Lpost_getpc24389:
	s_add_u32 s14, s14, (.LBB2_20108-.Lpost_getpc24389)&4294967295
	s_addc_u32 s15, s15, (.LBB2_20108-.Lpost_getpc24389)>>32
	s_setpc_b64 s[14:15]
.LBB2_5770:
	s_or_b64 exec, exec, s[6:7]
	s_and_saveexec_b64 s[6:7], s[4:5]
	s_cbranch_execz .LBB2_5772
.LBB2_5771:
	v_bfe_u32 v12, v6, 8, 3
	v_ffbh_u32_e32 v15, v12
	v_min_u32_e32 v15, 32, v15
	v_lshrrev_b16_e32 v14, 3, v13
	v_subrev_u32_e32 v16, 28, v15
	v_and_b32_e32 v14, 15, v14
	v_lshlrev_b32_e32 v13, v16, v13
	v_sub_u32_e32 v15, 29, v15
	v_and_b32_e32 v13, 7, v13
	v_cmp_eq_u16_e32 vcc, 0, v14
	v_cndmask_b32_e32 v12, v12, v13, vcc
	v_cndmask_b32_e32 v13, v14, v15, vcc
	v_lshlrev_b32_e32 v14, 16, v6
	v_mov_b32_e32 v15, 0x3b800000
	v_lshlrev_b32_e32 v12, 20, v12
	v_and_b32_e32 v14, 0x80000000, v14
	v_lshl_add_u32 v13, v13, 23, v15
	v_or3_b32 v12, v14, v13, v12
.LBB2_5772:
	s_or_b64 exec, exec, s[6:7]
	v_lshrrev_b32_e32 v13, 8, v2
	s_movk_i32 s4, 0x7f
	v_cmp_gt_i16_sdwa s[6:7], v13, s4 src0_sel:BYTE_0 src1_sel:DWORD
	s_mov_b64 s[4:5], 0
                                        ; implicit-def: $sgpr10
	s_and_saveexec_b64 s[8:9], s[6:7]
	s_xor_b64 s[6:7], exec, s[8:9]
	s_cbranch_execz .LBB2_5773
; %bb.41613:
	s_getpc_b64 s[14:15]
.Lpost_getpc24390:
	s_add_u32 s14, s14, (.LBB2_20109-.Lpost_getpc24390)&4294967295
	s_addc_u32 s15, s15, (.LBB2_20109-.Lpost_getpc24390)>>32
	s_setpc_b64 s[14:15]
.LBB2_5773:
	s_or_saveexec_b64 s[6:7], s[6:7]
	v_mov_b32_e32 v14, s10
	s_xor_b64 exec, exec, s[6:7]
	s_cbranch_execz .LBB2_5774
; %bb.41615:
	s_getpc_b64 s[14:15]
.Lpost_getpc24391:
	s_add_u32 s14, s14, (.LBB2_20112-.Lpost_getpc24391)&4294967295
	s_addc_u32 s15, s15, (.LBB2_20112-.Lpost_getpc24391)>>32
	s_setpc_b64 s[14:15]
.LBB2_5774:
	s_or_b64 exec, exec, s[6:7]
	s_and_saveexec_b64 s[6:7], s[4:5]
	s_cbranch_execz .LBB2_5776
.LBB2_5775:
	v_bfe_u32 v14, v2, 8, 3
	v_ffbh_u32_e32 v16, v14
	v_min_u32_e32 v16, 32, v16
	v_lshrrev_b16_e32 v15, 3, v13
	v_subrev_u32_e32 v17, 28, v16
	v_and_b32_e32 v15, 15, v15
	v_lshlrev_b32_e32 v13, v17, v13
	v_sub_u32_e32 v16, 29, v16
	v_and_b32_e32 v13, 7, v13
	v_cmp_eq_u16_e32 vcc, 0, v15
	v_cndmask_b32_e32 v13, v14, v13, vcc
	v_cndmask_b32_e32 v14, v15, v16, vcc
	v_lshlrev_b32_e32 v15, 16, v2
	v_mov_b32_e32 v16, 0x3b800000
	v_lshlrev_b32_e32 v13, 20, v13
	v_and_b32_e32 v15, 0x80000000, v15
	v_lshl_add_u32 v14, v14, 23, v16
	v_or3_b32 v14, v15, v14, v13
.LBB2_5776:
	s_or_b64 exec, exec, s[6:7]
	s_nop 0
	v_mfma_f32_16x16x4f32 a[0:3], v12, v14, a[0:3]
	s_movk_i32 s4, 0xff
	v_and_b32_sdwa v13, v6, s4 dst_sel:DWORD dst_unused:UNUSED_PAD src0_sel:WORD_1 src1_sel:DWORD
	s_movk_i32 s4, 0x7f
	v_cmp_lt_i16_e32 vcc, s4, v13
	s_mov_b64 s[4:5], 0
                                        ; implicit-def: $sgpr10
	s_and_saveexec_b64 s[6:7], vcc
	s_xor_b64 s[6:7], exec, s[6:7]
	s_cbranch_execz .LBB2_5777
; %bb.41617:
	s_getpc_b64 s[14:15]
.Lpost_getpc24392:
	s_add_u32 s14, s14, (.LBB2_20113-.Lpost_getpc24392)&4294967295
	s_addc_u32 s15, s15, (.LBB2_20113-.Lpost_getpc24392)>>32
	s_setpc_b64 s[14:15]
.LBB2_5777:
	s_or_saveexec_b64 s[6:7], s[6:7]
	v_mov_b32_e32 v12, s10
	s_xor_b64 exec, exec, s[6:7]
	s_cbranch_execz .LBB2_5778
; %bb.41619:
	s_getpc_b64 s[14:15]
.Lpost_getpc24393:
	s_add_u32 s14, s14, (.LBB2_20116-.Lpost_getpc24393)&4294967295
	s_addc_u32 s15, s15, (.LBB2_20116-.Lpost_getpc24393)>>32
	s_setpc_b64 s[14:15]
.LBB2_5778:
	s_or_b64 exec, exec, s[6:7]
	s_and_saveexec_b64 s[6:7], s[4:5]
	s_cbranch_execz .LBB2_5780
.LBB2_5779:
	v_bfe_u32 v12, v6, 16, 3
	v_ffbh_u32_e32 v15, v12
	v_min_u32_e32 v15, 32, v15
	v_lshrrev_b32_e32 v13, 19, v6
	v_subrev_u32_e32 v16, 28, v15
	v_and_b32_e32 v13, 15, v13
	v_lshlrev_b32_sdwa v16, v16, v6 dst_sel:DWORD dst_unused:UNUSED_PAD src0_sel:DWORD src1_sel:WORD_1
	v_bfe_u32 v14, v6, 19, 4
	v_sub_u32_e32 v15, 29, v15
	v_and_b32_e32 v16, 7, v16
	v_cmp_eq_u16_e32 vcc, 0, v13
	v_cndmask_b32_e32 v12, v12, v16, vcc
	v_cndmask_b32_e32 v13, v14, v15, vcc
	v_lshlrev_b32_e32 v14, 8, v6
	v_mov_b32_e32 v15, 0x3b800000
	v_lshlrev_b32_e32 v12, 20, v12
	v_and_b32_e32 v14, 0x80000000, v14
	v_lshl_add_u32 v13, v13, 23, v15
	v_or3_b32 v12, v14, v13, v12
.LBB2_5780:
	s_or_b64 exec, exec, s[6:7]
	s_movk_i32 s4, 0xff
	v_and_b32_sdwa v13, v2, s4 dst_sel:DWORD dst_unused:UNUSED_PAD src0_sel:WORD_1 src1_sel:DWORD
	s_movk_i32 s4, 0x7f
	v_cmp_lt_i16_e32 vcc, s4, v13
	s_mov_b64 s[4:5], 0
                                        ; implicit-def: $sgpr10
	s_and_saveexec_b64 s[6:7], vcc
	s_xor_b64 s[6:7], exec, s[6:7]
	s_cbranch_execz .LBB2_5781
; %bb.41621:
	s_getpc_b64 s[14:15]
.Lpost_getpc24394:
	s_add_u32 s14, s14, (.LBB2_20117-.Lpost_getpc24394)&4294967295
	s_addc_u32 s15, s15, (.LBB2_20117-.Lpost_getpc24394)>>32
	s_setpc_b64 s[14:15]
.LBB2_5781:
	s_or_saveexec_b64 s[6:7], s[6:7]
	v_mov_b32_e32 v14, s10
	s_xor_b64 exec, exec, s[6:7]
	s_cbranch_execz .LBB2_5782
; %bb.41623:
	s_getpc_b64 s[14:15]
.Lpost_getpc24395:
	s_add_u32 s14, s14, (.LBB2_20120-.Lpost_getpc24395)&4294967295
	s_addc_u32 s15, s15, (.LBB2_20120-.Lpost_getpc24395)>>32
	s_setpc_b64 s[14:15]
.LBB2_5782:
	s_or_b64 exec, exec, s[6:7]
	s_and_saveexec_b64 s[6:7], s[4:5]
	s_cbranch_execz .LBB2_5784
.LBB2_5783:
	v_bfe_u32 v13, v2, 16, 3
	v_ffbh_u32_e32 v16, v13
	v_min_u32_e32 v16, 32, v16
	v_lshrrev_b32_e32 v14, 19, v2
	v_subrev_u32_e32 v17, 28, v16
	v_and_b32_e32 v14, 15, v14
	v_lshlrev_b32_sdwa v17, v17, v2 dst_sel:DWORD dst_unused:UNUSED_PAD src0_sel:DWORD src1_sel:WORD_1
	v_bfe_u32 v15, v2, 19, 4
	v_sub_u32_e32 v16, 29, v16
	v_and_b32_e32 v17, 7, v17
	v_cmp_eq_u16_e32 vcc, 0, v14
	v_cndmask_b32_e32 v13, v13, v17, vcc
	v_cndmask_b32_e32 v14, v15, v16, vcc
	v_lshlrev_b32_e32 v15, 8, v2
	v_mov_b32_e32 v16, 0x3b800000
	v_lshlrev_b32_e32 v13, 20, v13
	v_and_b32_e32 v15, 0x80000000, v15
	v_lshl_add_u32 v14, v14, 23, v16
	v_or3_b32 v14, v15, v14, v13
.LBB2_5784:
	s_or_b64 exec, exec, s[6:7]
	s_nop 0
	v_mfma_f32_16x16x4f32 a[0:3], v12, v14, a[0:3]
	s_movk_i32 s4, 0x7f
	v_cmp_gt_i16_sdwa s[6:7], v6, s4 src0_sel:BYTE_3 src1_sel:DWORD
	s_mov_b64 s[4:5], 0
                                        ; implicit-def: $sgpr10
	s_and_saveexec_b64 s[8:9], s[6:7]
	s_xor_b64 s[6:7], exec, s[8:9]
	s_cbranch_execz .LBB2_5785
; %bb.41625:
	s_getpc_b64 s[14:15]
.Lpost_getpc24396:
	s_add_u32 s14, s14, (.LBB2_20121-.Lpost_getpc24396)&4294967295
	s_addc_u32 s15, s15, (.LBB2_20121-.Lpost_getpc24396)>>32
	s_setpc_b64 s[14:15]
.LBB2_5785:
	s_or_saveexec_b64 s[6:7], s[6:7]
	v_mov_b32_e32 v12, s10
	s_xor_b64 exec, exec, s[6:7]
	s_cbranch_execz .LBB2_5786
; %bb.41627:
	s_getpc_b64 s[14:15]
.Lpost_getpc24397:
	s_add_u32 s14, s14, (.LBB2_20124-.Lpost_getpc24397)&4294967295
	s_addc_u32 s15, s15, (.LBB2_20124-.Lpost_getpc24397)>>32
	s_setpc_b64 s[14:15]
.LBB2_5786:
	s_or_b64 exec, exec, s[6:7]
	s_and_saveexec_b64 s[6:7], s[4:5]
	s_cbranch_execz .LBB2_5788
.LBB2_5787:
	v_bfe_u32 v12, v6, 24, 3
	v_ffbh_u32_e32 v16, v12
	v_min_u32_e32 v16, 32, v16
	v_lshrrev_b32_e32 v14, 27, v6
	v_subrev_u32_e32 v17, 28, v16
	v_and_b32_e32 v13, 0x80000000, v6
	v_and_b32_e32 v14, 15, v14
	v_bfe_u32 v15, v6, 27, 4
	v_lshlrev_b32_sdwa v6, v17, v6 dst_sel:DWORD dst_unused:UNUSED_PAD src0_sel:DWORD src1_sel:BYTE_3
	v_sub_u32_e32 v16, 29, v16
	v_and_b32_e32 v6, 7, v6
	v_cmp_eq_u16_e32 vcc, 0, v14
	v_cndmask_b32_e32 v6, v12, v6, vcc
	v_cndmask_b32_e32 v12, v15, v16, vcc
	v_mov_b32_e32 v14, 0x3b800000
	v_lshlrev_b32_e32 v6, 20, v6
	v_lshl_add_u32 v12, v12, 23, v14
	v_or3_b32 v12, v13, v12, v6
.LBB2_5788:
	s_or_b64 exec, exec, s[6:7]
	s_movk_i32 s4, 0x7f
	v_cmp_gt_i16_sdwa s[6:7], v2, s4 src0_sel:BYTE_3 src1_sel:DWORD
	s_mov_b64 s[4:5], 0
                                        ; implicit-def: $sgpr10
	s_and_saveexec_b64 s[8:9], s[6:7]
	s_xor_b64 s[6:7], exec, s[8:9]
	s_cbranch_execz .LBB2_5789
; %bb.41629:
	s_getpc_b64 s[14:15]
.Lpost_getpc24398:
	s_add_u32 s14, s14, (.LBB2_20125-.Lpost_getpc24398)&4294967295
	s_addc_u32 s15, s15, (.LBB2_20125-.Lpost_getpc24398)>>32
	s_setpc_b64 s[14:15]
.LBB2_5789:
	s_or_saveexec_b64 s[6:7], s[6:7]
	v_mov_b32_e32 v6, s10
	s_xor_b64 exec, exec, s[6:7]
	s_cbranch_execz .LBB2_5790
; %bb.41631:
	s_getpc_b64 s[14:15]
.Lpost_getpc24399:
	s_add_u32 s14, s14, (.LBB2_20128-.Lpost_getpc24399)&4294967295
	s_addc_u32 s15, s15, (.LBB2_20128-.Lpost_getpc24399)>>32
	s_setpc_b64 s[14:15]
.LBB2_5790:
	s_or_b64 exec, exec, s[6:7]
	s_and_saveexec_b64 s[6:7], s[4:5]
	s_cbranch_execz .LBB2_5792
.LBB2_5791:
	v_bfe_u32 v6, v2, 24, 3
	v_ffbh_u32_e32 v16, v6
	v_min_u32_e32 v16, 32, v16
	v_lshrrev_b32_e32 v14, 27, v2
	v_subrev_u32_e32 v17, 28, v16
	v_and_b32_e32 v13, 0x80000000, v2
	v_and_b32_e32 v14, 15, v14
	v_bfe_u32 v15, v2, 27, 4
	v_lshlrev_b32_sdwa v2, v17, v2 dst_sel:DWORD dst_unused:UNUSED_PAD src0_sel:DWORD src1_sel:BYTE_3
	v_sub_u32_e32 v16, 29, v16
	v_and_b32_e32 v2, 7, v2
	v_cmp_eq_u16_e32 vcc, 0, v14
	v_cndmask_b32_e32 v2, v6, v2, vcc
	v_cndmask_b32_e32 v6, v15, v16, vcc
	v_mov_b32_e32 v14, 0x3b800000
	v_lshlrev_b32_e32 v2, 20, v2
	v_lshl_add_u32 v6, v6, 23, v14
	v_or3_b32 v6, v13, v6, v2
.LBB2_5792:
	s_or_b64 exec, exec, s[6:7]
	s_nop 0
	v_mfma_f32_16x16x4f32 a[0:3], v12, v6, a[0:3]
	s_movk_i32 s4, 0x7f
	v_cmp_gt_i16_sdwa s[6:7], v7, s4 src0_sel:BYTE_0 src1_sel:DWORD
	s_mov_b64 s[4:5], 0
                                        ; implicit-def: $sgpr10
	s_and_saveexec_b64 s[8:9], s[6:7]
	s_xor_b64 s[6:7], exec, s[8:9]
	s_cbranch_execz .LBB2_5793
; %bb.41633:
	s_getpc_b64 s[14:15]
.Lpost_getpc24400:
	s_add_u32 s14, s14, (.LBB2_20129-.Lpost_getpc24400)&4294967295
	s_addc_u32 s15, s15, (.LBB2_20129-.Lpost_getpc24400)>>32
	s_setpc_b64 s[14:15]
.LBB2_5793:
	s_or_saveexec_b64 s[6:7], s[6:7]
	v_mov_b32_e32 v2, s10
	s_xor_b64 exec, exec, s[6:7]
	s_cbranch_execz .LBB2_5794
; %bb.41635:
	s_getpc_b64 s[14:15]
.Lpost_getpc24401:
	s_add_u32 s14, s14, (.LBB2_20132-.Lpost_getpc24401)&4294967295
	s_addc_u32 s15, s15, (.LBB2_20132-.Lpost_getpc24401)>>32
	s_setpc_b64 s[14:15]
.LBB2_5794:
	s_or_b64 exec, exec, s[6:7]
	s_and_saveexec_b64 s[6:7], s[4:5]
	s_cbranch_execz .LBB2_5796
.LBB2_5795:
	v_and_b32_e32 v2, 7, v7
	v_ffbh_u32_e32 v12, v2
	v_min_u32_e32 v12, 32, v12
	v_lshrrev_b16_e32 v6, 3, v7
	v_subrev_u32_e32 v13, 28, v12
	v_and_b32_e32 v6, 15, v6
	v_lshlrev_b32_e32 v13, v13, v7
	v_sub_u32_e32 v12, 29, v12
	v_and_b32_e32 v13, 7, v13
	v_cmp_eq_u16_e32 vcc, 0, v6
	v_cndmask_b32_e32 v2, v2, v13, vcc
	v_cndmask_b32_e32 v6, v6, v12, vcc
	v_lshlrev_b32_e32 v12, 24, v7
	v_mov_b32_e32 v13, 0x3b800000
	v_lshlrev_b32_e32 v2, 20, v2
	v_and_b32_e32 v12, 0x80000000, v12
	v_lshl_add_u32 v6, v6, 23, v13
	v_or3_b32 v2, v12, v6, v2
.LBB2_5796:
	s_or_b64 exec, exec, s[6:7]
	s_movk_i32 s4, 0x7f
	v_cmp_gt_i16_sdwa s[6:7], v3, s4 src0_sel:BYTE_0 src1_sel:DWORD
	s_mov_b64 s[4:5], 0
                                        ; implicit-def: $sgpr10
	s_and_saveexec_b64 s[8:9], s[6:7]
	s_xor_b64 s[6:7], exec, s[8:9]
	s_cbranch_execz .LBB2_5797
; %bb.41637:
	s_getpc_b64 s[14:15]
.Lpost_getpc24402:
	s_add_u32 s14, s14, (.LBB2_20133-.Lpost_getpc24402)&4294967295
	s_addc_u32 s15, s15, (.LBB2_20133-.Lpost_getpc24402)>>32
	s_setpc_b64 s[14:15]
.LBB2_5797:
	s_or_saveexec_b64 s[6:7], s[6:7]
	v_mov_b32_e32 v6, s10
	s_xor_b64 exec, exec, s[6:7]
	s_cbranch_execz .LBB2_5798
; %bb.41639:
	s_getpc_b64 s[14:15]
.Lpost_getpc24403:
	s_add_u32 s14, s14, (.LBB2_20136-.Lpost_getpc24403)&4294967295
	s_addc_u32 s15, s15, (.LBB2_20136-.Lpost_getpc24403)>>32
	s_setpc_b64 s[14:15]
.LBB2_5798:
	s_or_b64 exec, exec, s[6:7]
	s_and_saveexec_b64 s[6:7], s[4:5]
	s_cbranch_execz .LBB2_5800
.LBB2_5799:
	v_and_b32_e32 v6, 7, v3
	v_ffbh_u32_e32 v13, v6
	v_min_u32_e32 v13, 32, v13
	v_lshrrev_b16_e32 v12, 3, v3
	v_subrev_u32_e32 v14, 28, v13
	v_and_b32_e32 v12, 15, v12
	v_lshlrev_b32_e32 v14, v14, v3
	v_sub_u32_e32 v13, 29, v13
	v_and_b32_e32 v14, 7, v14
	v_cmp_eq_u16_e32 vcc, 0, v12
	v_cndmask_b32_e32 v6, v6, v14, vcc
	v_cndmask_b32_e32 v12, v12, v13, vcc
	v_lshlrev_b32_e32 v13, 24, v3
	v_mov_b32_e32 v14, 0x3b800000
	v_lshlrev_b32_e32 v6, 20, v6
	v_and_b32_e32 v13, 0x80000000, v13
	v_lshl_add_u32 v12, v12, 23, v14
	v_or3_b32 v6, v13, v12, v6
.LBB2_5800:
	s_or_b64 exec, exec, s[6:7]
	s_nop 0
	v_mfma_f32_16x16x4f32 a[0:3], v2, v6, a[0:3]
	v_lshrrev_b32_e32 v6, 8, v7
	s_movk_i32 s4, 0x7f
	v_cmp_gt_i16_sdwa s[6:7], v6, s4 src0_sel:BYTE_0 src1_sel:DWORD
	s_mov_b64 s[4:5], 0
                                        ; implicit-def: $sgpr10
	s_and_saveexec_b64 s[8:9], s[6:7]
	s_xor_b64 s[6:7], exec, s[8:9]
	s_cbranch_execz .LBB2_5801
; %bb.41641:
	s_getpc_b64 s[14:15]
.Lpost_getpc24404:
	s_add_u32 s14, s14, (.LBB2_20137-.Lpost_getpc24404)&4294967295
	s_addc_u32 s15, s15, (.LBB2_20137-.Lpost_getpc24404)>>32
	s_setpc_b64 s[14:15]
.LBB2_5801:
	s_or_saveexec_b64 s[6:7], s[6:7]
	v_mov_b32_e32 v2, s10
	s_xor_b64 exec, exec, s[6:7]
	s_cbranch_execz .LBB2_5802
; %bb.41643:
	s_getpc_b64 s[14:15]
.Lpost_getpc24405:
	s_add_u32 s14, s14, (.LBB2_20140-.Lpost_getpc24405)&4294967295
	s_addc_u32 s15, s15, (.LBB2_20140-.Lpost_getpc24405)>>32
	s_setpc_b64 s[14:15]
.LBB2_5802:
	s_or_b64 exec, exec, s[6:7]
	s_and_saveexec_b64 s[6:7], s[4:5]
	s_cbranch_execz .LBB2_5804
.LBB2_5803:
	v_bfe_u32 v2, v7, 8, 3
	v_ffbh_u32_e32 v13, v2
	v_min_u32_e32 v13, 32, v13
	v_lshrrev_b16_e32 v12, 3, v6
	v_subrev_u32_e32 v14, 28, v13
	v_and_b32_e32 v12, 15, v12
	v_lshlrev_b32_e32 v6, v14, v6
	v_sub_u32_e32 v13, 29, v13
	v_and_b32_e32 v6, 7, v6
	v_cmp_eq_u16_e32 vcc, 0, v12
	v_cndmask_b32_e32 v2, v2, v6, vcc
	v_cndmask_b32_e32 v6, v12, v13, vcc
	v_lshlrev_b32_e32 v12, 16, v7
	v_mov_b32_e32 v13, 0x3b800000
	v_lshlrev_b32_e32 v2, 20, v2
	v_and_b32_e32 v12, 0x80000000, v12
	v_lshl_add_u32 v6, v6, 23, v13
	v_or3_b32 v2, v12, v6, v2
.LBB2_5804:
	s_or_b64 exec, exec, s[6:7]
	v_lshrrev_b32_e32 v6, 8, v3
	s_movk_i32 s4, 0x7f
	v_cmp_gt_i16_sdwa s[6:7], v6, s4 src0_sel:BYTE_0 src1_sel:DWORD
	s_mov_b64 s[4:5], 0
                                        ; implicit-def: $sgpr10
	s_and_saveexec_b64 s[8:9], s[6:7]
	s_xor_b64 s[6:7], exec, s[8:9]
	s_cbranch_execz .LBB2_5805
; %bb.41645:
	s_getpc_b64 s[14:15]
.Lpost_getpc24406:
	s_add_u32 s14, s14, (.LBB2_20141-.Lpost_getpc24406)&4294967295
	s_addc_u32 s15, s15, (.LBB2_20141-.Lpost_getpc24406)>>32
	s_setpc_b64 s[14:15]
.LBB2_5805:
	s_or_saveexec_b64 s[6:7], s[6:7]
	v_mov_b32_e32 v12, s10
	s_xor_b64 exec, exec, s[6:7]
	s_cbranch_execz .LBB2_5806
; %bb.41647:
	s_getpc_b64 s[14:15]
.Lpost_getpc24407:
	s_add_u32 s14, s14, (.LBB2_20144-.Lpost_getpc24407)&4294967295
	s_addc_u32 s15, s15, (.LBB2_20144-.Lpost_getpc24407)>>32
	s_setpc_b64 s[14:15]
.LBB2_5806:
	s_or_b64 exec, exec, s[6:7]
	s_and_saveexec_b64 s[6:7], s[4:5]
	s_cbranch_execz .LBB2_5808
.LBB2_5807:
	v_bfe_u32 v12, v3, 8, 3
	v_ffbh_u32_e32 v14, v12
	v_min_u32_e32 v14, 32, v14
	v_lshrrev_b16_e32 v13, 3, v6
	v_subrev_u32_e32 v15, 28, v14
	v_and_b32_e32 v13, 15, v13
	v_lshlrev_b32_e32 v6, v15, v6
	v_sub_u32_e32 v14, 29, v14
	v_and_b32_e32 v6, 7, v6
	v_cmp_eq_u16_e32 vcc, 0, v13
	v_cndmask_b32_e32 v6, v12, v6, vcc
	v_cndmask_b32_e32 v12, v13, v14, vcc
	v_lshlrev_b32_e32 v13, 16, v3
	v_mov_b32_e32 v14, 0x3b800000
	v_lshlrev_b32_e32 v6, 20, v6
	v_and_b32_e32 v13, 0x80000000, v13
	v_lshl_add_u32 v12, v12, 23, v14
	v_or3_b32 v12, v13, v12, v6
.LBB2_5808:
	s_or_b64 exec, exec, s[6:7]
	s_nop 0
	v_mfma_f32_16x16x4f32 a[0:3], v2, v12, a[0:3]
	s_movk_i32 s4, 0xff
	v_and_b32_sdwa v6, v7, s4 dst_sel:DWORD dst_unused:UNUSED_PAD src0_sel:WORD_1 src1_sel:DWORD
	s_movk_i32 s4, 0x7f
	v_cmp_lt_i16_e32 vcc, s4, v6
	s_mov_b64 s[4:5], 0
                                        ; implicit-def: $sgpr10
	s_and_saveexec_b64 s[6:7], vcc
	s_xor_b64 s[6:7], exec, s[6:7]
	s_cbranch_execz .LBB2_5809
; %bb.41649:
	s_getpc_b64 s[14:15]
.Lpost_getpc24408:
	s_add_u32 s14, s14, (.LBB2_20145-.Lpost_getpc24408)&4294967295
	s_addc_u32 s15, s15, (.LBB2_20145-.Lpost_getpc24408)>>32
	s_setpc_b64 s[14:15]
.LBB2_5809:
	s_or_saveexec_b64 s[6:7], s[6:7]
	v_mov_b32_e32 v2, s10
	s_xor_b64 exec, exec, s[6:7]
	s_cbranch_execz .LBB2_5810
; %bb.41651:
	s_getpc_b64 s[14:15]
.Lpost_getpc24409:
	s_add_u32 s14, s14, (.LBB2_20148-.Lpost_getpc24409)&4294967295
	s_addc_u32 s15, s15, (.LBB2_20148-.Lpost_getpc24409)>>32
	s_setpc_b64 s[14:15]
.LBB2_5810:
	s_or_b64 exec, exec, s[6:7]
	s_and_saveexec_b64 s[6:7], s[4:5]
	s_cbranch_execz .LBB2_5812
.LBB2_5811:
	v_bfe_u32 v2, v7, 16, 3
	v_ffbh_u32_e32 v13, v2
	v_min_u32_e32 v13, 32, v13
	v_lshrrev_b32_e32 v6, 19, v7
	v_subrev_u32_e32 v14, 28, v13
	v_and_b32_e32 v6, 15, v6
	v_lshlrev_b32_sdwa v14, v14, v7 dst_sel:DWORD dst_unused:UNUSED_PAD src0_sel:DWORD src1_sel:WORD_1
	v_bfe_u32 v12, v7, 19, 4
	v_sub_u32_e32 v13, 29, v13
	v_and_b32_e32 v14, 7, v14
	v_cmp_eq_u16_e32 vcc, 0, v6
	v_cndmask_b32_e32 v2, v2, v14, vcc
	v_cndmask_b32_e32 v6, v12, v13, vcc
	v_lshlrev_b32_e32 v12, 8, v7
	v_mov_b32_e32 v13, 0x3b800000
	v_lshlrev_b32_e32 v2, 20, v2
	v_and_b32_e32 v12, 0x80000000, v12
	v_lshl_add_u32 v6, v6, 23, v13
	v_or3_b32 v2, v12, v6, v2
.LBB2_5812:
	s_or_b64 exec, exec, s[6:7]
	s_movk_i32 s4, 0xff
	v_and_b32_sdwa v6, v3, s4 dst_sel:DWORD dst_unused:UNUSED_PAD src0_sel:WORD_1 src1_sel:DWORD
	s_movk_i32 s4, 0x7f
	v_cmp_lt_i16_e32 vcc, s4, v6
	s_mov_b64 s[4:5], 0
                                        ; implicit-def: $sgpr10
	s_and_saveexec_b64 s[6:7], vcc
	s_xor_b64 s[6:7], exec, s[6:7]
	s_cbranch_execz .LBB2_5813
; %bb.41653:
	s_getpc_b64 s[14:15]
.Lpost_getpc24410:
	s_add_u32 s14, s14, (.LBB2_20149-.Lpost_getpc24410)&4294967295
	s_addc_u32 s15, s15, (.LBB2_20149-.Lpost_getpc24410)>>32
	s_setpc_b64 s[14:15]
.LBB2_5813:
	s_or_saveexec_b64 s[6:7], s[6:7]
	v_mov_b32_e32 v12, s10
	s_xor_b64 exec, exec, s[6:7]
	s_cbranch_execz .LBB2_5814
; %bb.41655:
	s_getpc_b64 s[14:15]
.Lpost_getpc24411:
	s_add_u32 s14, s14, (.LBB2_20152-.Lpost_getpc24411)&4294967295
	s_addc_u32 s15, s15, (.LBB2_20152-.Lpost_getpc24411)>>32
	s_setpc_b64 s[14:15]
.LBB2_5814:
	s_or_b64 exec, exec, s[6:7]
	s_and_saveexec_b64 s[6:7], s[4:5]
	s_cbranch_execz .LBB2_5816
.LBB2_5815:
	v_bfe_u32 v6, v3, 16, 3
	v_ffbh_u32_e32 v14, v6
	v_min_u32_e32 v14, 32, v14
	v_lshrrev_b32_e32 v12, 19, v3
	v_subrev_u32_e32 v15, 28, v14
	v_and_b32_e32 v12, 15, v12
	v_lshlrev_b32_sdwa v15, v15, v3 dst_sel:DWORD dst_unused:UNUSED_PAD src0_sel:DWORD src1_sel:WORD_1
	v_bfe_u32 v13, v3, 19, 4
	v_sub_u32_e32 v14, 29, v14
	v_and_b32_e32 v15, 7, v15
	v_cmp_eq_u16_e32 vcc, 0, v12
	v_cndmask_b32_e32 v6, v6, v15, vcc
	v_cndmask_b32_e32 v12, v13, v14, vcc
	v_lshlrev_b32_e32 v13, 8, v3
	v_mov_b32_e32 v14, 0x3b800000
	v_lshlrev_b32_e32 v6, 20, v6
	v_and_b32_e32 v13, 0x80000000, v13
	v_lshl_add_u32 v12, v12, 23, v14
	v_or3_b32 v12, v13, v12, v6
.LBB2_5816:
	s_or_b64 exec, exec, s[6:7]
	s_nop 0
	v_mfma_f32_16x16x4f32 a[0:3], v2, v12, a[0:3]
	s_movk_i32 s4, 0x7f
	v_cmp_gt_i16_sdwa s[6:7], v7, s4 src0_sel:BYTE_3 src1_sel:DWORD
	s_mov_b64 s[4:5], 0
                                        ; implicit-def: $sgpr10
	s_and_saveexec_b64 s[8:9], s[6:7]
	s_xor_b64 s[6:7], exec, s[8:9]
	s_cbranch_execz .LBB2_5817
; %bb.41657:
	s_getpc_b64 s[14:15]
.Lpost_getpc24412:
	s_add_u32 s14, s14, (.LBB2_20153-.Lpost_getpc24412)&4294967295
	s_addc_u32 s15, s15, (.LBB2_20153-.Lpost_getpc24412)>>32
	s_setpc_b64 s[14:15]
.LBB2_5817:
	s_or_saveexec_b64 s[6:7], s[6:7]
	v_mov_b32_e32 v2, s10
	s_xor_b64 exec, exec, s[6:7]
	s_cbranch_execz .LBB2_5818
; %bb.41659:
	s_getpc_b64 s[14:15]
.Lpost_getpc24413:
	s_add_u32 s14, s14, (.LBB2_20156-.Lpost_getpc24413)&4294967295
	s_addc_u32 s15, s15, (.LBB2_20156-.Lpost_getpc24413)>>32
	s_setpc_b64 s[14:15]
.LBB2_5818:
	s_or_b64 exec, exec, s[6:7]
	s_and_saveexec_b64 s[6:7], s[4:5]
	s_cbranch_execz .LBB2_5820
.LBB2_5819:
	v_bfe_u32 v2, v7, 24, 3
	v_ffbh_u32_e32 v14, v2
	v_min_u32_e32 v14, 32, v14
	v_lshrrev_b32_e32 v12, 27, v7
	v_subrev_u32_e32 v15, 28, v14
	v_and_b32_e32 v6, 0x80000000, v7
	v_and_b32_e32 v12, 15, v12
	v_bfe_u32 v13, v7, 27, 4
	v_lshlrev_b32_sdwa v7, v15, v7 dst_sel:DWORD dst_unused:UNUSED_PAD src0_sel:DWORD src1_sel:BYTE_3
	v_sub_u32_e32 v14, 29, v14
	v_and_b32_e32 v7, 7, v7
	v_cmp_eq_u16_e32 vcc, 0, v12
	v_cndmask_b32_e32 v2, v2, v7, vcc
	v_cndmask_b32_e32 v7, v13, v14, vcc
	v_mov_b32_e32 v12, 0x3b800000
	v_lshlrev_b32_e32 v2, 20, v2
	v_lshl_add_u32 v7, v7, 23, v12
	v_or3_b32 v2, v6, v7, v2
.LBB2_5820:
	s_or_b64 exec, exec, s[6:7]
	s_movk_i32 s4, 0x7f
	v_cmp_gt_i16_sdwa s[6:7], v3, s4 src0_sel:BYTE_3 src1_sel:DWORD
	s_mov_b64 s[4:5], 0
                                        ; implicit-def: $sgpr10
	s_and_saveexec_b64 s[8:9], s[6:7]
	s_xor_b64 s[6:7], exec, s[8:9]
	s_cbranch_execz .LBB2_5821
; %bb.41661:
	s_getpc_b64 s[14:15]
.Lpost_getpc24414:
	s_add_u32 s14, s14, (.LBB2_20157-.Lpost_getpc24414)&4294967295
	s_addc_u32 s15, s15, (.LBB2_20157-.Lpost_getpc24414)>>32
	s_setpc_b64 s[14:15]
.LBB2_5821:
	s_or_saveexec_b64 s[6:7], s[6:7]
	v_mov_b32_e32 v6, s10
	s_xor_b64 exec, exec, s[6:7]
	s_cbranch_execz .LBB2_5822
; %bb.41663:
	s_getpc_b64 s[14:15]
.Lpost_getpc24415:
	s_add_u32 s14, s14, (.LBB2_20160-.Lpost_getpc24415)&4294967295
	s_addc_u32 s15, s15, (.LBB2_20160-.Lpost_getpc24415)>>32
	s_setpc_b64 s[14:15]
.LBB2_5822:
	s_or_b64 exec, exec, s[6:7]
	s_and_saveexec_b64 s[6:7], s[4:5]
	s_cbranch_execz .LBB2_5824
.LBB2_5823:
	v_bfe_u32 v6, v3, 24, 3
	v_ffbh_u32_e32 v14, v6
	v_min_u32_e32 v14, 32, v14
	v_lshrrev_b32_e32 v12, 27, v3
	v_subrev_u32_e32 v15, 28, v14
	v_and_b32_e32 v7, 0x80000000, v3
	v_and_b32_e32 v12, 15, v12
	v_bfe_u32 v13, v3, 27, 4
	v_lshlrev_b32_sdwa v3, v15, v3 dst_sel:DWORD dst_unused:UNUSED_PAD src0_sel:DWORD src1_sel:BYTE_3
	v_sub_u32_e32 v14, 29, v14
	v_and_b32_e32 v3, 7, v3
	v_cmp_eq_u16_e32 vcc, 0, v12
	v_cndmask_b32_e32 v3, v6, v3, vcc
	v_cndmask_b32_e32 v6, v13, v14, vcc
	v_mov_b32_e32 v12, 0x3b800000
	v_lshlrev_b32_e32 v3, 20, v3
	v_lshl_add_u32 v6, v6, 23, v12
	v_or3_b32 v6, v7, v6, v3
.LBB2_5824:
	s_or_b64 exec, exec, s[6:7]
	s_nop 0
	v_mfma_f32_16x16x4f32 a[0:3], v2, v6, a[0:3]
	s_movk_i32 s4, 0x7f
	v_cmp_gt_i16_sdwa s[6:7], v8, s4 src0_sel:BYTE_0 src1_sel:DWORD
	s_mov_b64 s[4:5], 0
                                        ; implicit-def: $sgpr10
	s_and_saveexec_b64 s[8:9], s[6:7]
	s_xor_b64 s[6:7], exec, s[8:9]
	s_cbranch_execz .LBB2_5825
; %bb.41665:
	s_getpc_b64 s[14:15]
.Lpost_getpc24416:
	s_add_u32 s14, s14, (.LBB2_20161-.Lpost_getpc24416)&4294967295
	s_addc_u32 s15, s15, (.LBB2_20161-.Lpost_getpc24416)>>32
	s_setpc_b64 s[14:15]
.LBB2_5825:
	s_or_saveexec_b64 s[6:7], s[6:7]
	v_mov_b32_e32 v2, s10
	s_xor_b64 exec, exec, s[6:7]
	s_cbranch_execz .LBB2_5826
; %bb.41667:
	s_getpc_b64 s[14:15]
.Lpost_getpc24417:
	s_add_u32 s14, s14, (.LBB2_20164-.Lpost_getpc24417)&4294967295
	s_addc_u32 s15, s15, (.LBB2_20164-.Lpost_getpc24417)>>32
	s_setpc_b64 s[14:15]
.LBB2_5826:
	s_or_b64 exec, exec, s[6:7]
	s_and_saveexec_b64 s[6:7], s[4:5]
	s_cbranch_execz .LBB2_5828
.LBB2_5827:
	v_and_b32_e32 v2, 7, v8
	v_ffbh_u32_e32 v6, v2
	v_min_u32_e32 v6, 32, v6
	v_lshrrev_b16_e32 v3, 3, v8
	v_subrev_u32_e32 v7, 28, v6
	v_and_b32_e32 v3, 15, v3
	v_lshlrev_b32_e32 v7, v7, v8
	v_sub_u32_e32 v6, 29, v6
	v_and_b32_e32 v7, 7, v7
	v_cmp_eq_u16_e32 vcc, 0, v3
	v_cndmask_b32_e32 v2, v2, v7, vcc
	v_cndmask_b32_e32 v3, v3, v6, vcc
	v_lshlrev_b32_e32 v6, 24, v8
	v_mov_b32_e32 v7, 0x3b800000
	v_lshlrev_b32_e32 v2, 20, v2
	v_and_b32_e32 v6, 0x80000000, v6
	v_lshl_add_u32 v3, v3, 23, v7
	v_or3_b32 v2, v6, v3, v2
.LBB2_5828:
	s_or_b64 exec, exec, s[6:7]
	s_movk_i32 s4, 0x7f
	v_cmp_gt_i16_sdwa s[6:7], v4, s4 src0_sel:BYTE_0 src1_sel:DWORD
	s_mov_b64 s[4:5], 0
                                        ; implicit-def: $sgpr10
	s_and_saveexec_b64 s[8:9], s[6:7]
	s_xor_b64 s[6:7], exec, s[8:9]
	s_cbranch_execz .LBB2_5829
; %bb.41669:
	s_getpc_b64 s[14:15]
.Lpost_getpc24418:
	s_add_u32 s14, s14, (.LBB2_20165-.Lpost_getpc24418)&4294967295
	s_addc_u32 s15, s15, (.LBB2_20165-.Lpost_getpc24418)>>32
	s_setpc_b64 s[14:15]
.LBB2_5829:
	s_or_saveexec_b64 s[6:7], s[6:7]
	v_mov_b32_e32 v3, s10
	s_xor_b64 exec, exec, s[6:7]
	s_cbranch_execz .LBB2_5830
; %bb.41671:
	s_getpc_b64 s[14:15]
.Lpost_getpc24419:
	s_add_u32 s14, s14, (.LBB2_20168-.Lpost_getpc24419)&4294967295
	s_addc_u32 s15, s15, (.LBB2_20168-.Lpost_getpc24419)>>32
	s_setpc_b64 s[14:15]
.LBB2_5830:
	s_or_b64 exec, exec, s[6:7]
	s_and_saveexec_b64 s[6:7], s[4:5]
	s_cbranch_execz .LBB2_5832
.LBB2_5831:
	v_and_b32_e32 v3, 7, v4
	v_ffbh_u32_e32 v7, v3
	v_min_u32_e32 v7, 32, v7
	v_lshrrev_b16_e32 v6, 3, v4
	v_subrev_u32_e32 v12, 28, v7
	v_and_b32_e32 v6, 15, v6
	v_lshlrev_b32_e32 v12, v12, v4
	v_sub_u32_e32 v7, 29, v7
	v_and_b32_e32 v12, 7, v12
	v_cmp_eq_u16_e32 vcc, 0, v6
	v_cndmask_b32_e32 v3, v3, v12, vcc
	v_cndmask_b32_e32 v6, v6, v7, vcc
	v_lshlrev_b32_e32 v7, 24, v4
	v_mov_b32_e32 v12, 0x3b800000
	v_lshlrev_b32_e32 v3, 20, v3
	v_and_b32_e32 v7, 0x80000000, v7
	v_lshl_add_u32 v6, v6, 23, v12
	v_or3_b32 v3, v7, v6, v3
.LBB2_5832:
	s_or_b64 exec, exec, s[6:7]
	s_nop 0
	v_mfma_f32_16x16x4f32 a[0:3], v2, v3, a[0:3]
	v_lshrrev_b32_e32 v3, 8, v8
	s_movk_i32 s4, 0x7f
	v_cmp_gt_i16_sdwa s[6:7], v3, s4 src0_sel:BYTE_0 src1_sel:DWORD
	s_mov_b64 s[4:5], 0
                                        ; implicit-def: $sgpr10
	s_and_saveexec_b64 s[8:9], s[6:7]
	s_xor_b64 s[6:7], exec, s[8:9]
	s_cbranch_execz .LBB2_5833
; %bb.41673:
	s_getpc_b64 s[14:15]
.Lpost_getpc24420:
	s_add_u32 s14, s14, (.LBB2_20169-.Lpost_getpc24420)&4294967295
	s_addc_u32 s15, s15, (.LBB2_20169-.Lpost_getpc24420)>>32
	s_setpc_b64 s[14:15]
.LBB2_5833:
	s_or_saveexec_b64 s[6:7], s[6:7]
	v_mov_b32_e32 v2, s10
	s_xor_b64 exec, exec, s[6:7]
	s_cbranch_execz .LBB2_5834
; %bb.41675:
	s_getpc_b64 s[14:15]
.Lpost_getpc24421:
	s_add_u32 s14, s14, (.LBB2_20172-.Lpost_getpc24421)&4294967295
	s_addc_u32 s15, s15, (.LBB2_20172-.Lpost_getpc24421)>>32
	s_setpc_b64 s[14:15]
.LBB2_5834:
	s_or_b64 exec, exec, s[6:7]
	s_and_saveexec_b64 s[6:7], s[4:5]
	s_cbranch_execz .LBB2_5836
.LBB2_5835:
	v_bfe_u32 v2, v8, 8, 3
	v_ffbh_u32_e32 v7, v2
	v_min_u32_e32 v7, 32, v7
	v_lshrrev_b16_e32 v6, 3, v3
	v_subrev_u32_e32 v12, 28, v7
	v_and_b32_e32 v6, 15, v6
	v_lshlrev_b32_e32 v3, v12, v3
	v_sub_u32_e32 v7, 29, v7
	v_and_b32_e32 v3, 7, v3
	v_cmp_eq_u16_e32 vcc, 0, v6
	v_cndmask_b32_e32 v2, v2, v3, vcc
	v_cndmask_b32_e32 v3, v6, v7, vcc
	v_lshlrev_b32_e32 v6, 16, v8
	v_mov_b32_e32 v7, 0x3b800000
	v_lshlrev_b32_e32 v2, 20, v2
	v_and_b32_e32 v6, 0x80000000, v6
	v_lshl_add_u32 v3, v3, 23, v7
	v_or3_b32 v2, v6, v3, v2
.LBB2_5836:
	s_or_b64 exec, exec, s[6:7]
	v_lshrrev_b32_e32 v3, 8, v4
	s_movk_i32 s4, 0x7f
	v_cmp_gt_i16_sdwa s[6:7], v3, s4 src0_sel:BYTE_0 src1_sel:DWORD
	s_mov_b64 s[4:5], 0
                                        ; implicit-def: $sgpr10
	s_and_saveexec_b64 s[8:9], s[6:7]
	s_xor_b64 s[6:7], exec, s[8:9]
	s_cbranch_execz .LBB2_5837
; %bb.41677:
	s_getpc_b64 s[14:15]
.Lpost_getpc24422:
	s_add_u32 s14, s14, (.LBB2_20173-.Lpost_getpc24422)&4294967295
	s_addc_u32 s15, s15, (.LBB2_20173-.Lpost_getpc24422)>>32
	s_setpc_b64 s[14:15]
.LBB2_5837:
	s_or_saveexec_b64 s[6:7], s[6:7]
	v_mov_b32_e32 v6, s10
	s_xor_b64 exec, exec, s[6:7]
	s_cbranch_execz .LBB2_5838
; %bb.41679:
	s_getpc_b64 s[14:15]
.Lpost_getpc24423:
	s_add_u32 s14, s14, (.LBB2_20176-.Lpost_getpc24423)&4294967295
	s_addc_u32 s15, s15, (.LBB2_20176-.Lpost_getpc24423)>>32
	s_setpc_b64 s[14:15]
.LBB2_5838:
	s_or_b64 exec, exec, s[6:7]
	s_and_saveexec_b64 s[6:7], s[4:5]
	s_cbranch_execz .LBB2_5840
.LBB2_5839:
	v_bfe_u32 v6, v4, 8, 3
	v_ffbh_u32_e32 v12, v6
	v_min_u32_e32 v12, 32, v12
	v_lshrrev_b16_e32 v7, 3, v3
	v_subrev_u32_e32 v13, 28, v12
	v_and_b32_e32 v7, 15, v7
	v_lshlrev_b32_e32 v3, v13, v3
	v_sub_u32_e32 v12, 29, v12
	v_and_b32_e32 v3, 7, v3
	v_cmp_eq_u16_e32 vcc, 0, v7
	v_cndmask_b32_e32 v3, v6, v3, vcc
	v_cndmask_b32_e32 v6, v7, v12, vcc
	v_lshlrev_b32_e32 v7, 16, v4
	v_mov_b32_e32 v12, 0x3b800000
	v_lshlrev_b32_e32 v3, 20, v3
	v_and_b32_e32 v7, 0x80000000, v7
	v_lshl_add_u32 v6, v6, 23, v12
	v_or3_b32 v6, v7, v6, v3
.LBB2_5840:
	s_or_b64 exec, exec, s[6:7]
	s_nop 0
	v_mfma_f32_16x16x4f32 a[0:3], v2, v6, a[0:3]
	s_movk_i32 s4, 0xff
	v_and_b32_sdwa v3, v8, s4 dst_sel:DWORD dst_unused:UNUSED_PAD src0_sel:WORD_1 src1_sel:DWORD
	s_movk_i32 s4, 0x7f
	v_cmp_lt_i16_e32 vcc, s4, v3
	s_mov_b64 s[4:5], 0
                                        ; implicit-def: $sgpr10
	s_and_saveexec_b64 s[6:7], vcc
	s_xor_b64 s[6:7], exec, s[6:7]
	s_cbranch_execz .LBB2_5841
; %bb.41681:
	s_getpc_b64 s[14:15]
.Lpost_getpc24424:
	s_add_u32 s14, s14, (.LBB2_20177-.Lpost_getpc24424)&4294967295
	s_addc_u32 s15, s15, (.LBB2_20177-.Lpost_getpc24424)>>32
	s_setpc_b64 s[14:15]
.LBB2_5841:
	s_or_saveexec_b64 s[6:7], s[6:7]
	v_mov_b32_e32 v2, s10
	s_xor_b64 exec, exec, s[6:7]
	s_cbranch_execz .LBB2_5842
; %bb.41683:
	s_getpc_b64 s[14:15]
.Lpost_getpc24425:
	s_add_u32 s14, s14, (.LBB2_20180-.Lpost_getpc24425)&4294967295
	s_addc_u32 s15, s15, (.LBB2_20180-.Lpost_getpc24425)>>32
	s_setpc_b64 s[14:15]
.LBB2_5842:
	s_or_b64 exec, exec, s[6:7]
	s_and_saveexec_b64 s[6:7], s[4:5]
	s_cbranch_execz .LBB2_5844
.LBB2_5843:
	v_bfe_u32 v2, v8, 16, 3
	v_ffbh_u32_e32 v7, v2
	v_min_u32_e32 v7, 32, v7
	v_lshrrev_b32_e32 v3, 19, v8
	v_subrev_u32_e32 v12, 28, v7
	v_and_b32_e32 v3, 15, v3
	v_lshlrev_b32_sdwa v12, v12, v8 dst_sel:DWORD dst_unused:UNUSED_PAD src0_sel:DWORD src1_sel:WORD_1
	v_bfe_u32 v6, v8, 19, 4
	v_sub_u32_e32 v7, 29, v7
	v_and_b32_e32 v12, 7, v12
	v_cmp_eq_u16_e32 vcc, 0, v3
	v_cndmask_b32_e32 v2, v2, v12, vcc
	v_cndmask_b32_e32 v3, v6, v7, vcc
	v_lshlrev_b32_e32 v6, 8, v8
	v_mov_b32_e32 v7, 0x3b800000
	v_lshlrev_b32_e32 v2, 20, v2
	v_and_b32_e32 v6, 0x80000000, v6
	v_lshl_add_u32 v3, v3, 23, v7
	v_or3_b32 v2, v6, v3, v2
.LBB2_5844:
	s_or_b64 exec, exec, s[6:7]
	s_movk_i32 s4, 0xff
	v_and_b32_sdwa v3, v4, s4 dst_sel:DWORD dst_unused:UNUSED_PAD src0_sel:WORD_1 src1_sel:DWORD
	s_movk_i32 s4, 0x7f
	v_cmp_lt_i16_e32 vcc, s4, v3
	s_mov_b64 s[4:5], 0
                                        ; implicit-def: $sgpr10
	s_and_saveexec_b64 s[6:7], vcc
	s_xor_b64 s[6:7], exec, s[6:7]
	s_cbranch_execz .LBB2_5845
; %bb.41685:
	s_getpc_b64 s[14:15]
.Lpost_getpc24426:
	s_add_u32 s14, s14, (.LBB2_20181-.Lpost_getpc24426)&4294967295
	s_addc_u32 s15, s15, (.LBB2_20181-.Lpost_getpc24426)>>32
	s_setpc_b64 s[14:15]
.LBB2_5845:
	s_or_saveexec_b64 s[6:7], s[6:7]
	v_mov_b32_e32 v6, s10
	s_xor_b64 exec, exec, s[6:7]
	s_cbranch_execz .LBB2_5846
; %bb.41687:
	s_getpc_b64 s[14:15]
.Lpost_getpc24427:
	s_add_u32 s14, s14, (.LBB2_20184-.Lpost_getpc24427)&4294967295
	s_addc_u32 s15, s15, (.LBB2_20184-.Lpost_getpc24427)>>32
	s_setpc_b64 s[14:15]
.LBB2_5846:
	s_or_b64 exec, exec, s[6:7]
	s_and_saveexec_b64 s[6:7], s[4:5]
	s_cbranch_execz .LBB2_5848
.LBB2_5847:
	v_bfe_u32 v3, v4, 16, 3
	v_ffbh_u32_e32 v12, v3
	v_min_u32_e32 v12, 32, v12
	v_lshrrev_b32_e32 v6, 19, v4
	v_subrev_u32_e32 v13, 28, v12
	v_and_b32_e32 v6, 15, v6
	v_lshlrev_b32_sdwa v13, v13, v4 dst_sel:DWORD dst_unused:UNUSED_PAD src0_sel:DWORD src1_sel:WORD_1
	v_bfe_u32 v7, v4, 19, 4
	v_sub_u32_e32 v12, 29, v12
	v_and_b32_e32 v13, 7, v13
	v_cmp_eq_u16_e32 vcc, 0, v6
	v_cndmask_b32_e32 v3, v3, v13, vcc
	v_cndmask_b32_e32 v6, v7, v12, vcc
	v_lshlrev_b32_e32 v7, 8, v4
	v_mov_b32_e32 v12, 0x3b800000
	v_lshlrev_b32_e32 v3, 20, v3
	v_and_b32_e32 v7, 0x80000000, v7
	v_lshl_add_u32 v6, v6, 23, v12
	v_or3_b32 v6, v7, v6, v3
.LBB2_5848:
	s_or_b64 exec, exec, s[6:7]
	s_nop 0
	v_mfma_f32_16x16x4f32 a[0:3], v2, v6, a[0:3]
	s_movk_i32 s4, 0x7f
	v_cmp_gt_i16_sdwa s[6:7], v8, s4 src0_sel:BYTE_3 src1_sel:DWORD
	s_mov_b64 s[4:5], 0
                                        ; implicit-def: $sgpr10
	s_and_saveexec_b64 s[8:9], s[6:7]
	s_xor_b64 s[6:7], exec, s[8:9]
	s_cbranch_execz .LBB2_5849
; %bb.41689:
	s_getpc_b64 s[14:15]
.Lpost_getpc24428:
	s_add_u32 s14, s14, (.LBB2_20185-.Lpost_getpc24428)&4294967295
	s_addc_u32 s15, s15, (.LBB2_20185-.Lpost_getpc24428)>>32
	s_setpc_b64 s[14:15]
.LBB2_5849:
	s_or_saveexec_b64 s[6:7], s[6:7]
	v_mov_b32_e32 v2, s10
	s_xor_b64 exec, exec, s[6:7]
	s_cbranch_execz .LBB2_5850
; %bb.41691:
	s_getpc_b64 s[14:15]
.Lpost_getpc24429:
	s_add_u32 s14, s14, (.LBB2_20188-.Lpost_getpc24429)&4294967295
	s_addc_u32 s15, s15, (.LBB2_20188-.Lpost_getpc24429)>>32
	s_setpc_b64 s[14:15]
.LBB2_5850:
	s_or_b64 exec, exec, s[6:7]
	s_and_saveexec_b64 s[6:7], s[4:5]
	s_cbranch_execz .LBB2_5852
.LBB2_5851:
	v_bfe_u32 v2, v8, 24, 3
	v_ffbh_u32_e32 v12, v2
	v_min_u32_e32 v12, 32, v12
	v_lshrrev_b32_e32 v6, 27, v8
	v_subrev_u32_e32 v13, 28, v12
	v_and_b32_e32 v3, 0x80000000, v8
	v_and_b32_e32 v6, 15, v6
	v_bfe_u32 v7, v8, 27, 4
	v_lshlrev_b32_sdwa v8, v13, v8 dst_sel:DWORD dst_unused:UNUSED_PAD src0_sel:DWORD src1_sel:BYTE_3
	v_sub_u32_e32 v12, 29, v12
	v_and_b32_e32 v8, 7, v8
	v_cmp_eq_u16_e32 vcc, 0, v6
	v_cndmask_b32_e32 v2, v2, v8, vcc
	v_cndmask_b32_e32 v6, v7, v12, vcc
	v_mov_b32_e32 v7, 0x3b800000
	v_lshlrev_b32_e32 v2, 20, v2
	v_lshl_add_u32 v6, v6, 23, v7
	v_or3_b32 v2, v3, v6, v2
.LBB2_5852:
	s_or_b64 exec, exec, s[6:7]
	s_movk_i32 s4, 0x7f
	v_cmp_gt_i16_sdwa s[6:7], v4, s4 src0_sel:BYTE_3 src1_sel:DWORD
	s_mov_b64 s[4:5], 0
                                        ; implicit-def: $sgpr10
	s_and_saveexec_b64 s[8:9], s[6:7]
	s_xor_b64 s[6:7], exec, s[8:9]
	s_cbranch_execz .LBB2_5853
; %bb.41693:
	s_getpc_b64 s[14:15]
.Lpost_getpc24430:
	s_add_u32 s14, s14, (.LBB2_20189-.Lpost_getpc24430)&4294967295
	s_addc_u32 s15, s15, (.LBB2_20189-.Lpost_getpc24430)>>32
	s_setpc_b64 s[14:15]
.LBB2_5853:
	s_or_saveexec_b64 s[6:7], s[6:7]
	v_mov_b32_e32 v3, s10
	s_xor_b64 exec, exec, s[6:7]
	s_cbranch_execz .LBB2_5854
; %bb.41695:
	s_getpc_b64 s[14:15]
.Lpost_getpc24431:
	s_add_u32 s14, s14, (.LBB2_20192-.Lpost_getpc24431)&4294967295
	s_addc_u32 s15, s15, (.LBB2_20192-.Lpost_getpc24431)>>32
	s_setpc_b64 s[14:15]
.LBB2_5854:
	s_or_b64 exec, exec, s[6:7]
	s_and_saveexec_b64 s[6:7], s[4:5]
	s_cbranch_execz .LBB2_5856
.LBB2_5855:
	v_bfe_u32 v3, v4, 24, 3
	v_ffbh_u32_e32 v12, v3
	v_min_u32_e32 v12, 32, v12
	v_lshrrev_b32_e32 v7, 27, v4
	v_subrev_u32_e32 v13, 28, v12
	v_and_b32_e32 v6, 0x80000000, v4
	v_and_b32_e32 v7, 15, v7
	v_bfe_u32 v8, v4, 27, 4
	v_lshlrev_b32_sdwa v4, v13, v4 dst_sel:DWORD dst_unused:UNUSED_PAD src0_sel:DWORD src1_sel:BYTE_3
	v_sub_u32_e32 v12, 29, v12
	v_and_b32_e32 v4, 7, v4
	v_cmp_eq_u16_e32 vcc, 0, v7
	v_cndmask_b32_e32 v3, v3, v4, vcc
	v_cndmask_b32_e32 v4, v8, v12, vcc
	v_mov_b32_e32 v7, 0x3b800000
	v_lshlrev_b32_e32 v3, 20, v3
	v_lshl_add_u32 v4, v4, 23, v7
	v_or3_b32 v3, v6, v4, v3
.LBB2_5856:
	s_or_b64 exec, exec, s[6:7]
	s_nop 0
	v_mfma_f32_16x16x4f32 a[0:3], v2, v3, a[0:3]
	s_movk_i32 s4, 0x7f
	v_cmp_gt_i16_sdwa s[6:7], v9, s4 src0_sel:BYTE_0 src1_sel:DWORD
	s_mov_b64 s[4:5], 0
                                        ; implicit-def: $sgpr10
	s_and_saveexec_b64 s[8:9], s[6:7]
	s_xor_b64 s[6:7], exec, s[8:9]
	s_cbranch_execz .LBB2_5857
; %bb.41697:
	s_getpc_b64 s[14:15]
.Lpost_getpc24432:
	s_add_u32 s14, s14, (.LBB2_20193-.Lpost_getpc24432)&4294967295
	s_addc_u32 s15, s15, (.LBB2_20193-.Lpost_getpc24432)>>32
	s_setpc_b64 s[14:15]
.LBB2_5857:
	s_or_saveexec_b64 s[6:7], s[6:7]
	v_mov_b32_e32 v2, s10
	s_xor_b64 exec, exec, s[6:7]
	s_cbranch_execz .LBB2_5858
; %bb.41699:
	s_getpc_b64 s[14:15]
.Lpost_getpc24433:
	s_add_u32 s14, s14, (.LBB2_20196-.Lpost_getpc24433)&4294967295
	s_addc_u32 s15, s15, (.LBB2_20196-.Lpost_getpc24433)>>32
	s_setpc_b64 s[14:15]
.LBB2_5858:
	s_or_b64 exec, exec, s[6:7]
	s_and_saveexec_b64 s[6:7], s[4:5]
	s_cbranch_execz .LBB2_5860
.LBB2_5859:
	v_mov_b32_e32 v2, 8
	v_and_b32_e32 v3, 7, v9
	v_lshrrev_b32_sdwa v2, v2, v9 dst_sel:BYTE_1 dst_unused:UNUSED_PAD src0_sel:DWORD src1_sel:DWORD
	v_ffbh_u32_e32 v4, v3
	v_or_b32_sdwa v2, v9, v2 dst_sel:DWORD dst_unused:UNUSED_PAD src0_sel:BYTE_0 src1_sel:DWORD
	v_min_u32_e32 v4, 32, v4
	v_lshrrev_b16_e32 v2, 3, v2
	v_subrev_u32_e32 v6, 28, v4
	v_and_b32_e32 v2, 15, v2
	v_lshlrev_b32_e32 v6, v6, v9
	v_sub_u32_e32 v4, 29, v4
	v_and_b32_e32 v6, 7, v6
	v_cmp_eq_u16_e32 vcc, 0, v2
	v_cndmask_b32_e32 v3, v3, v6, vcc
	v_cndmask_b32_e32 v2, v2, v4, vcc
	v_lshlrev_b32_e32 v4, 24, v9
	v_mov_b32_e32 v6, 0x3b800000
	v_lshlrev_b32_e32 v3, 20, v3
	v_and_b32_e32 v4, 0x80000000, v4
	v_lshl_add_u32 v2, v2, 23, v6
	v_or3_b32 v2, v4, v2, v3
.LBB2_5860:
	s_or_b64 exec, exec, s[6:7]
	s_movk_i32 s4, 0x7f
	v_cmp_gt_i16_sdwa s[6:7], v5, s4 src0_sel:BYTE_0 src1_sel:DWORD
	s_mov_b64 s[4:5], 0
                                        ; implicit-def: $sgpr10
	s_and_saveexec_b64 s[8:9], s[6:7]
	s_xor_b64 s[6:7], exec, s[8:9]
	s_cbranch_execz .LBB2_5861
; %bb.41701:
	s_getpc_b64 s[14:15]
.Lpost_getpc24434:
	s_add_u32 s14, s14, (.LBB2_20197-.Lpost_getpc24434)&4294967295
	s_addc_u32 s15, s15, (.LBB2_20197-.Lpost_getpc24434)>>32
	s_setpc_b64 s[14:15]
.LBB2_5861:
	s_or_saveexec_b64 s[6:7], s[6:7]
	v_mov_b32_e32 v3, s10
	s_xor_b64 exec, exec, s[6:7]
	s_cbranch_execz .LBB2_5862
; %bb.41703:
	s_getpc_b64 s[14:15]
.Lpost_getpc24435:
	s_add_u32 s14, s14, (.LBB2_20200-.Lpost_getpc24435)&4294967295
	s_addc_u32 s15, s15, (.LBB2_20200-.Lpost_getpc24435)>>32
	s_setpc_b64 s[14:15]
.LBB2_5862:
	s_or_b64 exec, exec, s[6:7]
	s_and_saveexec_b64 s[6:7], s[4:5]
	s_cbranch_execz .LBB2_5864
.LBB2_5863:
	v_mov_b32_e32 v3, 8
	v_and_b32_e32 v4, 7, v5
	v_lshrrev_b32_sdwa v3, v3, v5 dst_sel:BYTE_1 dst_unused:UNUSED_PAD src0_sel:DWORD src1_sel:DWORD
	v_ffbh_u32_e32 v6, v4
	v_or_b32_sdwa v3, v5, v3 dst_sel:DWORD dst_unused:UNUSED_PAD src0_sel:BYTE_0 src1_sel:DWORD
	v_min_u32_e32 v6, 32, v6
	v_lshrrev_b16_e32 v3, 3, v3
	v_subrev_u32_e32 v7, 28, v6
	v_and_b32_e32 v3, 15, v3
	v_lshlrev_b32_e32 v7, v7, v5
	v_sub_u32_e32 v6, 29, v6
	v_and_b32_e32 v7, 7, v7
	v_cmp_eq_u16_e32 vcc, 0, v3
	v_cndmask_b32_e32 v4, v4, v7, vcc
	v_cndmask_b32_e32 v3, v3, v6, vcc
	v_lshlrev_b32_e32 v6, 24, v5
	v_mov_b32_e32 v7, 0x3b800000
	v_lshlrev_b32_e32 v4, 20, v4
	v_and_b32_e32 v6, 0x80000000, v6
	v_lshl_add_u32 v3, v3, 23, v7
	v_or3_b32 v3, v6, v3, v4
.LBB2_5864:
	s_or_b64 exec, exec, s[6:7]
	s_nop 0
	v_mfma_f32_16x16x4f32 a[0:3], v2, v3, a[0:3]
	v_lshrrev_b32_e32 v3, 8, v9
	s_movk_i32 s4, 0x7f
	v_cmp_gt_i16_sdwa s[6:7], v3, s4 src0_sel:BYTE_0 src1_sel:DWORD
	s_mov_b64 s[4:5], 0
                                        ; implicit-def: $sgpr10
	s_and_saveexec_b64 s[8:9], s[6:7]
	s_xor_b64 s[6:7], exec, s[8:9]
	s_cbranch_execz .LBB2_5865
; %bb.41705:
	s_getpc_b64 s[14:15]
.Lpost_getpc24436:
	s_add_u32 s14, s14, (.LBB2_20201-.Lpost_getpc24436)&4294967295
	s_addc_u32 s15, s15, (.LBB2_20201-.Lpost_getpc24436)>>32
	s_setpc_b64 s[14:15]
.LBB2_5865:
	s_or_saveexec_b64 s[6:7], s[6:7]
	v_mov_b32_e32 v2, s10
	s_xor_b64 exec, exec, s[6:7]
	s_cbranch_execz .LBB2_5866
; %bb.41707:
	s_getpc_b64 s[14:15]
.Lpost_getpc24437:
	s_add_u32 s14, s14, (.LBB2_20204-.Lpost_getpc24437)&4294967295
	s_addc_u32 s15, s15, (.LBB2_20204-.Lpost_getpc24437)>>32
	s_setpc_b64 s[14:15]
.LBB2_5866:
	s_or_b64 exec, exec, s[6:7]
	s_and_saveexec_b64 s[6:7], s[4:5]
	s_cbranch_execz .LBB2_5868
.LBB2_5867:
	v_bfe_u32 v2, v9, 8, 3
	v_ffbh_u32_e32 v6, v2
	v_min_u32_e32 v6, 32, v6
	v_lshrrev_b16_e32 v4, 3, v3
	v_subrev_u32_e32 v7, 28, v6
	v_and_b32_e32 v4, 15, v4
	v_lshlrev_b32_e32 v3, v7, v3
	v_sub_u32_e32 v6, 29, v6
	v_and_b32_e32 v3, 7, v3
	v_cmp_eq_u16_e32 vcc, 0, v4
	v_cndmask_b32_e32 v2, v2, v3, vcc
	v_cndmask_b32_e32 v3, v4, v6, vcc
	v_lshlrev_b32_e32 v4, 16, v9
	v_mov_b32_e32 v6, 0x3b800000
	v_lshlrev_b32_e32 v2, 20, v2
	v_and_b32_e32 v4, 0x80000000, v4
	v_lshl_add_u32 v3, v3, 23, v6
	v_or3_b32 v2, v4, v3, v2
.LBB2_5868:
	s_or_b64 exec, exec, s[6:7]
	v_lshrrev_b32_e32 v3, 8, v5
	s_movk_i32 s4, 0x7f
	v_cmp_gt_i16_sdwa s[6:7], v3, s4 src0_sel:BYTE_0 src1_sel:DWORD
	s_mov_b64 s[4:5], 0
                                        ; implicit-def: $sgpr10
	s_and_saveexec_b64 s[8:9], s[6:7]
	s_xor_b64 s[6:7], exec, s[8:9]
	s_cbranch_execz .LBB2_5869
; %bb.41709:
	s_getpc_b64 s[14:15]
.Lpost_getpc24438:
	s_add_u32 s14, s14, (.LBB2_20205-.Lpost_getpc24438)&4294967295
	s_addc_u32 s15, s15, (.LBB2_20205-.Lpost_getpc24438)>>32
	s_setpc_b64 s[14:15]
.LBB2_5869:
	s_or_saveexec_b64 s[6:7], s[6:7]
	v_mov_b32_e32 v4, s10
	s_xor_b64 exec, exec, s[6:7]
	s_cbranch_execz .LBB2_5870
; %bb.41711:
	s_getpc_b64 s[14:15]
.Lpost_getpc24439:
	s_add_u32 s14, s14, (.LBB2_20208-.Lpost_getpc24439)&4294967295
	s_addc_u32 s15, s15, (.LBB2_20208-.Lpost_getpc24439)>>32
	s_setpc_b64 s[14:15]
.LBB2_5870:
	s_or_b64 exec, exec, s[6:7]
	s_and_saveexec_b64 s[6:7], s[4:5]
	s_cbranch_execz .LBB2_5872
.LBB2_5871:
	v_bfe_u32 v4, v5, 8, 3
	v_ffbh_u32_e32 v7, v4
	v_min_u32_e32 v7, 32, v7
	v_lshrrev_b16_e32 v6, 3, v3
	v_subrev_u32_e32 v8, 28, v7
	v_and_b32_e32 v6, 15, v6
	v_lshlrev_b32_e32 v3, v8, v3
	v_sub_u32_e32 v7, 29, v7
	v_and_b32_e32 v3, 7, v3
	v_cmp_eq_u16_e32 vcc, 0, v6
	v_cndmask_b32_e32 v3, v4, v3, vcc
	v_cndmask_b32_e32 v4, v6, v7, vcc
	v_lshlrev_b32_e32 v6, 16, v5
	v_mov_b32_e32 v7, 0x3b800000
	v_lshlrev_b32_e32 v3, 20, v3
	v_and_b32_e32 v6, 0x80000000, v6
	v_lshl_add_u32 v4, v4, 23, v7
	v_or3_b32 v4, v6, v4, v3
.LBB2_5872:
	s_or_b64 exec, exec, s[6:7]
	s_nop 0
	v_mfma_f32_16x16x4f32 a[0:3], v2, v4, a[0:3]
	s_movk_i32 s4, 0xff
	v_and_b32_sdwa v3, v9, s4 dst_sel:DWORD dst_unused:UNUSED_PAD src0_sel:WORD_1 src1_sel:DWORD
	s_movk_i32 s4, 0x7f
	v_cmp_lt_i16_e32 vcc, s4, v3
	s_mov_b64 s[4:5], 0
                                        ; implicit-def: $sgpr10
	s_and_saveexec_b64 s[6:7], vcc
	s_xor_b64 s[6:7], exec, s[6:7]
	s_cbranch_execz .LBB2_5873
; %bb.41713:
	s_getpc_b64 s[14:15]
.Lpost_getpc24440:
	s_add_u32 s14, s14, (.LBB2_20209-.Lpost_getpc24440)&4294967295
	s_addc_u32 s15, s15, (.LBB2_20209-.Lpost_getpc24440)>>32
	s_setpc_b64 s[14:15]
.LBB2_5873:
	s_or_saveexec_b64 s[6:7], s[6:7]
	v_mov_b32_e32 v2, s10
	s_xor_b64 exec, exec, s[6:7]
	s_cbranch_execz .LBB2_5874
; %bb.41715:
	s_getpc_b64 s[14:15]
.Lpost_getpc24441:
	s_add_u32 s14, s14, (.LBB2_20212-.Lpost_getpc24441)&4294967295
	s_addc_u32 s15, s15, (.LBB2_20212-.Lpost_getpc24441)>>32
	s_setpc_b64 s[14:15]
.LBB2_5874:
	s_or_b64 exec, exec, s[6:7]
	s_and_saveexec_b64 s[6:7], s[4:5]
	s_cbranch_execz .LBB2_5876
.LBB2_5875:
	v_bfe_u32 v2, v9, 16, 3
	v_ffbh_u32_e32 v6, v2
	v_min_u32_e32 v6, 32, v6
	v_lshrrev_b32_e32 v3, 19, v9
	v_subrev_u32_e32 v7, 28, v6
	v_and_b32_e32 v3, 15, v3
	v_lshlrev_b32_sdwa v7, v7, v9 dst_sel:DWORD dst_unused:UNUSED_PAD src0_sel:DWORD src1_sel:WORD_1
	v_bfe_u32 v4, v9, 19, 4
	v_sub_u32_e32 v6, 29, v6
	v_and_b32_e32 v7, 7, v7
	v_cmp_eq_u16_e32 vcc, 0, v3
	v_cndmask_b32_e32 v2, v2, v7, vcc
	v_cndmask_b32_e32 v3, v4, v6, vcc
	v_lshlrev_b32_e32 v4, 8, v9
	v_mov_b32_e32 v6, 0x3b800000
	v_lshlrev_b32_e32 v2, 20, v2
	v_and_b32_e32 v4, 0x80000000, v4
	v_lshl_add_u32 v3, v3, 23, v6
	v_or3_b32 v2, v4, v3, v2
.LBB2_5876:
	s_or_b64 exec, exec, s[6:7]
	s_movk_i32 s4, 0xff
	v_and_b32_sdwa v3, v5, s4 dst_sel:DWORD dst_unused:UNUSED_PAD src0_sel:WORD_1 src1_sel:DWORD
	s_movk_i32 s4, 0x7f
	v_cmp_lt_i16_e32 vcc, s4, v3
	s_mov_b64 s[4:5], 0
                                        ; implicit-def: $sgpr10
	s_and_saveexec_b64 s[6:7], vcc
	s_xor_b64 s[6:7], exec, s[6:7]
	s_cbranch_execz .LBB2_5877
; %bb.41717:
	s_getpc_b64 s[14:15]
.Lpost_getpc24442:
	s_add_u32 s14, s14, (.LBB2_20213-.Lpost_getpc24442)&4294967295
	s_addc_u32 s15, s15, (.LBB2_20213-.Lpost_getpc24442)>>32
	s_setpc_b64 s[14:15]
.LBB2_5877:
	s_or_saveexec_b64 s[6:7], s[6:7]
	v_mov_b32_e32 v4, s10
	s_xor_b64 exec, exec, s[6:7]
	s_cbranch_execz .LBB2_5878
; %bb.41719:
	s_getpc_b64 s[14:15]
.Lpost_getpc24443:
	s_add_u32 s14, s14, (.LBB2_20216-.Lpost_getpc24443)&4294967295
	s_addc_u32 s15, s15, (.LBB2_20216-.Lpost_getpc24443)>>32
	s_setpc_b64 s[14:15]
.LBB2_5878:
	s_or_b64 exec, exec, s[6:7]
	s_and_saveexec_b64 s[6:7], s[4:5]
	s_cbranch_execz .LBB2_5880
.LBB2_5879:
	v_bfe_u32 v3, v5, 16, 3
	v_ffbh_u32_e32 v7, v3
	v_min_u32_e32 v7, 32, v7
	v_lshrrev_b32_e32 v4, 19, v5
	v_subrev_u32_e32 v8, 28, v7
	v_and_b32_e32 v4, 15, v4
	v_lshlrev_b32_sdwa v8, v8, v5 dst_sel:DWORD dst_unused:UNUSED_PAD src0_sel:DWORD src1_sel:WORD_1
	v_bfe_u32 v6, v5, 19, 4
	v_sub_u32_e32 v7, 29, v7
	v_and_b32_e32 v8, 7, v8
	v_cmp_eq_u16_e32 vcc, 0, v4
	v_cndmask_b32_e32 v3, v3, v8, vcc
	v_cndmask_b32_e32 v4, v6, v7, vcc
	v_lshlrev_b32_e32 v6, 8, v5
	v_mov_b32_e32 v7, 0x3b800000
	v_lshlrev_b32_e32 v3, 20, v3
	v_and_b32_e32 v6, 0x80000000, v6
	v_lshl_add_u32 v4, v4, 23, v7
	v_or3_b32 v4, v6, v4, v3
.LBB2_5880:
	s_or_b64 exec, exec, s[6:7]
	s_nop 0
	v_mfma_f32_16x16x4f32 a[0:3], v2, v4, a[0:3]
	s_movk_i32 s4, 0x7f
	v_cmp_gt_i16_sdwa s[6:7], v9, s4 src0_sel:BYTE_3 src1_sel:DWORD
	s_mov_b64 s[4:5], 0
                                        ; implicit-def: $sgpr10
	s_and_saveexec_b64 s[8:9], s[6:7]
	s_xor_b64 s[6:7], exec, s[8:9]
	s_cbranch_execz .LBB2_5881
; %bb.41721:
	s_getpc_b64 s[14:15]
.Lpost_getpc24444:
	s_add_u32 s14, s14, (.LBB2_20217-.Lpost_getpc24444)&4294967295
	s_addc_u32 s15, s15, (.LBB2_20217-.Lpost_getpc24444)>>32
	s_setpc_b64 s[14:15]
.LBB2_5881:
	s_or_saveexec_b64 s[6:7], s[6:7]
	v_mov_b32_e32 v2, s10
	s_xor_b64 exec, exec, s[6:7]
	s_cbranch_execz .LBB2_5882
; %bb.41723:
	s_getpc_b64 s[14:15]
.Lpost_getpc24445:
	s_add_u32 s14, s14, (.LBB2_20220-.Lpost_getpc24445)&4294967295
	s_addc_u32 s15, s15, (.LBB2_20220-.Lpost_getpc24445)>>32
	s_setpc_b64 s[14:15]
.LBB2_5882:
	s_or_b64 exec, exec, s[6:7]
	s_and_saveexec_b64 s[6:7], s[4:5]
	s_cbranch_execz .LBB2_5884
.LBB2_5883:
	v_bfe_u32 v2, v9, 24, 3
	v_ffbh_u32_e32 v7, v2
	v_min_u32_e32 v7, 32, v7
	v_lshrrev_b32_e32 v4, 27, v9
	v_subrev_u32_e32 v8, 28, v7
	v_and_b32_e32 v4, 15, v4
	v_lshlrev_b32_sdwa v8, v8, v9 dst_sel:DWORD dst_unused:UNUSED_PAD src0_sel:DWORD src1_sel:BYTE_3
	v_bfe_u32 v6, v9, 27, 4
	v_sub_u32_e32 v7, 29, v7
	v_and_b32_e32 v8, 7, v8
	v_cmp_eq_u16_e32 vcc, 0, v4
	v_cndmask_b32_e32 v2, v2, v8, vcc
	v_cndmask_b32_e32 v4, v6, v7, vcc
	v_mov_b32_e32 v6, 0x3b800000
	v_and_b32_e32 v3, 0x80000000, v9
	v_lshlrev_b32_e32 v2, 20, v2
	v_lshl_add_u32 v4, v4, 23, v6
	v_or3_b32 v2, v3, v4, v2
.LBB2_5884:
	s_or_b64 exec, exec, s[6:7]
	s_movk_i32 s4, 0x7f
	v_cmp_gt_i16_sdwa s[6:7], v5, s4 src0_sel:BYTE_3 src1_sel:DWORD
	s_mov_b64 s[4:5], 0
                                        ; implicit-def: $sgpr10
	s_and_saveexec_b64 s[8:9], s[6:7]
	s_xor_b64 s[6:7], exec, s[8:9]
	s_cbranch_execz .LBB2_5885
; %bb.41725:
	s_getpc_b64 s[14:15]
.Lpost_getpc24446:
	s_add_u32 s14, s14, (.LBB2_20221-.Lpost_getpc24446)&4294967295
	s_addc_u32 s15, s15, (.LBB2_20221-.Lpost_getpc24446)>>32
	s_setpc_b64 s[14:15]
.LBB2_5885:
	s_or_saveexec_b64 s[6:7], s[6:7]
	v_mov_b32_e32 v3, s10
	s_xor_b64 exec, exec, s[6:7]
	s_cbranch_execz .LBB2_5886
; %bb.41727:
	s_getpc_b64 s[14:15]
.Lpost_getpc24447:
	s_add_u32 s14, s14, (.LBB2_20224-.Lpost_getpc24447)&4294967295
	s_addc_u32 s15, s15, (.LBB2_20224-.Lpost_getpc24447)>>32
	s_setpc_b64 s[14:15]
.LBB2_5886:
	s_or_b64 exec, exec, s[6:7]
	s_and_saveexec_b64 s[6:7], s[4:5]
	s_cbranch_execz .LBB2_5888
.LBB2_5887:
	v_bfe_u32 v3, v5, 24, 3
	v_ffbh_u32_e32 v8, v3
	v_min_u32_e32 v8, 32, v8
	v_lshrrev_b32_e32 v6, 27, v5
	v_subrev_u32_e32 v9, 28, v8
	v_and_b32_e32 v4, 0x80000000, v5
	v_and_b32_e32 v6, 15, v6
	v_bfe_u32 v7, v5, 27, 4
	v_lshlrev_b32_sdwa v5, v9, v5 dst_sel:DWORD dst_unused:UNUSED_PAD src0_sel:DWORD src1_sel:BYTE_3
	v_sub_u32_e32 v8, 29, v8
	v_and_b32_e32 v5, 7, v5
	v_cmp_eq_u16_e32 vcc, 0, v6
	v_cndmask_b32_e32 v3, v3, v5, vcc
	v_cndmask_b32_e32 v5, v7, v8, vcc
	v_mov_b32_e32 v6, 0x3b800000
	v_lshlrev_b32_e32 v3, 20, v3
	v_lshl_add_u32 v5, v5, 23, v6
	v_or3_b32 v3, v4, v5, v3
.LBB2_5888:
	s_or_b64 exec, exec, s[6:7]
	s_nop 0
	v_mfma_f32_16x16x4f32 a[0:3], v2, v3, a[0:3]
	s_movk_i32 s4, 0x7f
                                        ; implicit-def: $sgpr10
	s_nop 7
	s_nop 1
	flat_store_dwordx4 v[10:11], a[0:3] offset:720
	flat_load_dwordx4 v[12:15], v[0:1]
	s_nop 0
	flat_load_dwordx2 v[10:11], v[0:1] offset:16
	s_waitcnt vmcnt(0) lgkmcnt(0)
	flat_load_dwordx4 v[6:9], v[12:13] offset:80
	flat_load_dwordx4 v[2:5], v[14:15] offset:96
	s_waitcnt vmcnt(0) lgkmcnt(0)
	v_cmp_gt_i16_sdwa s[6:7], v6, s4 src0_sel:BYTE_0 src1_sel:DWORD
	s_mov_b64 s[4:5], 0
	s_and_saveexec_b64 s[8:9], s[6:7]
	s_xor_b64 s[6:7], exec, s[8:9]
	s_cbranch_execz .LBB2_5889
; %bb.41729:
	s_getpc_b64 s[14:15]
.Lpost_getpc24448:
	s_add_u32 s14, s14, (.LBB2_20225-.Lpost_getpc24448)&4294967295
	s_addc_u32 s15, s15, (.LBB2_20225-.Lpost_getpc24448)>>32
	s_setpc_b64 s[14:15]
.LBB2_5889:
	s_or_saveexec_b64 s[6:7], s[6:7]
	v_mov_b32_e32 v12, s10
	s_xor_b64 exec, exec, s[6:7]
	s_cbranch_execz .LBB2_5890
; %bb.41731:
	s_getpc_b64 s[14:15]
.Lpost_getpc24449:
	s_add_u32 s14, s14, (.LBB2_20228-.Lpost_getpc24449)&4294967295
	s_addc_u32 s15, s15, (.LBB2_20228-.Lpost_getpc24449)>>32
	s_setpc_b64 s[14:15]
.LBB2_5890:
	s_or_b64 exec, exec, s[6:7]
	s_and_saveexec_b64 s[6:7], s[4:5]
	s_cbranch_execz .LBB2_5892
.LBB2_5891:
	v_and_b32_e32 v12, 7, v6
	v_ffbh_u32_e32 v14, v12
	v_min_u32_e32 v14, 32, v14
	v_lshrrev_b16_e32 v13, 3, v6
	v_subrev_u32_e32 v15, 28, v14
	v_and_b32_e32 v13, 15, v13
	v_lshlrev_b32_e32 v15, v15, v6
	v_sub_u32_e32 v14, 29, v14
	v_and_b32_e32 v15, 7, v15
	v_cmp_eq_u16_e32 vcc, 0, v13
	v_cndmask_b32_e32 v12, v12, v15, vcc
	v_cndmask_b32_e32 v13, v13, v14, vcc
	v_lshlrev_b32_e32 v14, 24, v6
	v_mov_b32_e32 v15, 0x3b800000
	v_lshlrev_b32_e32 v12, 20, v12
	v_and_b32_e32 v14, 0x80000000, v14
	v_lshl_add_u32 v13, v13, 23, v15
	v_or3_b32 v12, v14, v13, v12
.LBB2_5892:
	s_or_b64 exec, exec, s[6:7]
	s_movk_i32 s4, 0x7f
	v_cmp_gt_i16_sdwa s[6:7], v2, s4 src0_sel:BYTE_0 src1_sel:DWORD
	s_mov_b64 s[4:5], 0
                                        ; implicit-def: $sgpr10
	s_and_saveexec_b64 s[8:9], s[6:7]
	s_xor_b64 s[6:7], exec, s[8:9]
	s_cbranch_execz .LBB2_5893
; %bb.41733:
	s_getpc_b64 s[14:15]
.Lpost_getpc24450:
	s_add_u32 s14, s14, (.LBB2_20229-.Lpost_getpc24450)&4294967295
	s_addc_u32 s15, s15, (.LBB2_20229-.Lpost_getpc24450)>>32
	s_setpc_b64 s[14:15]
.LBB2_5893:
	s_or_saveexec_b64 s[6:7], s[6:7]
	v_mov_b32_e32 v13, s10
	s_xor_b64 exec, exec, s[6:7]
	s_cbranch_execz .LBB2_5894
; %bb.41735:
	s_getpc_b64 s[14:15]
.Lpost_getpc24451:
	s_add_u32 s14, s14, (.LBB2_20232-.Lpost_getpc24451)&4294967295
	s_addc_u32 s15, s15, (.LBB2_20232-.Lpost_getpc24451)>>32
	s_setpc_b64 s[14:15]
.LBB2_5894:
	s_or_b64 exec, exec, s[6:7]
	s_and_saveexec_b64 s[6:7], s[4:5]
	s_cbranch_execz .LBB2_5896
.LBB2_5895:
	v_and_b32_e32 v13, 7, v2
	v_ffbh_u32_e32 v15, v13
	v_min_u32_e32 v15, 32, v15
	v_lshrrev_b16_e32 v14, 3, v2
	v_subrev_u32_e32 v16, 28, v15
	v_and_b32_e32 v14, 15, v14
	v_lshlrev_b32_e32 v16, v16, v2
	v_sub_u32_e32 v15, 29, v15
	v_and_b32_e32 v16, 7, v16
	v_cmp_eq_u16_e32 vcc, 0, v14
	v_cndmask_b32_e32 v13, v13, v16, vcc
	v_cndmask_b32_e32 v14, v14, v15, vcc
	v_lshlrev_b32_e32 v15, 24, v2
	v_mov_b32_e32 v16, 0x3b800000
	v_lshlrev_b32_e32 v13, 20, v13
	v_and_b32_e32 v15, 0x80000000, v15
	v_lshl_add_u32 v14, v14, 23, v16
	v_or3_b32 v13, v15, v14, v13
.LBB2_5896:
	s_or_b64 exec, exec, s[6:7]
	flat_load_dwordx4 a[0:3], v[10:11] offset:736
	s_movk_i32 s4, 0x7f
                                        ; implicit-def: $sgpr10
	s_waitcnt vmcnt(0) lgkmcnt(0)
	v_mfma_f32_16x16x4f32 a[0:3], v12, v13, a[0:3]
	v_lshrrev_b32_e32 v13, 8, v6
	v_cmp_gt_i16_sdwa s[6:7], v13, s4 src0_sel:BYTE_0 src1_sel:DWORD
	s_mov_b64 s[4:5], 0
	s_and_saveexec_b64 s[8:9], s[6:7]
	s_xor_b64 s[6:7], exec, s[8:9]
	s_cbranch_execz .LBB2_5897
; %bb.41737:
	s_getpc_b64 s[14:15]
.Lpost_getpc24452:
	s_add_u32 s14, s14, (.LBB2_20233-.Lpost_getpc24452)&4294967295
	s_addc_u32 s15, s15, (.LBB2_20233-.Lpost_getpc24452)>>32
	s_setpc_b64 s[14:15]
.LBB2_5897:
	s_or_saveexec_b64 s[6:7], s[6:7]
	v_mov_b32_e32 v12, s10
	s_xor_b64 exec, exec, s[6:7]
	s_cbranch_execz .LBB2_5898
; %bb.41739:
	s_getpc_b64 s[14:15]
.Lpost_getpc24453:
	s_add_u32 s14, s14, (.LBB2_20236-.Lpost_getpc24453)&4294967295
	s_addc_u32 s15, s15, (.LBB2_20236-.Lpost_getpc24453)>>32
	s_setpc_b64 s[14:15]
.LBB2_5898:
	s_or_b64 exec, exec, s[6:7]
	s_and_saveexec_b64 s[6:7], s[4:5]
	s_cbranch_execz .LBB2_5900
.LBB2_5899:
	v_bfe_u32 v12, v6, 8, 3
	v_ffbh_u32_e32 v15, v12
	v_min_u32_e32 v15, 32, v15
	v_lshrrev_b16_e32 v14, 3, v13
	v_subrev_u32_e32 v16, 28, v15
	v_and_b32_e32 v14, 15, v14
	v_lshlrev_b32_e32 v13, v16, v13
	v_sub_u32_e32 v15, 29, v15
	v_and_b32_e32 v13, 7, v13
	v_cmp_eq_u16_e32 vcc, 0, v14
	v_cndmask_b32_e32 v12, v12, v13, vcc
	v_cndmask_b32_e32 v13, v14, v15, vcc
	v_lshlrev_b32_e32 v14, 16, v6
	v_mov_b32_e32 v15, 0x3b800000
	v_lshlrev_b32_e32 v12, 20, v12
	v_and_b32_e32 v14, 0x80000000, v14
	v_lshl_add_u32 v13, v13, 23, v15
	v_or3_b32 v12, v14, v13, v12
.LBB2_5900:
	s_or_b64 exec, exec, s[6:7]
	v_lshrrev_b32_e32 v13, 8, v2
	s_movk_i32 s4, 0x7f
	v_cmp_gt_i16_sdwa s[6:7], v13, s4 src0_sel:BYTE_0 src1_sel:DWORD
	s_mov_b64 s[4:5], 0
                                        ; implicit-def: $sgpr10
	s_and_saveexec_b64 s[8:9], s[6:7]
	s_xor_b64 s[6:7], exec, s[8:9]
	s_cbranch_execz .LBB2_5901
; %bb.41741:
	s_getpc_b64 s[14:15]
.Lpost_getpc24454:
	s_add_u32 s14, s14, (.LBB2_20237-.Lpost_getpc24454)&4294967295
	s_addc_u32 s15, s15, (.LBB2_20237-.Lpost_getpc24454)>>32
	s_setpc_b64 s[14:15]
.LBB2_5901:
	s_or_saveexec_b64 s[6:7], s[6:7]
	v_mov_b32_e32 v14, s10
	s_xor_b64 exec, exec, s[6:7]
	s_cbranch_execz .LBB2_5902
; %bb.41743:
	s_getpc_b64 s[14:15]
.Lpost_getpc24455:
	s_add_u32 s14, s14, (.LBB2_20240-.Lpost_getpc24455)&4294967295
	s_addc_u32 s15, s15, (.LBB2_20240-.Lpost_getpc24455)>>32
	s_setpc_b64 s[14:15]
.LBB2_5902:
	s_or_b64 exec, exec, s[6:7]
	s_and_saveexec_b64 s[6:7], s[4:5]
	s_cbranch_execz .LBB2_5904
.LBB2_5903:
	v_bfe_u32 v14, v2, 8, 3
	v_ffbh_u32_e32 v16, v14
	v_min_u32_e32 v16, 32, v16
	v_lshrrev_b16_e32 v15, 3, v13
	v_subrev_u32_e32 v17, 28, v16
	v_and_b32_e32 v15, 15, v15
	v_lshlrev_b32_e32 v13, v17, v13
	v_sub_u32_e32 v16, 29, v16
	v_and_b32_e32 v13, 7, v13
	v_cmp_eq_u16_e32 vcc, 0, v15
	v_cndmask_b32_e32 v13, v14, v13, vcc
	v_cndmask_b32_e32 v14, v15, v16, vcc
	v_lshlrev_b32_e32 v15, 16, v2
	v_mov_b32_e32 v16, 0x3b800000
	v_lshlrev_b32_e32 v13, 20, v13
	v_and_b32_e32 v15, 0x80000000, v15
	v_lshl_add_u32 v14, v14, 23, v16
	v_or3_b32 v14, v15, v14, v13
.LBB2_5904:
	s_or_b64 exec, exec, s[6:7]
	s_nop 0
	v_mfma_f32_16x16x4f32 a[0:3], v12, v14, a[0:3]
	s_movk_i32 s4, 0xff
	v_and_b32_sdwa v13, v6, s4 dst_sel:DWORD dst_unused:UNUSED_PAD src0_sel:WORD_1 src1_sel:DWORD
	s_movk_i32 s4, 0x7f
	v_cmp_lt_i16_e32 vcc, s4, v13
	s_mov_b64 s[4:5], 0
                                        ; implicit-def: $sgpr10
	s_and_saveexec_b64 s[6:7], vcc
	s_xor_b64 s[6:7], exec, s[6:7]
	s_cbranch_execz .LBB2_5905
; %bb.41745:
	s_getpc_b64 s[14:15]
.Lpost_getpc24456:
	s_add_u32 s14, s14, (.LBB2_20241-.Lpost_getpc24456)&4294967295
	s_addc_u32 s15, s15, (.LBB2_20241-.Lpost_getpc24456)>>32
	s_setpc_b64 s[14:15]
.LBB2_5905:
	s_or_saveexec_b64 s[6:7], s[6:7]
	v_mov_b32_e32 v12, s10
	s_xor_b64 exec, exec, s[6:7]
	s_cbranch_execz .LBB2_5906
; %bb.41747:
	s_getpc_b64 s[14:15]
.Lpost_getpc24457:
	s_add_u32 s14, s14, (.LBB2_20244-.Lpost_getpc24457)&4294967295
	s_addc_u32 s15, s15, (.LBB2_20244-.Lpost_getpc24457)>>32
	s_setpc_b64 s[14:15]
.LBB2_5906:
	s_or_b64 exec, exec, s[6:7]
	s_and_saveexec_b64 s[6:7], s[4:5]
	s_cbranch_execz .LBB2_5908
.LBB2_5907:
	v_bfe_u32 v12, v6, 16, 3
	v_ffbh_u32_e32 v15, v12
	v_min_u32_e32 v15, 32, v15
	v_lshrrev_b32_e32 v13, 19, v6
	v_subrev_u32_e32 v16, 28, v15
	v_and_b32_e32 v13, 15, v13
	v_lshlrev_b32_sdwa v16, v16, v6 dst_sel:DWORD dst_unused:UNUSED_PAD src0_sel:DWORD src1_sel:WORD_1
	v_bfe_u32 v14, v6, 19, 4
	v_sub_u32_e32 v15, 29, v15
	v_and_b32_e32 v16, 7, v16
	v_cmp_eq_u16_e32 vcc, 0, v13
	v_cndmask_b32_e32 v12, v12, v16, vcc
	v_cndmask_b32_e32 v13, v14, v15, vcc
	v_lshlrev_b32_e32 v14, 8, v6
	v_mov_b32_e32 v15, 0x3b800000
	v_lshlrev_b32_e32 v12, 20, v12
	v_and_b32_e32 v14, 0x80000000, v14
	v_lshl_add_u32 v13, v13, 23, v15
	v_or3_b32 v12, v14, v13, v12
.LBB2_5908:
	s_or_b64 exec, exec, s[6:7]
	s_movk_i32 s4, 0xff
	v_and_b32_sdwa v13, v2, s4 dst_sel:DWORD dst_unused:UNUSED_PAD src0_sel:WORD_1 src1_sel:DWORD
	s_movk_i32 s4, 0x7f
	v_cmp_lt_i16_e32 vcc, s4, v13
	s_mov_b64 s[4:5], 0
                                        ; implicit-def: $sgpr10
	s_and_saveexec_b64 s[6:7], vcc
	s_xor_b64 s[6:7], exec, s[6:7]
	s_cbranch_execz .LBB2_5909
; %bb.41749:
	s_getpc_b64 s[14:15]
.Lpost_getpc24458:
	s_add_u32 s14, s14, (.LBB2_20245-.Lpost_getpc24458)&4294967295
	s_addc_u32 s15, s15, (.LBB2_20245-.Lpost_getpc24458)>>32
	s_setpc_b64 s[14:15]
.LBB2_5909:
	s_or_saveexec_b64 s[6:7], s[6:7]
	v_mov_b32_e32 v14, s10
	s_xor_b64 exec, exec, s[6:7]
	s_cbranch_execz .LBB2_5910
; %bb.41751:
	s_getpc_b64 s[14:15]
.Lpost_getpc24459:
	s_add_u32 s14, s14, (.LBB2_20248-.Lpost_getpc24459)&4294967295
	s_addc_u32 s15, s15, (.LBB2_20248-.Lpost_getpc24459)>>32
	s_setpc_b64 s[14:15]
.LBB2_5910:
	s_or_b64 exec, exec, s[6:7]
	s_and_saveexec_b64 s[6:7], s[4:5]
	s_cbranch_execz .LBB2_5912
.LBB2_5911:
	v_bfe_u32 v13, v2, 16, 3
	v_ffbh_u32_e32 v16, v13
	v_min_u32_e32 v16, 32, v16
	v_lshrrev_b32_e32 v14, 19, v2
	v_subrev_u32_e32 v17, 28, v16
	v_and_b32_e32 v14, 15, v14
	v_lshlrev_b32_sdwa v17, v17, v2 dst_sel:DWORD dst_unused:UNUSED_PAD src0_sel:DWORD src1_sel:WORD_1
	v_bfe_u32 v15, v2, 19, 4
	v_sub_u32_e32 v16, 29, v16
	v_and_b32_e32 v17, 7, v17
	v_cmp_eq_u16_e32 vcc, 0, v14
	v_cndmask_b32_e32 v13, v13, v17, vcc
	v_cndmask_b32_e32 v14, v15, v16, vcc
	v_lshlrev_b32_e32 v15, 8, v2
	v_mov_b32_e32 v16, 0x3b800000
	v_lshlrev_b32_e32 v13, 20, v13
	v_and_b32_e32 v15, 0x80000000, v15
	v_lshl_add_u32 v14, v14, 23, v16
	v_or3_b32 v14, v15, v14, v13
.LBB2_5912:
	s_or_b64 exec, exec, s[6:7]
	s_nop 0
	v_mfma_f32_16x16x4f32 a[0:3], v12, v14, a[0:3]
	s_movk_i32 s4, 0x7f
	v_cmp_gt_i16_sdwa s[6:7], v6, s4 src0_sel:BYTE_3 src1_sel:DWORD
	s_mov_b64 s[4:5], 0
                                        ; implicit-def: $sgpr10
	s_and_saveexec_b64 s[8:9], s[6:7]
	s_xor_b64 s[6:7], exec, s[8:9]
	s_cbranch_execz .LBB2_5913
; %bb.41753:
	s_getpc_b64 s[14:15]
.Lpost_getpc24460:
	s_add_u32 s14, s14, (.LBB2_20249-.Lpost_getpc24460)&4294967295
	s_addc_u32 s15, s15, (.LBB2_20249-.Lpost_getpc24460)>>32
	s_setpc_b64 s[14:15]
.LBB2_5913:
	s_or_saveexec_b64 s[6:7], s[6:7]
	v_mov_b32_e32 v12, s10
	s_xor_b64 exec, exec, s[6:7]
	s_cbranch_execz .LBB2_5914
; %bb.41755:
	s_getpc_b64 s[14:15]
.Lpost_getpc24461:
	s_add_u32 s14, s14, (.LBB2_20252-.Lpost_getpc24461)&4294967295
	s_addc_u32 s15, s15, (.LBB2_20252-.Lpost_getpc24461)>>32
	s_setpc_b64 s[14:15]
.LBB2_5914:
	s_or_b64 exec, exec, s[6:7]
	s_and_saveexec_b64 s[6:7], s[4:5]
	s_cbranch_execz .LBB2_5916
.LBB2_5915:
	v_bfe_u32 v12, v6, 24, 3
	v_ffbh_u32_e32 v16, v12
	v_min_u32_e32 v16, 32, v16
	v_lshrrev_b32_e32 v14, 27, v6
	v_subrev_u32_e32 v17, 28, v16
	v_and_b32_e32 v13, 0x80000000, v6
	v_and_b32_e32 v14, 15, v14
	v_bfe_u32 v15, v6, 27, 4
	v_lshlrev_b32_sdwa v6, v17, v6 dst_sel:DWORD dst_unused:UNUSED_PAD src0_sel:DWORD src1_sel:BYTE_3
	v_sub_u32_e32 v16, 29, v16
	v_and_b32_e32 v6, 7, v6
	v_cmp_eq_u16_e32 vcc, 0, v14
	v_cndmask_b32_e32 v6, v12, v6, vcc
	v_cndmask_b32_e32 v12, v15, v16, vcc
	v_mov_b32_e32 v14, 0x3b800000
	v_lshlrev_b32_e32 v6, 20, v6
	v_lshl_add_u32 v12, v12, 23, v14
	v_or3_b32 v12, v13, v12, v6
.LBB2_5916:
	s_or_b64 exec, exec, s[6:7]
	s_movk_i32 s4, 0x7f
	v_cmp_gt_i16_sdwa s[6:7], v2, s4 src0_sel:BYTE_3 src1_sel:DWORD
	s_mov_b64 s[4:5], 0
                                        ; implicit-def: $sgpr10
	s_and_saveexec_b64 s[8:9], s[6:7]
	s_xor_b64 s[6:7], exec, s[8:9]
	s_cbranch_execz .LBB2_5917
; %bb.41757:
	s_getpc_b64 s[14:15]
.Lpost_getpc24462:
	s_add_u32 s14, s14, (.LBB2_20253-.Lpost_getpc24462)&4294967295
	s_addc_u32 s15, s15, (.LBB2_20253-.Lpost_getpc24462)>>32
	s_setpc_b64 s[14:15]
.LBB2_5917:
	s_or_saveexec_b64 s[6:7], s[6:7]
	v_mov_b32_e32 v6, s10
	s_xor_b64 exec, exec, s[6:7]
	s_cbranch_execz .LBB2_5918
; %bb.41759:
	s_getpc_b64 s[14:15]
.Lpost_getpc24463:
	s_add_u32 s14, s14, (.LBB2_20256-.Lpost_getpc24463)&4294967295
	s_addc_u32 s15, s15, (.LBB2_20256-.Lpost_getpc24463)>>32
	s_setpc_b64 s[14:15]
.LBB2_5918:
	s_or_b64 exec, exec, s[6:7]
	s_and_saveexec_b64 s[6:7], s[4:5]
	s_cbranch_execz .LBB2_5920
.LBB2_5919:
	v_bfe_u32 v6, v2, 24, 3
	v_ffbh_u32_e32 v16, v6
	v_min_u32_e32 v16, 32, v16
	v_lshrrev_b32_e32 v14, 27, v2
	v_subrev_u32_e32 v17, 28, v16
	v_and_b32_e32 v13, 0x80000000, v2
	v_and_b32_e32 v14, 15, v14
	v_bfe_u32 v15, v2, 27, 4
	v_lshlrev_b32_sdwa v2, v17, v2 dst_sel:DWORD dst_unused:UNUSED_PAD src0_sel:DWORD src1_sel:BYTE_3
	v_sub_u32_e32 v16, 29, v16
	v_and_b32_e32 v2, 7, v2
	v_cmp_eq_u16_e32 vcc, 0, v14
	v_cndmask_b32_e32 v2, v6, v2, vcc
	v_cndmask_b32_e32 v6, v15, v16, vcc
	v_mov_b32_e32 v14, 0x3b800000
	v_lshlrev_b32_e32 v2, 20, v2
	v_lshl_add_u32 v6, v6, 23, v14
	v_or3_b32 v6, v13, v6, v2
.LBB2_5920:
	s_or_b64 exec, exec, s[6:7]
	s_nop 0
	v_mfma_f32_16x16x4f32 a[0:3], v12, v6, a[0:3]
	s_movk_i32 s4, 0x7f
	v_cmp_gt_i16_sdwa s[6:7], v7, s4 src0_sel:BYTE_0 src1_sel:DWORD
	s_mov_b64 s[4:5], 0
                                        ; implicit-def: $sgpr10
	s_and_saveexec_b64 s[8:9], s[6:7]
	s_xor_b64 s[6:7], exec, s[8:9]
	s_cbranch_execz .LBB2_5921
; %bb.41761:
	s_getpc_b64 s[14:15]
.Lpost_getpc24464:
	s_add_u32 s14, s14, (.LBB2_20257-.Lpost_getpc24464)&4294967295
	s_addc_u32 s15, s15, (.LBB2_20257-.Lpost_getpc24464)>>32
	s_setpc_b64 s[14:15]
.LBB2_5921:
	s_or_saveexec_b64 s[6:7], s[6:7]
	v_mov_b32_e32 v2, s10
	s_xor_b64 exec, exec, s[6:7]
	s_cbranch_execz .LBB2_5922
; %bb.41763:
	s_getpc_b64 s[14:15]
.Lpost_getpc24465:
	s_add_u32 s14, s14, (.LBB2_20260-.Lpost_getpc24465)&4294967295
	s_addc_u32 s15, s15, (.LBB2_20260-.Lpost_getpc24465)>>32
	s_setpc_b64 s[14:15]
.LBB2_5922:
	s_or_b64 exec, exec, s[6:7]
	s_and_saveexec_b64 s[6:7], s[4:5]
	s_cbranch_execz .LBB2_5924
.LBB2_5923:
	v_and_b32_e32 v2, 7, v7
	v_ffbh_u32_e32 v12, v2
	v_min_u32_e32 v12, 32, v12
	v_lshrrev_b16_e32 v6, 3, v7
	v_subrev_u32_e32 v13, 28, v12
	v_and_b32_e32 v6, 15, v6
	v_lshlrev_b32_e32 v13, v13, v7
	v_sub_u32_e32 v12, 29, v12
	v_and_b32_e32 v13, 7, v13
	v_cmp_eq_u16_e32 vcc, 0, v6
	v_cndmask_b32_e32 v2, v2, v13, vcc
	v_cndmask_b32_e32 v6, v6, v12, vcc
	v_lshlrev_b32_e32 v12, 24, v7
	v_mov_b32_e32 v13, 0x3b800000
	v_lshlrev_b32_e32 v2, 20, v2
	v_and_b32_e32 v12, 0x80000000, v12
	v_lshl_add_u32 v6, v6, 23, v13
	v_or3_b32 v2, v12, v6, v2
.LBB2_5924:
	s_or_b64 exec, exec, s[6:7]
	s_movk_i32 s4, 0x7f
	v_cmp_gt_i16_sdwa s[6:7], v3, s4 src0_sel:BYTE_0 src1_sel:DWORD
	s_mov_b64 s[4:5], 0
                                        ; implicit-def: $sgpr10
	s_and_saveexec_b64 s[8:9], s[6:7]
	s_xor_b64 s[6:7], exec, s[8:9]
	s_cbranch_execz .LBB2_5925
; %bb.41765:
	s_getpc_b64 s[14:15]
.Lpost_getpc24466:
	s_add_u32 s14, s14, (.LBB2_20261-.Lpost_getpc24466)&4294967295
	s_addc_u32 s15, s15, (.LBB2_20261-.Lpost_getpc24466)>>32
	s_setpc_b64 s[14:15]
.LBB2_5925:
	s_or_saveexec_b64 s[6:7], s[6:7]
	v_mov_b32_e32 v6, s10
	s_xor_b64 exec, exec, s[6:7]
	s_cbranch_execz .LBB2_5926
; %bb.41767:
	s_getpc_b64 s[14:15]
.Lpost_getpc24467:
	s_add_u32 s14, s14, (.LBB2_20264-.Lpost_getpc24467)&4294967295
	s_addc_u32 s15, s15, (.LBB2_20264-.Lpost_getpc24467)>>32
	s_setpc_b64 s[14:15]
.LBB2_5926:
	s_or_b64 exec, exec, s[6:7]
	s_and_saveexec_b64 s[6:7], s[4:5]
	s_cbranch_execz .LBB2_5928
.LBB2_5927:
	v_and_b32_e32 v6, 7, v3
	v_ffbh_u32_e32 v13, v6
	v_min_u32_e32 v13, 32, v13
	v_lshrrev_b16_e32 v12, 3, v3
	v_subrev_u32_e32 v14, 28, v13
	v_and_b32_e32 v12, 15, v12
	v_lshlrev_b32_e32 v14, v14, v3
	v_sub_u32_e32 v13, 29, v13
	v_and_b32_e32 v14, 7, v14
	v_cmp_eq_u16_e32 vcc, 0, v12
	v_cndmask_b32_e32 v6, v6, v14, vcc
	v_cndmask_b32_e32 v12, v12, v13, vcc
	v_lshlrev_b32_e32 v13, 24, v3
	v_mov_b32_e32 v14, 0x3b800000
	v_lshlrev_b32_e32 v6, 20, v6
	v_and_b32_e32 v13, 0x80000000, v13
	v_lshl_add_u32 v12, v12, 23, v14
	v_or3_b32 v6, v13, v12, v6
.LBB2_5928:
	s_or_b64 exec, exec, s[6:7]
	s_nop 0
	v_mfma_f32_16x16x4f32 a[0:3], v2, v6, a[0:3]
	v_lshrrev_b32_e32 v6, 8, v7
	s_movk_i32 s4, 0x7f
	v_cmp_gt_i16_sdwa s[6:7], v6, s4 src0_sel:BYTE_0 src1_sel:DWORD
	s_mov_b64 s[4:5], 0
                                        ; implicit-def: $sgpr10
	s_and_saveexec_b64 s[8:9], s[6:7]
	s_xor_b64 s[6:7], exec, s[8:9]
	s_cbranch_execz .LBB2_5929
; %bb.41769:
	s_getpc_b64 s[14:15]
.Lpost_getpc24468:
	s_add_u32 s14, s14, (.LBB2_20265-.Lpost_getpc24468)&4294967295
	s_addc_u32 s15, s15, (.LBB2_20265-.Lpost_getpc24468)>>32
	s_setpc_b64 s[14:15]
.LBB2_5929:
	s_or_saveexec_b64 s[6:7], s[6:7]
	v_mov_b32_e32 v2, s10
	s_xor_b64 exec, exec, s[6:7]
	s_cbranch_execz .LBB2_5930
; %bb.41771:
	s_getpc_b64 s[14:15]
.Lpost_getpc24469:
	s_add_u32 s14, s14, (.LBB2_20268-.Lpost_getpc24469)&4294967295
	s_addc_u32 s15, s15, (.LBB2_20268-.Lpost_getpc24469)>>32
	s_setpc_b64 s[14:15]
.LBB2_5930:
	s_or_b64 exec, exec, s[6:7]
	s_and_saveexec_b64 s[6:7], s[4:5]
	s_cbranch_execz .LBB2_5932
.LBB2_5931:
	v_bfe_u32 v2, v7, 8, 3
	v_ffbh_u32_e32 v13, v2
	v_min_u32_e32 v13, 32, v13
	v_lshrrev_b16_e32 v12, 3, v6
	v_subrev_u32_e32 v14, 28, v13
	v_and_b32_e32 v12, 15, v12
	v_lshlrev_b32_e32 v6, v14, v6
	v_sub_u32_e32 v13, 29, v13
	v_and_b32_e32 v6, 7, v6
	v_cmp_eq_u16_e32 vcc, 0, v12
	v_cndmask_b32_e32 v2, v2, v6, vcc
	v_cndmask_b32_e32 v6, v12, v13, vcc
	v_lshlrev_b32_e32 v12, 16, v7
	v_mov_b32_e32 v13, 0x3b800000
	v_lshlrev_b32_e32 v2, 20, v2
	v_and_b32_e32 v12, 0x80000000, v12
	v_lshl_add_u32 v6, v6, 23, v13
	v_or3_b32 v2, v12, v6, v2
.LBB2_5932:
	s_or_b64 exec, exec, s[6:7]
	v_lshrrev_b32_e32 v6, 8, v3
	s_movk_i32 s4, 0x7f
	v_cmp_gt_i16_sdwa s[6:7], v6, s4 src0_sel:BYTE_0 src1_sel:DWORD
	s_mov_b64 s[4:5], 0
                                        ; implicit-def: $sgpr10
	s_and_saveexec_b64 s[8:9], s[6:7]
	s_xor_b64 s[6:7], exec, s[8:9]
	s_cbranch_execz .LBB2_5933
; %bb.41773:
	s_getpc_b64 s[14:15]
.Lpost_getpc24470:
	s_add_u32 s14, s14, (.LBB2_20269-.Lpost_getpc24470)&4294967295
	s_addc_u32 s15, s15, (.LBB2_20269-.Lpost_getpc24470)>>32
	s_setpc_b64 s[14:15]
.LBB2_5933:
	s_or_saveexec_b64 s[6:7], s[6:7]
	v_mov_b32_e32 v12, s10
	s_xor_b64 exec, exec, s[6:7]
	s_cbranch_execz .LBB2_5934
; %bb.41775:
	s_getpc_b64 s[14:15]
.Lpost_getpc24471:
	s_add_u32 s14, s14, (.LBB2_20272-.Lpost_getpc24471)&4294967295
	s_addc_u32 s15, s15, (.LBB2_20272-.Lpost_getpc24471)>>32
	s_setpc_b64 s[14:15]
.LBB2_5934:
	s_or_b64 exec, exec, s[6:7]
	s_and_saveexec_b64 s[6:7], s[4:5]
	s_cbranch_execz .LBB2_5936
.LBB2_5935:
	v_bfe_u32 v12, v3, 8, 3
	v_ffbh_u32_e32 v14, v12
	v_min_u32_e32 v14, 32, v14
	v_lshrrev_b16_e32 v13, 3, v6
	v_subrev_u32_e32 v15, 28, v14
	v_and_b32_e32 v13, 15, v13
	v_lshlrev_b32_e32 v6, v15, v6
	v_sub_u32_e32 v14, 29, v14
	v_and_b32_e32 v6, 7, v6
	v_cmp_eq_u16_e32 vcc, 0, v13
	v_cndmask_b32_e32 v6, v12, v6, vcc
	v_cndmask_b32_e32 v12, v13, v14, vcc
	v_lshlrev_b32_e32 v13, 16, v3
	v_mov_b32_e32 v14, 0x3b800000
	v_lshlrev_b32_e32 v6, 20, v6
	v_and_b32_e32 v13, 0x80000000, v13
	v_lshl_add_u32 v12, v12, 23, v14
	v_or3_b32 v12, v13, v12, v6
.LBB2_5936:
	s_or_b64 exec, exec, s[6:7]
	s_nop 0
	v_mfma_f32_16x16x4f32 a[0:3], v2, v12, a[0:3]
	s_movk_i32 s4, 0xff
	v_and_b32_sdwa v6, v7, s4 dst_sel:DWORD dst_unused:UNUSED_PAD src0_sel:WORD_1 src1_sel:DWORD
	s_movk_i32 s4, 0x7f
	v_cmp_lt_i16_e32 vcc, s4, v6
	s_mov_b64 s[4:5], 0
                                        ; implicit-def: $sgpr10
	s_and_saveexec_b64 s[6:7], vcc
	s_xor_b64 s[6:7], exec, s[6:7]
	s_cbranch_execz .LBB2_5937
; %bb.41777:
	s_getpc_b64 s[14:15]
.Lpost_getpc24472:
	s_add_u32 s14, s14, (.LBB2_20273-.Lpost_getpc24472)&4294967295
	s_addc_u32 s15, s15, (.LBB2_20273-.Lpost_getpc24472)>>32
	s_setpc_b64 s[14:15]
.LBB2_5937:
	s_or_saveexec_b64 s[6:7], s[6:7]
	v_mov_b32_e32 v2, s10
	s_xor_b64 exec, exec, s[6:7]
	s_cbranch_execz .LBB2_5938
; %bb.41779:
	s_getpc_b64 s[14:15]
.Lpost_getpc24473:
	s_add_u32 s14, s14, (.LBB2_20276-.Lpost_getpc24473)&4294967295
	s_addc_u32 s15, s15, (.LBB2_20276-.Lpost_getpc24473)>>32
	s_setpc_b64 s[14:15]
.LBB2_5938:
	s_or_b64 exec, exec, s[6:7]
	s_and_saveexec_b64 s[6:7], s[4:5]
	s_cbranch_execz .LBB2_5940
.LBB2_5939:
	v_bfe_u32 v2, v7, 16, 3
	v_ffbh_u32_e32 v13, v2
	v_min_u32_e32 v13, 32, v13
	v_lshrrev_b32_e32 v6, 19, v7
	v_subrev_u32_e32 v14, 28, v13
	v_and_b32_e32 v6, 15, v6
	v_lshlrev_b32_sdwa v14, v14, v7 dst_sel:DWORD dst_unused:UNUSED_PAD src0_sel:DWORD src1_sel:WORD_1
	v_bfe_u32 v12, v7, 19, 4
	v_sub_u32_e32 v13, 29, v13
	v_and_b32_e32 v14, 7, v14
	v_cmp_eq_u16_e32 vcc, 0, v6
	v_cndmask_b32_e32 v2, v2, v14, vcc
	v_cndmask_b32_e32 v6, v12, v13, vcc
	v_lshlrev_b32_e32 v12, 8, v7
	v_mov_b32_e32 v13, 0x3b800000
	v_lshlrev_b32_e32 v2, 20, v2
	v_and_b32_e32 v12, 0x80000000, v12
	v_lshl_add_u32 v6, v6, 23, v13
	v_or3_b32 v2, v12, v6, v2
.LBB2_5940:
	s_or_b64 exec, exec, s[6:7]
	s_movk_i32 s4, 0xff
	v_and_b32_sdwa v6, v3, s4 dst_sel:DWORD dst_unused:UNUSED_PAD src0_sel:WORD_1 src1_sel:DWORD
	s_movk_i32 s4, 0x7f
	v_cmp_lt_i16_e32 vcc, s4, v6
	s_mov_b64 s[4:5], 0
                                        ; implicit-def: $sgpr10
	s_and_saveexec_b64 s[6:7], vcc
	s_xor_b64 s[6:7], exec, s[6:7]
	s_cbranch_execz .LBB2_5941
; %bb.41781:
	s_getpc_b64 s[14:15]
.Lpost_getpc24474:
	s_add_u32 s14, s14, (.LBB2_20277-.Lpost_getpc24474)&4294967295
	s_addc_u32 s15, s15, (.LBB2_20277-.Lpost_getpc24474)>>32
	s_setpc_b64 s[14:15]
.LBB2_5941:
	s_or_saveexec_b64 s[6:7], s[6:7]
	v_mov_b32_e32 v12, s10
	s_xor_b64 exec, exec, s[6:7]
	s_cbranch_execz .LBB2_5942
; %bb.41783:
	s_getpc_b64 s[14:15]
.Lpost_getpc24475:
	s_add_u32 s14, s14, (.LBB2_20280-.Lpost_getpc24475)&4294967295
	s_addc_u32 s15, s15, (.LBB2_20280-.Lpost_getpc24475)>>32
	s_setpc_b64 s[14:15]
.LBB2_5942:
	s_or_b64 exec, exec, s[6:7]
	s_and_saveexec_b64 s[6:7], s[4:5]
	s_cbranch_execz .LBB2_5944
.LBB2_5943:
	v_bfe_u32 v6, v3, 16, 3
	v_ffbh_u32_e32 v14, v6
	v_min_u32_e32 v14, 32, v14
	v_lshrrev_b32_e32 v12, 19, v3
	v_subrev_u32_e32 v15, 28, v14
	v_and_b32_e32 v12, 15, v12
	v_lshlrev_b32_sdwa v15, v15, v3 dst_sel:DWORD dst_unused:UNUSED_PAD src0_sel:DWORD src1_sel:WORD_1
	v_bfe_u32 v13, v3, 19, 4
	v_sub_u32_e32 v14, 29, v14
	v_and_b32_e32 v15, 7, v15
	v_cmp_eq_u16_e32 vcc, 0, v12
	v_cndmask_b32_e32 v6, v6, v15, vcc
	v_cndmask_b32_e32 v12, v13, v14, vcc
	v_lshlrev_b32_e32 v13, 8, v3
	v_mov_b32_e32 v14, 0x3b800000
	v_lshlrev_b32_e32 v6, 20, v6
	v_and_b32_e32 v13, 0x80000000, v13
	v_lshl_add_u32 v12, v12, 23, v14
	v_or3_b32 v12, v13, v12, v6
.LBB2_5944:
	s_or_b64 exec, exec, s[6:7]
	s_nop 0
	v_mfma_f32_16x16x4f32 a[0:3], v2, v12, a[0:3]
	s_movk_i32 s4, 0x7f
	v_cmp_gt_i16_sdwa s[6:7], v7, s4 src0_sel:BYTE_3 src1_sel:DWORD
	s_mov_b64 s[4:5], 0
                                        ; implicit-def: $sgpr10
	s_and_saveexec_b64 s[8:9], s[6:7]
	s_xor_b64 s[6:7], exec, s[8:9]
	s_cbranch_execz .LBB2_5945
; %bb.41785:
	s_getpc_b64 s[14:15]
.Lpost_getpc24476:
	s_add_u32 s14, s14, (.LBB2_20281-.Lpost_getpc24476)&4294967295
	s_addc_u32 s15, s15, (.LBB2_20281-.Lpost_getpc24476)>>32
	s_setpc_b64 s[14:15]
.LBB2_5945:
	s_or_saveexec_b64 s[6:7], s[6:7]
	v_mov_b32_e32 v2, s10
	s_xor_b64 exec, exec, s[6:7]
	s_cbranch_execz .LBB2_5946
; %bb.41787:
	s_getpc_b64 s[14:15]
.Lpost_getpc24477:
	s_add_u32 s14, s14, (.LBB2_20284-.Lpost_getpc24477)&4294967295
	s_addc_u32 s15, s15, (.LBB2_20284-.Lpost_getpc24477)>>32
	s_setpc_b64 s[14:15]
.LBB2_5946:
	s_or_b64 exec, exec, s[6:7]
	s_and_saveexec_b64 s[6:7], s[4:5]
	s_cbranch_execz .LBB2_5948
.LBB2_5947:
	v_bfe_u32 v2, v7, 24, 3
	v_ffbh_u32_e32 v14, v2
	v_min_u32_e32 v14, 32, v14
	v_lshrrev_b32_e32 v12, 27, v7
	v_subrev_u32_e32 v15, 28, v14
	v_and_b32_e32 v6, 0x80000000, v7
	v_and_b32_e32 v12, 15, v12
	v_bfe_u32 v13, v7, 27, 4
	v_lshlrev_b32_sdwa v7, v15, v7 dst_sel:DWORD dst_unused:UNUSED_PAD src0_sel:DWORD src1_sel:BYTE_3
	v_sub_u32_e32 v14, 29, v14
	v_and_b32_e32 v7, 7, v7
	v_cmp_eq_u16_e32 vcc, 0, v12
	v_cndmask_b32_e32 v2, v2, v7, vcc
	v_cndmask_b32_e32 v7, v13, v14, vcc
	v_mov_b32_e32 v12, 0x3b800000
	v_lshlrev_b32_e32 v2, 20, v2
	v_lshl_add_u32 v7, v7, 23, v12
	v_or3_b32 v2, v6, v7, v2
.LBB2_5948:
	s_or_b64 exec, exec, s[6:7]
	s_movk_i32 s4, 0x7f
	v_cmp_gt_i16_sdwa s[6:7], v3, s4 src0_sel:BYTE_3 src1_sel:DWORD
	s_mov_b64 s[4:5], 0
                                        ; implicit-def: $sgpr10
	s_and_saveexec_b64 s[8:9], s[6:7]
	s_xor_b64 s[6:7], exec, s[8:9]
	s_cbranch_execz .LBB2_5949
; %bb.41789:
	s_getpc_b64 s[14:15]
.Lpost_getpc24478:
	s_add_u32 s14, s14, (.LBB2_20285-.Lpost_getpc24478)&4294967295
	s_addc_u32 s15, s15, (.LBB2_20285-.Lpost_getpc24478)>>32
	s_setpc_b64 s[14:15]
.LBB2_5949:
	s_or_saveexec_b64 s[6:7], s[6:7]
	v_mov_b32_e32 v6, s10
	s_xor_b64 exec, exec, s[6:7]
	s_cbranch_execz .LBB2_5950
; %bb.41791:
	s_getpc_b64 s[14:15]
.Lpost_getpc24479:
	s_add_u32 s14, s14, (.LBB2_20288-.Lpost_getpc24479)&4294967295
	s_addc_u32 s15, s15, (.LBB2_20288-.Lpost_getpc24479)>>32
	s_setpc_b64 s[14:15]
.LBB2_5950:
	s_or_b64 exec, exec, s[6:7]
	s_and_saveexec_b64 s[6:7], s[4:5]
	s_cbranch_execz .LBB2_5952
.LBB2_5951:
	v_bfe_u32 v6, v3, 24, 3
	v_ffbh_u32_e32 v14, v6
	v_min_u32_e32 v14, 32, v14
	v_lshrrev_b32_e32 v12, 27, v3
	v_subrev_u32_e32 v15, 28, v14
	v_and_b32_e32 v7, 0x80000000, v3
	v_and_b32_e32 v12, 15, v12
	v_bfe_u32 v13, v3, 27, 4
	v_lshlrev_b32_sdwa v3, v15, v3 dst_sel:DWORD dst_unused:UNUSED_PAD src0_sel:DWORD src1_sel:BYTE_3
	v_sub_u32_e32 v14, 29, v14
	v_and_b32_e32 v3, 7, v3
	v_cmp_eq_u16_e32 vcc, 0, v12
	v_cndmask_b32_e32 v3, v6, v3, vcc
	v_cndmask_b32_e32 v6, v13, v14, vcc
	v_mov_b32_e32 v12, 0x3b800000
	v_lshlrev_b32_e32 v3, 20, v3
	v_lshl_add_u32 v6, v6, 23, v12
	v_or3_b32 v6, v7, v6, v3
.LBB2_5952:
	s_or_b64 exec, exec, s[6:7]
	s_nop 0
	v_mfma_f32_16x16x4f32 a[0:3], v2, v6, a[0:3]
	s_movk_i32 s4, 0x7f
	v_cmp_gt_i16_sdwa s[6:7], v8, s4 src0_sel:BYTE_0 src1_sel:DWORD
	s_mov_b64 s[4:5], 0
                                        ; implicit-def: $sgpr10
	s_and_saveexec_b64 s[8:9], s[6:7]
	s_xor_b64 s[6:7], exec, s[8:9]
	s_cbranch_execz .LBB2_5953
; %bb.41793:
	s_getpc_b64 s[14:15]
.Lpost_getpc24480:
	s_add_u32 s14, s14, (.LBB2_20289-.Lpost_getpc24480)&4294967295
	s_addc_u32 s15, s15, (.LBB2_20289-.Lpost_getpc24480)>>32
	s_setpc_b64 s[14:15]
.LBB2_5953:
	s_or_saveexec_b64 s[6:7], s[6:7]
	v_mov_b32_e32 v2, s10
	s_xor_b64 exec, exec, s[6:7]
	s_cbranch_execz .LBB2_5954
; %bb.41795:
	s_getpc_b64 s[14:15]
.Lpost_getpc24481:
	s_add_u32 s14, s14, (.LBB2_20292-.Lpost_getpc24481)&4294967295
	s_addc_u32 s15, s15, (.LBB2_20292-.Lpost_getpc24481)>>32
	s_setpc_b64 s[14:15]
.LBB2_5954:
	s_or_b64 exec, exec, s[6:7]
	s_and_saveexec_b64 s[6:7], s[4:5]
	s_cbranch_execz .LBB2_5956
.LBB2_5955:
	v_and_b32_e32 v2, 7, v8
	v_ffbh_u32_e32 v6, v2
	v_min_u32_e32 v6, 32, v6
	v_lshrrev_b16_e32 v3, 3, v8
	v_subrev_u32_e32 v7, 28, v6
	v_and_b32_e32 v3, 15, v3
	v_lshlrev_b32_e32 v7, v7, v8
	v_sub_u32_e32 v6, 29, v6
	v_and_b32_e32 v7, 7, v7
	v_cmp_eq_u16_e32 vcc, 0, v3
	v_cndmask_b32_e32 v2, v2, v7, vcc
	v_cndmask_b32_e32 v3, v3, v6, vcc
	v_lshlrev_b32_e32 v6, 24, v8
	v_mov_b32_e32 v7, 0x3b800000
	v_lshlrev_b32_e32 v2, 20, v2
	v_and_b32_e32 v6, 0x80000000, v6
	v_lshl_add_u32 v3, v3, 23, v7
	v_or3_b32 v2, v6, v3, v2
.LBB2_5956:
	s_or_b64 exec, exec, s[6:7]
	s_movk_i32 s4, 0x7f
	v_cmp_gt_i16_sdwa s[6:7], v4, s4 src0_sel:BYTE_0 src1_sel:DWORD
	s_mov_b64 s[4:5], 0
                                        ; implicit-def: $sgpr10
	s_and_saveexec_b64 s[8:9], s[6:7]
	s_xor_b64 s[6:7], exec, s[8:9]
	s_cbranch_execz .LBB2_5957
; %bb.41797:
	s_getpc_b64 s[14:15]
.Lpost_getpc24482:
	s_add_u32 s14, s14, (.LBB2_20293-.Lpost_getpc24482)&4294967295
	s_addc_u32 s15, s15, (.LBB2_20293-.Lpost_getpc24482)>>32
	s_setpc_b64 s[14:15]
.LBB2_5957:
	s_or_saveexec_b64 s[6:7], s[6:7]
	v_mov_b32_e32 v3, s10
	s_xor_b64 exec, exec, s[6:7]
	s_cbranch_execz .LBB2_5958
; %bb.41799:
	s_getpc_b64 s[14:15]
.Lpost_getpc24483:
	s_add_u32 s14, s14, (.LBB2_20296-.Lpost_getpc24483)&4294967295
	s_addc_u32 s15, s15, (.LBB2_20296-.Lpost_getpc24483)>>32
	s_setpc_b64 s[14:15]
.LBB2_5958:
	s_or_b64 exec, exec, s[6:7]
	s_and_saveexec_b64 s[6:7], s[4:5]
	s_cbranch_execz .LBB2_5960
.LBB2_5959:
	v_and_b32_e32 v3, 7, v4
	v_ffbh_u32_e32 v7, v3
	v_min_u32_e32 v7, 32, v7
	v_lshrrev_b16_e32 v6, 3, v4
	v_subrev_u32_e32 v12, 28, v7
	v_and_b32_e32 v6, 15, v6
	v_lshlrev_b32_e32 v12, v12, v4
	v_sub_u32_e32 v7, 29, v7
	v_and_b32_e32 v12, 7, v12
	v_cmp_eq_u16_e32 vcc, 0, v6
	v_cndmask_b32_e32 v3, v3, v12, vcc
	v_cndmask_b32_e32 v6, v6, v7, vcc
	v_lshlrev_b32_e32 v7, 24, v4
	v_mov_b32_e32 v12, 0x3b800000
	v_lshlrev_b32_e32 v3, 20, v3
	v_and_b32_e32 v7, 0x80000000, v7
	v_lshl_add_u32 v6, v6, 23, v12
	v_or3_b32 v3, v7, v6, v3
.LBB2_5960:
	s_or_b64 exec, exec, s[6:7]
	s_nop 0
	v_mfma_f32_16x16x4f32 a[0:3], v2, v3, a[0:3]
	v_lshrrev_b32_e32 v3, 8, v8
	s_movk_i32 s4, 0x7f
	v_cmp_gt_i16_sdwa s[6:7], v3, s4 src0_sel:BYTE_0 src1_sel:DWORD
	s_mov_b64 s[4:5], 0
                                        ; implicit-def: $sgpr10
	s_and_saveexec_b64 s[8:9], s[6:7]
	s_xor_b64 s[6:7], exec, s[8:9]
	s_cbranch_execz .LBB2_5961
; %bb.41801:
	s_getpc_b64 s[14:15]
.Lpost_getpc24484:
	s_add_u32 s14, s14, (.LBB2_20297-.Lpost_getpc24484)&4294967295
	s_addc_u32 s15, s15, (.LBB2_20297-.Lpost_getpc24484)>>32
	s_setpc_b64 s[14:15]
.LBB2_5961:
	s_or_saveexec_b64 s[6:7], s[6:7]
	v_mov_b32_e32 v2, s10
	s_xor_b64 exec, exec, s[6:7]
	s_cbranch_execz .LBB2_5962
; %bb.41803:
	s_getpc_b64 s[14:15]
.Lpost_getpc24485:
	s_add_u32 s14, s14, (.LBB2_20300-.Lpost_getpc24485)&4294967295
	s_addc_u32 s15, s15, (.LBB2_20300-.Lpost_getpc24485)>>32
	s_setpc_b64 s[14:15]
.LBB2_5962:
	s_or_b64 exec, exec, s[6:7]
	s_and_saveexec_b64 s[6:7], s[4:5]
	s_cbranch_execz .LBB2_5964
.LBB2_5963:
	v_bfe_u32 v2, v8, 8, 3
	v_ffbh_u32_e32 v7, v2
	v_min_u32_e32 v7, 32, v7
	v_lshrrev_b16_e32 v6, 3, v3
	v_subrev_u32_e32 v12, 28, v7
	v_and_b32_e32 v6, 15, v6
	v_lshlrev_b32_e32 v3, v12, v3
	v_sub_u32_e32 v7, 29, v7
	v_and_b32_e32 v3, 7, v3
	v_cmp_eq_u16_e32 vcc, 0, v6
	v_cndmask_b32_e32 v2, v2, v3, vcc
	v_cndmask_b32_e32 v3, v6, v7, vcc
	v_lshlrev_b32_e32 v6, 16, v8
	v_mov_b32_e32 v7, 0x3b800000
	v_lshlrev_b32_e32 v2, 20, v2
	v_and_b32_e32 v6, 0x80000000, v6
	v_lshl_add_u32 v3, v3, 23, v7
	v_or3_b32 v2, v6, v3, v2
.LBB2_5964:
	s_or_b64 exec, exec, s[6:7]
	v_lshrrev_b32_e32 v3, 8, v4
	s_movk_i32 s4, 0x7f
	v_cmp_gt_i16_sdwa s[6:7], v3, s4 src0_sel:BYTE_0 src1_sel:DWORD
	s_mov_b64 s[4:5], 0
                                        ; implicit-def: $sgpr10
	s_and_saveexec_b64 s[8:9], s[6:7]
	s_xor_b64 s[6:7], exec, s[8:9]
	s_cbranch_execz .LBB2_5965
; %bb.41805:
	s_getpc_b64 s[14:15]
.Lpost_getpc24486:
	s_add_u32 s14, s14, (.LBB2_20301-.Lpost_getpc24486)&4294967295
	s_addc_u32 s15, s15, (.LBB2_20301-.Lpost_getpc24486)>>32
	s_setpc_b64 s[14:15]
.LBB2_5965:
	s_or_saveexec_b64 s[6:7], s[6:7]
	v_mov_b32_e32 v6, s10
	s_xor_b64 exec, exec, s[6:7]
	s_cbranch_execz .LBB2_5966
; %bb.41807:
	s_getpc_b64 s[14:15]
.Lpost_getpc24487:
	s_add_u32 s14, s14, (.LBB2_20304-.Lpost_getpc24487)&4294967295
	s_addc_u32 s15, s15, (.LBB2_20304-.Lpost_getpc24487)>>32
	s_setpc_b64 s[14:15]
.LBB2_5966:
	s_or_b64 exec, exec, s[6:7]
	s_and_saveexec_b64 s[6:7], s[4:5]
	s_cbranch_execz .LBB2_5968
.LBB2_5967:
	v_bfe_u32 v6, v4, 8, 3
	v_ffbh_u32_e32 v12, v6
	v_min_u32_e32 v12, 32, v12
	v_lshrrev_b16_e32 v7, 3, v3
	v_subrev_u32_e32 v13, 28, v12
	v_and_b32_e32 v7, 15, v7
	v_lshlrev_b32_e32 v3, v13, v3
	v_sub_u32_e32 v12, 29, v12
	v_and_b32_e32 v3, 7, v3
	v_cmp_eq_u16_e32 vcc, 0, v7
	v_cndmask_b32_e32 v3, v6, v3, vcc
	v_cndmask_b32_e32 v6, v7, v12, vcc
	v_lshlrev_b32_e32 v7, 16, v4
	v_mov_b32_e32 v12, 0x3b800000
	v_lshlrev_b32_e32 v3, 20, v3
	v_and_b32_e32 v7, 0x80000000, v7
	v_lshl_add_u32 v6, v6, 23, v12
	v_or3_b32 v6, v7, v6, v3
.LBB2_5968:
	s_or_b64 exec, exec, s[6:7]
	s_nop 0
	v_mfma_f32_16x16x4f32 a[0:3], v2, v6, a[0:3]
	s_movk_i32 s4, 0xff
	v_and_b32_sdwa v3, v8, s4 dst_sel:DWORD dst_unused:UNUSED_PAD src0_sel:WORD_1 src1_sel:DWORD
	s_movk_i32 s4, 0x7f
	v_cmp_lt_i16_e32 vcc, s4, v3
	s_mov_b64 s[4:5], 0
                                        ; implicit-def: $sgpr10
	s_and_saveexec_b64 s[6:7], vcc
	s_xor_b64 s[6:7], exec, s[6:7]
	s_cbranch_execz .LBB2_5969
; %bb.41809:
	s_getpc_b64 s[14:15]
.Lpost_getpc24488:
	s_add_u32 s14, s14, (.LBB2_20305-.Lpost_getpc24488)&4294967295
	s_addc_u32 s15, s15, (.LBB2_20305-.Lpost_getpc24488)>>32
	s_setpc_b64 s[14:15]
.LBB2_5969:
	s_or_saveexec_b64 s[6:7], s[6:7]
	v_mov_b32_e32 v2, s10
	s_xor_b64 exec, exec, s[6:7]
	s_cbranch_execz .LBB2_5970
; %bb.41811:
	s_getpc_b64 s[14:15]
.Lpost_getpc24489:
	s_add_u32 s14, s14, (.LBB2_20308-.Lpost_getpc24489)&4294967295
	s_addc_u32 s15, s15, (.LBB2_20308-.Lpost_getpc24489)>>32
	s_setpc_b64 s[14:15]
.LBB2_5970:
	s_or_b64 exec, exec, s[6:7]
	s_and_saveexec_b64 s[6:7], s[4:5]
	s_cbranch_execz .LBB2_5972
.LBB2_5971:
	v_bfe_u32 v2, v8, 16, 3
	v_ffbh_u32_e32 v7, v2
	v_min_u32_e32 v7, 32, v7
	v_lshrrev_b32_e32 v3, 19, v8
	v_subrev_u32_e32 v12, 28, v7
	v_and_b32_e32 v3, 15, v3
	v_lshlrev_b32_sdwa v12, v12, v8 dst_sel:DWORD dst_unused:UNUSED_PAD src0_sel:DWORD src1_sel:WORD_1
	v_bfe_u32 v6, v8, 19, 4
	v_sub_u32_e32 v7, 29, v7
	v_and_b32_e32 v12, 7, v12
	v_cmp_eq_u16_e32 vcc, 0, v3
	v_cndmask_b32_e32 v2, v2, v12, vcc
	v_cndmask_b32_e32 v3, v6, v7, vcc
	v_lshlrev_b32_e32 v6, 8, v8
	v_mov_b32_e32 v7, 0x3b800000
	v_lshlrev_b32_e32 v2, 20, v2
	v_and_b32_e32 v6, 0x80000000, v6
	v_lshl_add_u32 v3, v3, 23, v7
	v_or3_b32 v2, v6, v3, v2
.LBB2_5972:
	s_or_b64 exec, exec, s[6:7]
	s_movk_i32 s4, 0xff
	v_and_b32_sdwa v3, v4, s4 dst_sel:DWORD dst_unused:UNUSED_PAD src0_sel:WORD_1 src1_sel:DWORD
	s_movk_i32 s4, 0x7f
	v_cmp_lt_i16_e32 vcc, s4, v3
	s_mov_b64 s[4:5], 0
                                        ; implicit-def: $sgpr10
	s_and_saveexec_b64 s[6:7], vcc
	s_xor_b64 s[6:7], exec, s[6:7]
	s_cbranch_execz .LBB2_5973
; %bb.41813:
	s_getpc_b64 s[14:15]
.Lpost_getpc24490:
	s_add_u32 s14, s14, (.LBB2_20309-.Lpost_getpc24490)&4294967295
	s_addc_u32 s15, s15, (.LBB2_20309-.Lpost_getpc24490)>>32
	s_setpc_b64 s[14:15]
.LBB2_5973:
	s_or_saveexec_b64 s[6:7], s[6:7]
	v_mov_b32_e32 v6, s10
	s_xor_b64 exec, exec, s[6:7]
	s_cbranch_execz .LBB2_5974
; %bb.41815:
	s_getpc_b64 s[14:15]
.Lpost_getpc24491:
	s_add_u32 s14, s14, (.LBB2_20312-.Lpost_getpc24491)&4294967295
	s_addc_u32 s15, s15, (.LBB2_20312-.Lpost_getpc24491)>>32
	s_setpc_b64 s[14:15]
.LBB2_5974:
	s_or_b64 exec, exec, s[6:7]
	s_and_saveexec_b64 s[6:7], s[4:5]
	s_cbranch_execz .LBB2_5976
.LBB2_5975:
	v_bfe_u32 v3, v4, 16, 3
	v_ffbh_u32_e32 v12, v3
	v_min_u32_e32 v12, 32, v12
	v_lshrrev_b32_e32 v6, 19, v4
	v_subrev_u32_e32 v13, 28, v12
	v_and_b32_e32 v6, 15, v6
	v_lshlrev_b32_sdwa v13, v13, v4 dst_sel:DWORD dst_unused:UNUSED_PAD src0_sel:DWORD src1_sel:WORD_1
	v_bfe_u32 v7, v4, 19, 4
	v_sub_u32_e32 v12, 29, v12
	v_and_b32_e32 v13, 7, v13
	v_cmp_eq_u16_e32 vcc, 0, v6
	v_cndmask_b32_e32 v3, v3, v13, vcc
	v_cndmask_b32_e32 v6, v7, v12, vcc
	v_lshlrev_b32_e32 v7, 8, v4
	v_mov_b32_e32 v12, 0x3b800000
	v_lshlrev_b32_e32 v3, 20, v3
	v_and_b32_e32 v7, 0x80000000, v7
	v_lshl_add_u32 v6, v6, 23, v12
	v_or3_b32 v6, v7, v6, v3
.LBB2_5976:
	s_or_b64 exec, exec, s[6:7]
	s_nop 0
	v_mfma_f32_16x16x4f32 a[0:3], v2, v6, a[0:3]
	s_movk_i32 s4, 0x7f
	v_cmp_gt_i16_sdwa s[6:7], v8, s4 src0_sel:BYTE_3 src1_sel:DWORD
	s_mov_b64 s[4:5], 0
                                        ; implicit-def: $sgpr10
	s_and_saveexec_b64 s[8:9], s[6:7]
	s_xor_b64 s[6:7], exec, s[8:9]
	s_cbranch_execz .LBB2_5977
; %bb.41817:
	s_getpc_b64 s[14:15]
.Lpost_getpc24492:
	s_add_u32 s14, s14, (.LBB2_20313-.Lpost_getpc24492)&4294967295
	s_addc_u32 s15, s15, (.LBB2_20313-.Lpost_getpc24492)>>32
	s_setpc_b64 s[14:15]
.LBB2_5977:
	s_or_saveexec_b64 s[6:7], s[6:7]
	v_mov_b32_e32 v2, s10
	s_xor_b64 exec, exec, s[6:7]
	s_cbranch_execz .LBB2_5978
; %bb.41819:
	s_getpc_b64 s[14:15]
.Lpost_getpc24493:
	s_add_u32 s14, s14, (.LBB2_20316-.Lpost_getpc24493)&4294967295
	s_addc_u32 s15, s15, (.LBB2_20316-.Lpost_getpc24493)>>32
	s_setpc_b64 s[14:15]
.LBB2_5978:
	s_or_b64 exec, exec, s[6:7]
	s_and_saveexec_b64 s[6:7], s[4:5]
	s_cbranch_execz .LBB2_5980
.LBB2_5979:
	v_bfe_u32 v2, v8, 24, 3
	v_ffbh_u32_e32 v12, v2
	v_min_u32_e32 v12, 32, v12
	v_lshrrev_b32_e32 v6, 27, v8
	v_subrev_u32_e32 v13, 28, v12
	v_and_b32_e32 v3, 0x80000000, v8
	v_and_b32_e32 v6, 15, v6
	v_bfe_u32 v7, v8, 27, 4
	v_lshlrev_b32_sdwa v8, v13, v8 dst_sel:DWORD dst_unused:UNUSED_PAD src0_sel:DWORD src1_sel:BYTE_3
	v_sub_u32_e32 v12, 29, v12
	v_and_b32_e32 v8, 7, v8
	v_cmp_eq_u16_e32 vcc, 0, v6
	v_cndmask_b32_e32 v2, v2, v8, vcc
	v_cndmask_b32_e32 v6, v7, v12, vcc
	v_mov_b32_e32 v7, 0x3b800000
	v_lshlrev_b32_e32 v2, 20, v2
	v_lshl_add_u32 v6, v6, 23, v7
	v_or3_b32 v2, v3, v6, v2
.LBB2_5980:
	s_or_b64 exec, exec, s[6:7]
	s_movk_i32 s4, 0x7f
	v_cmp_gt_i16_sdwa s[6:7], v4, s4 src0_sel:BYTE_3 src1_sel:DWORD
	s_mov_b64 s[4:5], 0
                                        ; implicit-def: $sgpr10
	s_and_saveexec_b64 s[8:9], s[6:7]
	s_xor_b64 s[6:7], exec, s[8:9]
	s_cbranch_execz .LBB2_5981
; %bb.41821:
	s_getpc_b64 s[14:15]
.Lpost_getpc24494:
	s_add_u32 s14, s14, (.LBB2_20317-.Lpost_getpc24494)&4294967295
	s_addc_u32 s15, s15, (.LBB2_20317-.Lpost_getpc24494)>>32
	s_setpc_b64 s[14:15]
.LBB2_5981:
	s_or_saveexec_b64 s[6:7], s[6:7]
	v_mov_b32_e32 v3, s10
	s_xor_b64 exec, exec, s[6:7]
	s_cbranch_execz .LBB2_5982
; %bb.41823:
	s_getpc_b64 s[14:15]
.Lpost_getpc24495:
	s_add_u32 s14, s14, (.LBB2_20320-.Lpost_getpc24495)&4294967295
	s_addc_u32 s15, s15, (.LBB2_20320-.Lpost_getpc24495)>>32
	s_setpc_b64 s[14:15]
.LBB2_5982:
	s_or_b64 exec, exec, s[6:7]
	s_and_saveexec_b64 s[6:7], s[4:5]
	s_cbranch_execz .LBB2_5984
.LBB2_5983:
	v_bfe_u32 v3, v4, 24, 3
	v_ffbh_u32_e32 v12, v3
	v_min_u32_e32 v12, 32, v12
	v_lshrrev_b32_e32 v7, 27, v4
	v_subrev_u32_e32 v13, 28, v12
	v_and_b32_e32 v6, 0x80000000, v4
	v_and_b32_e32 v7, 15, v7
	v_bfe_u32 v8, v4, 27, 4
	v_lshlrev_b32_sdwa v4, v13, v4 dst_sel:DWORD dst_unused:UNUSED_PAD src0_sel:DWORD src1_sel:BYTE_3
	v_sub_u32_e32 v12, 29, v12
	v_and_b32_e32 v4, 7, v4
	v_cmp_eq_u16_e32 vcc, 0, v7
	v_cndmask_b32_e32 v3, v3, v4, vcc
	v_cndmask_b32_e32 v4, v8, v12, vcc
	v_mov_b32_e32 v7, 0x3b800000
	v_lshlrev_b32_e32 v3, 20, v3
	v_lshl_add_u32 v4, v4, 23, v7
	v_or3_b32 v3, v6, v4, v3
.LBB2_5984:
	s_or_b64 exec, exec, s[6:7]
	s_nop 0
	v_mfma_f32_16x16x4f32 a[0:3], v2, v3, a[0:3]
	s_movk_i32 s4, 0x7f
	v_cmp_gt_i16_sdwa s[6:7], v9, s4 src0_sel:BYTE_0 src1_sel:DWORD
	s_mov_b64 s[4:5], 0
                                        ; implicit-def: $sgpr10
	s_and_saveexec_b64 s[8:9], s[6:7]
	s_xor_b64 s[6:7], exec, s[8:9]
	s_cbranch_execz .LBB2_5985
; %bb.41825:
	s_getpc_b64 s[14:15]
.Lpost_getpc24496:
	s_add_u32 s14, s14, (.LBB2_20321-.Lpost_getpc24496)&4294967295
	s_addc_u32 s15, s15, (.LBB2_20321-.Lpost_getpc24496)>>32
	s_setpc_b64 s[14:15]
.LBB2_5985:
	s_or_saveexec_b64 s[6:7], s[6:7]
	v_mov_b32_e32 v2, s10
	s_xor_b64 exec, exec, s[6:7]
	s_cbranch_execz .LBB2_5986
; %bb.41827:
	s_getpc_b64 s[14:15]
.Lpost_getpc24497:
	s_add_u32 s14, s14, (.LBB2_20324-.Lpost_getpc24497)&4294967295
	s_addc_u32 s15, s15, (.LBB2_20324-.Lpost_getpc24497)>>32
	s_setpc_b64 s[14:15]
.LBB2_5986:
	s_or_b64 exec, exec, s[6:7]
	s_and_saveexec_b64 s[6:7], s[4:5]
	s_cbranch_execz .LBB2_5988
.LBB2_5987:
	v_mov_b32_e32 v2, 8
	v_and_b32_e32 v3, 7, v9
	v_lshrrev_b32_sdwa v2, v2, v9 dst_sel:BYTE_1 dst_unused:UNUSED_PAD src0_sel:DWORD src1_sel:DWORD
	v_ffbh_u32_e32 v4, v3
	v_or_b32_sdwa v2, v9, v2 dst_sel:DWORD dst_unused:UNUSED_PAD src0_sel:BYTE_0 src1_sel:DWORD
	v_min_u32_e32 v4, 32, v4
	v_lshrrev_b16_e32 v2, 3, v2
	v_subrev_u32_e32 v6, 28, v4
	v_and_b32_e32 v2, 15, v2
	v_lshlrev_b32_e32 v6, v6, v9
	v_sub_u32_e32 v4, 29, v4
	v_and_b32_e32 v6, 7, v6
	v_cmp_eq_u16_e32 vcc, 0, v2
	v_cndmask_b32_e32 v3, v3, v6, vcc
	v_cndmask_b32_e32 v2, v2, v4, vcc
	v_lshlrev_b32_e32 v4, 24, v9
	v_mov_b32_e32 v6, 0x3b800000
	v_lshlrev_b32_e32 v3, 20, v3
	v_and_b32_e32 v4, 0x80000000, v4
	v_lshl_add_u32 v2, v2, 23, v6
	v_or3_b32 v2, v4, v2, v3
.LBB2_5988:
	s_or_b64 exec, exec, s[6:7]
	s_movk_i32 s4, 0x7f
	v_cmp_gt_i16_sdwa s[6:7], v5, s4 src0_sel:BYTE_0 src1_sel:DWORD
	s_mov_b64 s[4:5], 0
                                        ; implicit-def: $sgpr10
	s_and_saveexec_b64 s[8:9], s[6:7]
	s_xor_b64 s[6:7], exec, s[8:9]
	s_cbranch_execz .LBB2_5989
; %bb.41829:
	s_getpc_b64 s[14:15]
.Lpost_getpc24498:
	s_add_u32 s14, s14, (.LBB2_20325-.Lpost_getpc24498)&4294967295
	s_addc_u32 s15, s15, (.LBB2_20325-.Lpost_getpc24498)>>32
	s_setpc_b64 s[14:15]
.LBB2_5989:
	s_or_saveexec_b64 s[6:7], s[6:7]
	v_mov_b32_e32 v3, s10
	s_xor_b64 exec, exec, s[6:7]
	s_cbranch_execz .LBB2_5990
; %bb.41831:
	s_getpc_b64 s[14:15]
.Lpost_getpc24499:
	s_add_u32 s14, s14, (.LBB2_20328-.Lpost_getpc24499)&4294967295
	s_addc_u32 s15, s15, (.LBB2_20328-.Lpost_getpc24499)>>32
	s_setpc_b64 s[14:15]
.LBB2_5990:
	s_or_b64 exec, exec, s[6:7]
	s_and_saveexec_b64 s[6:7], s[4:5]
	s_cbranch_execz .LBB2_5992
.LBB2_5991:
	v_mov_b32_e32 v3, 8
	v_and_b32_e32 v4, 7, v5
	v_lshrrev_b32_sdwa v3, v3, v5 dst_sel:BYTE_1 dst_unused:UNUSED_PAD src0_sel:DWORD src1_sel:DWORD
	v_ffbh_u32_e32 v6, v4
	v_or_b32_sdwa v3, v5, v3 dst_sel:DWORD dst_unused:UNUSED_PAD src0_sel:BYTE_0 src1_sel:DWORD
	v_min_u32_e32 v6, 32, v6
	v_lshrrev_b16_e32 v3, 3, v3
	v_subrev_u32_e32 v7, 28, v6
	v_and_b32_e32 v3, 15, v3
	v_lshlrev_b32_e32 v7, v7, v5
	v_sub_u32_e32 v6, 29, v6
	v_and_b32_e32 v7, 7, v7
	v_cmp_eq_u16_e32 vcc, 0, v3
	v_cndmask_b32_e32 v4, v4, v7, vcc
	v_cndmask_b32_e32 v3, v3, v6, vcc
	v_lshlrev_b32_e32 v6, 24, v5
	v_mov_b32_e32 v7, 0x3b800000
	v_lshlrev_b32_e32 v4, 20, v4
	v_and_b32_e32 v6, 0x80000000, v6
	v_lshl_add_u32 v3, v3, 23, v7
	v_or3_b32 v3, v6, v3, v4
.LBB2_5992:
	s_or_b64 exec, exec, s[6:7]
	s_nop 0
	v_mfma_f32_16x16x4f32 a[0:3], v2, v3, a[0:3]
	v_lshrrev_b32_e32 v3, 8, v9
	s_movk_i32 s4, 0x7f
	v_cmp_gt_i16_sdwa s[6:7], v3, s4 src0_sel:BYTE_0 src1_sel:DWORD
	s_mov_b64 s[4:5], 0
                                        ; implicit-def: $sgpr10
	s_and_saveexec_b64 s[8:9], s[6:7]
	s_xor_b64 s[6:7], exec, s[8:9]
	s_cbranch_execz .LBB2_5993
; %bb.41833:
	s_getpc_b64 s[14:15]
.Lpost_getpc24500:
	s_add_u32 s14, s14, (.LBB2_20329-.Lpost_getpc24500)&4294967295
	s_addc_u32 s15, s15, (.LBB2_20329-.Lpost_getpc24500)>>32
	s_setpc_b64 s[14:15]
.LBB2_5993:
	s_or_saveexec_b64 s[6:7], s[6:7]
	v_mov_b32_e32 v2, s10
	s_xor_b64 exec, exec, s[6:7]
	s_cbranch_execz .LBB2_5994
; %bb.41835:
	s_getpc_b64 s[14:15]
.Lpost_getpc24501:
	s_add_u32 s14, s14, (.LBB2_20332-.Lpost_getpc24501)&4294967295
	s_addc_u32 s15, s15, (.LBB2_20332-.Lpost_getpc24501)>>32
	s_setpc_b64 s[14:15]
.LBB2_5994:
	s_or_b64 exec, exec, s[6:7]
	s_and_saveexec_b64 s[6:7], s[4:5]
	s_cbranch_execz .LBB2_5996
.LBB2_5995:
	v_bfe_u32 v2, v9, 8, 3
	v_ffbh_u32_e32 v6, v2
	v_min_u32_e32 v6, 32, v6
	v_lshrrev_b16_e32 v4, 3, v3
	v_subrev_u32_e32 v7, 28, v6
	v_and_b32_e32 v4, 15, v4
	v_lshlrev_b32_e32 v3, v7, v3
	v_sub_u32_e32 v6, 29, v6
	v_and_b32_e32 v3, 7, v3
	v_cmp_eq_u16_e32 vcc, 0, v4
	v_cndmask_b32_e32 v2, v2, v3, vcc
	v_cndmask_b32_e32 v3, v4, v6, vcc
	v_lshlrev_b32_e32 v4, 16, v9
	v_mov_b32_e32 v6, 0x3b800000
	v_lshlrev_b32_e32 v2, 20, v2
	v_and_b32_e32 v4, 0x80000000, v4
	v_lshl_add_u32 v3, v3, 23, v6
	v_or3_b32 v2, v4, v3, v2
.LBB2_5996:
	s_or_b64 exec, exec, s[6:7]
	v_lshrrev_b32_e32 v3, 8, v5
	s_movk_i32 s4, 0x7f
	v_cmp_gt_i16_sdwa s[6:7], v3, s4 src0_sel:BYTE_0 src1_sel:DWORD
	s_mov_b64 s[4:5], 0
                                        ; implicit-def: $sgpr10
	s_and_saveexec_b64 s[8:9], s[6:7]
	s_xor_b64 s[6:7], exec, s[8:9]
	s_cbranch_execz .LBB2_5997
; %bb.41837:
	s_getpc_b64 s[14:15]
.Lpost_getpc24502:
	s_add_u32 s14, s14, (.LBB2_20333-.Lpost_getpc24502)&4294967295
	s_addc_u32 s15, s15, (.LBB2_20333-.Lpost_getpc24502)>>32
	s_setpc_b64 s[14:15]
.LBB2_5997:
	s_or_saveexec_b64 s[6:7], s[6:7]
	v_mov_b32_e32 v4, s10
	s_xor_b64 exec, exec, s[6:7]
	s_cbranch_execz .LBB2_5998
; %bb.41839:
	s_getpc_b64 s[14:15]
.Lpost_getpc24503:
	s_add_u32 s14, s14, (.LBB2_20336-.Lpost_getpc24503)&4294967295
	s_addc_u32 s15, s15, (.LBB2_20336-.Lpost_getpc24503)>>32
	s_setpc_b64 s[14:15]
.LBB2_5998:
	s_or_b64 exec, exec, s[6:7]
	s_and_saveexec_b64 s[6:7], s[4:5]
	s_cbranch_execz .LBB2_6000
.LBB2_5999:
	v_bfe_u32 v4, v5, 8, 3
	v_ffbh_u32_e32 v7, v4
	v_min_u32_e32 v7, 32, v7
	v_lshrrev_b16_e32 v6, 3, v3
	v_subrev_u32_e32 v8, 28, v7
	v_and_b32_e32 v6, 15, v6
	v_lshlrev_b32_e32 v3, v8, v3
	v_sub_u32_e32 v7, 29, v7
	v_and_b32_e32 v3, 7, v3
	v_cmp_eq_u16_e32 vcc, 0, v6
	v_cndmask_b32_e32 v3, v4, v3, vcc
	v_cndmask_b32_e32 v4, v6, v7, vcc
	v_lshlrev_b32_e32 v6, 16, v5
	v_mov_b32_e32 v7, 0x3b800000
	v_lshlrev_b32_e32 v3, 20, v3
	v_and_b32_e32 v6, 0x80000000, v6
	v_lshl_add_u32 v4, v4, 23, v7
	v_or3_b32 v4, v6, v4, v3
.LBB2_6000:
	s_or_b64 exec, exec, s[6:7]
	s_nop 0
	v_mfma_f32_16x16x4f32 a[0:3], v2, v4, a[0:3]
	s_movk_i32 s4, 0xff
	v_and_b32_sdwa v3, v9, s4 dst_sel:DWORD dst_unused:UNUSED_PAD src0_sel:WORD_1 src1_sel:DWORD
	s_movk_i32 s4, 0x7f
	v_cmp_lt_i16_e32 vcc, s4, v3
	s_mov_b64 s[4:5], 0
                                        ; implicit-def: $sgpr10
	s_and_saveexec_b64 s[6:7], vcc
	s_xor_b64 s[6:7], exec, s[6:7]
	s_cbranch_execz .LBB2_6001
; %bb.41841:
	s_getpc_b64 s[14:15]
.Lpost_getpc24504:
	s_add_u32 s14, s14, (.LBB2_20337-.Lpost_getpc24504)&4294967295
	s_addc_u32 s15, s15, (.LBB2_20337-.Lpost_getpc24504)>>32
	s_setpc_b64 s[14:15]
.LBB2_6001:
	s_or_saveexec_b64 s[6:7], s[6:7]
	v_mov_b32_e32 v2, s10
	s_xor_b64 exec, exec, s[6:7]
	s_cbranch_execz .LBB2_6002
; %bb.41843:
	s_getpc_b64 s[14:15]
.Lpost_getpc24505:
	s_add_u32 s14, s14, (.LBB2_20340-.Lpost_getpc24505)&4294967295
	s_addc_u32 s15, s15, (.LBB2_20340-.Lpost_getpc24505)>>32
	s_setpc_b64 s[14:15]
.LBB2_6002:
	s_or_b64 exec, exec, s[6:7]
	s_and_saveexec_b64 s[6:7], s[4:5]
	s_cbranch_execz .LBB2_6004
.LBB2_6003:
	v_bfe_u32 v2, v9, 16, 3
	v_ffbh_u32_e32 v6, v2
	v_min_u32_e32 v6, 32, v6
	v_lshrrev_b32_e32 v3, 19, v9
	v_subrev_u32_e32 v7, 28, v6
	v_and_b32_e32 v3, 15, v3
	v_lshlrev_b32_sdwa v7, v7, v9 dst_sel:DWORD dst_unused:UNUSED_PAD src0_sel:DWORD src1_sel:WORD_1
	v_bfe_u32 v4, v9, 19, 4
	v_sub_u32_e32 v6, 29, v6
	v_and_b32_e32 v7, 7, v7
	v_cmp_eq_u16_e32 vcc, 0, v3
	v_cndmask_b32_e32 v2, v2, v7, vcc
	v_cndmask_b32_e32 v3, v4, v6, vcc
	v_lshlrev_b32_e32 v4, 8, v9
	v_mov_b32_e32 v6, 0x3b800000
	v_lshlrev_b32_e32 v2, 20, v2
	v_and_b32_e32 v4, 0x80000000, v4
	v_lshl_add_u32 v3, v3, 23, v6
	v_or3_b32 v2, v4, v3, v2
.LBB2_6004:
	s_or_b64 exec, exec, s[6:7]
	s_movk_i32 s4, 0xff
	v_and_b32_sdwa v3, v5, s4 dst_sel:DWORD dst_unused:UNUSED_PAD src0_sel:WORD_1 src1_sel:DWORD
	s_movk_i32 s4, 0x7f
	v_cmp_lt_i16_e32 vcc, s4, v3
	s_mov_b64 s[4:5], 0
                                        ; implicit-def: $sgpr10
	s_and_saveexec_b64 s[6:7], vcc
	s_xor_b64 s[6:7], exec, s[6:7]
	s_cbranch_execz .LBB2_6005
; %bb.41845:
	s_getpc_b64 s[14:15]
.Lpost_getpc24506:
	s_add_u32 s14, s14, (.LBB2_20341-.Lpost_getpc24506)&4294967295
	s_addc_u32 s15, s15, (.LBB2_20341-.Lpost_getpc24506)>>32
	s_setpc_b64 s[14:15]
.LBB2_6005:
	s_or_saveexec_b64 s[6:7], s[6:7]
	v_mov_b32_e32 v4, s10
	s_xor_b64 exec, exec, s[6:7]
	s_cbranch_execz .LBB2_6006
; %bb.41847:
	s_getpc_b64 s[14:15]
.Lpost_getpc24507:
	s_add_u32 s14, s14, (.LBB2_20344-.Lpost_getpc24507)&4294967295
	s_addc_u32 s15, s15, (.LBB2_20344-.Lpost_getpc24507)>>32
	s_setpc_b64 s[14:15]
.LBB2_6006:
	s_or_b64 exec, exec, s[6:7]
	s_and_saveexec_b64 s[6:7], s[4:5]
	s_cbranch_execz .LBB2_6008
.LBB2_6007:
	v_bfe_u32 v3, v5, 16, 3
	v_ffbh_u32_e32 v7, v3
	v_min_u32_e32 v7, 32, v7
	v_lshrrev_b32_e32 v4, 19, v5
	v_subrev_u32_e32 v8, 28, v7
	v_and_b32_e32 v4, 15, v4
	v_lshlrev_b32_sdwa v8, v8, v5 dst_sel:DWORD dst_unused:UNUSED_PAD src0_sel:DWORD src1_sel:WORD_1
	v_bfe_u32 v6, v5, 19, 4
	v_sub_u32_e32 v7, 29, v7
	v_and_b32_e32 v8, 7, v8
	v_cmp_eq_u16_e32 vcc, 0, v4
	v_cndmask_b32_e32 v3, v3, v8, vcc
	v_cndmask_b32_e32 v4, v6, v7, vcc
	v_lshlrev_b32_e32 v6, 8, v5
	v_mov_b32_e32 v7, 0x3b800000
	v_lshlrev_b32_e32 v3, 20, v3
	v_and_b32_e32 v6, 0x80000000, v6
	v_lshl_add_u32 v4, v4, 23, v7
	v_or3_b32 v4, v6, v4, v3
.LBB2_6008:
	s_or_b64 exec, exec, s[6:7]
	s_nop 0
	v_mfma_f32_16x16x4f32 a[0:3], v2, v4, a[0:3]
	s_movk_i32 s4, 0x7f
	v_cmp_gt_i16_sdwa s[6:7], v9, s4 src0_sel:BYTE_3 src1_sel:DWORD
	s_mov_b64 s[4:5], 0
                                        ; implicit-def: $sgpr10
	s_and_saveexec_b64 s[8:9], s[6:7]
	s_xor_b64 s[6:7], exec, s[8:9]
	s_cbranch_execz .LBB2_6009
; %bb.41849:
	s_getpc_b64 s[14:15]
.Lpost_getpc24508:
	s_add_u32 s14, s14, (.LBB2_20345-.Lpost_getpc24508)&4294967295
	s_addc_u32 s15, s15, (.LBB2_20345-.Lpost_getpc24508)>>32
	s_setpc_b64 s[14:15]
.LBB2_6009:
	s_or_saveexec_b64 s[6:7], s[6:7]
	v_mov_b32_e32 v2, s10
	s_xor_b64 exec, exec, s[6:7]
	s_cbranch_execz .LBB2_6010
; %bb.41851:
	s_getpc_b64 s[14:15]
.Lpost_getpc24509:
	s_add_u32 s14, s14, (.LBB2_20348-.Lpost_getpc24509)&4294967295
	s_addc_u32 s15, s15, (.LBB2_20348-.Lpost_getpc24509)>>32
	s_setpc_b64 s[14:15]
.LBB2_6010:
	s_or_b64 exec, exec, s[6:7]
	s_and_saveexec_b64 s[6:7], s[4:5]
	s_cbranch_execz .LBB2_6012
.LBB2_6011:
	v_bfe_u32 v2, v9, 24, 3
	v_ffbh_u32_e32 v7, v2
	v_min_u32_e32 v7, 32, v7
	v_lshrrev_b32_e32 v4, 27, v9
	v_subrev_u32_e32 v8, 28, v7
	v_and_b32_e32 v4, 15, v4
	v_lshlrev_b32_sdwa v8, v8, v9 dst_sel:DWORD dst_unused:UNUSED_PAD src0_sel:DWORD src1_sel:BYTE_3
	v_bfe_u32 v6, v9, 27, 4
	v_sub_u32_e32 v7, 29, v7
	v_and_b32_e32 v8, 7, v8
	v_cmp_eq_u16_e32 vcc, 0, v4
	v_cndmask_b32_e32 v2, v2, v8, vcc
	v_cndmask_b32_e32 v4, v6, v7, vcc
	v_mov_b32_e32 v6, 0x3b800000
	v_and_b32_e32 v3, 0x80000000, v9
	v_lshlrev_b32_e32 v2, 20, v2
	v_lshl_add_u32 v4, v4, 23, v6
	v_or3_b32 v2, v3, v4, v2
.LBB2_6012:
	s_or_b64 exec, exec, s[6:7]
	s_movk_i32 s4, 0x7f
	v_cmp_gt_i16_sdwa s[6:7], v5, s4 src0_sel:BYTE_3 src1_sel:DWORD
	s_mov_b64 s[4:5], 0
                                        ; implicit-def: $sgpr10
	s_and_saveexec_b64 s[8:9], s[6:7]
	s_xor_b64 s[6:7], exec, s[8:9]
	s_cbranch_execz .LBB2_6013
; %bb.41853:
	s_getpc_b64 s[14:15]
.Lpost_getpc24510:
	s_add_u32 s14, s14, (.LBB2_20349-.Lpost_getpc24510)&4294967295
	s_addc_u32 s15, s15, (.LBB2_20349-.Lpost_getpc24510)>>32
	s_setpc_b64 s[14:15]
.LBB2_6013:
	s_or_saveexec_b64 s[6:7], s[6:7]
	v_mov_b32_e32 v3, s10
	s_xor_b64 exec, exec, s[6:7]
	s_cbranch_execz .LBB2_6014
; %bb.41855:
	s_getpc_b64 s[14:15]
.Lpost_getpc24511:
	s_add_u32 s14, s14, (.LBB2_20352-.Lpost_getpc24511)&4294967295
	s_addc_u32 s15, s15, (.LBB2_20352-.Lpost_getpc24511)>>32
	s_setpc_b64 s[14:15]
.LBB2_6014:
	s_or_b64 exec, exec, s[6:7]
	s_and_saveexec_b64 s[6:7], s[4:5]
	s_cbranch_execz .LBB2_6016
.LBB2_6015:
	v_bfe_u32 v3, v5, 24, 3
	v_ffbh_u32_e32 v8, v3
	v_min_u32_e32 v8, 32, v8
	v_lshrrev_b32_e32 v6, 27, v5
	v_subrev_u32_e32 v9, 28, v8
	v_and_b32_e32 v4, 0x80000000, v5
	v_and_b32_e32 v6, 15, v6
	v_bfe_u32 v7, v5, 27, 4
	v_lshlrev_b32_sdwa v5, v9, v5 dst_sel:DWORD dst_unused:UNUSED_PAD src0_sel:DWORD src1_sel:BYTE_3
	v_sub_u32_e32 v8, 29, v8
	v_and_b32_e32 v5, 7, v5
	v_cmp_eq_u16_e32 vcc, 0, v6
	v_cndmask_b32_e32 v3, v3, v5, vcc
	v_cndmask_b32_e32 v5, v7, v8, vcc
	v_mov_b32_e32 v6, 0x3b800000
	v_lshlrev_b32_e32 v3, 20, v3
	v_lshl_add_u32 v5, v5, 23, v6
	v_or3_b32 v3, v4, v5, v3
.LBB2_6016:
	s_or_b64 exec, exec, s[6:7]
	s_nop 0
	v_mfma_f32_16x16x4f32 a[0:3], v2, v3, a[0:3]
	s_movk_i32 s4, 0x7f
                                        ; implicit-def: $sgpr10
	s_nop 7
	s_nop 1
	flat_store_dwordx4 v[10:11], a[0:3] offset:736
	flat_load_dwordx4 v[12:15], v[0:1]
	s_nop 0
	flat_load_dwordx2 v[10:11], v[0:1] offset:16
	s_waitcnt vmcnt(0) lgkmcnt(0)
	flat_load_dwordx4 v[6:9], v[12:13] offset:80
	flat_load_dwordx4 v[2:5], v[14:15] offset:112
	s_waitcnt vmcnt(0) lgkmcnt(0)
	v_cmp_gt_i16_sdwa s[6:7], v6, s4 src0_sel:BYTE_0 src1_sel:DWORD
	s_mov_b64 s[4:5], 0
	s_and_saveexec_b64 s[8:9], s[6:7]
	s_xor_b64 s[6:7], exec, s[8:9]
	s_cbranch_execz .LBB2_6017
; %bb.41857:
	s_getpc_b64 s[14:15]
.Lpost_getpc24512:
	s_add_u32 s14, s14, (.LBB2_20353-.Lpost_getpc24512)&4294967295
	s_addc_u32 s15, s15, (.LBB2_20353-.Lpost_getpc24512)>>32
	s_setpc_b64 s[14:15]
.LBB2_6017:
	s_or_saveexec_b64 s[6:7], s[6:7]
	v_mov_b32_e32 v12, s10
	s_xor_b64 exec, exec, s[6:7]
	s_cbranch_execz .LBB2_6018
; %bb.41859:
	s_getpc_b64 s[14:15]
.Lpost_getpc24513:
	s_add_u32 s14, s14, (.LBB2_20356-.Lpost_getpc24513)&4294967295
	s_addc_u32 s15, s15, (.LBB2_20356-.Lpost_getpc24513)>>32
	s_setpc_b64 s[14:15]
.LBB2_6018:
	s_or_b64 exec, exec, s[6:7]
	s_and_saveexec_b64 s[6:7], s[4:5]
	s_cbranch_execz .LBB2_6020
.LBB2_6019:
	v_and_b32_e32 v12, 7, v6
	v_ffbh_u32_e32 v14, v12
	v_min_u32_e32 v14, 32, v14
	v_lshrrev_b16_e32 v13, 3, v6
	v_subrev_u32_e32 v15, 28, v14
	v_and_b32_e32 v13, 15, v13
	v_lshlrev_b32_e32 v15, v15, v6
	v_sub_u32_e32 v14, 29, v14
	v_and_b32_e32 v15, 7, v15
	v_cmp_eq_u16_e32 vcc, 0, v13
	v_cndmask_b32_e32 v12, v12, v15, vcc
	v_cndmask_b32_e32 v13, v13, v14, vcc
	v_lshlrev_b32_e32 v14, 24, v6
	v_mov_b32_e32 v15, 0x3b800000
	v_lshlrev_b32_e32 v12, 20, v12
	v_and_b32_e32 v14, 0x80000000, v14
	v_lshl_add_u32 v13, v13, 23, v15
	v_or3_b32 v12, v14, v13, v12
.LBB2_6020:
	s_or_b64 exec, exec, s[6:7]
	s_movk_i32 s4, 0x7f
	v_cmp_gt_i16_sdwa s[6:7], v2, s4 src0_sel:BYTE_0 src1_sel:DWORD
	s_mov_b64 s[4:5], 0
                                        ; implicit-def: $sgpr10
	s_and_saveexec_b64 s[8:9], s[6:7]
	s_xor_b64 s[6:7], exec, s[8:9]
	s_cbranch_execz .LBB2_6021
; %bb.41861:
	s_getpc_b64 s[14:15]
.Lpost_getpc24514:
	s_add_u32 s14, s14, (.LBB2_20357-.Lpost_getpc24514)&4294967295
	s_addc_u32 s15, s15, (.LBB2_20357-.Lpost_getpc24514)>>32
	s_setpc_b64 s[14:15]
.LBB2_6021:
	s_or_saveexec_b64 s[6:7], s[6:7]
	v_mov_b32_e32 v13, s10
	s_xor_b64 exec, exec, s[6:7]
	s_cbranch_execz .LBB2_6022
; %bb.41863:
	s_getpc_b64 s[14:15]
.Lpost_getpc24515:
	s_add_u32 s14, s14, (.LBB2_20360-.Lpost_getpc24515)&4294967295
	s_addc_u32 s15, s15, (.LBB2_20360-.Lpost_getpc24515)>>32
	s_setpc_b64 s[14:15]
.LBB2_6022:
	s_or_b64 exec, exec, s[6:7]
	s_and_saveexec_b64 s[6:7], s[4:5]
	s_cbranch_execz .LBB2_6024
.LBB2_6023:
	v_and_b32_e32 v13, 7, v2
	v_ffbh_u32_e32 v15, v13
	v_min_u32_e32 v15, 32, v15
	v_lshrrev_b16_e32 v14, 3, v2
	v_subrev_u32_e32 v16, 28, v15
	v_and_b32_e32 v14, 15, v14
	v_lshlrev_b32_e32 v16, v16, v2
	v_sub_u32_e32 v15, 29, v15
	v_and_b32_e32 v16, 7, v16
	v_cmp_eq_u16_e32 vcc, 0, v14
	v_cndmask_b32_e32 v13, v13, v16, vcc
	v_cndmask_b32_e32 v14, v14, v15, vcc
	v_lshlrev_b32_e32 v15, 24, v2
	v_mov_b32_e32 v16, 0x3b800000
	v_lshlrev_b32_e32 v13, 20, v13
	v_and_b32_e32 v15, 0x80000000, v15
	v_lshl_add_u32 v14, v14, 23, v16
	v_or3_b32 v13, v15, v14, v13
.LBB2_6024:
	s_or_b64 exec, exec, s[6:7]
	flat_load_dwordx4 a[0:3], v[10:11] offset:752
	s_movk_i32 s4, 0x7f
                                        ; implicit-def: $sgpr10
	s_waitcnt vmcnt(0) lgkmcnt(0)
	v_mfma_f32_16x16x4f32 a[0:3], v12, v13, a[0:3]
	v_lshrrev_b32_e32 v13, 8, v6
	v_cmp_gt_i16_sdwa s[6:7], v13, s4 src0_sel:BYTE_0 src1_sel:DWORD
	s_mov_b64 s[4:5], 0
	s_and_saveexec_b64 s[8:9], s[6:7]
	s_xor_b64 s[6:7], exec, s[8:9]
	s_cbranch_execz .LBB2_6025
; %bb.41865:
	s_getpc_b64 s[14:15]
.Lpost_getpc24516:
	s_add_u32 s14, s14, (.LBB2_20361-.Lpost_getpc24516)&4294967295
	s_addc_u32 s15, s15, (.LBB2_20361-.Lpost_getpc24516)>>32
	s_setpc_b64 s[14:15]
.LBB2_6025:
	s_or_saveexec_b64 s[6:7], s[6:7]
	v_mov_b32_e32 v12, s10
	s_xor_b64 exec, exec, s[6:7]
	s_cbranch_execz .LBB2_6026
; %bb.41867:
	s_getpc_b64 s[14:15]
.Lpost_getpc24517:
	s_add_u32 s14, s14, (.LBB2_20364-.Lpost_getpc24517)&4294967295
	s_addc_u32 s15, s15, (.LBB2_20364-.Lpost_getpc24517)>>32
	s_setpc_b64 s[14:15]
.LBB2_6026:
	s_or_b64 exec, exec, s[6:7]
	s_and_saveexec_b64 s[6:7], s[4:5]
	s_cbranch_execz .LBB2_6028
.LBB2_6027:
	v_bfe_u32 v12, v6, 8, 3
	v_ffbh_u32_e32 v15, v12
	v_min_u32_e32 v15, 32, v15
	v_lshrrev_b16_e32 v14, 3, v13
	v_subrev_u32_e32 v16, 28, v15
	v_and_b32_e32 v14, 15, v14
	v_lshlrev_b32_e32 v13, v16, v13
	v_sub_u32_e32 v15, 29, v15
	v_and_b32_e32 v13, 7, v13
	v_cmp_eq_u16_e32 vcc, 0, v14
	v_cndmask_b32_e32 v12, v12, v13, vcc
	v_cndmask_b32_e32 v13, v14, v15, vcc
	v_lshlrev_b32_e32 v14, 16, v6
	v_mov_b32_e32 v15, 0x3b800000
	v_lshlrev_b32_e32 v12, 20, v12
	v_and_b32_e32 v14, 0x80000000, v14
	v_lshl_add_u32 v13, v13, 23, v15
	v_or3_b32 v12, v14, v13, v12
.LBB2_6028:
	s_or_b64 exec, exec, s[6:7]
	v_lshrrev_b32_e32 v13, 8, v2
	s_movk_i32 s4, 0x7f
	v_cmp_gt_i16_sdwa s[6:7], v13, s4 src0_sel:BYTE_0 src1_sel:DWORD
	s_mov_b64 s[4:5], 0
                                        ; implicit-def: $sgpr10
	s_and_saveexec_b64 s[8:9], s[6:7]
	s_xor_b64 s[6:7], exec, s[8:9]
	s_cbranch_execz .LBB2_6029
; %bb.41869:
	s_getpc_b64 s[14:15]
.Lpost_getpc24518:
	s_add_u32 s14, s14, (.LBB2_20365-.Lpost_getpc24518)&4294967295
	s_addc_u32 s15, s15, (.LBB2_20365-.Lpost_getpc24518)>>32
	s_setpc_b64 s[14:15]
.LBB2_6029:
	s_or_saveexec_b64 s[6:7], s[6:7]
	v_mov_b32_e32 v14, s10
	s_xor_b64 exec, exec, s[6:7]
	s_cbranch_execz .LBB2_6030
; %bb.41871:
	s_getpc_b64 s[14:15]
.Lpost_getpc24519:
	s_add_u32 s14, s14, (.LBB2_20368-.Lpost_getpc24519)&4294967295
	s_addc_u32 s15, s15, (.LBB2_20368-.Lpost_getpc24519)>>32
	s_setpc_b64 s[14:15]
.LBB2_6030:
	s_or_b64 exec, exec, s[6:7]
	s_and_saveexec_b64 s[6:7], s[4:5]
	s_cbranch_execz .LBB2_6032
.LBB2_6031:
	v_bfe_u32 v14, v2, 8, 3
	v_ffbh_u32_e32 v16, v14
	v_min_u32_e32 v16, 32, v16
	v_lshrrev_b16_e32 v15, 3, v13
	v_subrev_u32_e32 v17, 28, v16
	v_and_b32_e32 v15, 15, v15
	v_lshlrev_b32_e32 v13, v17, v13
	v_sub_u32_e32 v16, 29, v16
	v_and_b32_e32 v13, 7, v13
	v_cmp_eq_u16_e32 vcc, 0, v15
	v_cndmask_b32_e32 v13, v14, v13, vcc
	v_cndmask_b32_e32 v14, v15, v16, vcc
	v_lshlrev_b32_e32 v15, 16, v2
	v_mov_b32_e32 v16, 0x3b800000
	v_lshlrev_b32_e32 v13, 20, v13
	v_and_b32_e32 v15, 0x80000000, v15
	v_lshl_add_u32 v14, v14, 23, v16
	v_or3_b32 v14, v15, v14, v13
.LBB2_6032:
	s_or_b64 exec, exec, s[6:7]
	s_nop 0
	v_mfma_f32_16x16x4f32 a[0:3], v12, v14, a[0:3]
	s_movk_i32 s4, 0xff
	v_and_b32_sdwa v13, v6, s4 dst_sel:DWORD dst_unused:UNUSED_PAD src0_sel:WORD_1 src1_sel:DWORD
	s_movk_i32 s4, 0x7f
	v_cmp_lt_i16_e32 vcc, s4, v13
	s_mov_b64 s[4:5], 0
                                        ; implicit-def: $sgpr10
	s_and_saveexec_b64 s[6:7], vcc
	s_xor_b64 s[6:7], exec, s[6:7]
	s_cbranch_execz .LBB2_6033
; %bb.41873:
	s_getpc_b64 s[14:15]
.Lpost_getpc24520:
	s_add_u32 s14, s14, (.LBB2_20369-.Lpost_getpc24520)&4294967295
	s_addc_u32 s15, s15, (.LBB2_20369-.Lpost_getpc24520)>>32
	s_setpc_b64 s[14:15]
.LBB2_6033:
	s_or_saveexec_b64 s[6:7], s[6:7]
	v_mov_b32_e32 v12, s10
	s_xor_b64 exec, exec, s[6:7]
	s_cbranch_execz .LBB2_6034
; %bb.41875:
	s_getpc_b64 s[14:15]
.Lpost_getpc24521:
	s_add_u32 s14, s14, (.LBB2_20372-.Lpost_getpc24521)&4294967295
	s_addc_u32 s15, s15, (.LBB2_20372-.Lpost_getpc24521)>>32
	s_setpc_b64 s[14:15]
.LBB2_6034:
	s_or_b64 exec, exec, s[6:7]
	s_and_saveexec_b64 s[6:7], s[4:5]
	s_cbranch_execz .LBB2_6036
.LBB2_6035:
	v_bfe_u32 v12, v6, 16, 3
	v_ffbh_u32_e32 v15, v12
	v_min_u32_e32 v15, 32, v15
	v_lshrrev_b32_e32 v13, 19, v6
	v_subrev_u32_e32 v16, 28, v15
	v_and_b32_e32 v13, 15, v13
	v_lshlrev_b32_sdwa v16, v16, v6 dst_sel:DWORD dst_unused:UNUSED_PAD src0_sel:DWORD src1_sel:WORD_1
	v_bfe_u32 v14, v6, 19, 4
	v_sub_u32_e32 v15, 29, v15
	v_and_b32_e32 v16, 7, v16
	v_cmp_eq_u16_e32 vcc, 0, v13
	v_cndmask_b32_e32 v12, v12, v16, vcc
	v_cndmask_b32_e32 v13, v14, v15, vcc
	v_lshlrev_b32_e32 v14, 8, v6
	v_mov_b32_e32 v15, 0x3b800000
	v_lshlrev_b32_e32 v12, 20, v12
	v_and_b32_e32 v14, 0x80000000, v14
	v_lshl_add_u32 v13, v13, 23, v15
	v_or3_b32 v12, v14, v13, v12
.LBB2_6036:
	s_or_b64 exec, exec, s[6:7]
	s_movk_i32 s4, 0xff
	v_and_b32_sdwa v13, v2, s4 dst_sel:DWORD dst_unused:UNUSED_PAD src0_sel:WORD_1 src1_sel:DWORD
	s_movk_i32 s4, 0x7f
	v_cmp_lt_i16_e32 vcc, s4, v13
	s_mov_b64 s[4:5], 0
                                        ; implicit-def: $sgpr10
	s_and_saveexec_b64 s[6:7], vcc
	s_xor_b64 s[6:7], exec, s[6:7]
	s_cbranch_execz .LBB2_6037
; %bb.41877:
	s_getpc_b64 s[14:15]
.Lpost_getpc24522:
	s_add_u32 s14, s14, (.LBB2_20373-.Lpost_getpc24522)&4294967295
	s_addc_u32 s15, s15, (.LBB2_20373-.Lpost_getpc24522)>>32
	s_setpc_b64 s[14:15]
.LBB2_6037:
	s_or_saveexec_b64 s[6:7], s[6:7]
	v_mov_b32_e32 v14, s10
	s_xor_b64 exec, exec, s[6:7]
	s_cbranch_execz .LBB2_6038
; %bb.41879:
	s_getpc_b64 s[14:15]
.Lpost_getpc24523:
	s_add_u32 s14, s14, (.LBB2_20376-.Lpost_getpc24523)&4294967295
	s_addc_u32 s15, s15, (.LBB2_20376-.Lpost_getpc24523)>>32
	s_setpc_b64 s[14:15]
.LBB2_6038:
	s_or_b64 exec, exec, s[6:7]
	s_and_saveexec_b64 s[6:7], s[4:5]
	s_cbranch_execz .LBB2_6040
.LBB2_6039:
	v_bfe_u32 v13, v2, 16, 3
	v_ffbh_u32_e32 v16, v13
	v_min_u32_e32 v16, 32, v16
	v_lshrrev_b32_e32 v14, 19, v2
	v_subrev_u32_e32 v17, 28, v16
	v_and_b32_e32 v14, 15, v14
	v_lshlrev_b32_sdwa v17, v17, v2 dst_sel:DWORD dst_unused:UNUSED_PAD src0_sel:DWORD src1_sel:WORD_1
	v_bfe_u32 v15, v2, 19, 4
	v_sub_u32_e32 v16, 29, v16
	v_and_b32_e32 v17, 7, v17
	v_cmp_eq_u16_e32 vcc, 0, v14
	v_cndmask_b32_e32 v13, v13, v17, vcc
	v_cndmask_b32_e32 v14, v15, v16, vcc
	v_lshlrev_b32_e32 v15, 8, v2
	v_mov_b32_e32 v16, 0x3b800000
	v_lshlrev_b32_e32 v13, 20, v13
	v_and_b32_e32 v15, 0x80000000, v15
	v_lshl_add_u32 v14, v14, 23, v16
	v_or3_b32 v14, v15, v14, v13
.LBB2_6040:
	s_or_b64 exec, exec, s[6:7]
	s_nop 0
	v_mfma_f32_16x16x4f32 a[0:3], v12, v14, a[0:3]
	s_movk_i32 s4, 0x7f
	v_cmp_gt_i16_sdwa s[6:7], v6, s4 src0_sel:BYTE_3 src1_sel:DWORD
	s_mov_b64 s[4:5], 0
                                        ; implicit-def: $sgpr10
	s_and_saveexec_b64 s[8:9], s[6:7]
	s_xor_b64 s[6:7], exec, s[8:9]
	s_cbranch_execz .LBB2_6041
; %bb.41881:
	s_getpc_b64 s[14:15]
.Lpost_getpc24524:
	s_add_u32 s14, s14, (.LBB2_20377-.Lpost_getpc24524)&4294967295
	s_addc_u32 s15, s15, (.LBB2_20377-.Lpost_getpc24524)>>32
	s_setpc_b64 s[14:15]
.LBB2_6041:
	s_or_saveexec_b64 s[6:7], s[6:7]
	v_mov_b32_e32 v12, s10
	s_xor_b64 exec, exec, s[6:7]
	s_cbranch_execz .LBB2_6042
; %bb.41883:
	s_getpc_b64 s[14:15]
.Lpost_getpc24525:
	s_add_u32 s14, s14, (.LBB2_20380-.Lpost_getpc24525)&4294967295
	s_addc_u32 s15, s15, (.LBB2_20380-.Lpost_getpc24525)>>32
	s_setpc_b64 s[14:15]
.LBB2_6042:
	s_or_b64 exec, exec, s[6:7]
	s_and_saveexec_b64 s[6:7], s[4:5]
	s_cbranch_execz .LBB2_6044
.LBB2_6043:
	v_bfe_u32 v12, v6, 24, 3
	v_ffbh_u32_e32 v16, v12
	v_min_u32_e32 v16, 32, v16
	v_lshrrev_b32_e32 v14, 27, v6
	v_subrev_u32_e32 v17, 28, v16
	v_and_b32_e32 v13, 0x80000000, v6
	v_and_b32_e32 v14, 15, v14
	v_bfe_u32 v15, v6, 27, 4
	v_lshlrev_b32_sdwa v6, v17, v6 dst_sel:DWORD dst_unused:UNUSED_PAD src0_sel:DWORD src1_sel:BYTE_3
	v_sub_u32_e32 v16, 29, v16
	v_and_b32_e32 v6, 7, v6
	v_cmp_eq_u16_e32 vcc, 0, v14
	v_cndmask_b32_e32 v6, v12, v6, vcc
	v_cndmask_b32_e32 v12, v15, v16, vcc
	v_mov_b32_e32 v14, 0x3b800000
	v_lshlrev_b32_e32 v6, 20, v6
	v_lshl_add_u32 v12, v12, 23, v14
	v_or3_b32 v12, v13, v12, v6
.LBB2_6044:
	s_or_b64 exec, exec, s[6:7]
	s_movk_i32 s4, 0x7f
	v_cmp_gt_i16_sdwa s[6:7], v2, s4 src0_sel:BYTE_3 src1_sel:DWORD
	s_mov_b64 s[4:5], 0
                                        ; implicit-def: $sgpr10
	s_and_saveexec_b64 s[8:9], s[6:7]
	s_xor_b64 s[6:7], exec, s[8:9]
	s_cbranch_execz .LBB2_6045
; %bb.41885:
	s_getpc_b64 s[14:15]
.Lpost_getpc24526:
	s_add_u32 s14, s14, (.LBB2_20381-.Lpost_getpc24526)&4294967295
	s_addc_u32 s15, s15, (.LBB2_20381-.Lpost_getpc24526)>>32
	s_setpc_b64 s[14:15]
.LBB2_6045:
	s_or_saveexec_b64 s[6:7], s[6:7]
	v_mov_b32_e32 v6, s10
	s_xor_b64 exec, exec, s[6:7]
	s_cbranch_execz .LBB2_6046
; %bb.41887:
	s_getpc_b64 s[14:15]
.Lpost_getpc24527:
	s_add_u32 s14, s14, (.LBB2_20384-.Lpost_getpc24527)&4294967295
	s_addc_u32 s15, s15, (.LBB2_20384-.Lpost_getpc24527)>>32
	s_setpc_b64 s[14:15]
.LBB2_6046:
	s_or_b64 exec, exec, s[6:7]
	s_and_saveexec_b64 s[6:7], s[4:5]
	s_cbranch_execz .LBB2_6048
.LBB2_6047:
	v_bfe_u32 v6, v2, 24, 3
	v_ffbh_u32_e32 v16, v6
	v_min_u32_e32 v16, 32, v16
	v_lshrrev_b32_e32 v14, 27, v2
	v_subrev_u32_e32 v17, 28, v16
	v_and_b32_e32 v13, 0x80000000, v2
	v_and_b32_e32 v14, 15, v14
	v_bfe_u32 v15, v2, 27, 4
	v_lshlrev_b32_sdwa v2, v17, v2 dst_sel:DWORD dst_unused:UNUSED_PAD src0_sel:DWORD src1_sel:BYTE_3
	v_sub_u32_e32 v16, 29, v16
	v_and_b32_e32 v2, 7, v2
	v_cmp_eq_u16_e32 vcc, 0, v14
	v_cndmask_b32_e32 v2, v6, v2, vcc
	v_cndmask_b32_e32 v6, v15, v16, vcc
	v_mov_b32_e32 v14, 0x3b800000
	v_lshlrev_b32_e32 v2, 20, v2
	v_lshl_add_u32 v6, v6, 23, v14
	v_or3_b32 v6, v13, v6, v2
.LBB2_6048:
	s_or_b64 exec, exec, s[6:7]
	s_nop 0
	v_mfma_f32_16x16x4f32 a[0:3], v12, v6, a[0:3]
	s_movk_i32 s4, 0x7f
	v_cmp_gt_i16_sdwa s[6:7], v7, s4 src0_sel:BYTE_0 src1_sel:DWORD
	s_mov_b64 s[4:5], 0
                                        ; implicit-def: $sgpr10
	s_and_saveexec_b64 s[8:9], s[6:7]
	s_xor_b64 s[6:7], exec, s[8:9]
	s_cbranch_execz .LBB2_6049
; %bb.41889:
	s_getpc_b64 s[14:15]
.Lpost_getpc24528:
	s_add_u32 s14, s14, (.LBB2_20385-.Lpost_getpc24528)&4294967295
	s_addc_u32 s15, s15, (.LBB2_20385-.Lpost_getpc24528)>>32
	s_setpc_b64 s[14:15]
.LBB2_6049:
	s_or_saveexec_b64 s[6:7], s[6:7]
	v_mov_b32_e32 v2, s10
	s_xor_b64 exec, exec, s[6:7]
	s_cbranch_execz .LBB2_6050
; %bb.41891:
	s_getpc_b64 s[14:15]
.Lpost_getpc24529:
	s_add_u32 s14, s14, (.LBB2_20388-.Lpost_getpc24529)&4294967295
	s_addc_u32 s15, s15, (.LBB2_20388-.Lpost_getpc24529)>>32
	s_setpc_b64 s[14:15]
.LBB2_6050:
	s_or_b64 exec, exec, s[6:7]
	s_and_saveexec_b64 s[6:7], s[4:5]
	s_cbranch_execz .LBB2_6052
.LBB2_6051:
	v_and_b32_e32 v2, 7, v7
	v_ffbh_u32_e32 v12, v2
	v_min_u32_e32 v12, 32, v12
	v_lshrrev_b16_e32 v6, 3, v7
	v_subrev_u32_e32 v13, 28, v12
	v_and_b32_e32 v6, 15, v6
	v_lshlrev_b32_e32 v13, v13, v7
	v_sub_u32_e32 v12, 29, v12
	v_and_b32_e32 v13, 7, v13
	v_cmp_eq_u16_e32 vcc, 0, v6
	v_cndmask_b32_e32 v2, v2, v13, vcc
	v_cndmask_b32_e32 v6, v6, v12, vcc
	v_lshlrev_b32_e32 v12, 24, v7
	v_mov_b32_e32 v13, 0x3b800000
	v_lshlrev_b32_e32 v2, 20, v2
	v_and_b32_e32 v12, 0x80000000, v12
	v_lshl_add_u32 v6, v6, 23, v13
	v_or3_b32 v2, v12, v6, v2
.LBB2_6052:
	s_or_b64 exec, exec, s[6:7]
	s_movk_i32 s4, 0x7f
	v_cmp_gt_i16_sdwa s[6:7], v3, s4 src0_sel:BYTE_0 src1_sel:DWORD
	s_mov_b64 s[4:5], 0
                                        ; implicit-def: $sgpr10
	s_and_saveexec_b64 s[8:9], s[6:7]
	s_xor_b64 s[6:7], exec, s[8:9]
	s_cbranch_execz .LBB2_6053
; %bb.41893:
	s_getpc_b64 s[14:15]
.Lpost_getpc24530:
	s_add_u32 s14, s14, (.LBB2_20389-.Lpost_getpc24530)&4294967295
	s_addc_u32 s15, s15, (.LBB2_20389-.Lpost_getpc24530)>>32
	s_setpc_b64 s[14:15]
.LBB2_6053:
	s_or_saveexec_b64 s[6:7], s[6:7]
	v_mov_b32_e32 v6, s10
	s_xor_b64 exec, exec, s[6:7]
	s_cbranch_execz .LBB2_6054
; %bb.41895:
	s_getpc_b64 s[14:15]
.Lpost_getpc24531:
	s_add_u32 s14, s14, (.LBB2_20392-.Lpost_getpc24531)&4294967295
	s_addc_u32 s15, s15, (.LBB2_20392-.Lpost_getpc24531)>>32
	s_setpc_b64 s[14:15]
.LBB2_6054:
	s_or_b64 exec, exec, s[6:7]
	s_and_saveexec_b64 s[6:7], s[4:5]
	s_cbranch_execz .LBB2_6056
.LBB2_6055:
	v_and_b32_e32 v6, 7, v3
	v_ffbh_u32_e32 v13, v6
	v_min_u32_e32 v13, 32, v13
	v_lshrrev_b16_e32 v12, 3, v3
	v_subrev_u32_e32 v14, 28, v13
	v_and_b32_e32 v12, 15, v12
	v_lshlrev_b32_e32 v14, v14, v3
	v_sub_u32_e32 v13, 29, v13
	v_and_b32_e32 v14, 7, v14
	v_cmp_eq_u16_e32 vcc, 0, v12
	v_cndmask_b32_e32 v6, v6, v14, vcc
	v_cndmask_b32_e32 v12, v12, v13, vcc
	v_lshlrev_b32_e32 v13, 24, v3
	v_mov_b32_e32 v14, 0x3b800000
	v_lshlrev_b32_e32 v6, 20, v6
	v_and_b32_e32 v13, 0x80000000, v13
	v_lshl_add_u32 v12, v12, 23, v14
	v_or3_b32 v6, v13, v12, v6
.LBB2_6056:
	s_or_b64 exec, exec, s[6:7]
	s_nop 0
	v_mfma_f32_16x16x4f32 a[0:3], v2, v6, a[0:3]
	v_lshrrev_b32_e32 v6, 8, v7
	s_movk_i32 s4, 0x7f
	v_cmp_gt_i16_sdwa s[6:7], v6, s4 src0_sel:BYTE_0 src1_sel:DWORD
	s_mov_b64 s[4:5], 0
                                        ; implicit-def: $sgpr10
	s_and_saveexec_b64 s[8:9], s[6:7]
	s_xor_b64 s[6:7], exec, s[8:9]
	s_cbranch_execz .LBB2_6057
; %bb.41897:
	s_getpc_b64 s[14:15]
.Lpost_getpc24532:
	s_add_u32 s14, s14, (.LBB2_20393-.Lpost_getpc24532)&4294967295
	s_addc_u32 s15, s15, (.LBB2_20393-.Lpost_getpc24532)>>32
	s_setpc_b64 s[14:15]
.LBB2_6057:
	s_or_saveexec_b64 s[6:7], s[6:7]
	v_mov_b32_e32 v2, s10
	s_xor_b64 exec, exec, s[6:7]
	s_cbranch_execz .LBB2_6058
; %bb.41899:
	s_getpc_b64 s[14:15]
.Lpost_getpc24533:
	s_add_u32 s14, s14, (.LBB2_20396-.Lpost_getpc24533)&4294967295
	s_addc_u32 s15, s15, (.LBB2_20396-.Lpost_getpc24533)>>32
	s_setpc_b64 s[14:15]
.LBB2_6058:
	s_or_b64 exec, exec, s[6:7]
	s_and_saveexec_b64 s[6:7], s[4:5]
	s_cbranch_execz .LBB2_6060
.LBB2_6059:
	v_bfe_u32 v2, v7, 8, 3
	v_ffbh_u32_e32 v13, v2
	v_min_u32_e32 v13, 32, v13
	v_lshrrev_b16_e32 v12, 3, v6
	v_subrev_u32_e32 v14, 28, v13
	v_and_b32_e32 v12, 15, v12
	v_lshlrev_b32_e32 v6, v14, v6
	v_sub_u32_e32 v13, 29, v13
	v_and_b32_e32 v6, 7, v6
	v_cmp_eq_u16_e32 vcc, 0, v12
	v_cndmask_b32_e32 v2, v2, v6, vcc
	v_cndmask_b32_e32 v6, v12, v13, vcc
	v_lshlrev_b32_e32 v12, 16, v7
	v_mov_b32_e32 v13, 0x3b800000
	v_lshlrev_b32_e32 v2, 20, v2
	v_and_b32_e32 v12, 0x80000000, v12
	v_lshl_add_u32 v6, v6, 23, v13
	v_or3_b32 v2, v12, v6, v2
.LBB2_6060:
	s_or_b64 exec, exec, s[6:7]
	v_lshrrev_b32_e32 v6, 8, v3
	s_movk_i32 s4, 0x7f
	v_cmp_gt_i16_sdwa s[6:7], v6, s4 src0_sel:BYTE_0 src1_sel:DWORD
	s_mov_b64 s[4:5], 0
                                        ; implicit-def: $sgpr10
	s_and_saveexec_b64 s[8:9], s[6:7]
	s_xor_b64 s[6:7], exec, s[8:9]
	s_cbranch_execz .LBB2_6061
; %bb.41901:
	s_getpc_b64 s[14:15]
.Lpost_getpc24534:
	s_add_u32 s14, s14, (.LBB2_20397-.Lpost_getpc24534)&4294967295
	s_addc_u32 s15, s15, (.LBB2_20397-.Lpost_getpc24534)>>32
	s_setpc_b64 s[14:15]
.LBB2_6061:
	s_or_saveexec_b64 s[6:7], s[6:7]
	v_mov_b32_e32 v12, s10
	s_xor_b64 exec, exec, s[6:7]
	s_cbranch_execz .LBB2_6062
; %bb.41903:
	s_getpc_b64 s[14:15]
.Lpost_getpc24535:
	s_add_u32 s14, s14, (.LBB2_20400-.Lpost_getpc24535)&4294967295
	s_addc_u32 s15, s15, (.LBB2_20400-.Lpost_getpc24535)>>32
	s_setpc_b64 s[14:15]
.LBB2_6062:
	s_or_b64 exec, exec, s[6:7]
	s_and_saveexec_b64 s[6:7], s[4:5]
	s_cbranch_execz .LBB2_6064
.LBB2_6063:
	v_bfe_u32 v12, v3, 8, 3
	v_ffbh_u32_e32 v14, v12
	v_min_u32_e32 v14, 32, v14
	v_lshrrev_b16_e32 v13, 3, v6
	v_subrev_u32_e32 v15, 28, v14
	v_and_b32_e32 v13, 15, v13
	v_lshlrev_b32_e32 v6, v15, v6
	v_sub_u32_e32 v14, 29, v14
	v_and_b32_e32 v6, 7, v6
	v_cmp_eq_u16_e32 vcc, 0, v13
	v_cndmask_b32_e32 v6, v12, v6, vcc
	v_cndmask_b32_e32 v12, v13, v14, vcc
	v_lshlrev_b32_e32 v13, 16, v3
	v_mov_b32_e32 v14, 0x3b800000
	v_lshlrev_b32_e32 v6, 20, v6
	v_and_b32_e32 v13, 0x80000000, v13
	v_lshl_add_u32 v12, v12, 23, v14
	v_or3_b32 v12, v13, v12, v6
.LBB2_6064:
	s_or_b64 exec, exec, s[6:7]
	s_nop 0
	v_mfma_f32_16x16x4f32 a[0:3], v2, v12, a[0:3]
	s_movk_i32 s4, 0xff
	v_and_b32_sdwa v6, v7, s4 dst_sel:DWORD dst_unused:UNUSED_PAD src0_sel:WORD_1 src1_sel:DWORD
	s_movk_i32 s4, 0x7f
	v_cmp_lt_i16_e32 vcc, s4, v6
	s_mov_b64 s[4:5], 0
                                        ; implicit-def: $sgpr10
	s_and_saveexec_b64 s[6:7], vcc
	s_xor_b64 s[6:7], exec, s[6:7]
	s_cbranch_execz .LBB2_6065
; %bb.41905:
	s_getpc_b64 s[14:15]
.Lpost_getpc24536:
	s_add_u32 s14, s14, (.LBB2_20401-.Lpost_getpc24536)&4294967295
	s_addc_u32 s15, s15, (.LBB2_20401-.Lpost_getpc24536)>>32
	s_setpc_b64 s[14:15]
.LBB2_6065:
	s_or_saveexec_b64 s[6:7], s[6:7]
	v_mov_b32_e32 v2, s10
	s_xor_b64 exec, exec, s[6:7]
	s_cbranch_execz .LBB2_6066
; %bb.41907:
	s_getpc_b64 s[14:15]
.Lpost_getpc24537:
	s_add_u32 s14, s14, (.LBB2_20404-.Lpost_getpc24537)&4294967295
	s_addc_u32 s15, s15, (.LBB2_20404-.Lpost_getpc24537)>>32
	s_setpc_b64 s[14:15]
.LBB2_6066:
	s_or_b64 exec, exec, s[6:7]
	s_and_saveexec_b64 s[6:7], s[4:5]
	s_cbranch_execz .LBB2_6068
.LBB2_6067:
	v_bfe_u32 v2, v7, 16, 3
	v_ffbh_u32_e32 v13, v2
	v_min_u32_e32 v13, 32, v13
	v_lshrrev_b32_e32 v6, 19, v7
	v_subrev_u32_e32 v14, 28, v13
	v_and_b32_e32 v6, 15, v6
	v_lshlrev_b32_sdwa v14, v14, v7 dst_sel:DWORD dst_unused:UNUSED_PAD src0_sel:DWORD src1_sel:WORD_1
	v_bfe_u32 v12, v7, 19, 4
	v_sub_u32_e32 v13, 29, v13
	v_and_b32_e32 v14, 7, v14
	v_cmp_eq_u16_e32 vcc, 0, v6
	v_cndmask_b32_e32 v2, v2, v14, vcc
	v_cndmask_b32_e32 v6, v12, v13, vcc
	v_lshlrev_b32_e32 v12, 8, v7
	v_mov_b32_e32 v13, 0x3b800000
	v_lshlrev_b32_e32 v2, 20, v2
	v_and_b32_e32 v12, 0x80000000, v12
	v_lshl_add_u32 v6, v6, 23, v13
	v_or3_b32 v2, v12, v6, v2
.LBB2_6068:
	s_or_b64 exec, exec, s[6:7]
	s_movk_i32 s4, 0xff
	v_and_b32_sdwa v6, v3, s4 dst_sel:DWORD dst_unused:UNUSED_PAD src0_sel:WORD_1 src1_sel:DWORD
	s_movk_i32 s4, 0x7f
	v_cmp_lt_i16_e32 vcc, s4, v6
	s_mov_b64 s[4:5], 0
                                        ; implicit-def: $sgpr10
	s_and_saveexec_b64 s[6:7], vcc
	s_xor_b64 s[6:7], exec, s[6:7]
	s_cbranch_execz .LBB2_6069
; %bb.41909:
	s_getpc_b64 s[14:15]
.Lpost_getpc24538:
	s_add_u32 s14, s14, (.LBB2_20405-.Lpost_getpc24538)&4294967295
	s_addc_u32 s15, s15, (.LBB2_20405-.Lpost_getpc24538)>>32
	s_setpc_b64 s[14:15]
.LBB2_6069:
	s_or_saveexec_b64 s[6:7], s[6:7]
	v_mov_b32_e32 v12, s10
	s_xor_b64 exec, exec, s[6:7]
	s_cbranch_execz .LBB2_6070
; %bb.41911:
	s_getpc_b64 s[14:15]
.Lpost_getpc24539:
	s_add_u32 s14, s14, (.LBB2_20408-.Lpost_getpc24539)&4294967295
	s_addc_u32 s15, s15, (.LBB2_20408-.Lpost_getpc24539)>>32
	s_setpc_b64 s[14:15]
.LBB2_6070:
	s_or_b64 exec, exec, s[6:7]
	s_and_saveexec_b64 s[6:7], s[4:5]
	s_cbranch_execz .LBB2_6072
.LBB2_6071:
	v_bfe_u32 v6, v3, 16, 3
	v_ffbh_u32_e32 v14, v6
	v_min_u32_e32 v14, 32, v14
	v_lshrrev_b32_e32 v12, 19, v3
	v_subrev_u32_e32 v15, 28, v14
	v_and_b32_e32 v12, 15, v12
	v_lshlrev_b32_sdwa v15, v15, v3 dst_sel:DWORD dst_unused:UNUSED_PAD src0_sel:DWORD src1_sel:WORD_1
	v_bfe_u32 v13, v3, 19, 4
	v_sub_u32_e32 v14, 29, v14
	v_and_b32_e32 v15, 7, v15
	v_cmp_eq_u16_e32 vcc, 0, v12
	v_cndmask_b32_e32 v6, v6, v15, vcc
	v_cndmask_b32_e32 v12, v13, v14, vcc
	v_lshlrev_b32_e32 v13, 8, v3
	v_mov_b32_e32 v14, 0x3b800000
	v_lshlrev_b32_e32 v6, 20, v6
	v_and_b32_e32 v13, 0x80000000, v13
	v_lshl_add_u32 v12, v12, 23, v14
	v_or3_b32 v12, v13, v12, v6
.LBB2_6072:
	s_or_b64 exec, exec, s[6:7]
	s_nop 0
	v_mfma_f32_16x16x4f32 a[0:3], v2, v12, a[0:3]
	s_movk_i32 s4, 0x7f
	v_cmp_gt_i16_sdwa s[6:7], v7, s4 src0_sel:BYTE_3 src1_sel:DWORD
	s_mov_b64 s[4:5], 0
                                        ; implicit-def: $sgpr10
	s_and_saveexec_b64 s[8:9], s[6:7]
	s_xor_b64 s[6:7], exec, s[8:9]
	s_cbranch_execz .LBB2_6073
; %bb.41913:
	s_getpc_b64 s[14:15]
.Lpost_getpc24540:
	s_add_u32 s14, s14, (.LBB2_20409-.Lpost_getpc24540)&4294967295
	s_addc_u32 s15, s15, (.LBB2_20409-.Lpost_getpc24540)>>32
	s_setpc_b64 s[14:15]
.LBB2_6073:
	s_or_saveexec_b64 s[6:7], s[6:7]
	v_mov_b32_e32 v2, s10
	s_xor_b64 exec, exec, s[6:7]
	s_cbranch_execz .LBB2_6074
; %bb.41915:
	s_getpc_b64 s[14:15]
.Lpost_getpc24541:
	s_add_u32 s14, s14, (.LBB2_20412-.Lpost_getpc24541)&4294967295
	s_addc_u32 s15, s15, (.LBB2_20412-.Lpost_getpc24541)>>32
	s_setpc_b64 s[14:15]
.LBB2_6074:
	s_or_b64 exec, exec, s[6:7]
	s_and_saveexec_b64 s[6:7], s[4:5]
	s_cbranch_execz .LBB2_6076
.LBB2_6075:
	v_bfe_u32 v2, v7, 24, 3
	v_ffbh_u32_e32 v14, v2
	v_min_u32_e32 v14, 32, v14
	v_lshrrev_b32_e32 v12, 27, v7
	v_subrev_u32_e32 v15, 28, v14
	v_and_b32_e32 v6, 0x80000000, v7
	v_and_b32_e32 v12, 15, v12
	v_bfe_u32 v13, v7, 27, 4
	v_lshlrev_b32_sdwa v7, v15, v7 dst_sel:DWORD dst_unused:UNUSED_PAD src0_sel:DWORD src1_sel:BYTE_3
	v_sub_u32_e32 v14, 29, v14
	v_and_b32_e32 v7, 7, v7
	v_cmp_eq_u16_e32 vcc, 0, v12
	v_cndmask_b32_e32 v2, v2, v7, vcc
	v_cndmask_b32_e32 v7, v13, v14, vcc
	v_mov_b32_e32 v12, 0x3b800000
	v_lshlrev_b32_e32 v2, 20, v2
	v_lshl_add_u32 v7, v7, 23, v12
	v_or3_b32 v2, v6, v7, v2
.LBB2_6076:
	s_or_b64 exec, exec, s[6:7]
	s_movk_i32 s4, 0x7f
	v_cmp_gt_i16_sdwa s[6:7], v3, s4 src0_sel:BYTE_3 src1_sel:DWORD
	s_mov_b64 s[4:5], 0
                                        ; implicit-def: $sgpr10
	s_and_saveexec_b64 s[8:9], s[6:7]
	s_xor_b64 s[6:7], exec, s[8:9]
	s_cbranch_execz .LBB2_6077
; %bb.41917:
	s_getpc_b64 s[14:15]
.Lpost_getpc24542:
	s_add_u32 s14, s14, (.LBB2_20413-.Lpost_getpc24542)&4294967295
	s_addc_u32 s15, s15, (.LBB2_20413-.Lpost_getpc24542)>>32
	s_setpc_b64 s[14:15]
.LBB2_6077:
	s_or_saveexec_b64 s[6:7], s[6:7]
	v_mov_b32_e32 v6, s10
	s_xor_b64 exec, exec, s[6:7]
	s_cbranch_execz .LBB2_6078
; %bb.41919:
	s_getpc_b64 s[14:15]
.Lpost_getpc24543:
	s_add_u32 s14, s14, (.LBB2_20416-.Lpost_getpc24543)&4294967295
	s_addc_u32 s15, s15, (.LBB2_20416-.Lpost_getpc24543)>>32
	s_setpc_b64 s[14:15]
.LBB2_6078:
	s_or_b64 exec, exec, s[6:7]
	s_and_saveexec_b64 s[6:7], s[4:5]
	s_cbranch_execz .LBB2_6080
.LBB2_6079:
	v_bfe_u32 v6, v3, 24, 3
	v_ffbh_u32_e32 v14, v6
	v_min_u32_e32 v14, 32, v14
	v_lshrrev_b32_e32 v12, 27, v3
	v_subrev_u32_e32 v15, 28, v14
	v_and_b32_e32 v7, 0x80000000, v3
	v_and_b32_e32 v12, 15, v12
	v_bfe_u32 v13, v3, 27, 4
	v_lshlrev_b32_sdwa v3, v15, v3 dst_sel:DWORD dst_unused:UNUSED_PAD src0_sel:DWORD src1_sel:BYTE_3
	v_sub_u32_e32 v14, 29, v14
	v_and_b32_e32 v3, 7, v3
	v_cmp_eq_u16_e32 vcc, 0, v12
	v_cndmask_b32_e32 v3, v6, v3, vcc
	v_cndmask_b32_e32 v6, v13, v14, vcc
	v_mov_b32_e32 v12, 0x3b800000
	v_lshlrev_b32_e32 v3, 20, v3
	v_lshl_add_u32 v6, v6, 23, v12
	v_or3_b32 v6, v7, v6, v3
.LBB2_6080:
	s_or_b64 exec, exec, s[6:7]
	s_nop 0
	v_mfma_f32_16x16x4f32 a[0:3], v2, v6, a[0:3]
	s_movk_i32 s4, 0x7f
	v_cmp_gt_i16_sdwa s[6:7], v8, s4 src0_sel:BYTE_0 src1_sel:DWORD
	s_mov_b64 s[4:5], 0
                                        ; implicit-def: $sgpr10
	s_and_saveexec_b64 s[8:9], s[6:7]
	s_xor_b64 s[6:7], exec, s[8:9]
	s_cbranch_execz .LBB2_6081
; %bb.41921:
	s_getpc_b64 s[14:15]
.Lpost_getpc24544:
	s_add_u32 s14, s14, (.LBB2_20417-.Lpost_getpc24544)&4294967295
	s_addc_u32 s15, s15, (.LBB2_20417-.Lpost_getpc24544)>>32
	s_setpc_b64 s[14:15]
.LBB2_6081:
	s_or_saveexec_b64 s[6:7], s[6:7]
	v_mov_b32_e32 v2, s10
	s_xor_b64 exec, exec, s[6:7]
	s_cbranch_execz .LBB2_6082
; %bb.41923:
	s_getpc_b64 s[14:15]
.Lpost_getpc24545:
	s_add_u32 s14, s14, (.LBB2_20420-.Lpost_getpc24545)&4294967295
	s_addc_u32 s15, s15, (.LBB2_20420-.Lpost_getpc24545)>>32
	s_setpc_b64 s[14:15]
.LBB2_6082:
	s_or_b64 exec, exec, s[6:7]
	s_and_saveexec_b64 s[6:7], s[4:5]
	s_cbranch_execz .LBB2_6084
.LBB2_6083:
	v_and_b32_e32 v2, 7, v8
	v_ffbh_u32_e32 v6, v2
	v_min_u32_e32 v6, 32, v6
	v_lshrrev_b16_e32 v3, 3, v8
	v_subrev_u32_e32 v7, 28, v6
	v_and_b32_e32 v3, 15, v3
	v_lshlrev_b32_e32 v7, v7, v8
	v_sub_u32_e32 v6, 29, v6
	v_and_b32_e32 v7, 7, v7
	v_cmp_eq_u16_e32 vcc, 0, v3
	v_cndmask_b32_e32 v2, v2, v7, vcc
	v_cndmask_b32_e32 v3, v3, v6, vcc
	v_lshlrev_b32_e32 v6, 24, v8
	v_mov_b32_e32 v7, 0x3b800000
	v_lshlrev_b32_e32 v2, 20, v2
	v_and_b32_e32 v6, 0x80000000, v6
	v_lshl_add_u32 v3, v3, 23, v7
	v_or3_b32 v2, v6, v3, v2
.LBB2_6084:
	s_or_b64 exec, exec, s[6:7]
	s_movk_i32 s4, 0x7f
	v_cmp_gt_i16_sdwa s[6:7], v4, s4 src0_sel:BYTE_0 src1_sel:DWORD
	s_mov_b64 s[4:5], 0
                                        ; implicit-def: $sgpr10
	s_and_saveexec_b64 s[8:9], s[6:7]
	s_xor_b64 s[6:7], exec, s[8:9]
	s_cbranch_execz .LBB2_6085
; %bb.41925:
	s_getpc_b64 s[14:15]
.Lpost_getpc24546:
	s_add_u32 s14, s14, (.LBB2_20421-.Lpost_getpc24546)&4294967295
	s_addc_u32 s15, s15, (.LBB2_20421-.Lpost_getpc24546)>>32
	s_setpc_b64 s[14:15]
.LBB2_6085:
	s_or_saveexec_b64 s[6:7], s[6:7]
	v_mov_b32_e32 v3, s10
	s_xor_b64 exec, exec, s[6:7]
	s_cbranch_execz .LBB2_6086
; %bb.41927:
	s_getpc_b64 s[14:15]
.Lpost_getpc24547:
	s_add_u32 s14, s14, (.LBB2_20424-.Lpost_getpc24547)&4294967295
	s_addc_u32 s15, s15, (.LBB2_20424-.Lpost_getpc24547)>>32
	s_setpc_b64 s[14:15]
.LBB2_6086:
	s_or_b64 exec, exec, s[6:7]
	s_and_saveexec_b64 s[6:7], s[4:5]
	s_cbranch_execz .LBB2_6088
.LBB2_6087:
	v_and_b32_e32 v3, 7, v4
	v_ffbh_u32_e32 v7, v3
	v_min_u32_e32 v7, 32, v7
	v_lshrrev_b16_e32 v6, 3, v4
	v_subrev_u32_e32 v12, 28, v7
	v_and_b32_e32 v6, 15, v6
	v_lshlrev_b32_e32 v12, v12, v4
	v_sub_u32_e32 v7, 29, v7
	v_and_b32_e32 v12, 7, v12
	v_cmp_eq_u16_e32 vcc, 0, v6
	v_cndmask_b32_e32 v3, v3, v12, vcc
	v_cndmask_b32_e32 v6, v6, v7, vcc
	v_lshlrev_b32_e32 v7, 24, v4
	v_mov_b32_e32 v12, 0x3b800000
	v_lshlrev_b32_e32 v3, 20, v3
	v_and_b32_e32 v7, 0x80000000, v7
	v_lshl_add_u32 v6, v6, 23, v12
	v_or3_b32 v3, v7, v6, v3
.LBB2_6088:
	s_or_b64 exec, exec, s[6:7]
	s_nop 0
	v_mfma_f32_16x16x4f32 a[0:3], v2, v3, a[0:3]
	v_lshrrev_b32_e32 v3, 8, v8
	s_movk_i32 s4, 0x7f
	v_cmp_gt_i16_sdwa s[6:7], v3, s4 src0_sel:BYTE_0 src1_sel:DWORD
	s_mov_b64 s[4:5], 0
                                        ; implicit-def: $sgpr10
	s_and_saveexec_b64 s[8:9], s[6:7]
	s_xor_b64 s[6:7], exec, s[8:9]
	s_cbranch_execz .LBB2_6089
; %bb.41929:
	s_getpc_b64 s[14:15]
.Lpost_getpc24548:
	s_add_u32 s14, s14, (.LBB2_20425-.Lpost_getpc24548)&4294967295
	s_addc_u32 s15, s15, (.LBB2_20425-.Lpost_getpc24548)>>32
	s_setpc_b64 s[14:15]
.LBB2_6089:
	s_or_saveexec_b64 s[6:7], s[6:7]
	v_mov_b32_e32 v2, s10
	s_xor_b64 exec, exec, s[6:7]
	s_cbranch_execz .LBB2_6090
; %bb.41931:
	s_getpc_b64 s[14:15]
.Lpost_getpc24549:
	s_add_u32 s14, s14, (.LBB2_20428-.Lpost_getpc24549)&4294967295
	s_addc_u32 s15, s15, (.LBB2_20428-.Lpost_getpc24549)>>32
	s_setpc_b64 s[14:15]
.LBB2_6090:
	s_or_b64 exec, exec, s[6:7]
	s_and_saveexec_b64 s[6:7], s[4:5]
	s_cbranch_execz .LBB2_6092
.LBB2_6091:
	v_bfe_u32 v2, v8, 8, 3
	v_ffbh_u32_e32 v7, v2
	v_min_u32_e32 v7, 32, v7
	v_lshrrev_b16_e32 v6, 3, v3
	v_subrev_u32_e32 v12, 28, v7
	v_and_b32_e32 v6, 15, v6
	v_lshlrev_b32_e32 v3, v12, v3
	v_sub_u32_e32 v7, 29, v7
	v_and_b32_e32 v3, 7, v3
	v_cmp_eq_u16_e32 vcc, 0, v6
	v_cndmask_b32_e32 v2, v2, v3, vcc
	v_cndmask_b32_e32 v3, v6, v7, vcc
	v_lshlrev_b32_e32 v6, 16, v8
	v_mov_b32_e32 v7, 0x3b800000
	v_lshlrev_b32_e32 v2, 20, v2
	v_and_b32_e32 v6, 0x80000000, v6
	v_lshl_add_u32 v3, v3, 23, v7
	v_or3_b32 v2, v6, v3, v2
.LBB2_6092:
	s_or_b64 exec, exec, s[6:7]
	v_lshrrev_b32_e32 v3, 8, v4
	s_movk_i32 s4, 0x7f
	v_cmp_gt_i16_sdwa s[6:7], v3, s4 src0_sel:BYTE_0 src1_sel:DWORD
	s_mov_b64 s[4:5], 0
                                        ; implicit-def: $sgpr10
	s_and_saveexec_b64 s[8:9], s[6:7]
	s_xor_b64 s[6:7], exec, s[8:9]
	s_cbranch_execz .LBB2_6093
; %bb.41933:
	s_getpc_b64 s[14:15]
.Lpost_getpc24550:
	s_add_u32 s14, s14, (.LBB2_20429-.Lpost_getpc24550)&4294967295
	s_addc_u32 s15, s15, (.LBB2_20429-.Lpost_getpc24550)>>32
	s_setpc_b64 s[14:15]
.LBB2_6093:
	s_or_saveexec_b64 s[6:7], s[6:7]
	v_mov_b32_e32 v6, s10
	s_xor_b64 exec, exec, s[6:7]
	s_cbranch_execz .LBB2_6094
; %bb.41935:
	s_getpc_b64 s[14:15]
.Lpost_getpc24551:
	s_add_u32 s14, s14, (.LBB2_20432-.Lpost_getpc24551)&4294967295
	s_addc_u32 s15, s15, (.LBB2_20432-.Lpost_getpc24551)>>32
	s_setpc_b64 s[14:15]
.LBB2_6094:
	s_or_b64 exec, exec, s[6:7]
	s_and_saveexec_b64 s[6:7], s[4:5]
	s_cbranch_execz .LBB2_6096
.LBB2_6095:
	v_bfe_u32 v6, v4, 8, 3
	v_ffbh_u32_e32 v12, v6
	v_min_u32_e32 v12, 32, v12
	v_lshrrev_b16_e32 v7, 3, v3
	v_subrev_u32_e32 v13, 28, v12
	v_and_b32_e32 v7, 15, v7
	v_lshlrev_b32_e32 v3, v13, v3
	v_sub_u32_e32 v12, 29, v12
	v_and_b32_e32 v3, 7, v3
	v_cmp_eq_u16_e32 vcc, 0, v7
	v_cndmask_b32_e32 v3, v6, v3, vcc
	v_cndmask_b32_e32 v6, v7, v12, vcc
	v_lshlrev_b32_e32 v7, 16, v4
	v_mov_b32_e32 v12, 0x3b800000
	v_lshlrev_b32_e32 v3, 20, v3
	v_and_b32_e32 v7, 0x80000000, v7
	v_lshl_add_u32 v6, v6, 23, v12
	v_or3_b32 v6, v7, v6, v3
.LBB2_6096:
	s_or_b64 exec, exec, s[6:7]
	s_nop 0
	v_mfma_f32_16x16x4f32 a[0:3], v2, v6, a[0:3]
	s_movk_i32 s4, 0xff
	v_and_b32_sdwa v3, v8, s4 dst_sel:DWORD dst_unused:UNUSED_PAD src0_sel:WORD_1 src1_sel:DWORD
	s_movk_i32 s4, 0x7f
	v_cmp_lt_i16_e32 vcc, s4, v3
	s_mov_b64 s[4:5], 0
                                        ; implicit-def: $sgpr10
	s_and_saveexec_b64 s[6:7], vcc
	s_xor_b64 s[6:7], exec, s[6:7]
	s_cbranch_execz .LBB2_6097
; %bb.41937:
	s_getpc_b64 s[14:15]
.Lpost_getpc24552:
	s_add_u32 s14, s14, (.LBB2_20433-.Lpost_getpc24552)&4294967295
	s_addc_u32 s15, s15, (.LBB2_20433-.Lpost_getpc24552)>>32
	s_setpc_b64 s[14:15]
.LBB2_6097:
	s_or_saveexec_b64 s[6:7], s[6:7]
	v_mov_b32_e32 v2, s10
	s_xor_b64 exec, exec, s[6:7]
	s_cbranch_execz .LBB2_6098
; %bb.41939:
	s_getpc_b64 s[14:15]
.Lpost_getpc24553:
	s_add_u32 s14, s14, (.LBB2_20436-.Lpost_getpc24553)&4294967295
	s_addc_u32 s15, s15, (.LBB2_20436-.Lpost_getpc24553)>>32
	s_setpc_b64 s[14:15]
.LBB2_6098:
	s_or_b64 exec, exec, s[6:7]
	s_and_saveexec_b64 s[6:7], s[4:5]
	s_cbranch_execz .LBB2_6100
.LBB2_6099:
	v_bfe_u32 v2, v8, 16, 3
	v_ffbh_u32_e32 v7, v2
	v_min_u32_e32 v7, 32, v7
	v_lshrrev_b32_e32 v3, 19, v8
	v_subrev_u32_e32 v12, 28, v7
	v_and_b32_e32 v3, 15, v3
	v_lshlrev_b32_sdwa v12, v12, v8 dst_sel:DWORD dst_unused:UNUSED_PAD src0_sel:DWORD src1_sel:WORD_1
	v_bfe_u32 v6, v8, 19, 4
	v_sub_u32_e32 v7, 29, v7
	v_and_b32_e32 v12, 7, v12
	v_cmp_eq_u16_e32 vcc, 0, v3
	v_cndmask_b32_e32 v2, v2, v12, vcc
	v_cndmask_b32_e32 v3, v6, v7, vcc
	v_lshlrev_b32_e32 v6, 8, v8
	v_mov_b32_e32 v7, 0x3b800000
	v_lshlrev_b32_e32 v2, 20, v2
	v_and_b32_e32 v6, 0x80000000, v6
	v_lshl_add_u32 v3, v3, 23, v7
	v_or3_b32 v2, v6, v3, v2
.LBB2_6100:
	s_or_b64 exec, exec, s[6:7]
	s_movk_i32 s4, 0xff
	v_and_b32_sdwa v3, v4, s4 dst_sel:DWORD dst_unused:UNUSED_PAD src0_sel:WORD_1 src1_sel:DWORD
	s_movk_i32 s4, 0x7f
	v_cmp_lt_i16_e32 vcc, s4, v3
	s_mov_b64 s[4:5], 0
                                        ; implicit-def: $sgpr10
	s_and_saveexec_b64 s[6:7], vcc
	s_xor_b64 s[6:7], exec, s[6:7]
	s_cbranch_execz .LBB2_6101
; %bb.41941:
	s_getpc_b64 s[14:15]
.Lpost_getpc24554:
	s_add_u32 s14, s14, (.LBB2_20437-.Lpost_getpc24554)&4294967295
	s_addc_u32 s15, s15, (.LBB2_20437-.Lpost_getpc24554)>>32
	s_setpc_b64 s[14:15]
.LBB2_6101:
	s_or_saveexec_b64 s[6:7], s[6:7]
	v_mov_b32_e32 v6, s10
	s_xor_b64 exec, exec, s[6:7]
	s_cbranch_execz .LBB2_6102
; %bb.41943:
	s_getpc_b64 s[14:15]
.Lpost_getpc24555:
	s_add_u32 s14, s14, (.LBB2_20440-.Lpost_getpc24555)&4294967295
	s_addc_u32 s15, s15, (.LBB2_20440-.Lpost_getpc24555)>>32
	s_setpc_b64 s[14:15]
.LBB2_6102:
	s_or_b64 exec, exec, s[6:7]
	s_and_saveexec_b64 s[6:7], s[4:5]
	s_cbranch_execz .LBB2_6104
.LBB2_6103:
	v_bfe_u32 v3, v4, 16, 3
	v_ffbh_u32_e32 v12, v3
	v_min_u32_e32 v12, 32, v12
	v_lshrrev_b32_e32 v6, 19, v4
	v_subrev_u32_e32 v13, 28, v12
	v_and_b32_e32 v6, 15, v6
	v_lshlrev_b32_sdwa v13, v13, v4 dst_sel:DWORD dst_unused:UNUSED_PAD src0_sel:DWORD src1_sel:WORD_1
	v_bfe_u32 v7, v4, 19, 4
	v_sub_u32_e32 v12, 29, v12
	v_and_b32_e32 v13, 7, v13
	v_cmp_eq_u16_e32 vcc, 0, v6
	v_cndmask_b32_e32 v3, v3, v13, vcc
	v_cndmask_b32_e32 v6, v7, v12, vcc
	v_lshlrev_b32_e32 v7, 8, v4
	v_mov_b32_e32 v12, 0x3b800000
	v_lshlrev_b32_e32 v3, 20, v3
	v_and_b32_e32 v7, 0x80000000, v7
	v_lshl_add_u32 v6, v6, 23, v12
	v_or3_b32 v6, v7, v6, v3
.LBB2_6104:
	s_or_b64 exec, exec, s[6:7]
	s_nop 0
	v_mfma_f32_16x16x4f32 a[0:3], v2, v6, a[0:3]
	s_movk_i32 s4, 0x7f
	v_cmp_gt_i16_sdwa s[6:7], v8, s4 src0_sel:BYTE_3 src1_sel:DWORD
	s_mov_b64 s[4:5], 0
                                        ; implicit-def: $sgpr10
	s_and_saveexec_b64 s[8:9], s[6:7]
	s_xor_b64 s[6:7], exec, s[8:9]
	s_cbranch_execz .LBB2_6105
; %bb.41945:
	s_getpc_b64 s[14:15]
.Lpost_getpc24556:
	s_add_u32 s14, s14, (.LBB2_20441-.Lpost_getpc24556)&4294967295
	s_addc_u32 s15, s15, (.LBB2_20441-.Lpost_getpc24556)>>32
	s_setpc_b64 s[14:15]
.LBB2_6105:
	s_or_saveexec_b64 s[6:7], s[6:7]
	v_mov_b32_e32 v2, s10
	s_xor_b64 exec, exec, s[6:7]
	s_cbranch_execz .LBB2_6106
; %bb.41947:
	s_getpc_b64 s[14:15]
.Lpost_getpc24557:
	s_add_u32 s14, s14, (.LBB2_20444-.Lpost_getpc24557)&4294967295
	s_addc_u32 s15, s15, (.LBB2_20444-.Lpost_getpc24557)>>32
	s_setpc_b64 s[14:15]
.LBB2_6106:
	s_or_b64 exec, exec, s[6:7]
	s_and_saveexec_b64 s[6:7], s[4:5]
	s_cbranch_execz .LBB2_6108
.LBB2_6107:
	v_bfe_u32 v2, v8, 24, 3
	v_ffbh_u32_e32 v12, v2
	v_min_u32_e32 v12, 32, v12
	v_lshrrev_b32_e32 v6, 27, v8
	v_subrev_u32_e32 v13, 28, v12
	v_and_b32_e32 v3, 0x80000000, v8
	v_and_b32_e32 v6, 15, v6
	v_bfe_u32 v7, v8, 27, 4
	v_lshlrev_b32_sdwa v8, v13, v8 dst_sel:DWORD dst_unused:UNUSED_PAD src0_sel:DWORD src1_sel:BYTE_3
	v_sub_u32_e32 v12, 29, v12
	v_and_b32_e32 v8, 7, v8
	v_cmp_eq_u16_e32 vcc, 0, v6
	v_cndmask_b32_e32 v2, v2, v8, vcc
	v_cndmask_b32_e32 v6, v7, v12, vcc
	v_mov_b32_e32 v7, 0x3b800000
	v_lshlrev_b32_e32 v2, 20, v2
	v_lshl_add_u32 v6, v6, 23, v7
	v_or3_b32 v2, v3, v6, v2
.LBB2_6108:
	s_or_b64 exec, exec, s[6:7]
	s_movk_i32 s4, 0x7f
	v_cmp_gt_i16_sdwa s[6:7], v4, s4 src0_sel:BYTE_3 src1_sel:DWORD
	s_mov_b64 s[4:5], 0
                                        ; implicit-def: $sgpr10
	s_and_saveexec_b64 s[8:9], s[6:7]
	s_xor_b64 s[6:7], exec, s[8:9]
	s_cbranch_execz .LBB2_6109
; %bb.41949:
	s_getpc_b64 s[14:15]
.Lpost_getpc24558:
	s_add_u32 s14, s14, (.LBB2_20445-.Lpost_getpc24558)&4294967295
	s_addc_u32 s15, s15, (.LBB2_20445-.Lpost_getpc24558)>>32
	s_setpc_b64 s[14:15]
.LBB2_6109:
	s_or_saveexec_b64 s[6:7], s[6:7]
	v_mov_b32_e32 v3, s10
	s_xor_b64 exec, exec, s[6:7]
	s_cbranch_execz .LBB2_6110
; %bb.41951:
	s_getpc_b64 s[14:15]
.Lpost_getpc24559:
	s_add_u32 s14, s14, (.LBB2_20448-.Lpost_getpc24559)&4294967295
	s_addc_u32 s15, s15, (.LBB2_20448-.Lpost_getpc24559)>>32
	s_setpc_b64 s[14:15]
.LBB2_6110:
	s_or_b64 exec, exec, s[6:7]
	s_and_saveexec_b64 s[6:7], s[4:5]
	s_cbranch_execz .LBB2_6112
.LBB2_6111:
	v_bfe_u32 v3, v4, 24, 3
	v_ffbh_u32_e32 v12, v3
	v_min_u32_e32 v12, 32, v12
	v_lshrrev_b32_e32 v7, 27, v4
	v_subrev_u32_e32 v13, 28, v12
	v_and_b32_e32 v6, 0x80000000, v4
	v_and_b32_e32 v7, 15, v7
	v_bfe_u32 v8, v4, 27, 4
	v_lshlrev_b32_sdwa v4, v13, v4 dst_sel:DWORD dst_unused:UNUSED_PAD src0_sel:DWORD src1_sel:BYTE_3
	v_sub_u32_e32 v12, 29, v12
	v_and_b32_e32 v4, 7, v4
	v_cmp_eq_u16_e32 vcc, 0, v7
	v_cndmask_b32_e32 v3, v3, v4, vcc
	v_cndmask_b32_e32 v4, v8, v12, vcc
	v_mov_b32_e32 v7, 0x3b800000
	v_lshlrev_b32_e32 v3, 20, v3
	v_lshl_add_u32 v4, v4, 23, v7
	v_or3_b32 v3, v6, v4, v3
.LBB2_6112:
	s_or_b64 exec, exec, s[6:7]
	s_nop 0
	v_mfma_f32_16x16x4f32 a[0:3], v2, v3, a[0:3]
	s_movk_i32 s4, 0x7f
	v_cmp_gt_i16_sdwa s[6:7], v9, s4 src0_sel:BYTE_0 src1_sel:DWORD
	s_mov_b64 s[4:5], 0
                                        ; implicit-def: $sgpr10
	s_and_saveexec_b64 s[8:9], s[6:7]
	s_xor_b64 s[6:7], exec, s[8:9]
	s_cbranch_execz .LBB2_6113
; %bb.41953:
	s_getpc_b64 s[14:15]
.Lpost_getpc24560:
	s_add_u32 s14, s14, (.LBB2_20449-.Lpost_getpc24560)&4294967295
	s_addc_u32 s15, s15, (.LBB2_20449-.Lpost_getpc24560)>>32
	s_setpc_b64 s[14:15]
.LBB2_6113:
	s_or_saveexec_b64 s[6:7], s[6:7]
	v_mov_b32_e32 v2, s10
	s_xor_b64 exec, exec, s[6:7]
	s_cbranch_execz .LBB2_6114
; %bb.41955:
	s_getpc_b64 s[14:15]
.Lpost_getpc24561:
	s_add_u32 s14, s14, (.LBB2_20452-.Lpost_getpc24561)&4294967295
	s_addc_u32 s15, s15, (.LBB2_20452-.Lpost_getpc24561)>>32
	s_setpc_b64 s[14:15]
.LBB2_6114:
	s_or_b64 exec, exec, s[6:7]
	s_and_saveexec_b64 s[6:7], s[4:5]
	s_cbranch_execz .LBB2_6116
.LBB2_6115:
	v_mov_b32_e32 v2, 8
	v_and_b32_e32 v3, 7, v9
	v_lshrrev_b32_sdwa v2, v2, v9 dst_sel:BYTE_1 dst_unused:UNUSED_PAD src0_sel:DWORD src1_sel:DWORD
	v_ffbh_u32_e32 v4, v3
	v_or_b32_sdwa v2, v9, v2 dst_sel:DWORD dst_unused:UNUSED_PAD src0_sel:BYTE_0 src1_sel:DWORD
	v_min_u32_e32 v4, 32, v4
	v_lshrrev_b16_e32 v2, 3, v2
	v_subrev_u32_e32 v6, 28, v4
	v_and_b32_e32 v2, 15, v2
	v_lshlrev_b32_e32 v6, v6, v9
	v_sub_u32_e32 v4, 29, v4
	v_and_b32_e32 v6, 7, v6
	v_cmp_eq_u16_e32 vcc, 0, v2
	v_cndmask_b32_e32 v3, v3, v6, vcc
	v_cndmask_b32_e32 v2, v2, v4, vcc
	v_lshlrev_b32_e32 v4, 24, v9
	v_mov_b32_e32 v6, 0x3b800000
	v_lshlrev_b32_e32 v3, 20, v3
	v_and_b32_e32 v4, 0x80000000, v4
	v_lshl_add_u32 v2, v2, 23, v6
	v_or3_b32 v2, v4, v2, v3
.LBB2_6116:
	s_or_b64 exec, exec, s[6:7]
	s_movk_i32 s4, 0x7f
	v_cmp_gt_i16_sdwa s[6:7], v5, s4 src0_sel:BYTE_0 src1_sel:DWORD
	s_mov_b64 s[4:5], 0
                                        ; implicit-def: $sgpr10
	s_and_saveexec_b64 s[8:9], s[6:7]
	s_xor_b64 s[6:7], exec, s[8:9]
	s_cbranch_execz .LBB2_6117
; %bb.41957:
	s_getpc_b64 s[14:15]
.Lpost_getpc24562:
	s_add_u32 s14, s14, (.LBB2_20453-.Lpost_getpc24562)&4294967295
	s_addc_u32 s15, s15, (.LBB2_20453-.Lpost_getpc24562)>>32
	s_setpc_b64 s[14:15]
.LBB2_6117:
	s_or_saveexec_b64 s[6:7], s[6:7]
	v_mov_b32_e32 v3, s10
	s_xor_b64 exec, exec, s[6:7]
	s_cbranch_execz .LBB2_6118
; %bb.41959:
	s_getpc_b64 s[14:15]
.Lpost_getpc24563:
	s_add_u32 s14, s14, (.LBB2_20456-.Lpost_getpc24563)&4294967295
	s_addc_u32 s15, s15, (.LBB2_20456-.Lpost_getpc24563)>>32
	s_setpc_b64 s[14:15]
.LBB2_6118:
	s_or_b64 exec, exec, s[6:7]
	s_and_saveexec_b64 s[6:7], s[4:5]
	s_cbranch_execz .LBB2_6120
.LBB2_6119:
	v_mov_b32_e32 v3, 8
	v_and_b32_e32 v4, 7, v5
	v_lshrrev_b32_sdwa v3, v3, v5 dst_sel:BYTE_1 dst_unused:UNUSED_PAD src0_sel:DWORD src1_sel:DWORD
	v_ffbh_u32_e32 v6, v4
	v_or_b32_sdwa v3, v5, v3 dst_sel:DWORD dst_unused:UNUSED_PAD src0_sel:BYTE_0 src1_sel:DWORD
	v_min_u32_e32 v6, 32, v6
	v_lshrrev_b16_e32 v3, 3, v3
	v_subrev_u32_e32 v7, 28, v6
	v_and_b32_e32 v3, 15, v3
	v_lshlrev_b32_e32 v7, v7, v5
	v_sub_u32_e32 v6, 29, v6
	v_and_b32_e32 v7, 7, v7
	v_cmp_eq_u16_e32 vcc, 0, v3
	v_cndmask_b32_e32 v4, v4, v7, vcc
	v_cndmask_b32_e32 v3, v3, v6, vcc
	v_lshlrev_b32_e32 v6, 24, v5
	v_mov_b32_e32 v7, 0x3b800000
	v_lshlrev_b32_e32 v4, 20, v4
	v_and_b32_e32 v6, 0x80000000, v6
	v_lshl_add_u32 v3, v3, 23, v7
	v_or3_b32 v3, v6, v3, v4
.LBB2_6120:
	s_or_b64 exec, exec, s[6:7]
	s_nop 0
	v_mfma_f32_16x16x4f32 a[0:3], v2, v3, a[0:3]
	v_lshrrev_b32_e32 v3, 8, v9
	s_movk_i32 s4, 0x7f
	v_cmp_gt_i16_sdwa s[6:7], v3, s4 src0_sel:BYTE_0 src1_sel:DWORD
	s_mov_b64 s[4:5], 0
                                        ; implicit-def: $sgpr10
	s_and_saveexec_b64 s[8:9], s[6:7]
	s_xor_b64 s[6:7], exec, s[8:9]
	s_cbranch_execz .LBB2_6121
; %bb.41961:
	s_getpc_b64 s[14:15]
.Lpost_getpc24564:
	s_add_u32 s14, s14, (.LBB2_20457-.Lpost_getpc24564)&4294967295
	s_addc_u32 s15, s15, (.LBB2_20457-.Lpost_getpc24564)>>32
	s_setpc_b64 s[14:15]
.LBB2_6121:
	s_or_saveexec_b64 s[6:7], s[6:7]
	v_mov_b32_e32 v2, s10
	s_xor_b64 exec, exec, s[6:7]
	s_cbranch_execz .LBB2_6122
; %bb.41963:
	s_getpc_b64 s[14:15]
.Lpost_getpc24565:
	s_add_u32 s14, s14, (.LBB2_20460-.Lpost_getpc24565)&4294967295
	s_addc_u32 s15, s15, (.LBB2_20460-.Lpost_getpc24565)>>32
	s_setpc_b64 s[14:15]
.LBB2_6122:
	s_or_b64 exec, exec, s[6:7]
	s_and_saveexec_b64 s[6:7], s[4:5]
	s_cbranch_execz .LBB2_6124
.LBB2_6123:
	v_bfe_u32 v2, v9, 8, 3
	v_ffbh_u32_e32 v6, v2
	v_min_u32_e32 v6, 32, v6
	v_lshrrev_b16_e32 v4, 3, v3
	v_subrev_u32_e32 v7, 28, v6
	v_and_b32_e32 v4, 15, v4
	v_lshlrev_b32_e32 v3, v7, v3
	v_sub_u32_e32 v6, 29, v6
	v_and_b32_e32 v3, 7, v3
	v_cmp_eq_u16_e32 vcc, 0, v4
	v_cndmask_b32_e32 v2, v2, v3, vcc
	v_cndmask_b32_e32 v3, v4, v6, vcc
	v_lshlrev_b32_e32 v4, 16, v9
	v_mov_b32_e32 v6, 0x3b800000
	v_lshlrev_b32_e32 v2, 20, v2
	v_and_b32_e32 v4, 0x80000000, v4
	v_lshl_add_u32 v3, v3, 23, v6
	v_or3_b32 v2, v4, v3, v2
.LBB2_6124:
	s_or_b64 exec, exec, s[6:7]
	v_lshrrev_b32_e32 v3, 8, v5
	s_movk_i32 s4, 0x7f
	v_cmp_gt_i16_sdwa s[6:7], v3, s4 src0_sel:BYTE_0 src1_sel:DWORD
	s_mov_b64 s[4:5], 0
                                        ; implicit-def: $sgpr10
	s_and_saveexec_b64 s[8:9], s[6:7]
	s_xor_b64 s[6:7], exec, s[8:9]
	s_cbranch_execz .LBB2_6125
; %bb.41965:
	s_getpc_b64 s[14:15]
.Lpost_getpc24566:
	s_add_u32 s14, s14, (.LBB2_20461-.Lpost_getpc24566)&4294967295
	s_addc_u32 s15, s15, (.LBB2_20461-.Lpost_getpc24566)>>32
	s_setpc_b64 s[14:15]
.LBB2_6125:
	s_or_saveexec_b64 s[6:7], s[6:7]
	v_mov_b32_e32 v4, s10
	s_xor_b64 exec, exec, s[6:7]
	s_cbranch_execz .LBB2_6126
; %bb.41967:
	s_getpc_b64 s[14:15]
.Lpost_getpc24567:
	s_add_u32 s14, s14, (.LBB2_20464-.Lpost_getpc24567)&4294967295
	s_addc_u32 s15, s15, (.LBB2_20464-.Lpost_getpc24567)>>32
	s_setpc_b64 s[14:15]
.LBB2_6126:
	s_or_b64 exec, exec, s[6:7]
	s_and_saveexec_b64 s[6:7], s[4:5]
	s_cbranch_execz .LBB2_6128
.LBB2_6127:
	v_bfe_u32 v4, v5, 8, 3
	v_ffbh_u32_e32 v7, v4
	v_min_u32_e32 v7, 32, v7
	v_lshrrev_b16_e32 v6, 3, v3
	v_subrev_u32_e32 v8, 28, v7
	v_and_b32_e32 v6, 15, v6
	v_lshlrev_b32_e32 v3, v8, v3
	v_sub_u32_e32 v7, 29, v7
	v_and_b32_e32 v3, 7, v3
	v_cmp_eq_u16_e32 vcc, 0, v6
	v_cndmask_b32_e32 v3, v4, v3, vcc
	v_cndmask_b32_e32 v4, v6, v7, vcc
	v_lshlrev_b32_e32 v6, 16, v5
	v_mov_b32_e32 v7, 0x3b800000
	v_lshlrev_b32_e32 v3, 20, v3
	v_and_b32_e32 v6, 0x80000000, v6
	v_lshl_add_u32 v4, v4, 23, v7
	v_or3_b32 v4, v6, v4, v3
.LBB2_6128:
	s_or_b64 exec, exec, s[6:7]
	s_nop 0
	v_mfma_f32_16x16x4f32 a[0:3], v2, v4, a[0:3]
	s_movk_i32 s4, 0xff
	v_and_b32_sdwa v3, v9, s4 dst_sel:DWORD dst_unused:UNUSED_PAD src0_sel:WORD_1 src1_sel:DWORD
	s_movk_i32 s4, 0x7f
	v_cmp_lt_i16_e32 vcc, s4, v3
	s_mov_b64 s[4:5], 0
                                        ; implicit-def: $sgpr10
	s_and_saveexec_b64 s[6:7], vcc
	s_xor_b64 s[6:7], exec, s[6:7]
	s_cbranch_execz .LBB2_6129
; %bb.41969:
	s_getpc_b64 s[14:15]
.Lpost_getpc24568:
	s_add_u32 s14, s14, (.LBB2_20465-.Lpost_getpc24568)&4294967295
	s_addc_u32 s15, s15, (.LBB2_20465-.Lpost_getpc24568)>>32
	s_setpc_b64 s[14:15]
.LBB2_6129:
	s_or_saveexec_b64 s[6:7], s[6:7]
	v_mov_b32_e32 v2, s10
	s_xor_b64 exec, exec, s[6:7]
	s_cbranch_execz .LBB2_6130
; %bb.41971:
	s_getpc_b64 s[14:15]
.Lpost_getpc24569:
	s_add_u32 s14, s14, (.LBB2_20468-.Lpost_getpc24569)&4294967295
	s_addc_u32 s15, s15, (.LBB2_20468-.Lpost_getpc24569)>>32
	s_setpc_b64 s[14:15]
.LBB2_6130:
	s_or_b64 exec, exec, s[6:7]
	s_and_saveexec_b64 s[6:7], s[4:5]
	s_cbranch_execz .LBB2_6132
.LBB2_6131:
	v_bfe_u32 v2, v9, 16, 3
	v_ffbh_u32_e32 v6, v2
	v_min_u32_e32 v6, 32, v6
	v_lshrrev_b32_e32 v3, 19, v9
	v_subrev_u32_e32 v7, 28, v6
	v_and_b32_e32 v3, 15, v3
	v_lshlrev_b32_sdwa v7, v7, v9 dst_sel:DWORD dst_unused:UNUSED_PAD src0_sel:DWORD src1_sel:WORD_1
	v_bfe_u32 v4, v9, 19, 4
	v_sub_u32_e32 v6, 29, v6
	v_and_b32_e32 v7, 7, v7
	v_cmp_eq_u16_e32 vcc, 0, v3
	v_cndmask_b32_e32 v2, v2, v7, vcc
	v_cndmask_b32_e32 v3, v4, v6, vcc
	v_lshlrev_b32_e32 v4, 8, v9
	v_mov_b32_e32 v6, 0x3b800000
	v_lshlrev_b32_e32 v2, 20, v2
	v_and_b32_e32 v4, 0x80000000, v4
	v_lshl_add_u32 v3, v3, 23, v6
	v_or3_b32 v2, v4, v3, v2
.LBB2_6132:
	s_or_b64 exec, exec, s[6:7]
	s_movk_i32 s4, 0xff
	v_and_b32_sdwa v3, v5, s4 dst_sel:DWORD dst_unused:UNUSED_PAD src0_sel:WORD_1 src1_sel:DWORD
	s_movk_i32 s4, 0x7f
	v_cmp_lt_i16_e32 vcc, s4, v3
	s_mov_b64 s[4:5], 0
                                        ; implicit-def: $sgpr10
	s_and_saveexec_b64 s[6:7], vcc
	s_xor_b64 s[6:7], exec, s[6:7]
	s_cbranch_execz .LBB2_6133
; %bb.41973:
	s_getpc_b64 s[14:15]
.Lpost_getpc24570:
	s_add_u32 s14, s14, (.LBB2_20469-.Lpost_getpc24570)&4294967295
	s_addc_u32 s15, s15, (.LBB2_20469-.Lpost_getpc24570)>>32
	s_setpc_b64 s[14:15]
.LBB2_6133:
	s_or_saveexec_b64 s[6:7], s[6:7]
	v_mov_b32_e32 v4, s10
	s_xor_b64 exec, exec, s[6:7]
	s_cbranch_execz .LBB2_6134
; %bb.41975:
	s_getpc_b64 s[14:15]
.Lpost_getpc24571:
	s_add_u32 s14, s14, (.LBB2_20472-.Lpost_getpc24571)&4294967295
	s_addc_u32 s15, s15, (.LBB2_20472-.Lpost_getpc24571)>>32
	s_setpc_b64 s[14:15]
.LBB2_6134:
	s_or_b64 exec, exec, s[6:7]
	s_and_saveexec_b64 s[6:7], s[4:5]
	s_cbranch_execz .LBB2_6136
.LBB2_6135:
	v_bfe_u32 v3, v5, 16, 3
	v_ffbh_u32_e32 v7, v3
	v_min_u32_e32 v7, 32, v7
	v_lshrrev_b32_e32 v4, 19, v5
	v_subrev_u32_e32 v8, 28, v7
	v_and_b32_e32 v4, 15, v4
	v_lshlrev_b32_sdwa v8, v8, v5 dst_sel:DWORD dst_unused:UNUSED_PAD src0_sel:DWORD src1_sel:WORD_1
	v_bfe_u32 v6, v5, 19, 4
	v_sub_u32_e32 v7, 29, v7
	v_and_b32_e32 v8, 7, v8
	v_cmp_eq_u16_e32 vcc, 0, v4
	v_cndmask_b32_e32 v3, v3, v8, vcc
	v_cndmask_b32_e32 v4, v6, v7, vcc
	v_lshlrev_b32_e32 v6, 8, v5
	v_mov_b32_e32 v7, 0x3b800000
	v_lshlrev_b32_e32 v3, 20, v3
	v_and_b32_e32 v6, 0x80000000, v6
	v_lshl_add_u32 v4, v4, 23, v7
	v_or3_b32 v4, v6, v4, v3
.LBB2_6136:
	s_or_b64 exec, exec, s[6:7]
	s_nop 0
	v_mfma_f32_16x16x4f32 a[0:3], v2, v4, a[0:3]
	s_movk_i32 s4, 0x7f
	v_cmp_gt_i16_sdwa s[6:7], v9, s4 src0_sel:BYTE_3 src1_sel:DWORD
	s_mov_b64 s[4:5], 0
                                        ; implicit-def: $sgpr10
	s_and_saveexec_b64 s[8:9], s[6:7]
	s_xor_b64 s[6:7], exec, s[8:9]
	s_cbranch_execz .LBB2_6137
; %bb.41977:
	s_getpc_b64 s[14:15]
.Lpost_getpc24572:
	s_add_u32 s14, s14, (.LBB2_20473-.Lpost_getpc24572)&4294967295
	s_addc_u32 s15, s15, (.LBB2_20473-.Lpost_getpc24572)>>32
	s_setpc_b64 s[14:15]
.LBB2_6137:
	s_or_saveexec_b64 s[6:7], s[6:7]
	v_mov_b32_e32 v2, s10
	s_xor_b64 exec, exec, s[6:7]
	s_cbranch_execz .LBB2_6138
; %bb.41979:
	s_getpc_b64 s[14:15]
.Lpost_getpc24573:
	s_add_u32 s14, s14, (.LBB2_20476-.Lpost_getpc24573)&4294967295
	s_addc_u32 s15, s15, (.LBB2_20476-.Lpost_getpc24573)>>32
	s_setpc_b64 s[14:15]
.LBB2_6138:
	s_or_b64 exec, exec, s[6:7]
	s_and_saveexec_b64 s[6:7], s[4:5]
	s_cbranch_execz .LBB2_6140
.LBB2_6139:
	v_bfe_u32 v2, v9, 24, 3
	v_ffbh_u32_e32 v7, v2
	v_min_u32_e32 v7, 32, v7
	v_lshrrev_b32_e32 v4, 27, v9
	v_subrev_u32_e32 v8, 28, v7
	v_and_b32_e32 v4, 15, v4
	v_lshlrev_b32_sdwa v8, v8, v9 dst_sel:DWORD dst_unused:UNUSED_PAD src0_sel:DWORD src1_sel:BYTE_3
	v_bfe_u32 v6, v9, 27, 4
	v_sub_u32_e32 v7, 29, v7
	v_and_b32_e32 v8, 7, v8
	v_cmp_eq_u16_e32 vcc, 0, v4
	v_cndmask_b32_e32 v2, v2, v8, vcc
	v_cndmask_b32_e32 v4, v6, v7, vcc
	v_mov_b32_e32 v6, 0x3b800000
	v_and_b32_e32 v3, 0x80000000, v9
	v_lshlrev_b32_e32 v2, 20, v2
	v_lshl_add_u32 v4, v4, 23, v6
	v_or3_b32 v2, v3, v4, v2
.LBB2_6140:
	s_or_b64 exec, exec, s[6:7]
	s_movk_i32 s4, 0x7f
	v_cmp_gt_i16_sdwa s[6:7], v5, s4 src0_sel:BYTE_3 src1_sel:DWORD
	s_mov_b64 s[4:5], 0
                                        ; implicit-def: $sgpr10
	s_and_saveexec_b64 s[8:9], s[6:7]
	s_xor_b64 s[6:7], exec, s[8:9]
	s_cbranch_execz .LBB2_6141
; %bb.41981:
	s_getpc_b64 s[14:15]
.Lpost_getpc24574:
	s_add_u32 s14, s14, (.LBB2_20477-.Lpost_getpc24574)&4294967295
	s_addc_u32 s15, s15, (.LBB2_20477-.Lpost_getpc24574)>>32
	s_setpc_b64 s[14:15]
.LBB2_6141:
	s_or_saveexec_b64 s[6:7], s[6:7]
	v_mov_b32_e32 v3, s10
	s_xor_b64 exec, exec, s[6:7]
	s_cbranch_execz .LBB2_6142
; %bb.41983:
	s_getpc_b64 s[14:15]
.Lpost_getpc24575:
	s_add_u32 s14, s14, (.LBB2_20480-.Lpost_getpc24575)&4294967295
	s_addc_u32 s15, s15, (.LBB2_20480-.Lpost_getpc24575)>>32
	s_setpc_b64 s[14:15]
.LBB2_6142:
	s_or_b64 exec, exec, s[6:7]
	s_and_saveexec_b64 s[6:7], s[4:5]
	s_cbranch_execz .LBB2_6144
.LBB2_6143:
	v_bfe_u32 v3, v5, 24, 3
	v_ffbh_u32_e32 v8, v3
	v_min_u32_e32 v8, 32, v8
	v_lshrrev_b32_e32 v6, 27, v5
	v_subrev_u32_e32 v9, 28, v8
	v_and_b32_e32 v4, 0x80000000, v5
	v_and_b32_e32 v6, 15, v6
	v_bfe_u32 v7, v5, 27, 4
	v_lshlrev_b32_sdwa v5, v9, v5 dst_sel:DWORD dst_unused:UNUSED_PAD src0_sel:DWORD src1_sel:BYTE_3
	v_sub_u32_e32 v8, 29, v8
	v_and_b32_e32 v5, 7, v5
	v_cmp_eq_u16_e32 vcc, 0, v6
	v_cndmask_b32_e32 v3, v3, v5, vcc
	v_cndmask_b32_e32 v5, v7, v8, vcc
	v_mov_b32_e32 v6, 0x3b800000
	v_lshlrev_b32_e32 v3, 20, v3
	v_lshl_add_u32 v5, v5, 23, v6
	v_or3_b32 v3, v4, v5, v3
.LBB2_6144:
	s_or_b64 exec, exec, s[6:7]
	s_nop 0
	v_mfma_f32_16x16x4f32 a[0:3], v2, v3, a[0:3]
	s_movk_i32 s4, 0x7f
                                        ; implicit-def: $sgpr10
	s_nop 7
	s_nop 1
	flat_store_dwordx4 v[10:11], a[0:3] offset:752
	flat_load_dwordx4 v[12:15], v[0:1]
	s_nop 0
	flat_load_dwordx2 v[10:11], v[0:1] offset:16
	s_waitcnt vmcnt(0) lgkmcnt(0)
	flat_load_dwordx4 v[6:9], v[12:13] offset:96
	flat_load_dwordx4 v[2:5], v[14:15]
	s_waitcnt vmcnt(0) lgkmcnt(0)
	v_cmp_gt_i16_sdwa s[6:7], v6, s4 src0_sel:BYTE_0 src1_sel:DWORD
	s_mov_b64 s[4:5], 0
	s_and_saveexec_b64 s[8:9], s[6:7]
	s_xor_b64 s[6:7], exec, s[8:9]
	s_cbranch_execz .LBB2_6145
; %bb.41985:
	s_getpc_b64 s[14:15]
.Lpost_getpc24576:
	s_add_u32 s14, s14, (.LBB2_20481-.Lpost_getpc24576)&4294967295
	s_addc_u32 s15, s15, (.LBB2_20481-.Lpost_getpc24576)>>32
	s_setpc_b64 s[14:15]
.LBB2_6145:
	s_or_saveexec_b64 s[6:7], s[6:7]
	v_mov_b32_e32 v12, s10
	s_xor_b64 exec, exec, s[6:7]
	s_cbranch_execz .LBB2_6146
; %bb.41987:
	s_getpc_b64 s[14:15]
.Lpost_getpc24577:
	s_add_u32 s14, s14, (.LBB2_20484-.Lpost_getpc24577)&4294967295
	s_addc_u32 s15, s15, (.LBB2_20484-.Lpost_getpc24577)>>32
	s_setpc_b64 s[14:15]
.LBB2_6146:
	s_or_b64 exec, exec, s[6:7]
	s_and_saveexec_b64 s[6:7], s[4:5]
	s_cbranch_execz .LBB2_6148
.LBB2_6147:
	v_and_b32_e32 v12, 7, v6
	v_ffbh_u32_e32 v14, v12
	v_min_u32_e32 v14, 32, v14
	v_lshrrev_b16_e32 v13, 3, v6
	v_subrev_u32_e32 v15, 28, v14
	v_and_b32_e32 v13, 15, v13
	v_lshlrev_b32_e32 v15, v15, v6
	v_sub_u32_e32 v14, 29, v14
	v_and_b32_e32 v15, 7, v15
	v_cmp_eq_u16_e32 vcc, 0, v13
	v_cndmask_b32_e32 v12, v12, v15, vcc
	v_cndmask_b32_e32 v13, v13, v14, vcc
	v_lshlrev_b32_e32 v14, 24, v6
	v_mov_b32_e32 v15, 0x3b800000
	v_lshlrev_b32_e32 v12, 20, v12
	v_and_b32_e32 v14, 0x80000000, v14
	v_lshl_add_u32 v13, v13, 23, v15
	v_or3_b32 v12, v14, v13, v12
.LBB2_6148:
	s_or_b64 exec, exec, s[6:7]
	s_movk_i32 s4, 0x7f
	v_cmp_gt_i16_sdwa s[6:7], v2, s4 src0_sel:BYTE_0 src1_sel:DWORD
	s_mov_b64 s[4:5], 0
                                        ; implicit-def: $sgpr10
	s_and_saveexec_b64 s[8:9], s[6:7]
	s_xor_b64 s[6:7], exec, s[8:9]
	s_cbranch_execz .LBB2_6149
; %bb.41989:
	s_getpc_b64 s[14:15]
.Lpost_getpc24578:
	s_add_u32 s14, s14, (.LBB2_20485-.Lpost_getpc24578)&4294967295
	s_addc_u32 s15, s15, (.LBB2_20485-.Lpost_getpc24578)>>32
	s_setpc_b64 s[14:15]
.LBB2_6149:
	s_or_saveexec_b64 s[6:7], s[6:7]
	v_mov_b32_e32 v13, s10
	s_xor_b64 exec, exec, s[6:7]
	s_cbranch_execz .LBB2_6150
; %bb.41991:
	s_getpc_b64 s[14:15]
.Lpost_getpc24579:
	s_add_u32 s14, s14, (.LBB2_20488-.Lpost_getpc24579)&4294967295
	s_addc_u32 s15, s15, (.LBB2_20488-.Lpost_getpc24579)>>32
	s_setpc_b64 s[14:15]
.LBB2_6150:
	s_or_b64 exec, exec, s[6:7]
	s_and_saveexec_b64 s[6:7], s[4:5]
	s_cbranch_execz .LBB2_6152
.LBB2_6151:
	v_and_b32_e32 v13, 7, v2
	v_ffbh_u32_e32 v15, v13
	v_min_u32_e32 v15, 32, v15
	v_lshrrev_b16_e32 v14, 3, v2
	v_subrev_u32_e32 v16, 28, v15
	v_and_b32_e32 v14, 15, v14
	v_lshlrev_b32_e32 v16, v16, v2
	v_sub_u32_e32 v15, 29, v15
	v_and_b32_e32 v16, 7, v16
	v_cmp_eq_u16_e32 vcc, 0, v14
	v_cndmask_b32_e32 v13, v13, v16, vcc
	v_cndmask_b32_e32 v14, v14, v15, vcc
	v_lshlrev_b32_e32 v15, 24, v2
	v_mov_b32_e32 v16, 0x3b800000
	v_lshlrev_b32_e32 v13, 20, v13
	v_and_b32_e32 v15, 0x80000000, v15
	v_lshl_add_u32 v14, v14, 23, v16
	v_or3_b32 v13, v15, v14, v13
.LBB2_6152:
	s_or_b64 exec, exec, s[6:7]
	flat_load_dwordx4 a[0:3], v[10:11] offset:768
	s_movk_i32 s4, 0x7f
                                        ; implicit-def: $sgpr10
	s_waitcnt vmcnt(0) lgkmcnt(0)
	v_mfma_f32_16x16x4f32 a[0:3], v12, v13, a[0:3]
	v_lshrrev_b32_e32 v13, 8, v6
	v_cmp_gt_i16_sdwa s[6:7], v13, s4 src0_sel:BYTE_0 src1_sel:DWORD
	s_mov_b64 s[4:5], 0
	s_and_saveexec_b64 s[8:9], s[6:7]
	s_xor_b64 s[6:7], exec, s[8:9]
	s_cbranch_execz .LBB2_6153
; %bb.41993:
	s_getpc_b64 s[14:15]
.Lpost_getpc24580:
	s_add_u32 s14, s14, (.LBB2_20489-.Lpost_getpc24580)&4294967295
	s_addc_u32 s15, s15, (.LBB2_20489-.Lpost_getpc24580)>>32
	s_setpc_b64 s[14:15]
.LBB2_6153:
	s_or_saveexec_b64 s[6:7], s[6:7]
	v_mov_b32_e32 v12, s10
	s_xor_b64 exec, exec, s[6:7]
	s_cbranch_execz .LBB2_6154
; %bb.41995:
	s_getpc_b64 s[14:15]
.Lpost_getpc24581:
	s_add_u32 s14, s14, (.LBB2_20492-.Lpost_getpc24581)&4294967295
	s_addc_u32 s15, s15, (.LBB2_20492-.Lpost_getpc24581)>>32
	s_setpc_b64 s[14:15]
.LBB2_6154:
	s_or_b64 exec, exec, s[6:7]
	s_and_saveexec_b64 s[6:7], s[4:5]
	s_cbranch_execz .LBB2_6156
.LBB2_6155:
	v_bfe_u32 v12, v6, 8, 3
	v_ffbh_u32_e32 v15, v12
	v_min_u32_e32 v15, 32, v15
	v_lshrrev_b16_e32 v14, 3, v13
	v_subrev_u32_e32 v16, 28, v15
	v_and_b32_e32 v14, 15, v14
	v_lshlrev_b32_e32 v13, v16, v13
	v_sub_u32_e32 v15, 29, v15
	v_and_b32_e32 v13, 7, v13
	v_cmp_eq_u16_e32 vcc, 0, v14
	v_cndmask_b32_e32 v12, v12, v13, vcc
	v_cndmask_b32_e32 v13, v14, v15, vcc
	v_lshlrev_b32_e32 v14, 16, v6
	v_mov_b32_e32 v15, 0x3b800000
	v_lshlrev_b32_e32 v12, 20, v12
	v_and_b32_e32 v14, 0x80000000, v14
	v_lshl_add_u32 v13, v13, 23, v15
	v_or3_b32 v12, v14, v13, v12
.LBB2_6156:
	s_or_b64 exec, exec, s[6:7]
	v_lshrrev_b32_e32 v13, 8, v2
	s_movk_i32 s4, 0x7f
	v_cmp_gt_i16_sdwa s[6:7], v13, s4 src0_sel:BYTE_0 src1_sel:DWORD
	s_mov_b64 s[4:5], 0
                                        ; implicit-def: $sgpr10
	s_and_saveexec_b64 s[8:9], s[6:7]
	s_xor_b64 s[6:7], exec, s[8:9]
	s_cbranch_execz .LBB2_6157
; %bb.41997:
	s_getpc_b64 s[14:15]
.Lpost_getpc24582:
	s_add_u32 s14, s14, (.LBB2_20493-.Lpost_getpc24582)&4294967295
	s_addc_u32 s15, s15, (.LBB2_20493-.Lpost_getpc24582)>>32
	s_setpc_b64 s[14:15]
.LBB2_6157:
	s_or_saveexec_b64 s[6:7], s[6:7]
	v_mov_b32_e32 v14, s10
	s_xor_b64 exec, exec, s[6:7]
	s_cbranch_execz .LBB2_6158
; %bb.41999:
	s_getpc_b64 s[14:15]
.Lpost_getpc24583:
	s_add_u32 s14, s14, (.LBB2_20496-.Lpost_getpc24583)&4294967295
	s_addc_u32 s15, s15, (.LBB2_20496-.Lpost_getpc24583)>>32
	s_setpc_b64 s[14:15]
.LBB2_6158:
	s_or_b64 exec, exec, s[6:7]
	s_and_saveexec_b64 s[6:7], s[4:5]
	s_cbranch_execz .LBB2_6160
.LBB2_6159:
	v_bfe_u32 v14, v2, 8, 3
	v_ffbh_u32_e32 v16, v14
	v_min_u32_e32 v16, 32, v16
	v_lshrrev_b16_e32 v15, 3, v13
	v_subrev_u32_e32 v17, 28, v16
	v_and_b32_e32 v15, 15, v15
	v_lshlrev_b32_e32 v13, v17, v13
	v_sub_u32_e32 v16, 29, v16
	v_and_b32_e32 v13, 7, v13
	v_cmp_eq_u16_e32 vcc, 0, v15
	v_cndmask_b32_e32 v13, v14, v13, vcc
	v_cndmask_b32_e32 v14, v15, v16, vcc
	v_lshlrev_b32_e32 v15, 16, v2
	v_mov_b32_e32 v16, 0x3b800000
	v_lshlrev_b32_e32 v13, 20, v13
	v_and_b32_e32 v15, 0x80000000, v15
	v_lshl_add_u32 v14, v14, 23, v16
	v_or3_b32 v14, v15, v14, v13
.LBB2_6160:
	s_or_b64 exec, exec, s[6:7]
	s_nop 0
	v_mfma_f32_16x16x4f32 a[0:3], v12, v14, a[0:3]
	s_movk_i32 s4, 0xff
	v_and_b32_sdwa v13, v6, s4 dst_sel:DWORD dst_unused:UNUSED_PAD src0_sel:WORD_1 src1_sel:DWORD
	s_movk_i32 s4, 0x7f
	v_cmp_lt_i16_e32 vcc, s4, v13
	s_mov_b64 s[4:5], 0
                                        ; implicit-def: $sgpr10
	s_and_saveexec_b64 s[6:7], vcc
	s_xor_b64 s[6:7], exec, s[6:7]
	s_cbranch_execz .LBB2_6161
; %bb.42001:
	s_getpc_b64 s[14:15]
.Lpost_getpc24584:
	s_add_u32 s14, s14, (.LBB2_20497-.Lpost_getpc24584)&4294967295
	s_addc_u32 s15, s15, (.LBB2_20497-.Lpost_getpc24584)>>32
	s_setpc_b64 s[14:15]
.LBB2_6161:
	s_or_saveexec_b64 s[6:7], s[6:7]
	v_mov_b32_e32 v12, s10
	s_xor_b64 exec, exec, s[6:7]
	s_cbranch_execz .LBB2_6162
; %bb.42003:
	s_getpc_b64 s[14:15]
.Lpost_getpc24585:
	s_add_u32 s14, s14, (.LBB2_20500-.Lpost_getpc24585)&4294967295
	s_addc_u32 s15, s15, (.LBB2_20500-.Lpost_getpc24585)>>32
	s_setpc_b64 s[14:15]
.LBB2_6162:
	s_or_b64 exec, exec, s[6:7]
	s_and_saveexec_b64 s[6:7], s[4:5]
	s_cbranch_execz .LBB2_6164
.LBB2_6163:
	v_bfe_u32 v12, v6, 16, 3
	v_ffbh_u32_e32 v15, v12
	v_min_u32_e32 v15, 32, v15
	v_lshrrev_b32_e32 v13, 19, v6
	v_subrev_u32_e32 v16, 28, v15
	v_and_b32_e32 v13, 15, v13
	v_lshlrev_b32_sdwa v16, v16, v6 dst_sel:DWORD dst_unused:UNUSED_PAD src0_sel:DWORD src1_sel:WORD_1
	v_bfe_u32 v14, v6, 19, 4
	v_sub_u32_e32 v15, 29, v15
	v_and_b32_e32 v16, 7, v16
	v_cmp_eq_u16_e32 vcc, 0, v13
	v_cndmask_b32_e32 v12, v12, v16, vcc
	v_cndmask_b32_e32 v13, v14, v15, vcc
	v_lshlrev_b32_e32 v14, 8, v6
	v_mov_b32_e32 v15, 0x3b800000
	v_lshlrev_b32_e32 v12, 20, v12
	v_and_b32_e32 v14, 0x80000000, v14
	v_lshl_add_u32 v13, v13, 23, v15
	v_or3_b32 v12, v14, v13, v12
.LBB2_6164:
	s_or_b64 exec, exec, s[6:7]
	s_movk_i32 s4, 0xff
	v_and_b32_sdwa v13, v2, s4 dst_sel:DWORD dst_unused:UNUSED_PAD src0_sel:WORD_1 src1_sel:DWORD
	s_movk_i32 s4, 0x7f
	v_cmp_lt_i16_e32 vcc, s4, v13
	s_mov_b64 s[4:5], 0
                                        ; implicit-def: $sgpr10
	s_and_saveexec_b64 s[6:7], vcc
	s_xor_b64 s[6:7], exec, s[6:7]
	s_cbranch_execz .LBB2_6165
; %bb.42005:
	s_getpc_b64 s[14:15]
.Lpost_getpc24586:
	s_add_u32 s14, s14, (.LBB2_20501-.Lpost_getpc24586)&4294967295
	s_addc_u32 s15, s15, (.LBB2_20501-.Lpost_getpc24586)>>32
	s_setpc_b64 s[14:15]
.LBB2_6165:
	s_or_saveexec_b64 s[6:7], s[6:7]
	v_mov_b32_e32 v14, s10
	s_xor_b64 exec, exec, s[6:7]
	s_cbranch_execz .LBB2_6166
; %bb.42007:
	s_getpc_b64 s[14:15]
.Lpost_getpc24587:
	s_add_u32 s14, s14, (.LBB2_20504-.Lpost_getpc24587)&4294967295
	s_addc_u32 s15, s15, (.LBB2_20504-.Lpost_getpc24587)>>32
	s_setpc_b64 s[14:15]
.LBB2_6166:
	s_or_b64 exec, exec, s[6:7]
	s_and_saveexec_b64 s[6:7], s[4:5]
	s_cbranch_execz .LBB2_6168
.LBB2_6167:
	v_bfe_u32 v13, v2, 16, 3
	v_ffbh_u32_e32 v16, v13
	v_min_u32_e32 v16, 32, v16
	v_lshrrev_b32_e32 v14, 19, v2
	v_subrev_u32_e32 v17, 28, v16
	v_and_b32_e32 v14, 15, v14
	v_lshlrev_b32_sdwa v17, v17, v2 dst_sel:DWORD dst_unused:UNUSED_PAD src0_sel:DWORD src1_sel:WORD_1
	v_bfe_u32 v15, v2, 19, 4
	v_sub_u32_e32 v16, 29, v16
	v_and_b32_e32 v17, 7, v17
	v_cmp_eq_u16_e32 vcc, 0, v14
	v_cndmask_b32_e32 v13, v13, v17, vcc
	v_cndmask_b32_e32 v14, v15, v16, vcc
	v_lshlrev_b32_e32 v15, 8, v2
	v_mov_b32_e32 v16, 0x3b800000
	v_lshlrev_b32_e32 v13, 20, v13
	v_and_b32_e32 v15, 0x80000000, v15
	v_lshl_add_u32 v14, v14, 23, v16
	v_or3_b32 v14, v15, v14, v13
.LBB2_6168:
	s_or_b64 exec, exec, s[6:7]
	s_nop 0
	v_mfma_f32_16x16x4f32 a[0:3], v12, v14, a[0:3]
	s_movk_i32 s4, 0x7f
	v_cmp_gt_i16_sdwa s[6:7], v6, s4 src0_sel:BYTE_3 src1_sel:DWORD
	s_mov_b64 s[4:5], 0
                                        ; implicit-def: $sgpr10
	s_and_saveexec_b64 s[8:9], s[6:7]
	s_xor_b64 s[6:7], exec, s[8:9]
	s_cbranch_execz .LBB2_6169
; %bb.42009:
	s_getpc_b64 s[14:15]
.Lpost_getpc24588:
	s_add_u32 s14, s14, (.LBB2_20505-.Lpost_getpc24588)&4294967295
	s_addc_u32 s15, s15, (.LBB2_20505-.Lpost_getpc24588)>>32
	s_setpc_b64 s[14:15]
.LBB2_6169:
	s_or_saveexec_b64 s[6:7], s[6:7]
	v_mov_b32_e32 v12, s10
	s_xor_b64 exec, exec, s[6:7]
	s_cbranch_execz .LBB2_6170
; %bb.42011:
	s_getpc_b64 s[14:15]
.Lpost_getpc24589:
	s_add_u32 s14, s14, (.LBB2_20508-.Lpost_getpc24589)&4294967295
	s_addc_u32 s15, s15, (.LBB2_20508-.Lpost_getpc24589)>>32
	s_setpc_b64 s[14:15]
.LBB2_6170:
	s_or_b64 exec, exec, s[6:7]
	s_and_saveexec_b64 s[6:7], s[4:5]
	s_cbranch_execz .LBB2_6172
.LBB2_6171:
	v_bfe_u32 v12, v6, 24, 3
	v_ffbh_u32_e32 v16, v12
	v_min_u32_e32 v16, 32, v16
	v_lshrrev_b32_e32 v14, 27, v6
	v_subrev_u32_e32 v17, 28, v16
	v_and_b32_e32 v13, 0x80000000, v6
	v_and_b32_e32 v14, 15, v14
	v_bfe_u32 v15, v6, 27, 4
	v_lshlrev_b32_sdwa v6, v17, v6 dst_sel:DWORD dst_unused:UNUSED_PAD src0_sel:DWORD src1_sel:BYTE_3
	v_sub_u32_e32 v16, 29, v16
	v_and_b32_e32 v6, 7, v6
	v_cmp_eq_u16_e32 vcc, 0, v14
	v_cndmask_b32_e32 v6, v12, v6, vcc
	v_cndmask_b32_e32 v12, v15, v16, vcc
	v_mov_b32_e32 v14, 0x3b800000
	v_lshlrev_b32_e32 v6, 20, v6
	v_lshl_add_u32 v12, v12, 23, v14
	v_or3_b32 v12, v13, v12, v6
.LBB2_6172:
	s_or_b64 exec, exec, s[6:7]
	s_movk_i32 s4, 0x7f
	v_cmp_gt_i16_sdwa s[6:7], v2, s4 src0_sel:BYTE_3 src1_sel:DWORD
	s_mov_b64 s[4:5], 0
                                        ; implicit-def: $sgpr10
	s_and_saveexec_b64 s[8:9], s[6:7]
	s_xor_b64 s[6:7], exec, s[8:9]
	s_cbranch_execz .LBB2_6173
; %bb.42013:
	s_getpc_b64 s[14:15]
.Lpost_getpc24590:
	s_add_u32 s14, s14, (.LBB2_20509-.Lpost_getpc24590)&4294967295
	s_addc_u32 s15, s15, (.LBB2_20509-.Lpost_getpc24590)>>32
	s_setpc_b64 s[14:15]
.LBB2_6173:
	s_or_saveexec_b64 s[6:7], s[6:7]
	v_mov_b32_e32 v6, s10
	s_xor_b64 exec, exec, s[6:7]
	s_cbranch_execz .LBB2_6174
; %bb.42015:
	s_getpc_b64 s[14:15]
.Lpost_getpc24591:
	s_add_u32 s14, s14, (.LBB2_20512-.Lpost_getpc24591)&4294967295
	s_addc_u32 s15, s15, (.LBB2_20512-.Lpost_getpc24591)>>32
	s_setpc_b64 s[14:15]
.LBB2_6174:
	s_or_b64 exec, exec, s[6:7]
	s_and_saveexec_b64 s[6:7], s[4:5]
	s_cbranch_execz .LBB2_6176
.LBB2_6175:
	v_bfe_u32 v6, v2, 24, 3
	v_ffbh_u32_e32 v16, v6
	v_min_u32_e32 v16, 32, v16
	v_lshrrev_b32_e32 v14, 27, v2
	v_subrev_u32_e32 v17, 28, v16
	v_and_b32_e32 v13, 0x80000000, v2
	v_and_b32_e32 v14, 15, v14
	v_bfe_u32 v15, v2, 27, 4
	v_lshlrev_b32_sdwa v2, v17, v2 dst_sel:DWORD dst_unused:UNUSED_PAD src0_sel:DWORD src1_sel:BYTE_3
	v_sub_u32_e32 v16, 29, v16
	v_and_b32_e32 v2, 7, v2
	v_cmp_eq_u16_e32 vcc, 0, v14
	v_cndmask_b32_e32 v2, v6, v2, vcc
	v_cndmask_b32_e32 v6, v15, v16, vcc
	v_mov_b32_e32 v14, 0x3b800000
	v_lshlrev_b32_e32 v2, 20, v2
	v_lshl_add_u32 v6, v6, 23, v14
	v_or3_b32 v6, v13, v6, v2
.LBB2_6176:
	s_or_b64 exec, exec, s[6:7]
	s_nop 0
	v_mfma_f32_16x16x4f32 a[0:3], v12, v6, a[0:3]
	s_movk_i32 s4, 0x7f
	v_cmp_gt_i16_sdwa s[6:7], v7, s4 src0_sel:BYTE_0 src1_sel:DWORD
	s_mov_b64 s[4:5], 0
                                        ; implicit-def: $sgpr10
	s_and_saveexec_b64 s[8:9], s[6:7]
	s_xor_b64 s[6:7], exec, s[8:9]
	s_cbranch_execz .LBB2_6177
; %bb.42017:
	s_getpc_b64 s[14:15]
.Lpost_getpc24592:
	s_add_u32 s14, s14, (.LBB2_20513-.Lpost_getpc24592)&4294967295
	s_addc_u32 s15, s15, (.LBB2_20513-.Lpost_getpc24592)>>32
	s_setpc_b64 s[14:15]
.LBB2_6177:
	s_or_saveexec_b64 s[6:7], s[6:7]
	v_mov_b32_e32 v2, s10
	s_xor_b64 exec, exec, s[6:7]
	s_cbranch_execz .LBB2_6178
; %bb.42019:
	s_getpc_b64 s[14:15]
.Lpost_getpc24593:
	s_add_u32 s14, s14, (.LBB2_20516-.Lpost_getpc24593)&4294967295
	s_addc_u32 s15, s15, (.LBB2_20516-.Lpost_getpc24593)>>32
	s_setpc_b64 s[14:15]
.LBB2_6178:
	s_or_b64 exec, exec, s[6:7]
	s_and_saveexec_b64 s[6:7], s[4:5]
	s_cbranch_execz .LBB2_6180
.LBB2_6179:
	v_and_b32_e32 v2, 7, v7
	v_ffbh_u32_e32 v12, v2
	v_min_u32_e32 v12, 32, v12
	v_lshrrev_b16_e32 v6, 3, v7
	v_subrev_u32_e32 v13, 28, v12
	v_and_b32_e32 v6, 15, v6
	v_lshlrev_b32_e32 v13, v13, v7
	v_sub_u32_e32 v12, 29, v12
	v_and_b32_e32 v13, 7, v13
	v_cmp_eq_u16_e32 vcc, 0, v6
	v_cndmask_b32_e32 v2, v2, v13, vcc
	v_cndmask_b32_e32 v6, v6, v12, vcc
	v_lshlrev_b32_e32 v12, 24, v7
	v_mov_b32_e32 v13, 0x3b800000
	v_lshlrev_b32_e32 v2, 20, v2
	v_and_b32_e32 v12, 0x80000000, v12
	v_lshl_add_u32 v6, v6, 23, v13
	v_or3_b32 v2, v12, v6, v2
.LBB2_6180:
	s_or_b64 exec, exec, s[6:7]
	s_movk_i32 s4, 0x7f
	v_cmp_gt_i16_sdwa s[6:7], v3, s4 src0_sel:BYTE_0 src1_sel:DWORD
	s_mov_b64 s[4:5], 0
                                        ; implicit-def: $sgpr10
	s_and_saveexec_b64 s[8:9], s[6:7]
	s_xor_b64 s[6:7], exec, s[8:9]
	s_cbranch_execz .LBB2_6181
; %bb.42021:
	s_getpc_b64 s[14:15]
.Lpost_getpc24594:
	s_add_u32 s14, s14, (.LBB2_20517-.Lpost_getpc24594)&4294967295
	s_addc_u32 s15, s15, (.LBB2_20517-.Lpost_getpc24594)>>32
	s_setpc_b64 s[14:15]
.LBB2_6181:
	s_or_saveexec_b64 s[6:7], s[6:7]
	v_mov_b32_e32 v6, s10
	s_xor_b64 exec, exec, s[6:7]
	s_cbranch_execz .LBB2_6182
; %bb.42023:
	s_getpc_b64 s[14:15]
.Lpost_getpc24595:
	s_add_u32 s14, s14, (.LBB2_20520-.Lpost_getpc24595)&4294967295
	s_addc_u32 s15, s15, (.LBB2_20520-.Lpost_getpc24595)>>32
	s_setpc_b64 s[14:15]
.LBB2_6182:
	s_or_b64 exec, exec, s[6:7]
	s_and_saveexec_b64 s[6:7], s[4:5]
	s_cbranch_execz .LBB2_6184
.LBB2_6183:
	v_and_b32_e32 v6, 7, v3
	v_ffbh_u32_e32 v13, v6
	v_min_u32_e32 v13, 32, v13
	v_lshrrev_b16_e32 v12, 3, v3
	v_subrev_u32_e32 v14, 28, v13
	v_and_b32_e32 v12, 15, v12
	v_lshlrev_b32_e32 v14, v14, v3
	v_sub_u32_e32 v13, 29, v13
	v_and_b32_e32 v14, 7, v14
	v_cmp_eq_u16_e32 vcc, 0, v12
	v_cndmask_b32_e32 v6, v6, v14, vcc
	v_cndmask_b32_e32 v12, v12, v13, vcc
	v_lshlrev_b32_e32 v13, 24, v3
	v_mov_b32_e32 v14, 0x3b800000
	v_lshlrev_b32_e32 v6, 20, v6
	v_and_b32_e32 v13, 0x80000000, v13
	v_lshl_add_u32 v12, v12, 23, v14
	v_or3_b32 v6, v13, v12, v6
.LBB2_6184:
	s_or_b64 exec, exec, s[6:7]
	s_nop 0
	v_mfma_f32_16x16x4f32 a[0:3], v2, v6, a[0:3]
	v_lshrrev_b32_e32 v6, 8, v7
	s_movk_i32 s4, 0x7f
	v_cmp_gt_i16_sdwa s[6:7], v6, s4 src0_sel:BYTE_0 src1_sel:DWORD
	s_mov_b64 s[4:5], 0
                                        ; implicit-def: $sgpr10
	s_and_saveexec_b64 s[8:9], s[6:7]
	s_xor_b64 s[6:7], exec, s[8:9]
	s_cbranch_execz .LBB2_6185
; %bb.42025:
	s_getpc_b64 s[14:15]
.Lpost_getpc24596:
	s_add_u32 s14, s14, (.LBB2_20521-.Lpost_getpc24596)&4294967295
	s_addc_u32 s15, s15, (.LBB2_20521-.Lpost_getpc24596)>>32
	s_setpc_b64 s[14:15]
.LBB2_6185:
	s_or_saveexec_b64 s[6:7], s[6:7]
	v_mov_b32_e32 v2, s10
	s_xor_b64 exec, exec, s[6:7]
	s_cbranch_execz .LBB2_6186
; %bb.42027:
	s_getpc_b64 s[14:15]
.Lpost_getpc24597:
	s_add_u32 s14, s14, (.LBB2_20524-.Lpost_getpc24597)&4294967295
	s_addc_u32 s15, s15, (.LBB2_20524-.Lpost_getpc24597)>>32
	s_setpc_b64 s[14:15]
.LBB2_6186:
	s_or_b64 exec, exec, s[6:7]
	s_and_saveexec_b64 s[6:7], s[4:5]
	s_cbranch_execz .LBB2_6188
.LBB2_6187:
	v_bfe_u32 v2, v7, 8, 3
	v_ffbh_u32_e32 v13, v2
	v_min_u32_e32 v13, 32, v13
	v_lshrrev_b16_e32 v12, 3, v6
	v_subrev_u32_e32 v14, 28, v13
	v_and_b32_e32 v12, 15, v12
	v_lshlrev_b32_e32 v6, v14, v6
	v_sub_u32_e32 v13, 29, v13
	v_and_b32_e32 v6, 7, v6
	v_cmp_eq_u16_e32 vcc, 0, v12
	v_cndmask_b32_e32 v2, v2, v6, vcc
	v_cndmask_b32_e32 v6, v12, v13, vcc
	v_lshlrev_b32_e32 v12, 16, v7
	v_mov_b32_e32 v13, 0x3b800000
	v_lshlrev_b32_e32 v2, 20, v2
	v_and_b32_e32 v12, 0x80000000, v12
	v_lshl_add_u32 v6, v6, 23, v13
	v_or3_b32 v2, v12, v6, v2
.LBB2_6188:
	s_or_b64 exec, exec, s[6:7]
	v_lshrrev_b32_e32 v6, 8, v3
	s_movk_i32 s4, 0x7f
	v_cmp_gt_i16_sdwa s[6:7], v6, s4 src0_sel:BYTE_0 src1_sel:DWORD
	s_mov_b64 s[4:5], 0
                                        ; implicit-def: $sgpr10
	s_and_saveexec_b64 s[8:9], s[6:7]
	s_xor_b64 s[6:7], exec, s[8:9]
	s_cbranch_execz .LBB2_6189
; %bb.42029:
	s_getpc_b64 s[14:15]
.Lpost_getpc24598:
	s_add_u32 s14, s14, (.LBB2_20525-.Lpost_getpc24598)&4294967295
	s_addc_u32 s15, s15, (.LBB2_20525-.Lpost_getpc24598)>>32
	s_setpc_b64 s[14:15]
.LBB2_6189:
	s_or_saveexec_b64 s[6:7], s[6:7]
	v_mov_b32_e32 v12, s10
	s_xor_b64 exec, exec, s[6:7]
	s_cbranch_execz .LBB2_6190
; %bb.42031:
	s_getpc_b64 s[14:15]
.Lpost_getpc24599:
	s_add_u32 s14, s14, (.LBB2_20528-.Lpost_getpc24599)&4294967295
	s_addc_u32 s15, s15, (.LBB2_20528-.Lpost_getpc24599)>>32
	s_setpc_b64 s[14:15]
.LBB2_6190:
	s_or_b64 exec, exec, s[6:7]
	s_and_saveexec_b64 s[6:7], s[4:5]
	s_cbranch_execz .LBB2_6192
.LBB2_6191:
	v_bfe_u32 v12, v3, 8, 3
	v_ffbh_u32_e32 v14, v12
	v_min_u32_e32 v14, 32, v14
	v_lshrrev_b16_e32 v13, 3, v6
	v_subrev_u32_e32 v15, 28, v14
	v_and_b32_e32 v13, 15, v13
	v_lshlrev_b32_e32 v6, v15, v6
	v_sub_u32_e32 v14, 29, v14
	v_and_b32_e32 v6, 7, v6
	v_cmp_eq_u16_e32 vcc, 0, v13
	v_cndmask_b32_e32 v6, v12, v6, vcc
	v_cndmask_b32_e32 v12, v13, v14, vcc
	v_lshlrev_b32_e32 v13, 16, v3
	v_mov_b32_e32 v14, 0x3b800000
	v_lshlrev_b32_e32 v6, 20, v6
	v_and_b32_e32 v13, 0x80000000, v13
	v_lshl_add_u32 v12, v12, 23, v14
	v_or3_b32 v12, v13, v12, v6
.LBB2_6192:
	s_or_b64 exec, exec, s[6:7]
	s_nop 0
	v_mfma_f32_16x16x4f32 a[0:3], v2, v12, a[0:3]
	s_movk_i32 s4, 0xff
	v_and_b32_sdwa v6, v7, s4 dst_sel:DWORD dst_unused:UNUSED_PAD src0_sel:WORD_1 src1_sel:DWORD
	s_movk_i32 s4, 0x7f
	v_cmp_lt_i16_e32 vcc, s4, v6
	s_mov_b64 s[4:5], 0
                                        ; implicit-def: $sgpr10
	s_and_saveexec_b64 s[6:7], vcc
	s_xor_b64 s[6:7], exec, s[6:7]
	s_cbranch_execz .LBB2_6193
; %bb.42033:
	s_getpc_b64 s[14:15]
.Lpost_getpc24600:
	s_add_u32 s14, s14, (.LBB2_20529-.Lpost_getpc24600)&4294967295
	s_addc_u32 s15, s15, (.LBB2_20529-.Lpost_getpc24600)>>32
	s_setpc_b64 s[14:15]
.LBB2_6193:
	s_or_saveexec_b64 s[6:7], s[6:7]
	v_mov_b32_e32 v2, s10
	s_xor_b64 exec, exec, s[6:7]
	s_cbranch_execz .LBB2_6194
; %bb.42035:
	s_getpc_b64 s[14:15]
.Lpost_getpc24601:
	s_add_u32 s14, s14, (.LBB2_20532-.Lpost_getpc24601)&4294967295
	s_addc_u32 s15, s15, (.LBB2_20532-.Lpost_getpc24601)>>32
	s_setpc_b64 s[14:15]
.LBB2_6194:
	s_or_b64 exec, exec, s[6:7]
	s_and_saveexec_b64 s[6:7], s[4:5]
	s_cbranch_execz .LBB2_6196
.LBB2_6195:
	v_bfe_u32 v2, v7, 16, 3
	v_ffbh_u32_e32 v13, v2
	v_min_u32_e32 v13, 32, v13
	v_lshrrev_b32_e32 v6, 19, v7
	v_subrev_u32_e32 v14, 28, v13
	v_and_b32_e32 v6, 15, v6
	v_lshlrev_b32_sdwa v14, v14, v7 dst_sel:DWORD dst_unused:UNUSED_PAD src0_sel:DWORD src1_sel:WORD_1
	v_bfe_u32 v12, v7, 19, 4
	v_sub_u32_e32 v13, 29, v13
	v_and_b32_e32 v14, 7, v14
	v_cmp_eq_u16_e32 vcc, 0, v6
	v_cndmask_b32_e32 v2, v2, v14, vcc
	v_cndmask_b32_e32 v6, v12, v13, vcc
	v_lshlrev_b32_e32 v12, 8, v7
	v_mov_b32_e32 v13, 0x3b800000
	v_lshlrev_b32_e32 v2, 20, v2
	v_and_b32_e32 v12, 0x80000000, v12
	v_lshl_add_u32 v6, v6, 23, v13
	v_or3_b32 v2, v12, v6, v2
.LBB2_6196:
	s_or_b64 exec, exec, s[6:7]
	s_movk_i32 s4, 0xff
	v_and_b32_sdwa v6, v3, s4 dst_sel:DWORD dst_unused:UNUSED_PAD src0_sel:WORD_1 src1_sel:DWORD
	s_movk_i32 s4, 0x7f
	v_cmp_lt_i16_e32 vcc, s4, v6
	s_mov_b64 s[4:5], 0
                                        ; implicit-def: $sgpr10
	s_and_saveexec_b64 s[6:7], vcc
	s_xor_b64 s[6:7], exec, s[6:7]
	s_cbranch_execz .LBB2_6197
; %bb.42037:
	s_getpc_b64 s[14:15]
.Lpost_getpc24602:
	s_add_u32 s14, s14, (.LBB2_20533-.Lpost_getpc24602)&4294967295
	s_addc_u32 s15, s15, (.LBB2_20533-.Lpost_getpc24602)>>32
	s_setpc_b64 s[14:15]
.LBB2_6197:
	s_or_saveexec_b64 s[6:7], s[6:7]
	v_mov_b32_e32 v12, s10
	s_xor_b64 exec, exec, s[6:7]
	s_cbranch_execz .LBB2_6198
; %bb.42039:
	s_getpc_b64 s[14:15]
.Lpost_getpc24603:
	s_add_u32 s14, s14, (.LBB2_20536-.Lpost_getpc24603)&4294967295
	s_addc_u32 s15, s15, (.LBB2_20536-.Lpost_getpc24603)>>32
	s_setpc_b64 s[14:15]
.LBB2_6198:
	s_or_b64 exec, exec, s[6:7]
	s_and_saveexec_b64 s[6:7], s[4:5]
	s_cbranch_execz .LBB2_6200
.LBB2_6199:
	v_bfe_u32 v6, v3, 16, 3
	v_ffbh_u32_e32 v14, v6
	v_min_u32_e32 v14, 32, v14
	v_lshrrev_b32_e32 v12, 19, v3
	v_subrev_u32_e32 v15, 28, v14
	v_and_b32_e32 v12, 15, v12
	v_lshlrev_b32_sdwa v15, v15, v3 dst_sel:DWORD dst_unused:UNUSED_PAD src0_sel:DWORD src1_sel:WORD_1
	v_bfe_u32 v13, v3, 19, 4
	v_sub_u32_e32 v14, 29, v14
	v_and_b32_e32 v15, 7, v15
	v_cmp_eq_u16_e32 vcc, 0, v12
	v_cndmask_b32_e32 v6, v6, v15, vcc
	v_cndmask_b32_e32 v12, v13, v14, vcc
	v_lshlrev_b32_e32 v13, 8, v3
	v_mov_b32_e32 v14, 0x3b800000
	v_lshlrev_b32_e32 v6, 20, v6
	v_and_b32_e32 v13, 0x80000000, v13
	v_lshl_add_u32 v12, v12, 23, v14
	v_or3_b32 v12, v13, v12, v6
.LBB2_6200:
	s_or_b64 exec, exec, s[6:7]
	s_nop 0
	v_mfma_f32_16x16x4f32 a[0:3], v2, v12, a[0:3]
	s_movk_i32 s4, 0x7f
	v_cmp_gt_i16_sdwa s[6:7], v7, s4 src0_sel:BYTE_3 src1_sel:DWORD
	s_mov_b64 s[4:5], 0
                                        ; implicit-def: $sgpr10
	s_and_saveexec_b64 s[8:9], s[6:7]
	s_xor_b64 s[6:7], exec, s[8:9]
	s_cbranch_execz .LBB2_6201
; %bb.42041:
	s_getpc_b64 s[14:15]
.Lpost_getpc24604:
	s_add_u32 s14, s14, (.LBB2_20537-.Lpost_getpc24604)&4294967295
	s_addc_u32 s15, s15, (.LBB2_20537-.Lpost_getpc24604)>>32
	s_setpc_b64 s[14:15]
.LBB2_6201:
	s_or_saveexec_b64 s[6:7], s[6:7]
	v_mov_b32_e32 v2, s10
	s_xor_b64 exec, exec, s[6:7]
	s_cbranch_execz .LBB2_6202
; %bb.42043:
	s_getpc_b64 s[14:15]
.Lpost_getpc24605:
	s_add_u32 s14, s14, (.LBB2_20540-.Lpost_getpc24605)&4294967295
	s_addc_u32 s15, s15, (.LBB2_20540-.Lpost_getpc24605)>>32
	s_setpc_b64 s[14:15]
.LBB2_6202:
	s_or_b64 exec, exec, s[6:7]
	s_and_saveexec_b64 s[6:7], s[4:5]
	s_cbranch_execz .LBB2_6204
.LBB2_6203:
	v_bfe_u32 v2, v7, 24, 3
	v_ffbh_u32_e32 v14, v2
	v_min_u32_e32 v14, 32, v14
	v_lshrrev_b32_e32 v12, 27, v7
	v_subrev_u32_e32 v15, 28, v14
	v_and_b32_e32 v6, 0x80000000, v7
	v_and_b32_e32 v12, 15, v12
	v_bfe_u32 v13, v7, 27, 4
	v_lshlrev_b32_sdwa v7, v15, v7 dst_sel:DWORD dst_unused:UNUSED_PAD src0_sel:DWORD src1_sel:BYTE_3
	v_sub_u32_e32 v14, 29, v14
	v_and_b32_e32 v7, 7, v7
	v_cmp_eq_u16_e32 vcc, 0, v12
	v_cndmask_b32_e32 v2, v2, v7, vcc
	v_cndmask_b32_e32 v7, v13, v14, vcc
	v_mov_b32_e32 v12, 0x3b800000
	v_lshlrev_b32_e32 v2, 20, v2
	v_lshl_add_u32 v7, v7, 23, v12
	v_or3_b32 v2, v6, v7, v2
.LBB2_6204:
	s_or_b64 exec, exec, s[6:7]
	s_movk_i32 s4, 0x7f
	v_cmp_gt_i16_sdwa s[6:7], v3, s4 src0_sel:BYTE_3 src1_sel:DWORD
	s_mov_b64 s[4:5], 0
                                        ; implicit-def: $sgpr10
	s_and_saveexec_b64 s[8:9], s[6:7]
	s_xor_b64 s[6:7], exec, s[8:9]
	s_cbranch_execz .LBB2_6205
; %bb.42045:
	s_getpc_b64 s[14:15]
.Lpost_getpc24606:
	s_add_u32 s14, s14, (.LBB2_20541-.Lpost_getpc24606)&4294967295
	s_addc_u32 s15, s15, (.LBB2_20541-.Lpost_getpc24606)>>32
	s_setpc_b64 s[14:15]
.LBB2_6205:
	s_or_saveexec_b64 s[6:7], s[6:7]
	v_mov_b32_e32 v6, s10
	s_xor_b64 exec, exec, s[6:7]
	s_cbranch_execz .LBB2_6206
; %bb.42047:
	s_getpc_b64 s[14:15]
.Lpost_getpc24607:
	s_add_u32 s14, s14, (.LBB2_20544-.Lpost_getpc24607)&4294967295
	s_addc_u32 s15, s15, (.LBB2_20544-.Lpost_getpc24607)>>32
	s_setpc_b64 s[14:15]
.LBB2_6206:
	s_or_b64 exec, exec, s[6:7]
	s_and_saveexec_b64 s[6:7], s[4:5]
	s_cbranch_execz .LBB2_6208
.LBB2_6207:
	v_bfe_u32 v6, v3, 24, 3
	v_ffbh_u32_e32 v14, v6
	v_min_u32_e32 v14, 32, v14
	v_lshrrev_b32_e32 v12, 27, v3
	v_subrev_u32_e32 v15, 28, v14
	v_and_b32_e32 v7, 0x80000000, v3
	v_and_b32_e32 v12, 15, v12
	v_bfe_u32 v13, v3, 27, 4
	v_lshlrev_b32_sdwa v3, v15, v3 dst_sel:DWORD dst_unused:UNUSED_PAD src0_sel:DWORD src1_sel:BYTE_3
	v_sub_u32_e32 v14, 29, v14
	v_and_b32_e32 v3, 7, v3
	v_cmp_eq_u16_e32 vcc, 0, v12
	v_cndmask_b32_e32 v3, v6, v3, vcc
	v_cndmask_b32_e32 v6, v13, v14, vcc
	v_mov_b32_e32 v12, 0x3b800000
	v_lshlrev_b32_e32 v3, 20, v3
	v_lshl_add_u32 v6, v6, 23, v12
	v_or3_b32 v6, v7, v6, v3
.LBB2_6208:
	s_or_b64 exec, exec, s[6:7]
	s_nop 0
	v_mfma_f32_16x16x4f32 a[0:3], v2, v6, a[0:3]
	s_movk_i32 s4, 0x7f
	v_cmp_gt_i16_sdwa s[6:7], v8, s4 src0_sel:BYTE_0 src1_sel:DWORD
	s_mov_b64 s[4:5], 0
                                        ; implicit-def: $sgpr10
	s_and_saveexec_b64 s[8:9], s[6:7]
	s_xor_b64 s[6:7], exec, s[8:9]
	s_cbranch_execz .LBB2_6209
; %bb.42049:
	s_getpc_b64 s[14:15]
.Lpost_getpc24608:
	s_add_u32 s14, s14, (.LBB2_20545-.Lpost_getpc24608)&4294967295
	s_addc_u32 s15, s15, (.LBB2_20545-.Lpost_getpc24608)>>32
	s_setpc_b64 s[14:15]
.LBB2_6209:
	s_or_saveexec_b64 s[6:7], s[6:7]
	v_mov_b32_e32 v2, s10
	s_xor_b64 exec, exec, s[6:7]
	s_cbranch_execz .LBB2_6210
; %bb.42051:
	s_getpc_b64 s[14:15]
.Lpost_getpc24609:
	s_add_u32 s14, s14, (.LBB2_20548-.Lpost_getpc24609)&4294967295
	s_addc_u32 s15, s15, (.LBB2_20548-.Lpost_getpc24609)>>32
	s_setpc_b64 s[14:15]
.LBB2_6210:
	s_or_b64 exec, exec, s[6:7]
	s_and_saveexec_b64 s[6:7], s[4:5]
	s_cbranch_execz .LBB2_6212
.LBB2_6211:
	v_and_b32_e32 v2, 7, v8
	v_ffbh_u32_e32 v6, v2
	v_min_u32_e32 v6, 32, v6
	v_lshrrev_b16_e32 v3, 3, v8
	v_subrev_u32_e32 v7, 28, v6
	v_and_b32_e32 v3, 15, v3
	v_lshlrev_b32_e32 v7, v7, v8
	v_sub_u32_e32 v6, 29, v6
	v_and_b32_e32 v7, 7, v7
	v_cmp_eq_u16_e32 vcc, 0, v3
	v_cndmask_b32_e32 v2, v2, v7, vcc
	v_cndmask_b32_e32 v3, v3, v6, vcc
	v_lshlrev_b32_e32 v6, 24, v8
	v_mov_b32_e32 v7, 0x3b800000
	v_lshlrev_b32_e32 v2, 20, v2
	v_and_b32_e32 v6, 0x80000000, v6
	v_lshl_add_u32 v3, v3, 23, v7
	v_or3_b32 v2, v6, v3, v2
.LBB2_6212:
	s_or_b64 exec, exec, s[6:7]
	s_movk_i32 s4, 0x7f
	v_cmp_gt_i16_sdwa s[6:7], v4, s4 src0_sel:BYTE_0 src1_sel:DWORD
	s_mov_b64 s[4:5], 0
                                        ; implicit-def: $sgpr10
	s_and_saveexec_b64 s[8:9], s[6:7]
	s_xor_b64 s[6:7], exec, s[8:9]
	s_cbranch_execz .LBB2_6213
; %bb.42053:
	s_getpc_b64 s[14:15]
.Lpost_getpc24610:
	s_add_u32 s14, s14, (.LBB2_20549-.Lpost_getpc24610)&4294967295
	s_addc_u32 s15, s15, (.LBB2_20549-.Lpost_getpc24610)>>32
	s_setpc_b64 s[14:15]
.LBB2_6213:
	s_or_saveexec_b64 s[6:7], s[6:7]
	v_mov_b32_e32 v3, s10
	s_xor_b64 exec, exec, s[6:7]
	s_cbranch_execz .LBB2_6214
; %bb.42055:
	s_getpc_b64 s[14:15]
.Lpost_getpc24611:
	s_add_u32 s14, s14, (.LBB2_20552-.Lpost_getpc24611)&4294967295
	s_addc_u32 s15, s15, (.LBB2_20552-.Lpost_getpc24611)>>32
	s_setpc_b64 s[14:15]
.LBB2_6214:
	s_or_b64 exec, exec, s[6:7]
	s_and_saveexec_b64 s[6:7], s[4:5]
	s_cbranch_execz .LBB2_6216
.LBB2_6215:
	v_and_b32_e32 v3, 7, v4
	v_ffbh_u32_e32 v7, v3
	v_min_u32_e32 v7, 32, v7
	v_lshrrev_b16_e32 v6, 3, v4
	v_subrev_u32_e32 v12, 28, v7
	v_and_b32_e32 v6, 15, v6
	v_lshlrev_b32_e32 v12, v12, v4
	v_sub_u32_e32 v7, 29, v7
	v_and_b32_e32 v12, 7, v12
	v_cmp_eq_u16_e32 vcc, 0, v6
	v_cndmask_b32_e32 v3, v3, v12, vcc
	v_cndmask_b32_e32 v6, v6, v7, vcc
	v_lshlrev_b32_e32 v7, 24, v4
	v_mov_b32_e32 v12, 0x3b800000
	v_lshlrev_b32_e32 v3, 20, v3
	v_and_b32_e32 v7, 0x80000000, v7
	v_lshl_add_u32 v6, v6, 23, v12
	v_or3_b32 v3, v7, v6, v3
.LBB2_6216:
	s_or_b64 exec, exec, s[6:7]
	s_nop 0
	v_mfma_f32_16x16x4f32 a[0:3], v2, v3, a[0:3]
	v_lshrrev_b32_e32 v3, 8, v8
	s_movk_i32 s4, 0x7f
	v_cmp_gt_i16_sdwa s[6:7], v3, s4 src0_sel:BYTE_0 src1_sel:DWORD
	s_mov_b64 s[4:5], 0
                                        ; implicit-def: $sgpr10
	s_and_saveexec_b64 s[8:9], s[6:7]
	s_xor_b64 s[6:7], exec, s[8:9]
	s_cbranch_execz .LBB2_6217
; %bb.42057:
	s_getpc_b64 s[14:15]
.Lpost_getpc24612:
	s_add_u32 s14, s14, (.LBB2_20553-.Lpost_getpc24612)&4294967295
	s_addc_u32 s15, s15, (.LBB2_20553-.Lpost_getpc24612)>>32
	s_setpc_b64 s[14:15]
.LBB2_6217:
	s_or_saveexec_b64 s[6:7], s[6:7]
	v_mov_b32_e32 v2, s10
	s_xor_b64 exec, exec, s[6:7]
	s_cbranch_execz .LBB2_6218
; %bb.42059:
	s_getpc_b64 s[14:15]
.Lpost_getpc24613:
	s_add_u32 s14, s14, (.LBB2_20556-.Lpost_getpc24613)&4294967295
	s_addc_u32 s15, s15, (.LBB2_20556-.Lpost_getpc24613)>>32
	s_setpc_b64 s[14:15]
.LBB2_6218:
	s_or_b64 exec, exec, s[6:7]
	s_and_saveexec_b64 s[6:7], s[4:5]
	s_cbranch_execz .LBB2_6220
.LBB2_6219:
	v_bfe_u32 v2, v8, 8, 3
	v_ffbh_u32_e32 v7, v2
	v_min_u32_e32 v7, 32, v7
	v_lshrrev_b16_e32 v6, 3, v3
	v_subrev_u32_e32 v12, 28, v7
	v_and_b32_e32 v6, 15, v6
	v_lshlrev_b32_e32 v3, v12, v3
	v_sub_u32_e32 v7, 29, v7
	v_and_b32_e32 v3, 7, v3
	v_cmp_eq_u16_e32 vcc, 0, v6
	v_cndmask_b32_e32 v2, v2, v3, vcc
	v_cndmask_b32_e32 v3, v6, v7, vcc
	v_lshlrev_b32_e32 v6, 16, v8
	v_mov_b32_e32 v7, 0x3b800000
	v_lshlrev_b32_e32 v2, 20, v2
	v_and_b32_e32 v6, 0x80000000, v6
	v_lshl_add_u32 v3, v3, 23, v7
	v_or3_b32 v2, v6, v3, v2
.LBB2_6220:
	s_or_b64 exec, exec, s[6:7]
	v_lshrrev_b32_e32 v3, 8, v4
	s_movk_i32 s4, 0x7f
	v_cmp_gt_i16_sdwa s[6:7], v3, s4 src0_sel:BYTE_0 src1_sel:DWORD
	s_mov_b64 s[4:5], 0
                                        ; implicit-def: $sgpr10
	s_and_saveexec_b64 s[8:9], s[6:7]
	s_xor_b64 s[6:7], exec, s[8:9]
	s_cbranch_execz .LBB2_6221
; %bb.42061:
	s_getpc_b64 s[14:15]
.Lpost_getpc24614:
	s_add_u32 s14, s14, (.LBB2_20557-.Lpost_getpc24614)&4294967295
	s_addc_u32 s15, s15, (.LBB2_20557-.Lpost_getpc24614)>>32
	s_setpc_b64 s[14:15]
.LBB2_6221:
	s_or_saveexec_b64 s[6:7], s[6:7]
	v_mov_b32_e32 v6, s10
	s_xor_b64 exec, exec, s[6:7]
	s_cbranch_execz .LBB2_6222
; %bb.42063:
	s_getpc_b64 s[14:15]
.Lpost_getpc24615:
	s_add_u32 s14, s14, (.LBB2_20560-.Lpost_getpc24615)&4294967295
	s_addc_u32 s15, s15, (.LBB2_20560-.Lpost_getpc24615)>>32
	s_setpc_b64 s[14:15]
.LBB2_6222:
	s_or_b64 exec, exec, s[6:7]
	s_and_saveexec_b64 s[6:7], s[4:5]
	s_cbranch_execz .LBB2_6224
.LBB2_6223:
	v_bfe_u32 v6, v4, 8, 3
	v_ffbh_u32_e32 v12, v6
	v_min_u32_e32 v12, 32, v12
	v_lshrrev_b16_e32 v7, 3, v3
	v_subrev_u32_e32 v13, 28, v12
	v_and_b32_e32 v7, 15, v7
	v_lshlrev_b32_e32 v3, v13, v3
	v_sub_u32_e32 v12, 29, v12
	v_and_b32_e32 v3, 7, v3
	v_cmp_eq_u16_e32 vcc, 0, v7
	v_cndmask_b32_e32 v3, v6, v3, vcc
	v_cndmask_b32_e32 v6, v7, v12, vcc
	v_lshlrev_b32_e32 v7, 16, v4
	v_mov_b32_e32 v12, 0x3b800000
	v_lshlrev_b32_e32 v3, 20, v3
	v_and_b32_e32 v7, 0x80000000, v7
	v_lshl_add_u32 v6, v6, 23, v12
	v_or3_b32 v6, v7, v6, v3
.LBB2_6224:
	s_or_b64 exec, exec, s[6:7]
	s_nop 0
	v_mfma_f32_16x16x4f32 a[0:3], v2, v6, a[0:3]
	s_movk_i32 s4, 0xff
	v_and_b32_sdwa v3, v8, s4 dst_sel:DWORD dst_unused:UNUSED_PAD src0_sel:WORD_1 src1_sel:DWORD
	s_movk_i32 s4, 0x7f
	v_cmp_lt_i16_e32 vcc, s4, v3
	s_mov_b64 s[4:5], 0
                                        ; implicit-def: $sgpr10
	s_and_saveexec_b64 s[6:7], vcc
	s_xor_b64 s[6:7], exec, s[6:7]
	s_cbranch_execz .LBB2_6225
; %bb.42065:
	s_getpc_b64 s[14:15]
.Lpost_getpc24616:
	s_add_u32 s14, s14, (.LBB2_20561-.Lpost_getpc24616)&4294967295
	s_addc_u32 s15, s15, (.LBB2_20561-.Lpost_getpc24616)>>32
	s_setpc_b64 s[14:15]
.LBB2_6225:
	s_or_saveexec_b64 s[6:7], s[6:7]
	v_mov_b32_e32 v2, s10
	s_xor_b64 exec, exec, s[6:7]
	s_cbranch_execz .LBB2_6226
; %bb.42067:
	s_getpc_b64 s[14:15]
.Lpost_getpc24617:
	s_add_u32 s14, s14, (.LBB2_20564-.Lpost_getpc24617)&4294967295
	s_addc_u32 s15, s15, (.LBB2_20564-.Lpost_getpc24617)>>32
	s_setpc_b64 s[14:15]
.LBB2_6226:
	s_or_b64 exec, exec, s[6:7]
	s_and_saveexec_b64 s[6:7], s[4:5]
	s_cbranch_execz .LBB2_6228
.LBB2_6227:
	v_bfe_u32 v2, v8, 16, 3
	v_ffbh_u32_e32 v7, v2
	v_min_u32_e32 v7, 32, v7
	v_lshrrev_b32_e32 v3, 19, v8
	v_subrev_u32_e32 v12, 28, v7
	v_and_b32_e32 v3, 15, v3
	v_lshlrev_b32_sdwa v12, v12, v8 dst_sel:DWORD dst_unused:UNUSED_PAD src0_sel:DWORD src1_sel:WORD_1
	v_bfe_u32 v6, v8, 19, 4
	v_sub_u32_e32 v7, 29, v7
	v_and_b32_e32 v12, 7, v12
	v_cmp_eq_u16_e32 vcc, 0, v3
	v_cndmask_b32_e32 v2, v2, v12, vcc
	v_cndmask_b32_e32 v3, v6, v7, vcc
	v_lshlrev_b32_e32 v6, 8, v8
	v_mov_b32_e32 v7, 0x3b800000
	v_lshlrev_b32_e32 v2, 20, v2
	v_and_b32_e32 v6, 0x80000000, v6
	v_lshl_add_u32 v3, v3, 23, v7
	v_or3_b32 v2, v6, v3, v2
.LBB2_6228:
	s_or_b64 exec, exec, s[6:7]
	s_movk_i32 s4, 0xff
	v_and_b32_sdwa v3, v4, s4 dst_sel:DWORD dst_unused:UNUSED_PAD src0_sel:WORD_1 src1_sel:DWORD
	s_movk_i32 s4, 0x7f
	v_cmp_lt_i16_e32 vcc, s4, v3
	s_mov_b64 s[4:5], 0
                                        ; implicit-def: $sgpr10
	s_and_saveexec_b64 s[6:7], vcc
	s_xor_b64 s[6:7], exec, s[6:7]
	s_cbranch_execz .LBB2_6229
; %bb.42069:
	s_getpc_b64 s[14:15]
.Lpost_getpc24618:
	s_add_u32 s14, s14, (.LBB2_20565-.Lpost_getpc24618)&4294967295
	s_addc_u32 s15, s15, (.LBB2_20565-.Lpost_getpc24618)>>32
	s_setpc_b64 s[14:15]
.LBB2_6229:
	s_or_saveexec_b64 s[6:7], s[6:7]
	v_mov_b32_e32 v6, s10
	s_xor_b64 exec, exec, s[6:7]
	s_cbranch_execz .LBB2_6230
; %bb.42071:
	s_getpc_b64 s[14:15]
.Lpost_getpc24619:
	s_add_u32 s14, s14, (.LBB2_20568-.Lpost_getpc24619)&4294967295
	s_addc_u32 s15, s15, (.LBB2_20568-.Lpost_getpc24619)>>32
	s_setpc_b64 s[14:15]
.LBB2_6230:
	s_or_b64 exec, exec, s[6:7]
	s_and_saveexec_b64 s[6:7], s[4:5]
	s_cbranch_execz .LBB2_6232
.LBB2_6231:
	v_bfe_u32 v3, v4, 16, 3
	v_ffbh_u32_e32 v12, v3
	v_min_u32_e32 v12, 32, v12
	v_lshrrev_b32_e32 v6, 19, v4
	v_subrev_u32_e32 v13, 28, v12
	v_and_b32_e32 v6, 15, v6
	v_lshlrev_b32_sdwa v13, v13, v4 dst_sel:DWORD dst_unused:UNUSED_PAD src0_sel:DWORD src1_sel:WORD_1
	v_bfe_u32 v7, v4, 19, 4
	v_sub_u32_e32 v12, 29, v12
	v_and_b32_e32 v13, 7, v13
	v_cmp_eq_u16_e32 vcc, 0, v6
	v_cndmask_b32_e32 v3, v3, v13, vcc
	v_cndmask_b32_e32 v6, v7, v12, vcc
	v_lshlrev_b32_e32 v7, 8, v4
	v_mov_b32_e32 v12, 0x3b800000
	v_lshlrev_b32_e32 v3, 20, v3
	v_and_b32_e32 v7, 0x80000000, v7
	v_lshl_add_u32 v6, v6, 23, v12
	v_or3_b32 v6, v7, v6, v3
.LBB2_6232:
	s_or_b64 exec, exec, s[6:7]
	s_nop 0
	v_mfma_f32_16x16x4f32 a[0:3], v2, v6, a[0:3]
	s_movk_i32 s4, 0x7f
	v_cmp_gt_i16_sdwa s[6:7], v8, s4 src0_sel:BYTE_3 src1_sel:DWORD
	s_mov_b64 s[4:5], 0
                                        ; implicit-def: $sgpr10
	s_and_saveexec_b64 s[8:9], s[6:7]
	s_xor_b64 s[6:7], exec, s[8:9]
	s_cbranch_execz .LBB2_6233
; %bb.42073:
	s_getpc_b64 s[14:15]
.Lpost_getpc24620:
	s_add_u32 s14, s14, (.LBB2_20569-.Lpost_getpc24620)&4294967295
	s_addc_u32 s15, s15, (.LBB2_20569-.Lpost_getpc24620)>>32
	s_setpc_b64 s[14:15]
.LBB2_6233:
	s_or_saveexec_b64 s[6:7], s[6:7]
	v_mov_b32_e32 v2, s10
	s_xor_b64 exec, exec, s[6:7]
	s_cbranch_execz .LBB2_6234
; %bb.42075:
	s_getpc_b64 s[14:15]
.Lpost_getpc24621:
	s_add_u32 s14, s14, (.LBB2_20572-.Lpost_getpc24621)&4294967295
	s_addc_u32 s15, s15, (.LBB2_20572-.Lpost_getpc24621)>>32
	s_setpc_b64 s[14:15]
.LBB2_6234:
	s_or_b64 exec, exec, s[6:7]
	s_and_saveexec_b64 s[6:7], s[4:5]
	s_cbranch_execz .LBB2_6236
.LBB2_6235:
	v_bfe_u32 v2, v8, 24, 3
	v_ffbh_u32_e32 v12, v2
	v_min_u32_e32 v12, 32, v12
	v_lshrrev_b32_e32 v6, 27, v8
	v_subrev_u32_e32 v13, 28, v12
	v_and_b32_e32 v3, 0x80000000, v8
	v_and_b32_e32 v6, 15, v6
	v_bfe_u32 v7, v8, 27, 4
	v_lshlrev_b32_sdwa v8, v13, v8 dst_sel:DWORD dst_unused:UNUSED_PAD src0_sel:DWORD src1_sel:BYTE_3
	v_sub_u32_e32 v12, 29, v12
	v_and_b32_e32 v8, 7, v8
	v_cmp_eq_u16_e32 vcc, 0, v6
	v_cndmask_b32_e32 v2, v2, v8, vcc
	v_cndmask_b32_e32 v6, v7, v12, vcc
	v_mov_b32_e32 v7, 0x3b800000
	v_lshlrev_b32_e32 v2, 20, v2
	v_lshl_add_u32 v6, v6, 23, v7
	v_or3_b32 v2, v3, v6, v2
.LBB2_6236:
	s_or_b64 exec, exec, s[6:7]
	s_movk_i32 s4, 0x7f
	v_cmp_gt_i16_sdwa s[6:7], v4, s4 src0_sel:BYTE_3 src1_sel:DWORD
	s_mov_b64 s[4:5], 0
                                        ; implicit-def: $sgpr10
	s_and_saveexec_b64 s[8:9], s[6:7]
	s_xor_b64 s[6:7], exec, s[8:9]
	s_cbranch_execz .LBB2_6237
; %bb.42077:
	s_getpc_b64 s[14:15]
.Lpost_getpc24622:
	s_add_u32 s14, s14, (.LBB2_20573-.Lpost_getpc24622)&4294967295
	s_addc_u32 s15, s15, (.LBB2_20573-.Lpost_getpc24622)>>32
	s_setpc_b64 s[14:15]
.LBB2_6237:
	s_or_saveexec_b64 s[6:7], s[6:7]
	v_mov_b32_e32 v3, s10
	s_xor_b64 exec, exec, s[6:7]
	s_cbranch_execz .LBB2_6238
; %bb.42079:
	s_getpc_b64 s[14:15]
.Lpost_getpc24623:
	s_add_u32 s14, s14, (.LBB2_20576-.Lpost_getpc24623)&4294967295
	s_addc_u32 s15, s15, (.LBB2_20576-.Lpost_getpc24623)>>32
	s_setpc_b64 s[14:15]
.LBB2_6238:
	s_or_b64 exec, exec, s[6:7]
	s_and_saveexec_b64 s[6:7], s[4:5]
	s_cbranch_execz .LBB2_6240
.LBB2_6239:
	v_bfe_u32 v3, v4, 24, 3
	v_ffbh_u32_e32 v12, v3
	v_min_u32_e32 v12, 32, v12
	v_lshrrev_b32_e32 v7, 27, v4
	v_subrev_u32_e32 v13, 28, v12
	v_and_b32_e32 v6, 0x80000000, v4
	v_and_b32_e32 v7, 15, v7
	v_bfe_u32 v8, v4, 27, 4
	v_lshlrev_b32_sdwa v4, v13, v4 dst_sel:DWORD dst_unused:UNUSED_PAD src0_sel:DWORD src1_sel:BYTE_3
	v_sub_u32_e32 v12, 29, v12
	v_and_b32_e32 v4, 7, v4
	v_cmp_eq_u16_e32 vcc, 0, v7
	v_cndmask_b32_e32 v3, v3, v4, vcc
	v_cndmask_b32_e32 v4, v8, v12, vcc
	v_mov_b32_e32 v7, 0x3b800000
	v_lshlrev_b32_e32 v3, 20, v3
	v_lshl_add_u32 v4, v4, 23, v7
	v_or3_b32 v3, v6, v4, v3
.LBB2_6240:
	s_or_b64 exec, exec, s[6:7]
	s_nop 0
	v_mfma_f32_16x16x4f32 a[0:3], v2, v3, a[0:3]
	s_movk_i32 s4, 0x7f
	v_cmp_gt_i16_sdwa s[6:7], v9, s4 src0_sel:BYTE_0 src1_sel:DWORD
	s_mov_b64 s[4:5], 0
                                        ; implicit-def: $sgpr10
	s_and_saveexec_b64 s[8:9], s[6:7]
	s_xor_b64 s[6:7], exec, s[8:9]
	s_cbranch_execz .LBB2_6241
; %bb.42081:
	s_getpc_b64 s[14:15]
.Lpost_getpc24624:
	s_add_u32 s14, s14, (.LBB2_20577-.Lpost_getpc24624)&4294967295
	s_addc_u32 s15, s15, (.LBB2_20577-.Lpost_getpc24624)>>32
	s_setpc_b64 s[14:15]
.LBB2_6241:
	s_or_saveexec_b64 s[6:7], s[6:7]
	v_mov_b32_e32 v2, s10
	s_xor_b64 exec, exec, s[6:7]
	s_cbranch_execz .LBB2_6242
; %bb.42083:
	s_getpc_b64 s[14:15]
.Lpost_getpc24625:
	s_add_u32 s14, s14, (.LBB2_20580-.Lpost_getpc24625)&4294967295
	s_addc_u32 s15, s15, (.LBB2_20580-.Lpost_getpc24625)>>32
	s_setpc_b64 s[14:15]
.LBB2_6242:
	s_or_b64 exec, exec, s[6:7]
	s_and_saveexec_b64 s[6:7], s[4:5]
	s_cbranch_execz .LBB2_6244
.LBB2_6243:
	v_mov_b32_e32 v2, 8
	v_and_b32_e32 v3, 7, v9
	v_lshrrev_b32_sdwa v2, v2, v9 dst_sel:BYTE_1 dst_unused:UNUSED_PAD src0_sel:DWORD src1_sel:DWORD
	v_ffbh_u32_e32 v4, v3
	v_or_b32_sdwa v2, v9, v2 dst_sel:DWORD dst_unused:UNUSED_PAD src0_sel:BYTE_0 src1_sel:DWORD
	v_min_u32_e32 v4, 32, v4
	v_lshrrev_b16_e32 v2, 3, v2
	v_subrev_u32_e32 v6, 28, v4
	v_and_b32_e32 v2, 15, v2
	v_lshlrev_b32_e32 v6, v6, v9
	v_sub_u32_e32 v4, 29, v4
	v_and_b32_e32 v6, 7, v6
	v_cmp_eq_u16_e32 vcc, 0, v2
	v_cndmask_b32_e32 v3, v3, v6, vcc
	v_cndmask_b32_e32 v2, v2, v4, vcc
	v_lshlrev_b32_e32 v4, 24, v9
	v_mov_b32_e32 v6, 0x3b800000
	v_lshlrev_b32_e32 v3, 20, v3
	v_and_b32_e32 v4, 0x80000000, v4
	v_lshl_add_u32 v2, v2, 23, v6
	v_or3_b32 v2, v4, v2, v3
.LBB2_6244:
	s_or_b64 exec, exec, s[6:7]
	s_movk_i32 s4, 0x7f
	v_cmp_gt_i16_sdwa s[6:7], v5, s4 src0_sel:BYTE_0 src1_sel:DWORD
	s_mov_b64 s[4:5], 0
                                        ; implicit-def: $sgpr10
	s_and_saveexec_b64 s[8:9], s[6:7]
	s_xor_b64 s[6:7], exec, s[8:9]
	s_cbranch_execz .LBB2_6245
; %bb.42085:
	s_getpc_b64 s[14:15]
.Lpost_getpc24626:
	s_add_u32 s14, s14, (.LBB2_20581-.Lpost_getpc24626)&4294967295
	s_addc_u32 s15, s15, (.LBB2_20581-.Lpost_getpc24626)>>32
	s_setpc_b64 s[14:15]
.LBB2_6245:
	s_or_saveexec_b64 s[6:7], s[6:7]
	v_mov_b32_e32 v3, s10
	s_xor_b64 exec, exec, s[6:7]
	s_cbranch_execz .LBB2_6246
; %bb.42087:
	s_getpc_b64 s[14:15]
.Lpost_getpc24627:
	s_add_u32 s14, s14, (.LBB2_20584-.Lpost_getpc24627)&4294967295
	s_addc_u32 s15, s15, (.LBB2_20584-.Lpost_getpc24627)>>32
	s_setpc_b64 s[14:15]
.LBB2_6246:
	s_or_b64 exec, exec, s[6:7]
	s_and_saveexec_b64 s[6:7], s[4:5]
	s_cbranch_execz .LBB2_6248
.LBB2_6247:
	v_mov_b32_e32 v3, 8
	v_and_b32_e32 v4, 7, v5
	v_lshrrev_b32_sdwa v3, v3, v5 dst_sel:BYTE_1 dst_unused:UNUSED_PAD src0_sel:DWORD src1_sel:DWORD
	v_ffbh_u32_e32 v6, v4
	v_or_b32_sdwa v3, v5, v3 dst_sel:DWORD dst_unused:UNUSED_PAD src0_sel:BYTE_0 src1_sel:DWORD
	v_min_u32_e32 v6, 32, v6
	v_lshrrev_b16_e32 v3, 3, v3
	v_subrev_u32_e32 v7, 28, v6
	v_and_b32_e32 v3, 15, v3
	v_lshlrev_b32_e32 v7, v7, v5
	v_sub_u32_e32 v6, 29, v6
	v_and_b32_e32 v7, 7, v7
	v_cmp_eq_u16_e32 vcc, 0, v3
	v_cndmask_b32_e32 v4, v4, v7, vcc
	v_cndmask_b32_e32 v3, v3, v6, vcc
	v_lshlrev_b32_e32 v6, 24, v5
	v_mov_b32_e32 v7, 0x3b800000
	v_lshlrev_b32_e32 v4, 20, v4
	v_and_b32_e32 v6, 0x80000000, v6
	v_lshl_add_u32 v3, v3, 23, v7
	v_or3_b32 v3, v6, v3, v4
.LBB2_6248:
	s_or_b64 exec, exec, s[6:7]
	s_nop 0
	v_mfma_f32_16x16x4f32 a[0:3], v2, v3, a[0:3]
	v_lshrrev_b32_e32 v3, 8, v9
	s_movk_i32 s4, 0x7f
	v_cmp_gt_i16_sdwa s[6:7], v3, s4 src0_sel:BYTE_0 src1_sel:DWORD
	s_mov_b64 s[4:5], 0
                                        ; implicit-def: $sgpr10
	s_and_saveexec_b64 s[8:9], s[6:7]
	s_xor_b64 s[6:7], exec, s[8:9]
	s_cbranch_execz .LBB2_6249
; %bb.42089:
	s_getpc_b64 s[14:15]
.Lpost_getpc24628:
	s_add_u32 s14, s14, (.LBB2_20585-.Lpost_getpc24628)&4294967295
	s_addc_u32 s15, s15, (.LBB2_20585-.Lpost_getpc24628)>>32
	s_setpc_b64 s[14:15]
.LBB2_6249:
	s_or_saveexec_b64 s[6:7], s[6:7]
	v_mov_b32_e32 v2, s10
	s_xor_b64 exec, exec, s[6:7]
	s_cbranch_execz .LBB2_6250
; %bb.42091:
	s_getpc_b64 s[14:15]
.Lpost_getpc24629:
	s_add_u32 s14, s14, (.LBB2_20588-.Lpost_getpc24629)&4294967295
	s_addc_u32 s15, s15, (.LBB2_20588-.Lpost_getpc24629)>>32
	s_setpc_b64 s[14:15]
.LBB2_6250:
	s_or_b64 exec, exec, s[6:7]
	s_and_saveexec_b64 s[6:7], s[4:5]
	s_cbranch_execz .LBB2_6252
.LBB2_6251:
	v_bfe_u32 v2, v9, 8, 3
	v_ffbh_u32_e32 v6, v2
	v_min_u32_e32 v6, 32, v6
	v_lshrrev_b16_e32 v4, 3, v3
	v_subrev_u32_e32 v7, 28, v6
	v_and_b32_e32 v4, 15, v4
	v_lshlrev_b32_e32 v3, v7, v3
	v_sub_u32_e32 v6, 29, v6
	v_and_b32_e32 v3, 7, v3
	v_cmp_eq_u16_e32 vcc, 0, v4
	v_cndmask_b32_e32 v2, v2, v3, vcc
	v_cndmask_b32_e32 v3, v4, v6, vcc
	v_lshlrev_b32_e32 v4, 16, v9
	v_mov_b32_e32 v6, 0x3b800000
	v_lshlrev_b32_e32 v2, 20, v2
	v_and_b32_e32 v4, 0x80000000, v4
	v_lshl_add_u32 v3, v3, 23, v6
	v_or3_b32 v2, v4, v3, v2
.LBB2_6252:
	s_or_b64 exec, exec, s[6:7]
	v_lshrrev_b32_e32 v3, 8, v5
	s_movk_i32 s4, 0x7f
	v_cmp_gt_i16_sdwa s[6:7], v3, s4 src0_sel:BYTE_0 src1_sel:DWORD
	s_mov_b64 s[4:5], 0
                                        ; implicit-def: $sgpr10
	s_and_saveexec_b64 s[8:9], s[6:7]
	s_xor_b64 s[6:7], exec, s[8:9]
	s_cbranch_execz .LBB2_6253
; %bb.42093:
	s_getpc_b64 s[14:15]
.Lpost_getpc24630:
	s_add_u32 s14, s14, (.LBB2_20589-.Lpost_getpc24630)&4294967295
	s_addc_u32 s15, s15, (.LBB2_20589-.Lpost_getpc24630)>>32
	s_setpc_b64 s[14:15]
.LBB2_6253:
	s_or_saveexec_b64 s[6:7], s[6:7]
	v_mov_b32_e32 v4, s10
	s_xor_b64 exec, exec, s[6:7]
	s_cbranch_execz .LBB2_6254
; %bb.42095:
	s_getpc_b64 s[14:15]
.Lpost_getpc24631:
	s_add_u32 s14, s14, (.LBB2_20592-.Lpost_getpc24631)&4294967295
	s_addc_u32 s15, s15, (.LBB2_20592-.Lpost_getpc24631)>>32
	s_setpc_b64 s[14:15]
.LBB2_6254:
	s_or_b64 exec, exec, s[6:7]
	s_and_saveexec_b64 s[6:7], s[4:5]
	s_cbranch_execz .LBB2_6256
.LBB2_6255:
	v_bfe_u32 v4, v5, 8, 3
	v_ffbh_u32_e32 v7, v4
	v_min_u32_e32 v7, 32, v7
	v_lshrrev_b16_e32 v6, 3, v3
	v_subrev_u32_e32 v8, 28, v7
	v_and_b32_e32 v6, 15, v6
	v_lshlrev_b32_e32 v3, v8, v3
	v_sub_u32_e32 v7, 29, v7
	v_and_b32_e32 v3, 7, v3
	v_cmp_eq_u16_e32 vcc, 0, v6
	v_cndmask_b32_e32 v3, v4, v3, vcc
	v_cndmask_b32_e32 v4, v6, v7, vcc
	v_lshlrev_b32_e32 v6, 16, v5
	v_mov_b32_e32 v7, 0x3b800000
	v_lshlrev_b32_e32 v3, 20, v3
	v_and_b32_e32 v6, 0x80000000, v6
	v_lshl_add_u32 v4, v4, 23, v7
	v_or3_b32 v4, v6, v4, v3
.LBB2_6256:
	s_or_b64 exec, exec, s[6:7]
	s_nop 0
	v_mfma_f32_16x16x4f32 a[0:3], v2, v4, a[0:3]
	s_movk_i32 s4, 0xff
	v_and_b32_sdwa v3, v9, s4 dst_sel:DWORD dst_unused:UNUSED_PAD src0_sel:WORD_1 src1_sel:DWORD
	s_movk_i32 s4, 0x7f
	v_cmp_lt_i16_e32 vcc, s4, v3
	s_mov_b64 s[4:5], 0
                                        ; implicit-def: $sgpr10
	s_and_saveexec_b64 s[6:7], vcc
	s_xor_b64 s[6:7], exec, s[6:7]
	s_cbranch_execz .LBB2_6257
; %bb.42097:
	s_getpc_b64 s[14:15]
.Lpost_getpc24632:
	s_add_u32 s14, s14, (.LBB2_20593-.Lpost_getpc24632)&4294967295
	s_addc_u32 s15, s15, (.LBB2_20593-.Lpost_getpc24632)>>32
	s_setpc_b64 s[14:15]
.LBB2_6257:
	s_or_saveexec_b64 s[6:7], s[6:7]
	v_mov_b32_e32 v2, s10
	s_xor_b64 exec, exec, s[6:7]
	s_cbranch_execz .LBB2_6258
; %bb.42099:
	s_getpc_b64 s[14:15]
.Lpost_getpc24633:
	s_add_u32 s14, s14, (.LBB2_20596-.Lpost_getpc24633)&4294967295
	s_addc_u32 s15, s15, (.LBB2_20596-.Lpost_getpc24633)>>32
	s_setpc_b64 s[14:15]
.LBB2_6258:
	s_or_b64 exec, exec, s[6:7]
	s_and_saveexec_b64 s[6:7], s[4:5]
	s_cbranch_execz .LBB2_6260
.LBB2_6259:
	v_bfe_u32 v2, v9, 16, 3
	v_ffbh_u32_e32 v6, v2
	v_min_u32_e32 v6, 32, v6
	v_lshrrev_b32_e32 v3, 19, v9
	v_subrev_u32_e32 v7, 28, v6
	v_and_b32_e32 v3, 15, v3
	v_lshlrev_b32_sdwa v7, v7, v9 dst_sel:DWORD dst_unused:UNUSED_PAD src0_sel:DWORD src1_sel:WORD_1
	v_bfe_u32 v4, v9, 19, 4
	v_sub_u32_e32 v6, 29, v6
	v_and_b32_e32 v7, 7, v7
	v_cmp_eq_u16_e32 vcc, 0, v3
	v_cndmask_b32_e32 v2, v2, v7, vcc
	v_cndmask_b32_e32 v3, v4, v6, vcc
	v_lshlrev_b32_e32 v4, 8, v9
	v_mov_b32_e32 v6, 0x3b800000
	v_lshlrev_b32_e32 v2, 20, v2
	v_and_b32_e32 v4, 0x80000000, v4
	v_lshl_add_u32 v3, v3, 23, v6
	v_or3_b32 v2, v4, v3, v2
.LBB2_6260:
	s_or_b64 exec, exec, s[6:7]
	s_movk_i32 s4, 0xff
	v_and_b32_sdwa v3, v5, s4 dst_sel:DWORD dst_unused:UNUSED_PAD src0_sel:WORD_1 src1_sel:DWORD
	s_movk_i32 s4, 0x7f
	v_cmp_lt_i16_e32 vcc, s4, v3
	s_mov_b64 s[4:5], 0
                                        ; implicit-def: $sgpr10
	s_and_saveexec_b64 s[6:7], vcc
	s_xor_b64 s[6:7], exec, s[6:7]
	s_cbranch_execz .LBB2_6261
; %bb.42101:
	s_getpc_b64 s[14:15]
.Lpost_getpc24634:
	s_add_u32 s14, s14, (.LBB2_20597-.Lpost_getpc24634)&4294967295
	s_addc_u32 s15, s15, (.LBB2_20597-.Lpost_getpc24634)>>32
	s_setpc_b64 s[14:15]
.LBB2_6261:
	s_or_saveexec_b64 s[6:7], s[6:7]
	v_mov_b32_e32 v4, s10
	s_xor_b64 exec, exec, s[6:7]
	s_cbranch_execz .LBB2_6262
; %bb.42103:
	s_getpc_b64 s[14:15]
.Lpost_getpc24635:
	s_add_u32 s14, s14, (.LBB2_20600-.Lpost_getpc24635)&4294967295
	s_addc_u32 s15, s15, (.LBB2_20600-.Lpost_getpc24635)>>32
	s_setpc_b64 s[14:15]
.LBB2_6262:
	s_or_b64 exec, exec, s[6:7]
	s_and_saveexec_b64 s[6:7], s[4:5]
	s_cbranch_execz .LBB2_6264
.LBB2_6263:
	v_bfe_u32 v3, v5, 16, 3
	v_ffbh_u32_e32 v7, v3
	v_min_u32_e32 v7, 32, v7
	v_lshrrev_b32_e32 v4, 19, v5
	v_subrev_u32_e32 v8, 28, v7
	v_and_b32_e32 v4, 15, v4
	v_lshlrev_b32_sdwa v8, v8, v5 dst_sel:DWORD dst_unused:UNUSED_PAD src0_sel:DWORD src1_sel:WORD_1
	v_bfe_u32 v6, v5, 19, 4
	v_sub_u32_e32 v7, 29, v7
	v_and_b32_e32 v8, 7, v8
	v_cmp_eq_u16_e32 vcc, 0, v4
	v_cndmask_b32_e32 v3, v3, v8, vcc
	v_cndmask_b32_e32 v4, v6, v7, vcc
	v_lshlrev_b32_e32 v6, 8, v5
	v_mov_b32_e32 v7, 0x3b800000
	v_lshlrev_b32_e32 v3, 20, v3
	v_and_b32_e32 v6, 0x80000000, v6
	v_lshl_add_u32 v4, v4, 23, v7
	v_or3_b32 v4, v6, v4, v3
.LBB2_6264:
	s_or_b64 exec, exec, s[6:7]
	s_nop 0
	v_mfma_f32_16x16x4f32 a[0:3], v2, v4, a[0:3]
	s_movk_i32 s4, 0x7f
	v_cmp_gt_i16_sdwa s[6:7], v9, s4 src0_sel:BYTE_3 src1_sel:DWORD
	s_mov_b64 s[4:5], 0
                                        ; implicit-def: $sgpr10
	s_and_saveexec_b64 s[8:9], s[6:7]
	s_xor_b64 s[6:7], exec, s[8:9]
	s_cbranch_execz .LBB2_6265
; %bb.42105:
	s_getpc_b64 s[14:15]
.Lpost_getpc24636:
	s_add_u32 s14, s14, (.LBB2_20601-.Lpost_getpc24636)&4294967295
	s_addc_u32 s15, s15, (.LBB2_20601-.Lpost_getpc24636)>>32
	s_setpc_b64 s[14:15]
.LBB2_6265:
	s_or_saveexec_b64 s[6:7], s[6:7]
	v_mov_b32_e32 v2, s10
	s_xor_b64 exec, exec, s[6:7]
	s_cbranch_execz .LBB2_6266
; %bb.42107:
	s_getpc_b64 s[14:15]
.Lpost_getpc24637:
	s_add_u32 s14, s14, (.LBB2_20604-.Lpost_getpc24637)&4294967295
	s_addc_u32 s15, s15, (.LBB2_20604-.Lpost_getpc24637)>>32
	s_setpc_b64 s[14:15]
.LBB2_6266:
	s_or_b64 exec, exec, s[6:7]
	s_and_saveexec_b64 s[6:7], s[4:5]
	s_cbranch_execz .LBB2_6268
.LBB2_6267:
	v_bfe_u32 v2, v9, 24, 3
	v_ffbh_u32_e32 v7, v2
	v_min_u32_e32 v7, 32, v7
	v_lshrrev_b32_e32 v4, 27, v9
	v_subrev_u32_e32 v8, 28, v7
	v_and_b32_e32 v4, 15, v4
	v_lshlrev_b32_sdwa v8, v8, v9 dst_sel:DWORD dst_unused:UNUSED_PAD src0_sel:DWORD src1_sel:BYTE_3
	v_bfe_u32 v6, v9, 27, 4
	v_sub_u32_e32 v7, 29, v7
	v_and_b32_e32 v8, 7, v8
	v_cmp_eq_u16_e32 vcc, 0, v4
	v_cndmask_b32_e32 v2, v2, v8, vcc
	v_cndmask_b32_e32 v4, v6, v7, vcc
	v_mov_b32_e32 v6, 0x3b800000
	v_and_b32_e32 v3, 0x80000000, v9
	v_lshlrev_b32_e32 v2, 20, v2
	v_lshl_add_u32 v4, v4, 23, v6
	v_or3_b32 v2, v3, v4, v2
.LBB2_6268:
	s_or_b64 exec, exec, s[6:7]
	s_movk_i32 s4, 0x7f
	v_cmp_gt_i16_sdwa s[6:7], v5, s4 src0_sel:BYTE_3 src1_sel:DWORD
	s_mov_b64 s[4:5], 0
                                        ; implicit-def: $sgpr10
	s_and_saveexec_b64 s[8:9], s[6:7]
	s_xor_b64 s[6:7], exec, s[8:9]
	s_cbranch_execz .LBB2_6269
; %bb.42109:
	s_getpc_b64 s[14:15]
.Lpost_getpc24638:
	s_add_u32 s14, s14, (.LBB2_20605-.Lpost_getpc24638)&4294967295
	s_addc_u32 s15, s15, (.LBB2_20605-.Lpost_getpc24638)>>32
	s_setpc_b64 s[14:15]
.LBB2_6269:
	s_or_saveexec_b64 s[6:7], s[6:7]
	v_mov_b32_e32 v3, s10
	s_xor_b64 exec, exec, s[6:7]
	s_cbranch_execz .LBB2_6270
; %bb.42111:
	s_getpc_b64 s[14:15]
.Lpost_getpc24639:
	s_add_u32 s14, s14, (.LBB2_20608-.Lpost_getpc24639)&4294967295
	s_addc_u32 s15, s15, (.LBB2_20608-.Lpost_getpc24639)>>32
	s_setpc_b64 s[14:15]
.LBB2_6270:
	s_or_b64 exec, exec, s[6:7]
	s_and_saveexec_b64 s[6:7], s[4:5]
	s_cbranch_execz .LBB2_6272
.LBB2_6271:
	v_bfe_u32 v3, v5, 24, 3
	v_ffbh_u32_e32 v8, v3
	v_min_u32_e32 v8, 32, v8
	v_lshrrev_b32_e32 v6, 27, v5
	v_subrev_u32_e32 v9, 28, v8
	v_and_b32_e32 v4, 0x80000000, v5
	v_and_b32_e32 v6, 15, v6
	v_bfe_u32 v7, v5, 27, 4
	v_lshlrev_b32_sdwa v5, v9, v5 dst_sel:DWORD dst_unused:UNUSED_PAD src0_sel:DWORD src1_sel:BYTE_3
	v_sub_u32_e32 v8, 29, v8
	v_and_b32_e32 v5, 7, v5
	v_cmp_eq_u16_e32 vcc, 0, v6
	v_cndmask_b32_e32 v3, v3, v5, vcc
	v_cndmask_b32_e32 v5, v7, v8, vcc
	v_mov_b32_e32 v6, 0x3b800000
	v_lshlrev_b32_e32 v3, 20, v3
	v_lshl_add_u32 v5, v5, 23, v6
	v_or3_b32 v3, v4, v5, v3
.LBB2_6272:
	s_or_b64 exec, exec, s[6:7]
	s_nop 0
	v_mfma_f32_16x16x4f32 a[0:3], v2, v3, a[0:3]
	s_movk_i32 s4, 0x7f
                                        ; implicit-def: $sgpr10
	s_nop 7
	s_nop 1
	flat_store_dwordx4 v[10:11], a[0:3] offset:768
	flat_load_dwordx4 v[12:15], v[0:1]
	s_nop 0
	flat_load_dwordx2 v[10:11], v[0:1] offset:16
	s_waitcnt vmcnt(0) lgkmcnt(0)
	flat_load_dwordx4 v[6:9], v[12:13] offset:96
	flat_load_dwordx4 v[2:5], v[14:15] offset:16
	s_waitcnt vmcnt(0) lgkmcnt(0)
	v_cmp_gt_i16_sdwa s[6:7], v6, s4 src0_sel:BYTE_0 src1_sel:DWORD
	s_mov_b64 s[4:5], 0
	s_and_saveexec_b64 s[8:9], s[6:7]
	s_xor_b64 s[6:7], exec, s[8:9]
	s_cbranch_execz .LBB2_6273
; %bb.42113:
	s_getpc_b64 s[14:15]
.Lpost_getpc24640:
	s_add_u32 s14, s14, (.LBB2_20609-.Lpost_getpc24640)&4294967295
	s_addc_u32 s15, s15, (.LBB2_20609-.Lpost_getpc24640)>>32
	s_setpc_b64 s[14:15]
.LBB2_6273:
	s_or_saveexec_b64 s[6:7], s[6:7]
	v_mov_b32_e32 v12, s10
	s_xor_b64 exec, exec, s[6:7]
	s_cbranch_execz .LBB2_6274
; %bb.42115:
	s_getpc_b64 s[14:15]
.Lpost_getpc24641:
	s_add_u32 s14, s14, (.LBB2_20612-.Lpost_getpc24641)&4294967295
	s_addc_u32 s15, s15, (.LBB2_20612-.Lpost_getpc24641)>>32
	s_setpc_b64 s[14:15]
.LBB2_6274:
	s_or_b64 exec, exec, s[6:7]
	s_and_saveexec_b64 s[6:7], s[4:5]
	s_cbranch_execz .LBB2_6276
.LBB2_6275:
	v_and_b32_e32 v12, 7, v6
	v_ffbh_u32_e32 v14, v12
	v_min_u32_e32 v14, 32, v14
	v_lshrrev_b16_e32 v13, 3, v6
	v_subrev_u32_e32 v15, 28, v14
	v_and_b32_e32 v13, 15, v13
	v_lshlrev_b32_e32 v15, v15, v6
	v_sub_u32_e32 v14, 29, v14
	v_and_b32_e32 v15, 7, v15
	v_cmp_eq_u16_e32 vcc, 0, v13
	v_cndmask_b32_e32 v12, v12, v15, vcc
	v_cndmask_b32_e32 v13, v13, v14, vcc
	v_lshlrev_b32_e32 v14, 24, v6
	v_mov_b32_e32 v15, 0x3b800000
	v_lshlrev_b32_e32 v12, 20, v12
	v_and_b32_e32 v14, 0x80000000, v14
	v_lshl_add_u32 v13, v13, 23, v15
	v_or3_b32 v12, v14, v13, v12
.LBB2_6276:
	s_or_b64 exec, exec, s[6:7]
	s_movk_i32 s4, 0x7f
	v_cmp_gt_i16_sdwa s[6:7], v2, s4 src0_sel:BYTE_0 src1_sel:DWORD
	s_mov_b64 s[4:5], 0
                                        ; implicit-def: $sgpr10
	s_and_saveexec_b64 s[8:9], s[6:7]
	s_xor_b64 s[6:7], exec, s[8:9]
	s_cbranch_execz .LBB2_6277
; %bb.42117:
	s_getpc_b64 s[14:15]
.Lpost_getpc24642:
	s_add_u32 s14, s14, (.LBB2_20613-.Lpost_getpc24642)&4294967295
	s_addc_u32 s15, s15, (.LBB2_20613-.Lpost_getpc24642)>>32
	s_setpc_b64 s[14:15]
.LBB2_6277:
	s_or_saveexec_b64 s[6:7], s[6:7]
	v_mov_b32_e32 v13, s10
	s_xor_b64 exec, exec, s[6:7]
	s_cbranch_execz .LBB2_6278
; %bb.42119:
	s_getpc_b64 s[14:15]
.Lpost_getpc24643:
	s_add_u32 s14, s14, (.LBB2_20616-.Lpost_getpc24643)&4294967295
	s_addc_u32 s15, s15, (.LBB2_20616-.Lpost_getpc24643)>>32
	s_setpc_b64 s[14:15]
.LBB2_6278:
	s_or_b64 exec, exec, s[6:7]
	s_and_saveexec_b64 s[6:7], s[4:5]
	s_cbranch_execz .LBB2_6280
.LBB2_6279:
	v_and_b32_e32 v13, 7, v2
	v_ffbh_u32_e32 v15, v13
	v_min_u32_e32 v15, 32, v15
	v_lshrrev_b16_e32 v14, 3, v2
	v_subrev_u32_e32 v16, 28, v15
	v_and_b32_e32 v14, 15, v14
	v_lshlrev_b32_e32 v16, v16, v2
	v_sub_u32_e32 v15, 29, v15
	v_and_b32_e32 v16, 7, v16
	v_cmp_eq_u16_e32 vcc, 0, v14
	v_cndmask_b32_e32 v13, v13, v16, vcc
	v_cndmask_b32_e32 v14, v14, v15, vcc
	v_lshlrev_b32_e32 v15, 24, v2
	v_mov_b32_e32 v16, 0x3b800000
	v_lshlrev_b32_e32 v13, 20, v13
	v_and_b32_e32 v15, 0x80000000, v15
	v_lshl_add_u32 v14, v14, 23, v16
	v_or3_b32 v13, v15, v14, v13
.LBB2_6280:
	s_or_b64 exec, exec, s[6:7]
	flat_load_dwordx4 a[0:3], v[10:11] offset:784
	s_movk_i32 s4, 0x7f
                                        ; implicit-def: $sgpr10
	s_waitcnt vmcnt(0) lgkmcnt(0)
	v_mfma_f32_16x16x4f32 a[0:3], v12, v13, a[0:3]
	v_lshrrev_b32_e32 v13, 8, v6
	v_cmp_gt_i16_sdwa s[6:7], v13, s4 src0_sel:BYTE_0 src1_sel:DWORD
	s_mov_b64 s[4:5], 0
	s_and_saveexec_b64 s[8:9], s[6:7]
	s_xor_b64 s[6:7], exec, s[8:9]
	s_cbranch_execz .LBB2_6281
; %bb.42121:
	s_getpc_b64 s[14:15]
.Lpost_getpc24644:
	s_add_u32 s14, s14, (.LBB2_20617-.Lpost_getpc24644)&4294967295
	s_addc_u32 s15, s15, (.LBB2_20617-.Lpost_getpc24644)>>32
	s_setpc_b64 s[14:15]
.LBB2_6281:
	s_or_saveexec_b64 s[6:7], s[6:7]
	v_mov_b32_e32 v12, s10
	s_xor_b64 exec, exec, s[6:7]
	s_cbranch_execz .LBB2_6282
; %bb.42123:
	s_getpc_b64 s[14:15]
.Lpost_getpc24645:
	s_add_u32 s14, s14, (.LBB2_20620-.Lpost_getpc24645)&4294967295
	s_addc_u32 s15, s15, (.LBB2_20620-.Lpost_getpc24645)>>32
	s_setpc_b64 s[14:15]
.LBB2_6282:
	s_or_b64 exec, exec, s[6:7]
	s_and_saveexec_b64 s[6:7], s[4:5]
	s_cbranch_execz .LBB2_6284
.LBB2_6283:
	v_bfe_u32 v12, v6, 8, 3
	v_ffbh_u32_e32 v15, v12
	v_min_u32_e32 v15, 32, v15
	v_lshrrev_b16_e32 v14, 3, v13
	v_subrev_u32_e32 v16, 28, v15
	v_and_b32_e32 v14, 15, v14
	v_lshlrev_b32_e32 v13, v16, v13
	v_sub_u32_e32 v15, 29, v15
	v_and_b32_e32 v13, 7, v13
	v_cmp_eq_u16_e32 vcc, 0, v14
	v_cndmask_b32_e32 v12, v12, v13, vcc
	v_cndmask_b32_e32 v13, v14, v15, vcc
	v_lshlrev_b32_e32 v14, 16, v6
	v_mov_b32_e32 v15, 0x3b800000
	v_lshlrev_b32_e32 v12, 20, v12
	v_and_b32_e32 v14, 0x80000000, v14
	v_lshl_add_u32 v13, v13, 23, v15
	v_or3_b32 v12, v14, v13, v12
.LBB2_6284:
	s_or_b64 exec, exec, s[6:7]
	v_lshrrev_b32_e32 v13, 8, v2
	s_movk_i32 s4, 0x7f
	v_cmp_gt_i16_sdwa s[6:7], v13, s4 src0_sel:BYTE_0 src1_sel:DWORD
	s_mov_b64 s[4:5], 0
                                        ; implicit-def: $sgpr10
	s_and_saveexec_b64 s[8:9], s[6:7]
	s_xor_b64 s[6:7], exec, s[8:9]
	s_cbranch_execz .LBB2_6285
; %bb.42125:
	s_getpc_b64 s[14:15]
.Lpost_getpc24646:
	s_add_u32 s14, s14, (.LBB2_20621-.Lpost_getpc24646)&4294967295
	s_addc_u32 s15, s15, (.LBB2_20621-.Lpost_getpc24646)>>32
	s_setpc_b64 s[14:15]
.LBB2_6285:
	s_or_saveexec_b64 s[6:7], s[6:7]
	v_mov_b32_e32 v14, s10
	s_xor_b64 exec, exec, s[6:7]
	s_cbranch_execz .LBB2_6286
; %bb.42127:
	s_getpc_b64 s[14:15]
.Lpost_getpc24647:
	s_add_u32 s14, s14, (.LBB2_20624-.Lpost_getpc24647)&4294967295
	s_addc_u32 s15, s15, (.LBB2_20624-.Lpost_getpc24647)>>32
	s_setpc_b64 s[14:15]
.LBB2_6286:
	s_or_b64 exec, exec, s[6:7]
	s_and_saveexec_b64 s[6:7], s[4:5]
	s_cbranch_execz .LBB2_6288
.LBB2_6287:
	v_bfe_u32 v14, v2, 8, 3
	v_ffbh_u32_e32 v16, v14
	v_min_u32_e32 v16, 32, v16
	v_lshrrev_b16_e32 v15, 3, v13
	v_subrev_u32_e32 v17, 28, v16
	v_and_b32_e32 v15, 15, v15
	v_lshlrev_b32_e32 v13, v17, v13
	v_sub_u32_e32 v16, 29, v16
	v_and_b32_e32 v13, 7, v13
	v_cmp_eq_u16_e32 vcc, 0, v15
	v_cndmask_b32_e32 v13, v14, v13, vcc
	v_cndmask_b32_e32 v14, v15, v16, vcc
	v_lshlrev_b32_e32 v15, 16, v2
	v_mov_b32_e32 v16, 0x3b800000
	v_lshlrev_b32_e32 v13, 20, v13
	v_and_b32_e32 v15, 0x80000000, v15
	v_lshl_add_u32 v14, v14, 23, v16
	v_or3_b32 v14, v15, v14, v13
.LBB2_6288:
	s_or_b64 exec, exec, s[6:7]
	s_nop 0
	v_mfma_f32_16x16x4f32 a[0:3], v12, v14, a[0:3]
	s_movk_i32 s4, 0xff
	v_and_b32_sdwa v13, v6, s4 dst_sel:DWORD dst_unused:UNUSED_PAD src0_sel:WORD_1 src1_sel:DWORD
	s_movk_i32 s4, 0x7f
	v_cmp_lt_i16_e32 vcc, s4, v13
	s_mov_b64 s[4:5], 0
                                        ; implicit-def: $sgpr10
	s_and_saveexec_b64 s[6:7], vcc
	s_xor_b64 s[6:7], exec, s[6:7]
	s_cbranch_execz .LBB2_6289
; %bb.42129:
	s_getpc_b64 s[14:15]
.Lpost_getpc24648:
	s_add_u32 s14, s14, (.LBB2_20625-.Lpost_getpc24648)&4294967295
	s_addc_u32 s15, s15, (.LBB2_20625-.Lpost_getpc24648)>>32
	s_setpc_b64 s[14:15]
.LBB2_6289:
	s_or_saveexec_b64 s[6:7], s[6:7]
	v_mov_b32_e32 v12, s10
	s_xor_b64 exec, exec, s[6:7]
	s_cbranch_execz .LBB2_6290
; %bb.42131:
	s_getpc_b64 s[14:15]
.Lpost_getpc24649:
	s_add_u32 s14, s14, (.LBB2_20628-.Lpost_getpc24649)&4294967295
	s_addc_u32 s15, s15, (.LBB2_20628-.Lpost_getpc24649)>>32
	s_setpc_b64 s[14:15]
.LBB2_6290:
	s_or_b64 exec, exec, s[6:7]
	s_and_saveexec_b64 s[6:7], s[4:5]
	s_cbranch_execz .LBB2_6292
.LBB2_6291:
	v_bfe_u32 v12, v6, 16, 3
	v_ffbh_u32_e32 v15, v12
	v_min_u32_e32 v15, 32, v15
	v_lshrrev_b32_e32 v13, 19, v6
	v_subrev_u32_e32 v16, 28, v15
	v_and_b32_e32 v13, 15, v13
	v_lshlrev_b32_sdwa v16, v16, v6 dst_sel:DWORD dst_unused:UNUSED_PAD src0_sel:DWORD src1_sel:WORD_1
	v_bfe_u32 v14, v6, 19, 4
	v_sub_u32_e32 v15, 29, v15
	v_and_b32_e32 v16, 7, v16
	v_cmp_eq_u16_e32 vcc, 0, v13
	v_cndmask_b32_e32 v12, v12, v16, vcc
	v_cndmask_b32_e32 v13, v14, v15, vcc
	v_lshlrev_b32_e32 v14, 8, v6
	v_mov_b32_e32 v15, 0x3b800000
	v_lshlrev_b32_e32 v12, 20, v12
	v_and_b32_e32 v14, 0x80000000, v14
	v_lshl_add_u32 v13, v13, 23, v15
	v_or3_b32 v12, v14, v13, v12
.LBB2_6292:
	s_or_b64 exec, exec, s[6:7]
	s_movk_i32 s4, 0xff
	v_and_b32_sdwa v13, v2, s4 dst_sel:DWORD dst_unused:UNUSED_PAD src0_sel:WORD_1 src1_sel:DWORD
	s_movk_i32 s4, 0x7f
	v_cmp_lt_i16_e32 vcc, s4, v13
	s_mov_b64 s[4:5], 0
                                        ; implicit-def: $sgpr10
	s_and_saveexec_b64 s[6:7], vcc
	s_xor_b64 s[6:7], exec, s[6:7]
	s_cbranch_execz .LBB2_6293
; %bb.42133:
	s_getpc_b64 s[14:15]
.Lpost_getpc24650:
	s_add_u32 s14, s14, (.LBB2_20629-.Lpost_getpc24650)&4294967295
	s_addc_u32 s15, s15, (.LBB2_20629-.Lpost_getpc24650)>>32
	s_setpc_b64 s[14:15]
.LBB2_6293:
	s_or_saveexec_b64 s[6:7], s[6:7]
	v_mov_b32_e32 v14, s10
	s_xor_b64 exec, exec, s[6:7]
	s_cbranch_execz .LBB2_6294
; %bb.42135:
	s_getpc_b64 s[14:15]
.Lpost_getpc24651:
	s_add_u32 s14, s14, (.LBB2_20632-.Lpost_getpc24651)&4294967295
	s_addc_u32 s15, s15, (.LBB2_20632-.Lpost_getpc24651)>>32
	s_setpc_b64 s[14:15]
.LBB2_6294:
	s_or_b64 exec, exec, s[6:7]
	s_and_saveexec_b64 s[6:7], s[4:5]
	s_cbranch_execz .LBB2_6296
.LBB2_6295:
	v_bfe_u32 v13, v2, 16, 3
	v_ffbh_u32_e32 v16, v13
	v_min_u32_e32 v16, 32, v16
	v_lshrrev_b32_e32 v14, 19, v2
	v_subrev_u32_e32 v17, 28, v16
	v_and_b32_e32 v14, 15, v14
	v_lshlrev_b32_sdwa v17, v17, v2 dst_sel:DWORD dst_unused:UNUSED_PAD src0_sel:DWORD src1_sel:WORD_1
	v_bfe_u32 v15, v2, 19, 4
	v_sub_u32_e32 v16, 29, v16
	v_and_b32_e32 v17, 7, v17
	v_cmp_eq_u16_e32 vcc, 0, v14
	v_cndmask_b32_e32 v13, v13, v17, vcc
	v_cndmask_b32_e32 v14, v15, v16, vcc
	v_lshlrev_b32_e32 v15, 8, v2
	v_mov_b32_e32 v16, 0x3b800000
	v_lshlrev_b32_e32 v13, 20, v13
	v_and_b32_e32 v15, 0x80000000, v15
	v_lshl_add_u32 v14, v14, 23, v16
	v_or3_b32 v14, v15, v14, v13
.LBB2_6296:
	s_or_b64 exec, exec, s[6:7]
	s_nop 0
	v_mfma_f32_16x16x4f32 a[0:3], v12, v14, a[0:3]
	s_movk_i32 s4, 0x7f
	v_cmp_gt_i16_sdwa s[6:7], v6, s4 src0_sel:BYTE_3 src1_sel:DWORD
	s_mov_b64 s[4:5], 0
                                        ; implicit-def: $sgpr10
	s_and_saveexec_b64 s[8:9], s[6:7]
	s_xor_b64 s[6:7], exec, s[8:9]
	s_cbranch_execz .LBB2_6297
; %bb.42137:
	s_getpc_b64 s[14:15]
.Lpost_getpc24652:
	s_add_u32 s14, s14, (.LBB2_20633-.Lpost_getpc24652)&4294967295
	s_addc_u32 s15, s15, (.LBB2_20633-.Lpost_getpc24652)>>32
	s_setpc_b64 s[14:15]
.LBB2_6297:
	s_or_saveexec_b64 s[6:7], s[6:7]
	v_mov_b32_e32 v12, s10
	s_xor_b64 exec, exec, s[6:7]
	s_cbranch_execz .LBB2_6298
; %bb.42139:
	s_getpc_b64 s[14:15]
.Lpost_getpc24653:
	s_add_u32 s14, s14, (.LBB2_20636-.Lpost_getpc24653)&4294967295
	s_addc_u32 s15, s15, (.LBB2_20636-.Lpost_getpc24653)>>32
	s_setpc_b64 s[14:15]
.LBB2_6298:
	s_or_b64 exec, exec, s[6:7]
	s_and_saveexec_b64 s[6:7], s[4:5]
	s_cbranch_execz .LBB2_6300
.LBB2_6299:
	v_bfe_u32 v12, v6, 24, 3
	v_ffbh_u32_e32 v16, v12
	v_min_u32_e32 v16, 32, v16
	v_lshrrev_b32_e32 v14, 27, v6
	v_subrev_u32_e32 v17, 28, v16
	v_and_b32_e32 v13, 0x80000000, v6
	v_and_b32_e32 v14, 15, v14
	v_bfe_u32 v15, v6, 27, 4
	v_lshlrev_b32_sdwa v6, v17, v6 dst_sel:DWORD dst_unused:UNUSED_PAD src0_sel:DWORD src1_sel:BYTE_3
	v_sub_u32_e32 v16, 29, v16
	v_and_b32_e32 v6, 7, v6
	v_cmp_eq_u16_e32 vcc, 0, v14
	v_cndmask_b32_e32 v6, v12, v6, vcc
	v_cndmask_b32_e32 v12, v15, v16, vcc
	v_mov_b32_e32 v14, 0x3b800000
	v_lshlrev_b32_e32 v6, 20, v6
	v_lshl_add_u32 v12, v12, 23, v14
	v_or3_b32 v12, v13, v12, v6
.LBB2_6300:
	s_or_b64 exec, exec, s[6:7]
	s_movk_i32 s4, 0x7f
	v_cmp_gt_i16_sdwa s[6:7], v2, s4 src0_sel:BYTE_3 src1_sel:DWORD
	s_mov_b64 s[4:5], 0
                                        ; implicit-def: $sgpr10
	s_and_saveexec_b64 s[8:9], s[6:7]
	s_xor_b64 s[6:7], exec, s[8:9]
	s_cbranch_execz .LBB2_6301
; %bb.42141:
	s_getpc_b64 s[14:15]
.Lpost_getpc24654:
	s_add_u32 s14, s14, (.LBB2_20637-.Lpost_getpc24654)&4294967295
	s_addc_u32 s15, s15, (.LBB2_20637-.Lpost_getpc24654)>>32
	s_setpc_b64 s[14:15]
.LBB2_6301:
	s_or_saveexec_b64 s[6:7], s[6:7]
	v_mov_b32_e32 v6, s10
	s_xor_b64 exec, exec, s[6:7]
	s_cbranch_execz .LBB2_6302
; %bb.42143:
	s_getpc_b64 s[14:15]
.Lpost_getpc24655:
	s_add_u32 s14, s14, (.LBB2_20640-.Lpost_getpc24655)&4294967295
	s_addc_u32 s15, s15, (.LBB2_20640-.Lpost_getpc24655)>>32
	s_setpc_b64 s[14:15]
.LBB2_6302:
	s_or_b64 exec, exec, s[6:7]
	s_and_saveexec_b64 s[6:7], s[4:5]
	s_cbranch_execz .LBB2_6304
.LBB2_6303:
	v_bfe_u32 v6, v2, 24, 3
	v_ffbh_u32_e32 v16, v6
	v_min_u32_e32 v16, 32, v16
	v_lshrrev_b32_e32 v14, 27, v2
	v_subrev_u32_e32 v17, 28, v16
	v_and_b32_e32 v13, 0x80000000, v2
	v_and_b32_e32 v14, 15, v14
	v_bfe_u32 v15, v2, 27, 4
	v_lshlrev_b32_sdwa v2, v17, v2 dst_sel:DWORD dst_unused:UNUSED_PAD src0_sel:DWORD src1_sel:BYTE_3
	v_sub_u32_e32 v16, 29, v16
	v_and_b32_e32 v2, 7, v2
	v_cmp_eq_u16_e32 vcc, 0, v14
	v_cndmask_b32_e32 v2, v6, v2, vcc
	v_cndmask_b32_e32 v6, v15, v16, vcc
	v_mov_b32_e32 v14, 0x3b800000
	v_lshlrev_b32_e32 v2, 20, v2
	v_lshl_add_u32 v6, v6, 23, v14
	v_or3_b32 v6, v13, v6, v2
.LBB2_6304:
	s_or_b64 exec, exec, s[6:7]
	s_nop 0
	v_mfma_f32_16x16x4f32 a[0:3], v12, v6, a[0:3]
	s_movk_i32 s4, 0x7f
	v_cmp_gt_i16_sdwa s[6:7], v7, s4 src0_sel:BYTE_0 src1_sel:DWORD
	s_mov_b64 s[4:5], 0
                                        ; implicit-def: $sgpr10
	s_and_saveexec_b64 s[8:9], s[6:7]
	s_xor_b64 s[6:7], exec, s[8:9]
	s_cbranch_execz .LBB2_6305
; %bb.42145:
	s_getpc_b64 s[14:15]
.Lpost_getpc24656:
	s_add_u32 s14, s14, (.LBB2_20641-.Lpost_getpc24656)&4294967295
	s_addc_u32 s15, s15, (.LBB2_20641-.Lpost_getpc24656)>>32
	s_setpc_b64 s[14:15]
.LBB2_6305:
	s_or_saveexec_b64 s[6:7], s[6:7]
	v_mov_b32_e32 v2, s10
	s_xor_b64 exec, exec, s[6:7]
	s_cbranch_execz .LBB2_6306
; %bb.42147:
	s_getpc_b64 s[14:15]
.Lpost_getpc24657:
	s_add_u32 s14, s14, (.LBB2_20644-.Lpost_getpc24657)&4294967295
	s_addc_u32 s15, s15, (.LBB2_20644-.Lpost_getpc24657)>>32
	s_setpc_b64 s[14:15]
.LBB2_6306:
	s_or_b64 exec, exec, s[6:7]
	s_and_saveexec_b64 s[6:7], s[4:5]
	s_cbranch_execz .LBB2_6308
.LBB2_6307:
	v_and_b32_e32 v2, 7, v7
	v_ffbh_u32_e32 v12, v2
	v_min_u32_e32 v12, 32, v12
	v_lshrrev_b16_e32 v6, 3, v7
	v_subrev_u32_e32 v13, 28, v12
	v_and_b32_e32 v6, 15, v6
	v_lshlrev_b32_e32 v13, v13, v7
	v_sub_u32_e32 v12, 29, v12
	v_and_b32_e32 v13, 7, v13
	v_cmp_eq_u16_e32 vcc, 0, v6
	v_cndmask_b32_e32 v2, v2, v13, vcc
	v_cndmask_b32_e32 v6, v6, v12, vcc
	v_lshlrev_b32_e32 v12, 24, v7
	v_mov_b32_e32 v13, 0x3b800000
	v_lshlrev_b32_e32 v2, 20, v2
	v_and_b32_e32 v12, 0x80000000, v12
	v_lshl_add_u32 v6, v6, 23, v13
	v_or3_b32 v2, v12, v6, v2
.LBB2_6308:
	s_or_b64 exec, exec, s[6:7]
	s_movk_i32 s4, 0x7f
	v_cmp_gt_i16_sdwa s[6:7], v3, s4 src0_sel:BYTE_0 src1_sel:DWORD
	s_mov_b64 s[4:5], 0
                                        ; implicit-def: $sgpr10
	s_and_saveexec_b64 s[8:9], s[6:7]
	s_xor_b64 s[6:7], exec, s[8:9]
	s_cbranch_execz .LBB2_6309
; %bb.42149:
	s_getpc_b64 s[14:15]
.Lpost_getpc24658:
	s_add_u32 s14, s14, (.LBB2_20645-.Lpost_getpc24658)&4294967295
	s_addc_u32 s15, s15, (.LBB2_20645-.Lpost_getpc24658)>>32
	s_setpc_b64 s[14:15]
.LBB2_6309:
	s_or_saveexec_b64 s[6:7], s[6:7]
	v_mov_b32_e32 v6, s10
	s_xor_b64 exec, exec, s[6:7]
	s_cbranch_execz .LBB2_6310
; %bb.42151:
	s_getpc_b64 s[14:15]
.Lpost_getpc24659:
	s_add_u32 s14, s14, (.LBB2_20648-.Lpost_getpc24659)&4294967295
	s_addc_u32 s15, s15, (.LBB2_20648-.Lpost_getpc24659)>>32
	s_setpc_b64 s[14:15]
.LBB2_6310:
	s_or_b64 exec, exec, s[6:7]
	s_and_saveexec_b64 s[6:7], s[4:5]
	s_cbranch_execz .LBB2_6312
.LBB2_6311:
	v_and_b32_e32 v6, 7, v3
	v_ffbh_u32_e32 v13, v6
	v_min_u32_e32 v13, 32, v13
	v_lshrrev_b16_e32 v12, 3, v3
	v_subrev_u32_e32 v14, 28, v13
	v_and_b32_e32 v12, 15, v12
	v_lshlrev_b32_e32 v14, v14, v3
	v_sub_u32_e32 v13, 29, v13
	v_and_b32_e32 v14, 7, v14
	v_cmp_eq_u16_e32 vcc, 0, v12
	v_cndmask_b32_e32 v6, v6, v14, vcc
	v_cndmask_b32_e32 v12, v12, v13, vcc
	v_lshlrev_b32_e32 v13, 24, v3
	v_mov_b32_e32 v14, 0x3b800000
	v_lshlrev_b32_e32 v6, 20, v6
	v_and_b32_e32 v13, 0x80000000, v13
	v_lshl_add_u32 v12, v12, 23, v14
	v_or3_b32 v6, v13, v12, v6
.LBB2_6312:
	s_or_b64 exec, exec, s[6:7]
	s_nop 0
	v_mfma_f32_16x16x4f32 a[0:3], v2, v6, a[0:3]
	v_lshrrev_b32_e32 v6, 8, v7
	s_movk_i32 s4, 0x7f
	v_cmp_gt_i16_sdwa s[6:7], v6, s4 src0_sel:BYTE_0 src1_sel:DWORD
	s_mov_b64 s[4:5], 0
                                        ; implicit-def: $sgpr10
	s_and_saveexec_b64 s[8:9], s[6:7]
	s_xor_b64 s[6:7], exec, s[8:9]
	s_cbranch_execz .LBB2_6313
; %bb.42153:
	s_getpc_b64 s[14:15]
.Lpost_getpc24660:
	s_add_u32 s14, s14, (.LBB2_20649-.Lpost_getpc24660)&4294967295
	s_addc_u32 s15, s15, (.LBB2_20649-.Lpost_getpc24660)>>32
	s_setpc_b64 s[14:15]
.LBB2_6313:
	s_or_saveexec_b64 s[6:7], s[6:7]
	v_mov_b32_e32 v2, s10
	s_xor_b64 exec, exec, s[6:7]
	s_cbranch_execz .LBB2_6314
; %bb.42155:
	s_getpc_b64 s[14:15]
.Lpost_getpc24661:
	s_add_u32 s14, s14, (.LBB2_20652-.Lpost_getpc24661)&4294967295
	s_addc_u32 s15, s15, (.LBB2_20652-.Lpost_getpc24661)>>32
	s_setpc_b64 s[14:15]
.LBB2_6314:
	s_or_b64 exec, exec, s[6:7]
	s_and_saveexec_b64 s[6:7], s[4:5]
	s_cbranch_execz .LBB2_6316
.LBB2_6315:
	v_bfe_u32 v2, v7, 8, 3
	v_ffbh_u32_e32 v13, v2
	v_min_u32_e32 v13, 32, v13
	v_lshrrev_b16_e32 v12, 3, v6
	v_subrev_u32_e32 v14, 28, v13
	v_and_b32_e32 v12, 15, v12
	v_lshlrev_b32_e32 v6, v14, v6
	v_sub_u32_e32 v13, 29, v13
	v_and_b32_e32 v6, 7, v6
	v_cmp_eq_u16_e32 vcc, 0, v12
	v_cndmask_b32_e32 v2, v2, v6, vcc
	v_cndmask_b32_e32 v6, v12, v13, vcc
	v_lshlrev_b32_e32 v12, 16, v7
	v_mov_b32_e32 v13, 0x3b800000
	v_lshlrev_b32_e32 v2, 20, v2
	v_and_b32_e32 v12, 0x80000000, v12
	v_lshl_add_u32 v6, v6, 23, v13
	v_or3_b32 v2, v12, v6, v2
.LBB2_6316:
	s_or_b64 exec, exec, s[6:7]
	v_lshrrev_b32_e32 v6, 8, v3
	s_movk_i32 s4, 0x7f
	v_cmp_gt_i16_sdwa s[6:7], v6, s4 src0_sel:BYTE_0 src1_sel:DWORD
	s_mov_b64 s[4:5], 0
                                        ; implicit-def: $sgpr10
	s_and_saveexec_b64 s[8:9], s[6:7]
	s_xor_b64 s[6:7], exec, s[8:9]
	s_cbranch_execz .LBB2_6317
; %bb.42157:
	s_getpc_b64 s[14:15]
.Lpost_getpc24662:
	s_add_u32 s14, s14, (.LBB2_20653-.Lpost_getpc24662)&4294967295
	s_addc_u32 s15, s15, (.LBB2_20653-.Lpost_getpc24662)>>32
	s_setpc_b64 s[14:15]
.LBB2_6317:
	s_or_saveexec_b64 s[6:7], s[6:7]
	v_mov_b32_e32 v12, s10
	s_xor_b64 exec, exec, s[6:7]
	s_cbranch_execz .LBB2_6318
; %bb.42159:
	s_getpc_b64 s[14:15]
.Lpost_getpc24663:
	s_add_u32 s14, s14, (.LBB2_20656-.Lpost_getpc24663)&4294967295
	s_addc_u32 s15, s15, (.LBB2_20656-.Lpost_getpc24663)>>32
	s_setpc_b64 s[14:15]
.LBB2_6318:
	s_or_b64 exec, exec, s[6:7]
	s_and_saveexec_b64 s[6:7], s[4:5]
	s_cbranch_execz .LBB2_6320
.LBB2_6319:
	v_bfe_u32 v12, v3, 8, 3
	v_ffbh_u32_e32 v14, v12
	v_min_u32_e32 v14, 32, v14
	v_lshrrev_b16_e32 v13, 3, v6
	v_subrev_u32_e32 v15, 28, v14
	v_and_b32_e32 v13, 15, v13
	v_lshlrev_b32_e32 v6, v15, v6
	v_sub_u32_e32 v14, 29, v14
	v_and_b32_e32 v6, 7, v6
	v_cmp_eq_u16_e32 vcc, 0, v13
	v_cndmask_b32_e32 v6, v12, v6, vcc
	v_cndmask_b32_e32 v12, v13, v14, vcc
	v_lshlrev_b32_e32 v13, 16, v3
	v_mov_b32_e32 v14, 0x3b800000
	v_lshlrev_b32_e32 v6, 20, v6
	v_and_b32_e32 v13, 0x80000000, v13
	v_lshl_add_u32 v12, v12, 23, v14
	v_or3_b32 v12, v13, v12, v6
.LBB2_6320:
	s_or_b64 exec, exec, s[6:7]
	s_nop 0
	v_mfma_f32_16x16x4f32 a[0:3], v2, v12, a[0:3]
	s_movk_i32 s4, 0xff
	v_and_b32_sdwa v6, v7, s4 dst_sel:DWORD dst_unused:UNUSED_PAD src0_sel:WORD_1 src1_sel:DWORD
	s_movk_i32 s4, 0x7f
	v_cmp_lt_i16_e32 vcc, s4, v6
	s_mov_b64 s[4:5], 0
                                        ; implicit-def: $sgpr10
	s_and_saveexec_b64 s[6:7], vcc
	s_xor_b64 s[6:7], exec, s[6:7]
	s_cbranch_execz .LBB2_6321
; %bb.42161:
	s_getpc_b64 s[14:15]
.Lpost_getpc24664:
	s_add_u32 s14, s14, (.LBB2_20657-.Lpost_getpc24664)&4294967295
	s_addc_u32 s15, s15, (.LBB2_20657-.Lpost_getpc24664)>>32
	s_setpc_b64 s[14:15]
.LBB2_6321:
	s_or_saveexec_b64 s[6:7], s[6:7]
	v_mov_b32_e32 v2, s10
	s_xor_b64 exec, exec, s[6:7]
	s_cbranch_execz .LBB2_6322
; %bb.42163:
	s_getpc_b64 s[14:15]
.Lpost_getpc24665:
	s_add_u32 s14, s14, (.LBB2_20660-.Lpost_getpc24665)&4294967295
	s_addc_u32 s15, s15, (.LBB2_20660-.Lpost_getpc24665)>>32
	s_setpc_b64 s[14:15]
.LBB2_6322:
	s_or_b64 exec, exec, s[6:7]
	s_and_saveexec_b64 s[6:7], s[4:5]
	s_cbranch_execz .LBB2_6324
.LBB2_6323:
	v_bfe_u32 v2, v7, 16, 3
	v_ffbh_u32_e32 v13, v2
	v_min_u32_e32 v13, 32, v13
	v_lshrrev_b32_e32 v6, 19, v7
	v_subrev_u32_e32 v14, 28, v13
	v_and_b32_e32 v6, 15, v6
	v_lshlrev_b32_sdwa v14, v14, v7 dst_sel:DWORD dst_unused:UNUSED_PAD src0_sel:DWORD src1_sel:WORD_1
	v_bfe_u32 v12, v7, 19, 4
	v_sub_u32_e32 v13, 29, v13
	v_and_b32_e32 v14, 7, v14
	v_cmp_eq_u16_e32 vcc, 0, v6
	v_cndmask_b32_e32 v2, v2, v14, vcc
	v_cndmask_b32_e32 v6, v12, v13, vcc
	v_lshlrev_b32_e32 v12, 8, v7
	v_mov_b32_e32 v13, 0x3b800000
	v_lshlrev_b32_e32 v2, 20, v2
	v_and_b32_e32 v12, 0x80000000, v12
	v_lshl_add_u32 v6, v6, 23, v13
	v_or3_b32 v2, v12, v6, v2
.LBB2_6324:
	s_or_b64 exec, exec, s[6:7]
	s_movk_i32 s4, 0xff
	v_and_b32_sdwa v6, v3, s4 dst_sel:DWORD dst_unused:UNUSED_PAD src0_sel:WORD_1 src1_sel:DWORD
	s_movk_i32 s4, 0x7f
	v_cmp_lt_i16_e32 vcc, s4, v6
	s_mov_b64 s[4:5], 0
                                        ; implicit-def: $sgpr10
	s_and_saveexec_b64 s[6:7], vcc
	s_xor_b64 s[6:7], exec, s[6:7]
	s_cbranch_execz .LBB2_6325
; %bb.42165:
	s_getpc_b64 s[14:15]
.Lpost_getpc24666:
	s_add_u32 s14, s14, (.LBB2_20661-.Lpost_getpc24666)&4294967295
	s_addc_u32 s15, s15, (.LBB2_20661-.Lpost_getpc24666)>>32
	s_setpc_b64 s[14:15]
.LBB2_6325:
	s_or_saveexec_b64 s[6:7], s[6:7]
	v_mov_b32_e32 v12, s10
	s_xor_b64 exec, exec, s[6:7]
	s_cbranch_execz .LBB2_6326
; %bb.42167:
	s_getpc_b64 s[14:15]
.Lpost_getpc24667:
	s_add_u32 s14, s14, (.LBB2_20664-.Lpost_getpc24667)&4294967295
	s_addc_u32 s15, s15, (.LBB2_20664-.Lpost_getpc24667)>>32
	s_setpc_b64 s[14:15]
.LBB2_6326:
	s_or_b64 exec, exec, s[6:7]
	s_and_saveexec_b64 s[6:7], s[4:5]
	s_cbranch_execz .LBB2_6328
.LBB2_6327:
	v_bfe_u32 v6, v3, 16, 3
	v_ffbh_u32_e32 v14, v6
	v_min_u32_e32 v14, 32, v14
	v_lshrrev_b32_e32 v12, 19, v3
	v_subrev_u32_e32 v15, 28, v14
	v_and_b32_e32 v12, 15, v12
	v_lshlrev_b32_sdwa v15, v15, v3 dst_sel:DWORD dst_unused:UNUSED_PAD src0_sel:DWORD src1_sel:WORD_1
	v_bfe_u32 v13, v3, 19, 4
	v_sub_u32_e32 v14, 29, v14
	v_and_b32_e32 v15, 7, v15
	v_cmp_eq_u16_e32 vcc, 0, v12
	v_cndmask_b32_e32 v6, v6, v15, vcc
	v_cndmask_b32_e32 v12, v13, v14, vcc
	v_lshlrev_b32_e32 v13, 8, v3
	v_mov_b32_e32 v14, 0x3b800000
	v_lshlrev_b32_e32 v6, 20, v6
	v_and_b32_e32 v13, 0x80000000, v13
	v_lshl_add_u32 v12, v12, 23, v14
	v_or3_b32 v12, v13, v12, v6
.LBB2_6328:
	s_or_b64 exec, exec, s[6:7]
	s_nop 0
	v_mfma_f32_16x16x4f32 a[0:3], v2, v12, a[0:3]
	s_movk_i32 s4, 0x7f
	v_cmp_gt_i16_sdwa s[6:7], v7, s4 src0_sel:BYTE_3 src1_sel:DWORD
	s_mov_b64 s[4:5], 0
                                        ; implicit-def: $sgpr10
	s_and_saveexec_b64 s[8:9], s[6:7]
	s_xor_b64 s[6:7], exec, s[8:9]
	s_cbranch_execz .LBB2_6329
; %bb.42169:
	s_getpc_b64 s[14:15]
.Lpost_getpc24668:
	s_add_u32 s14, s14, (.LBB2_20665-.Lpost_getpc24668)&4294967295
	s_addc_u32 s15, s15, (.LBB2_20665-.Lpost_getpc24668)>>32
	s_setpc_b64 s[14:15]
.LBB2_6329:
	s_or_saveexec_b64 s[6:7], s[6:7]
	v_mov_b32_e32 v2, s10
	s_xor_b64 exec, exec, s[6:7]
	s_cbranch_execz .LBB2_6330
; %bb.42171:
	s_getpc_b64 s[14:15]
.Lpost_getpc24669:
	s_add_u32 s14, s14, (.LBB2_20668-.Lpost_getpc24669)&4294967295
	s_addc_u32 s15, s15, (.LBB2_20668-.Lpost_getpc24669)>>32
	s_setpc_b64 s[14:15]
.LBB2_6330:
	s_or_b64 exec, exec, s[6:7]
	s_and_saveexec_b64 s[6:7], s[4:5]
	s_cbranch_execz .LBB2_6332
.LBB2_6331:
	v_bfe_u32 v2, v7, 24, 3
	v_ffbh_u32_e32 v14, v2
	v_min_u32_e32 v14, 32, v14
	v_lshrrev_b32_e32 v12, 27, v7
	v_subrev_u32_e32 v15, 28, v14
	v_and_b32_e32 v6, 0x80000000, v7
	v_and_b32_e32 v12, 15, v12
	v_bfe_u32 v13, v7, 27, 4
	v_lshlrev_b32_sdwa v7, v15, v7 dst_sel:DWORD dst_unused:UNUSED_PAD src0_sel:DWORD src1_sel:BYTE_3
	v_sub_u32_e32 v14, 29, v14
	v_and_b32_e32 v7, 7, v7
	v_cmp_eq_u16_e32 vcc, 0, v12
	v_cndmask_b32_e32 v2, v2, v7, vcc
	v_cndmask_b32_e32 v7, v13, v14, vcc
	v_mov_b32_e32 v12, 0x3b800000
	v_lshlrev_b32_e32 v2, 20, v2
	v_lshl_add_u32 v7, v7, 23, v12
	v_or3_b32 v2, v6, v7, v2
.LBB2_6332:
	s_or_b64 exec, exec, s[6:7]
	s_movk_i32 s4, 0x7f
	v_cmp_gt_i16_sdwa s[6:7], v3, s4 src0_sel:BYTE_3 src1_sel:DWORD
	s_mov_b64 s[4:5], 0
                                        ; implicit-def: $sgpr10
	s_and_saveexec_b64 s[8:9], s[6:7]
	s_xor_b64 s[6:7], exec, s[8:9]
	s_cbranch_execz .LBB2_6333
; %bb.42173:
	s_getpc_b64 s[14:15]
.Lpost_getpc24670:
	s_add_u32 s14, s14, (.LBB2_20669-.Lpost_getpc24670)&4294967295
	s_addc_u32 s15, s15, (.LBB2_20669-.Lpost_getpc24670)>>32
	s_setpc_b64 s[14:15]
.LBB2_6333:
	s_or_saveexec_b64 s[6:7], s[6:7]
	v_mov_b32_e32 v6, s10
	s_xor_b64 exec, exec, s[6:7]
	s_cbranch_execz .LBB2_6334
; %bb.42175:
	s_getpc_b64 s[14:15]
.Lpost_getpc24671:
	s_add_u32 s14, s14, (.LBB2_20672-.Lpost_getpc24671)&4294967295
	s_addc_u32 s15, s15, (.LBB2_20672-.Lpost_getpc24671)>>32
	s_setpc_b64 s[14:15]
.LBB2_6334:
	s_or_b64 exec, exec, s[6:7]
	s_and_saveexec_b64 s[6:7], s[4:5]
	s_cbranch_execz .LBB2_6336
.LBB2_6335:
	v_bfe_u32 v6, v3, 24, 3
	v_ffbh_u32_e32 v14, v6
	v_min_u32_e32 v14, 32, v14
	v_lshrrev_b32_e32 v12, 27, v3
	v_subrev_u32_e32 v15, 28, v14
	v_and_b32_e32 v7, 0x80000000, v3
	v_and_b32_e32 v12, 15, v12
	v_bfe_u32 v13, v3, 27, 4
	v_lshlrev_b32_sdwa v3, v15, v3 dst_sel:DWORD dst_unused:UNUSED_PAD src0_sel:DWORD src1_sel:BYTE_3
	v_sub_u32_e32 v14, 29, v14
	v_and_b32_e32 v3, 7, v3
	v_cmp_eq_u16_e32 vcc, 0, v12
	v_cndmask_b32_e32 v3, v6, v3, vcc
	v_cndmask_b32_e32 v6, v13, v14, vcc
	v_mov_b32_e32 v12, 0x3b800000
	v_lshlrev_b32_e32 v3, 20, v3
	v_lshl_add_u32 v6, v6, 23, v12
	v_or3_b32 v6, v7, v6, v3
.LBB2_6336:
	s_or_b64 exec, exec, s[6:7]
	s_nop 0
	v_mfma_f32_16x16x4f32 a[0:3], v2, v6, a[0:3]
	s_movk_i32 s4, 0x7f
	v_cmp_gt_i16_sdwa s[6:7], v8, s4 src0_sel:BYTE_0 src1_sel:DWORD
	s_mov_b64 s[4:5], 0
                                        ; implicit-def: $sgpr10
	s_and_saveexec_b64 s[8:9], s[6:7]
	s_xor_b64 s[6:7], exec, s[8:9]
	s_cbranch_execz .LBB2_6337
; %bb.42177:
	s_getpc_b64 s[14:15]
.Lpost_getpc24672:
	s_add_u32 s14, s14, (.LBB2_20673-.Lpost_getpc24672)&4294967295
	s_addc_u32 s15, s15, (.LBB2_20673-.Lpost_getpc24672)>>32
	s_setpc_b64 s[14:15]
.LBB2_6337:
	s_or_saveexec_b64 s[6:7], s[6:7]
	v_mov_b32_e32 v2, s10
	s_xor_b64 exec, exec, s[6:7]
	s_cbranch_execz .LBB2_6338
; %bb.42179:
	s_getpc_b64 s[14:15]
.Lpost_getpc24673:
	s_add_u32 s14, s14, (.LBB2_20676-.Lpost_getpc24673)&4294967295
	s_addc_u32 s15, s15, (.LBB2_20676-.Lpost_getpc24673)>>32
	s_setpc_b64 s[14:15]
.LBB2_6338:
	s_or_b64 exec, exec, s[6:7]
	s_and_saveexec_b64 s[6:7], s[4:5]
	s_cbranch_execz .LBB2_6340
.LBB2_6339:
	v_and_b32_e32 v2, 7, v8
	v_ffbh_u32_e32 v6, v2
	v_min_u32_e32 v6, 32, v6
	v_lshrrev_b16_e32 v3, 3, v8
	v_subrev_u32_e32 v7, 28, v6
	v_and_b32_e32 v3, 15, v3
	v_lshlrev_b32_e32 v7, v7, v8
	v_sub_u32_e32 v6, 29, v6
	v_and_b32_e32 v7, 7, v7
	v_cmp_eq_u16_e32 vcc, 0, v3
	v_cndmask_b32_e32 v2, v2, v7, vcc
	v_cndmask_b32_e32 v3, v3, v6, vcc
	v_lshlrev_b32_e32 v6, 24, v8
	v_mov_b32_e32 v7, 0x3b800000
	v_lshlrev_b32_e32 v2, 20, v2
	v_and_b32_e32 v6, 0x80000000, v6
	v_lshl_add_u32 v3, v3, 23, v7
	v_or3_b32 v2, v6, v3, v2
.LBB2_6340:
	s_or_b64 exec, exec, s[6:7]
	s_movk_i32 s4, 0x7f
	v_cmp_gt_i16_sdwa s[6:7], v4, s4 src0_sel:BYTE_0 src1_sel:DWORD
	s_mov_b64 s[4:5], 0
                                        ; implicit-def: $sgpr10
	s_and_saveexec_b64 s[8:9], s[6:7]
	s_xor_b64 s[6:7], exec, s[8:9]
	s_cbranch_execz .LBB2_6341
; %bb.42181:
	s_getpc_b64 s[14:15]
.Lpost_getpc24674:
	s_add_u32 s14, s14, (.LBB2_20677-.Lpost_getpc24674)&4294967295
	s_addc_u32 s15, s15, (.LBB2_20677-.Lpost_getpc24674)>>32
	s_setpc_b64 s[14:15]
.LBB2_6341:
	s_or_saveexec_b64 s[6:7], s[6:7]
	v_mov_b32_e32 v3, s10
	s_xor_b64 exec, exec, s[6:7]
	s_cbranch_execz .LBB2_6342
; %bb.42183:
	s_getpc_b64 s[14:15]
.Lpost_getpc24675:
	s_add_u32 s14, s14, (.LBB2_20680-.Lpost_getpc24675)&4294967295
	s_addc_u32 s15, s15, (.LBB2_20680-.Lpost_getpc24675)>>32
	s_setpc_b64 s[14:15]
.LBB2_6342:
	s_or_b64 exec, exec, s[6:7]
	s_and_saveexec_b64 s[6:7], s[4:5]
	s_cbranch_execz .LBB2_6344
.LBB2_6343:
	v_and_b32_e32 v3, 7, v4
	v_ffbh_u32_e32 v7, v3
	v_min_u32_e32 v7, 32, v7
	v_lshrrev_b16_e32 v6, 3, v4
	v_subrev_u32_e32 v12, 28, v7
	v_and_b32_e32 v6, 15, v6
	v_lshlrev_b32_e32 v12, v12, v4
	v_sub_u32_e32 v7, 29, v7
	v_and_b32_e32 v12, 7, v12
	v_cmp_eq_u16_e32 vcc, 0, v6
	v_cndmask_b32_e32 v3, v3, v12, vcc
	v_cndmask_b32_e32 v6, v6, v7, vcc
	v_lshlrev_b32_e32 v7, 24, v4
	v_mov_b32_e32 v12, 0x3b800000
	v_lshlrev_b32_e32 v3, 20, v3
	v_and_b32_e32 v7, 0x80000000, v7
	v_lshl_add_u32 v6, v6, 23, v12
	v_or3_b32 v3, v7, v6, v3
.LBB2_6344:
	s_or_b64 exec, exec, s[6:7]
	s_nop 0
	v_mfma_f32_16x16x4f32 a[0:3], v2, v3, a[0:3]
	v_lshrrev_b32_e32 v3, 8, v8
	s_movk_i32 s4, 0x7f
	v_cmp_gt_i16_sdwa s[6:7], v3, s4 src0_sel:BYTE_0 src1_sel:DWORD
	s_mov_b64 s[4:5], 0
                                        ; implicit-def: $sgpr10
	s_and_saveexec_b64 s[8:9], s[6:7]
	s_xor_b64 s[6:7], exec, s[8:9]
	s_cbranch_execz .LBB2_6345
; %bb.42185:
	s_getpc_b64 s[14:15]
.Lpost_getpc24676:
	s_add_u32 s14, s14, (.LBB2_20681-.Lpost_getpc24676)&4294967295
	s_addc_u32 s15, s15, (.LBB2_20681-.Lpost_getpc24676)>>32
	s_setpc_b64 s[14:15]
.LBB2_6345:
	s_or_saveexec_b64 s[6:7], s[6:7]
	v_mov_b32_e32 v2, s10
	s_xor_b64 exec, exec, s[6:7]
	s_cbranch_execz .LBB2_6346
; %bb.42187:
	s_getpc_b64 s[14:15]
.Lpost_getpc24677:
	s_add_u32 s14, s14, (.LBB2_20684-.Lpost_getpc24677)&4294967295
	s_addc_u32 s15, s15, (.LBB2_20684-.Lpost_getpc24677)>>32
	s_setpc_b64 s[14:15]
.LBB2_6346:
	s_or_b64 exec, exec, s[6:7]
	s_and_saveexec_b64 s[6:7], s[4:5]
	s_cbranch_execz .LBB2_6348
.LBB2_6347:
	v_bfe_u32 v2, v8, 8, 3
	v_ffbh_u32_e32 v7, v2
	v_min_u32_e32 v7, 32, v7
	v_lshrrev_b16_e32 v6, 3, v3
	v_subrev_u32_e32 v12, 28, v7
	v_and_b32_e32 v6, 15, v6
	v_lshlrev_b32_e32 v3, v12, v3
	v_sub_u32_e32 v7, 29, v7
	v_and_b32_e32 v3, 7, v3
	v_cmp_eq_u16_e32 vcc, 0, v6
	v_cndmask_b32_e32 v2, v2, v3, vcc
	v_cndmask_b32_e32 v3, v6, v7, vcc
	v_lshlrev_b32_e32 v6, 16, v8
	v_mov_b32_e32 v7, 0x3b800000
	v_lshlrev_b32_e32 v2, 20, v2
	v_and_b32_e32 v6, 0x80000000, v6
	v_lshl_add_u32 v3, v3, 23, v7
	v_or3_b32 v2, v6, v3, v2
.LBB2_6348:
	s_or_b64 exec, exec, s[6:7]
	v_lshrrev_b32_e32 v3, 8, v4
	s_movk_i32 s4, 0x7f
	v_cmp_gt_i16_sdwa s[6:7], v3, s4 src0_sel:BYTE_0 src1_sel:DWORD
	s_mov_b64 s[4:5], 0
                                        ; implicit-def: $sgpr10
	s_and_saveexec_b64 s[8:9], s[6:7]
	s_xor_b64 s[6:7], exec, s[8:9]
	s_cbranch_execz .LBB2_6349
; %bb.42189:
	s_getpc_b64 s[14:15]
.Lpost_getpc24678:
	s_add_u32 s14, s14, (.LBB2_20685-.Lpost_getpc24678)&4294967295
	s_addc_u32 s15, s15, (.LBB2_20685-.Lpost_getpc24678)>>32
	s_setpc_b64 s[14:15]
.LBB2_6349:
	s_or_saveexec_b64 s[6:7], s[6:7]
	v_mov_b32_e32 v6, s10
	s_xor_b64 exec, exec, s[6:7]
	s_cbranch_execz .LBB2_6350
; %bb.42191:
	s_getpc_b64 s[14:15]
.Lpost_getpc24679:
	s_add_u32 s14, s14, (.LBB2_20688-.Lpost_getpc24679)&4294967295
	s_addc_u32 s15, s15, (.LBB2_20688-.Lpost_getpc24679)>>32
	s_setpc_b64 s[14:15]
.LBB2_6350:
	s_or_b64 exec, exec, s[6:7]
	s_and_saveexec_b64 s[6:7], s[4:5]
	s_cbranch_execz .LBB2_6352
.LBB2_6351:
	v_bfe_u32 v6, v4, 8, 3
	v_ffbh_u32_e32 v12, v6
	v_min_u32_e32 v12, 32, v12
	v_lshrrev_b16_e32 v7, 3, v3
	v_subrev_u32_e32 v13, 28, v12
	v_and_b32_e32 v7, 15, v7
	v_lshlrev_b32_e32 v3, v13, v3
	v_sub_u32_e32 v12, 29, v12
	v_and_b32_e32 v3, 7, v3
	v_cmp_eq_u16_e32 vcc, 0, v7
	v_cndmask_b32_e32 v3, v6, v3, vcc
	v_cndmask_b32_e32 v6, v7, v12, vcc
	v_lshlrev_b32_e32 v7, 16, v4
	v_mov_b32_e32 v12, 0x3b800000
	v_lshlrev_b32_e32 v3, 20, v3
	v_and_b32_e32 v7, 0x80000000, v7
	v_lshl_add_u32 v6, v6, 23, v12
	v_or3_b32 v6, v7, v6, v3
.LBB2_6352:
	s_or_b64 exec, exec, s[6:7]
	s_nop 0
	v_mfma_f32_16x16x4f32 a[0:3], v2, v6, a[0:3]
	s_movk_i32 s4, 0xff
	v_and_b32_sdwa v3, v8, s4 dst_sel:DWORD dst_unused:UNUSED_PAD src0_sel:WORD_1 src1_sel:DWORD
	s_movk_i32 s4, 0x7f
	v_cmp_lt_i16_e32 vcc, s4, v3
	s_mov_b64 s[4:5], 0
                                        ; implicit-def: $sgpr10
	s_and_saveexec_b64 s[6:7], vcc
	s_xor_b64 s[6:7], exec, s[6:7]
	s_cbranch_execz .LBB2_6353
; %bb.42193:
	s_getpc_b64 s[14:15]
.Lpost_getpc24680:
	s_add_u32 s14, s14, (.LBB2_20689-.Lpost_getpc24680)&4294967295
	s_addc_u32 s15, s15, (.LBB2_20689-.Lpost_getpc24680)>>32
	s_setpc_b64 s[14:15]
.LBB2_6353:
	s_or_saveexec_b64 s[6:7], s[6:7]
	v_mov_b32_e32 v2, s10
	s_xor_b64 exec, exec, s[6:7]
	s_cbranch_execz .LBB2_6354
; %bb.42195:
	s_getpc_b64 s[14:15]
.Lpost_getpc24681:
	s_add_u32 s14, s14, (.LBB2_20692-.Lpost_getpc24681)&4294967295
	s_addc_u32 s15, s15, (.LBB2_20692-.Lpost_getpc24681)>>32
	s_setpc_b64 s[14:15]
.LBB2_6354:
	s_or_b64 exec, exec, s[6:7]
	s_and_saveexec_b64 s[6:7], s[4:5]
	s_cbranch_execz .LBB2_6356
.LBB2_6355:
	v_bfe_u32 v2, v8, 16, 3
	v_ffbh_u32_e32 v7, v2
	v_min_u32_e32 v7, 32, v7
	v_lshrrev_b32_e32 v3, 19, v8
	v_subrev_u32_e32 v12, 28, v7
	v_and_b32_e32 v3, 15, v3
	v_lshlrev_b32_sdwa v12, v12, v8 dst_sel:DWORD dst_unused:UNUSED_PAD src0_sel:DWORD src1_sel:WORD_1
	v_bfe_u32 v6, v8, 19, 4
	v_sub_u32_e32 v7, 29, v7
	v_and_b32_e32 v12, 7, v12
	v_cmp_eq_u16_e32 vcc, 0, v3
	v_cndmask_b32_e32 v2, v2, v12, vcc
	v_cndmask_b32_e32 v3, v6, v7, vcc
	v_lshlrev_b32_e32 v6, 8, v8
	v_mov_b32_e32 v7, 0x3b800000
	v_lshlrev_b32_e32 v2, 20, v2
	v_and_b32_e32 v6, 0x80000000, v6
	v_lshl_add_u32 v3, v3, 23, v7
	v_or3_b32 v2, v6, v3, v2
.LBB2_6356:
	s_or_b64 exec, exec, s[6:7]
	s_movk_i32 s4, 0xff
	v_and_b32_sdwa v3, v4, s4 dst_sel:DWORD dst_unused:UNUSED_PAD src0_sel:WORD_1 src1_sel:DWORD
	s_movk_i32 s4, 0x7f
	v_cmp_lt_i16_e32 vcc, s4, v3
	s_mov_b64 s[4:5], 0
                                        ; implicit-def: $sgpr10
	s_and_saveexec_b64 s[6:7], vcc
	s_xor_b64 s[6:7], exec, s[6:7]
	s_cbranch_execz .LBB2_6357
; %bb.42197:
	s_getpc_b64 s[14:15]
.Lpost_getpc24682:
	s_add_u32 s14, s14, (.LBB2_20693-.Lpost_getpc24682)&4294967295
	s_addc_u32 s15, s15, (.LBB2_20693-.Lpost_getpc24682)>>32
	s_setpc_b64 s[14:15]
.LBB2_6357:
	s_or_saveexec_b64 s[6:7], s[6:7]
	v_mov_b32_e32 v6, s10
	s_xor_b64 exec, exec, s[6:7]
	s_cbranch_execz .LBB2_6358
; %bb.42199:
	s_getpc_b64 s[14:15]
.Lpost_getpc24683:
	s_add_u32 s14, s14, (.LBB2_20696-.Lpost_getpc24683)&4294967295
	s_addc_u32 s15, s15, (.LBB2_20696-.Lpost_getpc24683)>>32
	s_setpc_b64 s[14:15]
.LBB2_6358:
	s_or_b64 exec, exec, s[6:7]
	s_and_saveexec_b64 s[6:7], s[4:5]
	s_cbranch_execz .LBB2_6360
.LBB2_6359:
	v_bfe_u32 v3, v4, 16, 3
	v_ffbh_u32_e32 v12, v3
	v_min_u32_e32 v12, 32, v12
	v_lshrrev_b32_e32 v6, 19, v4
	v_subrev_u32_e32 v13, 28, v12
	v_and_b32_e32 v6, 15, v6
	v_lshlrev_b32_sdwa v13, v13, v4 dst_sel:DWORD dst_unused:UNUSED_PAD src0_sel:DWORD src1_sel:WORD_1
	v_bfe_u32 v7, v4, 19, 4
	v_sub_u32_e32 v12, 29, v12
	v_and_b32_e32 v13, 7, v13
	v_cmp_eq_u16_e32 vcc, 0, v6
	v_cndmask_b32_e32 v3, v3, v13, vcc
	v_cndmask_b32_e32 v6, v7, v12, vcc
	v_lshlrev_b32_e32 v7, 8, v4
	v_mov_b32_e32 v12, 0x3b800000
	v_lshlrev_b32_e32 v3, 20, v3
	v_and_b32_e32 v7, 0x80000000, v7
	v_lshl_add_u32 v6, v6, 23, v12
	v_or3_b32 v6, v7, v6, v3
.LBB2_6360:
	s_or_b64 exec, exec, s[6:7]
	s_nop 0
	v_mfma_f32_16x16x4f32 a[0:3], v2, v6, a[0:3]
	s_movk_i32 s4, 0x7f
	v_cmp_gt_i16_sdwa s[6:7], v8, s4 src0_sel:BYTE_3 src1_sel:DWORD
	s_mov_b64 s[4:5], 0
                                        ; implicit-def: $sgpr10
	s_and_saveexec_b64 s[8:9], s[6:7]
	s_xor_b64 s[6:7], exec, s[8:9]
	s_cbranch_execz .LBB2_6361
; %bb.42201:
	s_getpc_b64 s[14:15]
.Lpost_getpc24684:
	s_add_u32 s14, s14, (.LBB2_20697-.Lpost_getpc24684)&4294967295
	s_addc_u32 s15, s15, (.LBB2_20697-.Lpost_getpc24684)>>32
	s_setpc_b64 s[14:15]
.LBB2_6361:
	s_or_saveexec_b64 s[6:7], s[6:7]
	v_mov_b32_e32 v2, s10
	s_xor_b64 exec, exec, s[6:7]
	s_cbranch_execz .LBB2_6362
; %bb.42203:
	s_getpc_b64 s[14:15]
.Lpost_getpc24685:
	s_add_u32 s14, s14, (.LBB2_20700-.Lpost_getpc24685)&4294967295
	s_addc_u32 s15, s15, (.LBB2_20700-.Lpost_getpc24685)>>32
	s_setpc_b64 s[14:15]
.LBB2_6362:
	s_or_b64 exec, exec, s[6:7]
	s_and_saveexec_b64 s[6:7], s[4:5]
	s_cbranch_execz .LBB2_6364
.LBB2_6363:
	v_bfe_u32 v2, v8, 24, 3
	v_ffbh_u32_e32 v12, v2
	v_min_u32_e32 v12, 32, v12
	v_lshrrev_b32_e32 v6, 27, v8
	v_subrev_u32_e32 v13, 28, v12
	v_and_b32_e32 v3, 0x80000000, v8
	v_and_b32_e32 v6, 15, v6
	v_bfe_u32 v7, v8, 27, 4
	v_lshlrev_b32_sdwa v8, v13, v8 dst_sel:DWORD dst_unused:UNUSED_PAD src0_sel:DWORD src1_sel:BYTE_3
	v_sub_u32_e32 v12, 29, v12
	v_and_b32_e32 v8, 7, v8
	v_cmp_eq_u16_e32 vcc, 0, v6
	v_cndmask_b32_e32 v2, v2, v8, vcc
	v_cndmask_b32_e32 v6, v7, v12, vcc
	v_mov_b32_e32 v7, 0x3b800000
	v_lshlrev_b32_e32 v2, 20, v2
	v_lshl_add_u32 v6, v6, 23, v7
	v_or3_b32 v2, v3, v6, v2
.LBB2_6364:
	s_or_b64 exec, exec, s[6:7]
	s_movk_i32 s4, 0x7f
	v_cmp_gt_i16_sdwa s[6:7], v4, s4 src0_sel:BYTE_3 src1_sel:DWORD
	s_mov_b64 s[4:5], 0
                                        ; implicit-def: $sgpr10
	s_and_saveexec_b64 s[8:9], s[6:7]
	s_xor_b64 s[6:7], exec, s[8:9]
	s_cbranch_execz .LBB2_6365
; %bb.42205:
	s_getpc_b64 s[14:15]
.Lpost_getpc24686:
	s_add_u32 s14, s14, (.LBB2_20701-.Lpost_getpc24686)&4294967295
	s_addc_u32 s15, s15, (.LBB2_20701-.Lpost_getpc24686)>>32
	s_setpc_b64 s[14:15]
.LBB2_6365:
	s_or_saveexec_b64 s[6:7], s[6:7]
	v_mov_b32_e32 v3, s10
	s_xor_b64 exec, exec, s[6:7]
	s_cbranch_execz .LBB2_6366
; %bb.42207:
	s_getpc_b64 s[14:15]
.Lpost_getpc24687:
	s_add_u32 s14, s14, (.LBB2_20704-.Lpost_getpc24687)&4294967295
	s_addc_u32 s15, s15, (.LBB2_20704-.Lpost_getpc24687)>>32
	s_setpc_b64 s[14:15]
.LBB2_6366:
	s_or_b64 exec, exec, s[6:7]
	s_and_saveexec_b64 s[6:7], s[4:5]
	s_cbranch_execz .LBB2_6368
.LBB2_6367:
	v_bfe_u32 v3, v4, 24, 3
	v_ffbh_u32_e32 v12, v3
	v_min_u32_e32 v12, 32, v12
	v_lshrrev_b32_e32 v7, 27, v4
	v_subrev_u32_e32 v13, 28, v12
	v_and_b32_e32 v6, 0x80000000, v4
	v_and_b32_e32 v7, 15, v7
	v_bfe_u32 v8, v4, 27, 4
	v_lshlrev_b32_sdwa v4, v13, v4 dst_sel:DWORD dst_unused:UNUSED_PAD src0_sel:DWORD src1_sel:BYTE_3
	v_sub_u32_e32 v12, 29, v12
	v_and_b32_e32 v4, 7, v4
	v_cmp_eq_u16_e32 vcc, 0, v7
	v_cndmask_b32_e32 v3, v3, v4, vcc
	v_cndmask_b32_e32 v4, v8, v12, vcc
	v_mov_b32_e32 v7, 0x3b800000
	v_lshlrev_b32_e32 v3, 20, v3
	v_lshl_add_u32 v4, v4, 23, v7
	v_or3_b32 v3, v6, v4, v3
.LBB2_6368:
	s_or_b64 exec, exec, s[6:7]
	s_nop 0
	v_mfma_f32_16x16x4f32 a[0:3], v2, v3, a[0:3]
	s_movk_i32 s4, 0x7f
	v_cmp_gt_i16_sdwa s[6:7], v9, s4 src0_sel:BYTE_0 src1_sel:DWORD
	s_mov_b64 s[4:5], 0
                                        ; implicit-def: $sgpr10
	s_and_saveexec_b64 s[8:9], s[6:7]
	s_xor_b64 s[6:7], exec, s[8:9]
	s_cbranch_execz .LBB2_6369
; %bb.42209:
	s_getpc_b64 s[14:15]
.Lpost_getpc24688:
	s_add_u32 s14, s14, (.LBB2_20705-.Lpost_getpc24688)&4294967295
	s_addc_u32 s15, s15, (.LBB2_20705-.Lpost_getpc24688)>>32
	s_setpc_b64 s[14:15]
.LBB2_6369:
	s_or_saveexec_b64 s[6:7], s[6:7]
	v_mov_b32_e32 v2, s10
	s_xor_b64 exec, exec, s[6:7]
	s_cbranch_execz .LBB2_6370
; %bb.42211:
	s_getpc_b64 s[14:15]
.Lpost_getpc24689:
	s_add_u32 s14, s14, (.LBB2_20708-.Lpost_getpc24689)&4294967295
	s_addc_u32 s15, s15, (.LBB2_20708-.Lpost_getpc24689)>>32
	s_setpc_b64 s[14:15]
.LBB2_6370:
	s_or_b64 exec, exec, s[6:7]
	s_and_saveexec_b64 s[6:7], s[4:5]
	s_cbranch_execz .LBB2_6372
.LBB2_6371:
	v_mov_b32_e32 v2, 8
	v_and_b32_e32 v3, 7, v9
	v_lshrrev_b32_sdwa v2, v2, v9 dst_sel:BYTE_1 dst_unused:UNUSED_PAD src0_sel:DWORD src1_sel:DWORD
	v_ffbh_u32_e32 v4, v3
	v_or_b32_sdwa v2, v9, v2 dst_sel:DWORD dst_unused:UNUSED_PAD src0_sel:BYTE_0 src1_sel:DWORD
	v_min_u32_e32 v4, 32, v4
	v_lshrrev_b16_e32 v2, 3, v2
	v_subrev_u32_e32 v6, 28, v4
	v_and_b32_e32 v2, 15, v2
	v_lshlrev_b32_e32 v6, v6, v9
	v_sub_u32_e32 v4, 29, v4
	v_and_b32_e32 v6, 7, v6
	v_cmp_eq_u16_e32 vcc, 0, v2
	v_cndmask_b32_e32 v3, v3, v6, vcc
	v_cndmask_b32_e32 v2, v2, v4, vcc
	v_lshlrev_b32_e32 v4, 24, v9
	v_mov_b32_e32 v6, 0x3b800000
	v_lshlrev_b32_e32 v3, 20, v3
	v_and_b32_e32 v4, 0x80000000, v4
	v_lshl_add_u32 v2, v2, 23, v6
	v_or3_b32 v2, v4, v2, v3
.LBB2_6372:
	s_or_b64 exec, exec, s[6:7]
	s_movk_i32 s4, 0x7f
	v_cmp_gt_i16_sdwa s[6:7], v5, s4 src0_sel:BYTE_0 src1_sel:DWORD
	s_mov_b64 s[4:5], 0
                                        ; implicit-def: $sgpr10
	s_and_saveexec_b64 s[8:9], s[6:7]
	s_xor_b64 s[6:7], exec, s[8:9]
	s_cbranch_execz .LBB2_6373
; %bb.42213:
	s_getpc_b64 s[14:15]
.Lpost_getpc24690:
	s_add_u32 s14, s14, (.LBB2_20709-.Lpost_getpc24690)&4294967295
	s_addc_u32 s15, s15, (.LBB2_20709-.Lpost_getpc24690)>>32
	s_setpc_b64 s[14:15]
.LBB2_6373:
	s_or_saveexec_b64 s[6:7], s[6:7]
	v_mov_b32_e32 v3, s10
	s_xor_b64 exec, exec, s[6:7]
	s_cbranch_execz .LBB2_6374
; %bb.42215:
	s_getpc_b64 s[14:15]
.Lpost_getpc24691:
	s_add_u32 s14, s14, (.LBB2_20712-.Lpost_getpc24691)&4294967295
	s_addc_u32 s15, s15, (.LBB2_20712-.Lpost_getpc24691)>>32
	s_setpc_b64 s[14:15]
.LBB2_6374:
	s_or_b64 exec, exec, s[6:7]
	s_and_saveexec_b64 s[6:7], s[4:5]
	s_cbranch_execz .LBB2_6376
.LBB2_6375:
	v_mov_b32_e32 v3, 8
	v_and_b32_e32 v4, 7, v5
	v_lshrrev_b32_sdwa v3, v3, v5 dst_sel:BYTE_1 dst_unused:UNUSED_PAD src0_sel:DWORD src1_sel:DWORD
	v_ffbh_u32_e32 v6, v4
	v_or_b32_sdwa v3, v5, v3 dst_sel:DWORD dst_unused:UNUSED_PAD src0_sel:BYTE_0 src1_sel:DWORD
	v_min_u32_e32 v6, 32, v6
	v_lshrrev_b16_e32 v3, 3, v3
	v_subrev_u32_e32 v7, 28, v6
	v_and_b32_e32 v3, 15, v3
	v_lshlrev_b32_e32 v7, v7, v5
	v_sub_u32_e32 v6, 29, v6
	v_and_b32_e32 v7, 7, v7
	v_cmp_eq_u16_e32 vcc, 0, v3
	v_cndmask_b32_e32 v4, v4, v7, vcc
	v_cndmask_b32_e32 v3, v3, v6, vcc
	v_lshlrev_b32_e32 v6, 24, v5
	v_mov_b32_e32 v7, 0x3b800000
	v_lshlrev_b32_e32 v4, 20, v4
	v_and_b32_e32 v6, 0x80000000, v6
	v_lshl_add_u32 v3, v3, 23, v7
	v_or3_b32 v3, v6, v3, v4
.LBB2_6376:
	s_or_b64 exec, exec, s[6:7]
	s_nop 0
	v_mfma_f32_16x16x4f32 a[0:3], v2, v3, a[0:3]
	v_lshrrev_b32_e32 v3, 8, v9
	s_movk_i32 s4, 0x7f
	v_cmp_gt_i16_sdwa s[6:7], v3, s4 src0_sel:BYTE_0 src1_sel:DWORD
	s_mov_b64 s[4:5], 0
                                        ; implicit-def: $sgpr10
	s_and_saveexec_b64 s[8:9], s[6:7]
	s_xor_b64 s[6:7], exec, s[8:9]
	s_cbranch_execz .LBB2_6377
; %bb.42217:
	s_getpc_b64 s[14:15]
.Lpost_getpc24692:
	s_add_u32 s14, s14, (.LBB2_20713-.Lpost_getpc24692)&4294967295
	s_addc_u32 s15, s15, (.LBB2_20713-.Lpost_getpc24692)>>32
	s_setpc_b64 s[14:15]
.LBB2_6377:
	s_or_saveexec_b64 s[6:7], s[6:7]
	v_mov_b32_e32 v2, s10
	s_xor_b64 exec, exec, s[6:7]
	s_cbranch_execz .LBB2_6378
; %bb.42219:
	s_getpc_b64 s[14:15]
.Lpost_getpc24693:
	s_add_u32 s14, s14, (.LBB2_20716-.Lpost_getpc24693)&4294967295
	s_addc_u32 s15, s15, (.LBB2_20716-.Lpost_getpc24693)>>32
	s_setpc_b64 s[14:15]
.LBB2_6378:
	s_or_b64 exec, exec, s[6:7]
	s_and_saveexec_b64 s[6:7], s[4:5]
	s_cbranch_execz .LBB2_6380
.LBB2_6379:
	v_bfe_u32 v2, v9, 8, 3
	v_ffbh_u32_e32 v6, v2
	v_min_u32_e32 v6, 32, v6
	v_lshrrev_b16_e32 v4, 3, v3
	v_subrev_u32_e32 v7, 28, v6
	v_and_b32_e32 v4, 15, v4
	v_lshlrev_b32_e32 v3, v7, v3
	v_sub_u32_e32 v6, 29, v6
	v_and_b32_e32 v3, 7, v3
	v_cmp_eq_u16_e32 vcc, 0, v4
	v_cndmask_b32_e32 v2, v2, v3, vcc
	v_cndmask_b32_e32 v3, v4, v6, vcc
	v_lshlrev_b32_e32 v4, 16, v9
	v_mov_b32_e32 v6, 0x3b800000
	v_lshlrev_b32_e32 v2, 20, v2
	v_and_b32_e32 v4, 0x80000000, v4
	v_lshl_add_u32 v3, v3, 23, v6
	v_or3_b32 v2, v4, v3, v2
.LBB2_6380:
	s_or_b64 exec, exec, s[6:7]
	v_lshrrev_b32_e32 v3, 8, v5
	s_movk_i32 s4, 0x7f
	v_cmp_gt_i16_sdwa s[6:7], v3, s4 src0_sel:BYTE_0 src1_sel:DWORD
	s_mov_b64 s[4:5], 0
                                        ; implicit-def: $sgpr10
	s_and_saveexec_b64 s[8:9], s[6:7]
	s_xor_b64 s[6:7], exec, s[8:9]
	s_cbranch_execz .LBB2_6381
; %bb.42221:
	s_getpc_b64 s[14:15]
.Lpost_getpc24694:
	s_add_u32 s14, s14, (.LBB2_20717-.Lpost_getpc24694)&4294967295
	s_addc_u32 s15, s15, (.LBB2_20717-.Lpost_getpc24694)>>32
	s_setpc_b64 s[14:15]
.LBB2_6381:
	s_or_saveexec_b64 s[6:7], s[6:7]
	v_mov_b32_e32 v4, s10
	s_xor_b64 exec, exec, s[6:7]
	s_cbranch_execz .LBB2_6382
; %bb.42223:
	s_getpc_b64 s[14:15]
.Lpost_getpc24695:
	s_add_u32 s14, s14, (.LBB2_20720-.Lpost_getpc24695)&4294967295
	s_addc_u32 s15, s15, (.LBB2_20720-.Lpost_getpc24695)>>32
	s_setpc_b64 s[14:15]
.LBB2_6382:
	s_or_b64 exec, exec, s[6:7]
	s_and_saveexec_b64 s[6:7], s[4:5]
	s_cbranch_execz .LBB2_6384
.LBB2_6383:
	v_bfe_u32 v4, v5, 8, 3
	v_ffbh_u32_e32 v7, v4
	v_min_u32_e32 v7, 32, v7
	v_lshrrev_b16_e32 v6, 3, v3
	v_subrev_u32_e32 v8, 28, v7
	v_and_b32_e32 v6, 15, v6
	v_lshlrev_b32_e32 v3, v8, v3
	v_sub_u32_e32 v7, 29, v7
	v_and_b32_e32 v3, 7, v3
	v_cmp_eq_u16_e32 vcc, 0, v6
	v_cndmask_b32_e32 v3, v4, v3, vcc
	v_cndmask_b32_e32 v4, v6, v7, vcc
	v_lshlrev_b32_e32 v6, 16, v5
	v_mov_b32_e32 v7, 0x3b800000
	v_lshlrev_b32_e32 v3, 20, v3
	v_and_b32_e32 v6, 0x80000000, v6
	v_lshl_add_u32 v4, v4, 23, v7
	v_or3_b32 v4, v6, v4, v3
.LBB2_6384:
	s_or_b64 exec, exec, s[6:7]
	s_nop 0
	v_mfma_f32_16x16x4f32 a[0:3], v2, v4, a[0:3]
	s_movk_i32 s4, 0xff
	v_and_b32_sdwa v3, v9, s4 dst_sel:DWORD dst_unused:UNUSED_PAD src0_sel:WORD_1 src1_sel:DWORD
	s_movk_i32 s4, 0x7f
	v_cmp_lt_i16_e32 vcc, s4, v3
	s_mov_b64 s[4:5], 0
                                        ; implicit-def: $sgpr10
	s_and_saveexec_b64 s[6:7], vcc
	s_xor_b64 s[6:7], exec, s[6:7]
	s_cbranch_execz .LBB2_6385
; %bb.42225:
	s_getpc_b64 s[14:15]
.Lpost_getpc24696:
	s_add_u32 s14, s14, (.LBB2_20721-.Lpost_getpc24696)&4294967295
	s_addc_u32 s15, s15, (.LBB2_20721-.Lpost_getpc24696)>>32
	s_setpc_b64 s[14:15]
.LBB2_6385:
	s_or_saveexec_b64 s[6:7], s[6:7]
	v_mov_b32_e32 v2, s10
	s_xor_b64 exec, exec, s[6:7]
	s_cbranch_execz .LBB2_6386
; %bb.42227:
	s_getpc_b64 s[14:15]
.Lpost_getpc24697:
	s_add_u32 s14, s14, (.LBB2_20724-.Lpost_getpc24697)&4294967295
	s_addc_u32 s15, s15, (.LBB2_20724-.Lpost_getpc24697)>>32
	s_setpc_b64 s[14:15]
.LBB2_6386:
	s_or_b64 exec, exec, s[6:7]
	s_and_saveexec_b64 s[6:7], s[4:5]
	s_cbranch_execz .LBB2_6388
.LBB2_6387:
	v_bfe_u32 v2, v9, 16, 3
	v_ffbh_u32_e32 v6, v2
	v_min_u32_e32 v6, 32, v6
	v_lshrrev_b32_e32 v3, 19, v9
	v_subrev_u32_e32 v7, 28, v6
	v_and_b32_e32 v3, 15, v3
	v_lshlrev_b32_sdwa v7, v7, v9 dst_sel:DWORD dst_unused:UNUSED_PAD src0_sel:DWORD src1_sel:WORD_1
	v_bfe_u32 v4, v9, 19, 4
	v_sub_u32_e32 v6, 29, v6
	v_and_b32_e32 v7, 7, v7
	v_cmp_eq_u16_e32 vcc, 0, v3
	v_cndmask_b32_e32 v2, v2, v7, vcc
	v_cndmask_b32_e32 v3, v4, v6, vcc
	v_lshlrev_b32_e32 v4, 8, v9
	v_mov_b32_e32 v6, 0x3b800000
	v_lshlrev_b32_e32 v2, 20, v2
	v_and_b32_e32 v4, 0x80000000, v4
	v_lshl_add_u32 v3, v3, 23, v6
	v_or3_b32 v2, v4, v3, v2
.LBB2_6388:
	s_or_b64 exec, exec, s[6:7]
	s_movk_i32 s4, 0xff
	v_and_b32_sdwa v3, v5, s4 dst_sel:DWORD dst_unused:UNUSED_PAD src0_sel:WORD_1 src1_sel:DWORD
	s_movk_i32 s4, 0x7f
	v_cmp_lt_i16_e32 vcc, s4, v3
	s_mov_b64 s[4:5], 0
                                        ; implicit-def: $sgpr10
	s_and_saveexec_b64 s[6:7], vcc
	s_xor_b64 s[6:7], exec, s[6:7]
	s_cbranch_execz .LBB2_6389
; %bb.42229:
	s_getpc_b64 s[14:15]
.Lpost_getpc24698:
	s_add_u32 s14, s14, (.LBB2_20725-.Lpost_getpc24698)&4294967295
	s_addc_u32 s15, s15, (.LBB2_20725-.Lpost_getpc24698)>>32
	s_setpc_b64 s[14:15]
.LBB2_6389:
	s_or_saveexec_b64 s[6:7], s[6:7]
	v_mov_b32_e32 v4, s10
	s_xor_b64 exec, exec, s[6:7]
	s_cbranch_execz .LBB2_6390
; %bb.42231:
	s_getpc_b64 s[14:15]
.Lpost_getpc24699:
	s_add_u32 s14, s14, (.LBB2_20728-.Lpost_getpc24699)&4294967295
	s_addc_u32 s15, s15, (.LBB2_20728-.Lpost_getpc24699)>>32
	s_setpc_b64 s[14:15]
.LBB2_6390:
	s_or_b64 exec, exec, s[6:7]
	s_and_saveexec_b64 s[6:7], s[4:5]
	s_cbranch_execz .LBB2_6392
.LBB2_6391:
	v_bfe_u32 v3, v5, 16, 3
	v_ffbh_u32_e32 v7, v3
	v_min_u32_e32 v7, 32, v7
	v_lshrrev_b32_e32 v4, 19, v5
	v_subrev_u32_e32 v8, 28, v7
	v_and_b32_e32 v4, 15, v4
	v_lshlrev_b32_sdwa v8, v8, v5 dst_sel:DWORD dst_unused:UNUSED_PAD src0_sel:DWORD src1_sel:WORD_1
	v_bfe_u32 v6, v5, 19, 4
	v_sub_u32_e32 v7, 29, v7
	v_and_b32_e32 v8, 7, v8
	v_cmp_eq_u16_e32 vcc, 0, v4
	v_cndmask_b32_e32 v3, v3, v8, vcc
	v_cndmask_b32_e32 v4, v6, v7, vcc
	v_lshlrev_b32_e32 v6, 8, v5
	v_mov_b32_e32 v7, 0x3b800000
	v_lshlrev_b32_e32 v3, 20, v3
	v_and_b32_e32 v6, 0x80000000, v6
	v_lshl_add_u32 v4, v4, 23, v7
	v_or3_b32 v4, v6, v4, v3
.LBB2_6392:
	s_or_b64 exec, exec, s[6:7]
	s_nop 0
	v_mfma_f32_16x16x4f32 a[0:3], v2, v4, a[0:3]
	s_movk_i32 s4, 0x7f
	v_cmp_gt_i16_sdwa s[6:7], v9, s4 src0_sel:BYTE_3 src1_sel:DWORD
	s_mov_b64 s[4:5], 0
                                        ; implicit-def: $sgpr10
	s_and_saveexec_b64 s[8:9], s[6:7]
	s_xor_b64 s[6:7], exec, s[8:9]
	s_cbranch_execz .LBB2_6393
; %bb.42233:
	s_getpc_b64 s[14:15]
.Lpost_getpc24700:
	s_add_u32 s14, s14, (.LBB2_20729-.Lpost_getpc24700)&4294967295
	s_addc_u32 s15, s15, (.LBB2_20729-.Lpost_getpc24700)>>32
	s_setpc_b64 s[14:15]
.LBB2_6393:
	s_or_saveexec_b64 s[6:7], s[6:7]
	v_mov_b32_e32 v2, s10
	s_xor_b64 exec, exec, s[6:7]
	s_cbranch_execz .LBB2_6394
; %bb.42235:
	s_getpc_b64 s[14:15]
.Lpost_getpc24701:
	s_add_u32 s14, s14, (.LBB2_20732-.Lpost_getpc24701)&4294967295
	s_addc_u32 s15, s15, (.LBB2_20732-.Lpost_getpc24701)>>32
	s_setpc_b64 s[14:15]
.LBB2_6394:
	s_or_b64 exec, exec, s[6:7]
	s_and_saveexec_b64 s[6:7], s[4:5]
	s_cbranch_execz .LBB2_6396
.LBB2_6395:
	v_bfe_u32 v2, v9, 24, 3
	v_ffbh_u32_e32 v7, v2
	v_min_u32_e32 v7, 32, v7
	v_lshrrev_b32_e32 v4, 27, v9
	v_subrev_u32_e32 v8, 28, v7
	v_and_b32_e32 v4, 15, v4
	v_lshlrev_b32_sdwa v8, v8, v9 dst_sel:DWORD dst_unused:UNUSED_PAD src0_sel:DWORD src1_sel:BYTE_3
	v_bfe_u32 v6, v9, 27, 4
	v_sub_u32_e32 v7, 29, v7
	v_and_b32_e32 v8, 7, v8
	v_cmp_eq_u16_e32 vcc, 0, v4
	v_cndmask_b32_e32 v2, v2, v8, vcc
	v_cndmask_b32_e32 v4, v6, v7, vcc
	v_mov_b32_e32 v6, 0x3b800000
	v_and_b32_e32 v3, 0x80000000, v9
	v_lshlrev_b32_e32 v2, 20, v2
	v_lshl_add_u32 v4, v4, 23, v6
	v_or3_b32 v2, v3, v4, v2
.LBB2_6396:
	s_or_b64 exec, exec, s[6:7]
	s_movk_i32 s4, 0x7f
	v_cmp_gt_i16_sdwa s[6:7], v5, s4 src0_sel:BYTE_3 src1_sel:DWORD
	s_mov_b64 s[4:5], 0
                                        ; implicit-def: $sgpr10
	s_and_saveexec_b64 s[8:9], s[6:7]
	s_xor_b64 s[6:7], exec, s[8:9]
	s_cbranch_execz .LBB2_6397
; %bb.42237:
	s_getpc_b64 s[14:15]
.Lpost_getpc24702:
	s_add_u32 s14, s14, (.LBB2_20733-.Lpost_getpc24702)&4294967295
	s_addc_u32 s15, s15, (.LBB2_20733-.Lpost_getpc24702)>>32
	s_setpc_b64 s[14:15]
.LBB2_6397:
	s_or_saveexec_b64 s[6:7], s[6:7]
	v_mov_b32_e32 v3, s10
	s_xor_b64 exec, exec, s[6:7]
	s_cbranch_execz .LBB2_6398
; %bb.42239:
	s_getpc_b64 s[14:15]
.Lpost_getpc24703:
	s_add_u32 s14, s14, (.LBB2_20736-.Lpost_getpc24703)&4294967295
	s_addc_u32 s15, s15, (.LBB2_20736-.Lpost_getpc24703)>>32
	s_setpc_b64 s[14:15]
.LBB2_6398:
	s_or_b64 exec, exec, s[6:7]
	s_and_saveexec_b64 s[6:7], s[4:5]
	s_cbranch_execz .LBB2_6400
.LBB2_6399:
	v_bfe_u32 v3, v5, 24, 3
	v_ffbh_u32_e32 v8, v3
	v_min_u32_e32 v8, 32, v8
	v_lshrrev_b32_e32 v6, 27, v5
	v_subrev_u32_e32 v9, 28, v8
	v_and_b32_e32 v4, 0x80000000, v5
	v_and_b32_e32 v6, 15, v6
	v_bfe_u32 v7, v5, 27, 4
	v_lshlrev_b32_sdwa v5, v9, v5 dst_sel:DWORD dst_unused:UNUSED_PAD src0_sel:DWORD src1_sel:BYTE_3
	v_sub_u32_e32 v8, 29, v8
	v_and_b32_e32 v5, 7, v5
	v_cmp_eq_u16_e32 vcc, 0, v6
	v_cndmask_b32_e32 v3, v3, v5, vcc
	v_cndmask_b32_e32 v5, v7, v8, vcc
	v_mov_b32_e32 v6, 0x3b800000
	v_lshlrev_b32_e32 v3, 20, v3
	v_lshl_add_u32 v5, v5, 23, v6
	v_or3_b32 v3, v4, v5, v3
.LBB2_6400:
	s_or_b64 exec, exec, s[6:7]
	s_nop 0
	v_mfma_f32_16x16x4f32 a[0:3], v2, v3, a[0:3]
	s_movk_i32 s4, 0x7f
                                        ; implicit-def: $sgpr10
	s_nop 7
	s_nop 1
	flat_store_dwordx4 v[10:11], a[0:3] offset:784
	flat_load_dwordx4 v[12:15], v[0:1]
	s_nop 0
	flat_load_dwordx2 v[10:11], v[0:1] offset:16
	s_waitcnt vmcnt(0) lgkmcnt(0)
	flat_load_dwordx4 v[6:9], v[12:13] offset:96
	flat_load_dwordx4 v[2:5], v[14:15] offset:32
	s_waitcnt vmcnt(0) lgkmcnt(0)
	v_cmp_gt_i16_sdwa s[6:7], v6, s4 src0_sel:BYTE_0 src1_sel:DWORD
	s_mov_b64 s[4:5], 0
	s_and_saveexec_b64 s[8:9], s[6:7]
	s_xor_b64 s[6:7], exec, s[8:9]
	s_cbranch_execz .LBB2_6401
; %bb.42241:
	s_getpc_b64 s[14:15]
.Lpost_getpc24704:
	s_add_u32 s14, s14, (.LBB2_20737-.Lpost_getpc24704)&4294967295
	s_addc_u32 s15, s15, (.LBB2_20737-.Lpost_getpc24704)>>32
	s_setpc_b64 s[14:15]
.LBB2_6401:
	s_or_saveexec_b64 s[6:7], s[6:7]
	v_mov_b32_e32 v12, s10
	s_xor_b64 exec, exec, s[6:7]
	s_cbranch_execz .LBB2_6402
; %bb.42243:
	s_getpc_b64 s[14:15]
.Lpost_getpc24705:
	s_add_u32 s14, s14, (.LBB2_20740-.Lpost_getpc24705)&4294967295
	s_addc_u32 s15, s15, (.LBB2_20740-.Lpost_getpc24705)>>32
	s_setpc_b64 s[14:15]
.LBB2_6402:
	s_or_b64 exec, exec, s[6:7]
	s_and_saveexec_b64 s[6:7], s[4:5]
	s_cbranch_execz .LBB2_6404
.LBB2_6403:
	v_and_b32_e32 v12, 7, v6
	v_ffbh_u32_e32 v14, v12
	v_min_u32_e32 v14, 32, v14
	v_lshrrev_b16_e32 v13, 3, v6
	v_subrev_u32_e32 v15, 28, v14
	v_and_b32_e32 v13, 15, v13
	v_lshlrev_b32_e32 v15, v15, v6
	v_sub_u32_e32 v14, 29, v14
	v_and_b32_e32 v15, 7, v15
	v_cmp_eq_u16_e32 vcc, 0, v13
	v_cndmask_b32_e32 v12, v12, v15, vcc
	v_cndmask_b32_e32 v13, v13, v14, vcc
	v_lshlrev_b32_e32 v14, 24, v6
	v_mov_b32_e32 v15, 0x3b800000
	v_lshlrev_b32_e32 v12, 20, v12
	v_and_b32_e32 v14, 0x80000000, v14
	v_lshl_add_u32 v13, v13, 23, v15
	v_or3_b32 v12, v14, v13, v12
.LBB2_6404:
	s_or_b64 exec, exec, s[6:7]
	s_movk_i32 s4, 0x7f
	v_cmp_gt_i16_sdwa s[6:7], v2, s4 src0_sel:BYTE_0 src1_sel:DWORD
	s_mov_b64 s[4:5], 0
                                        ; implicit-def: $sgpr10
	s_and_saveexec_b64 s[8:9], s[6:7]
	s_xor_b64 s[6:7], exec, s[8:9]
	s_cbranch_execz .LBB2_6405
; %bb.42245:
	s_getpc_b64 s[14:15]
.Lpost_getpc24706:
	s_add_u32 s14, s14, (.LBB2_20741-.Lpost_getpc24706)&4294967295
	s_addc_u32 s15, s15, (.LBB2_20741-.Lpost_getpc24706)>>32
	s_setpc_b64 s[14:15]
.LBB2_6405:
	s_or_saveexec_b64 s[6:7], s[6:7]
	v_mov_b32_e32 v13, s10
	s_xor_b64 exec, exec, s[6:7]
	s_cbranch_execz .LBB2_6406
; %bb.42247:
	s_getpc_b64 s[14:15]
.Lpost_getpc24707:
	s_add_u32 s14, s14, (.LBB2_20744-.Lpost_getpc24707)&4294967295
	s_addc_u32 s15, s15, (.LBB2_20744-.Lpost_getpc24707)>>32
	s_setpc_b64 s[14:15]
.LBB2_6406:
	s_or_b64 exec, exec, s[6:7]
	s_and_saveexec_b64 s[6:7], s[4:5]
	s_cbranch_execz .LBB2_6408
.LBB2_6407:
	v_and_b32_e32 v13, 7, v2
	v_ffbh_u32_e32 v15, v13
	v_min_u32_e32 v15, 32, v15
	v_lshrrev_b16_e32 v14, 3, v2
	v_subrev_u32_e32 v16, 28, v15
	v_and_b32_e32 v14, 15, v14
	v_lshlrev_b32_e32 v16, v16, v2
	v_sub_u32_e32 v15, 29, v15
	v_and_b32_e32 v16, 7, v16
	v_cmp_eq_u16_e32 vcc, 0, v14
	v_cndmask_b32_e32 v13, v13, v16, vcc
	v_cndmask_b32_e32 v14, v14, v15, vcc
	v_lshlrev_b32_e32 v15, 24, v2
	v_mov_b32_e32 v16, 0x3b800000
	v_lshlrev_b32_e32 v13, 20, v13
	v_and_b32_e32 v15, 0x80000000, v15
	v_lshl_add_u32 v14, v14, 23, v16
	v_or3_b32 v13, v15, v14, v13
.LBB2_6408:
	s_or_b64 exec, exec, s[6:7]
	flat_load_dwordx4 a[0:3], v[10:11] offset:800
	s_movk_i32 s4, 0x7f
                                        ; implicit-def: $sgpr10
	s_waitcnt vmcnt(0) lgkmcnt(0)
	v_mfma_f32_16x16x4f32 a[0:3], v12, v13, a[0:3]
	v_lshrrev_b32_e32 v13, 8, v6
	v_cmp_gt_i16_sdwa s[6:7], v13, s4 src0_sel:BYTE_0 src1_sel:DWORD
	s_mov_b64 s[4:5], 0
	s_and_saveexec_b64 s[8:9], s[6:7]
	s_xor_b64 s[6:7], exec, s[8:9]
	s_cbranch_execz .LBB2_6409
; %bb.42249:
	s_getpc_b64 s[14:15]
.Lpost_getpc24708:
	s_add_u32 s14, s14, (.LBB2_20745-.Lpost_getpc24708)&4294967295
	s_addc_u32 s15, s15, (.LBB2_20745-.Lpost_getpc24708)>>32
	s_setpc_b64 s[14:15]
.LBB2_6409:
	s_or_saveexec_b64 s[6:7], s[6:7]
	v_mov_b32_e32 v12, s10
	s_xor_b64 exec, exec, s[6:7]
	s_cbranch_execz .LBB2_6410
; %bb.42251:
	s_getpc_b64 s[14:15]
.Lpost_getpc24709:
	s_add_u32 s14, s14, (.LBB2_20748-.Lpost_getpc24709)&4294967295
	s_addc_u32 s15, s15, (.LBB2_20748-.Lpost_getpc24709)>>32
	s_setpc_b64 s[14:15]
.LBB2_6410:
	s_or_b64 exec, exec, s[6:7]
	s_and_saveexec_b64 s[6:7], s[4:5]
	s_cbranch_execz .LBB2_6412
.LBB2_6411:
	v_bfe_u32 v12, v6, 8, 3
	v_ffbh_u32_e32 v15, v12
	v_min_u32_e32 v15, 32, v15
	v_lshrrev_b16_e32 v14, 3, v13
	v_subrev_u32_e32 v16, 28, v15
	v_and_b32_e32 v14, 15, v14
	v_lshlrev_b32_e32 v13, v16, v13
	v_sub_u32_e32 v15, 29, v15
	v_and_b32_e32 v13, 7, v13
	v_cmp_eq_u16_e32 vcc, 0, v14
	v_cndmask_b32_e32 v12, v12, v13, vcc
	v_cndmask_b32_e32 v13, v14, v15, vcc
	v_lshlrev_b32_e32 v14, 16, v6
	v_mov_b32_e32 v15, 0x3b800000
	v_lshlrev_b32_e32 v12, 20, v12
	v_and_b32_e32 v14, 0x80000000, v14
	v_lshl_add_u32 v13, v13, 23, v15
	v_or3_b32 v12, v14, v13, v12
.LBB2_6412:
	s_or_b64 exec, exec, s[6:7]
	v_lshrrev_b32_e32 v13, 8, v2
	s_movk_i32 s4, 0x7f
	v_cmp_gt_i16_sdwa s[6:7], v13, s4 src0_sel:BYTE_0 src1_sel:DWORD
	s_mov_b64 s[4:5], 0
                                        ; implicit-def: $sgpr10
	s_and_saveexec_b64 s[8:9], s[6:7]
	s_xor_b64 s[6:7], exec, s[8:9]
	s_cbranch_execz .LBB2_6413
; %bb.42253:
	s_getpc_b64 s[14:15]
.Lpost_getpc24710:
	s_add_u32 s14, s14, (.LBB2_20749-.Lpost_getpc24710)&4294967295
	s_addc_u32 s15, s15, (.LBB2_20749-.Lpost_getpc24710)>>32
	s_setpc_b64 s[14:15]
.LBB2_6413:
	s_or_saveexec_b64 s[6:7], s[6:7]
	v_mov_b32_e32 v14, s10
	s_xor_b64 exec, exec, s[6:7]
	s_cbranch_execz .LBB2_6414
; %bb.42255:
	s_getpc_b64 s[14:15]
.Lpost_getpc24711:
	s_add_u32 s14, s14, (.LBB2_20752-.Lpost_getpc24711)&4294967295
	s_addc_u32 s15, s15, (.LBB2_20752-.Lpost_getpc24711)>>32
	s_setpc_b64 s[14:15]
.LBB2_6414:
	s_or_b64 exec, exec, s[6:7]
	s_and_saveexec_b64 s[6:7], s[4:5]
	s_cbranch_execz .LBB2_6416
.LBB2_6415:
	v_bfe_u32 v14, v2, 8, 3
	v_ffbh_u32_e32 v16, v14
	v_min_u32_e32 v16, 32, v16
	v_lshrrev_b16_e32 v15, 3, v13
	v_subrev_u32_e32 v17, 28, v16
	v_and_b32_e32 v15, 15, v15
	v_lshlrev_b32_e32 v13, v17, v13
	v_sub_u32_e32 v16, 29, v16
	v_and_b32_e32 v13, 7, v13
	v_cmp_eq_u16_e32 vcc, 0, v15
	v_cndmask_b32_e32 v13, v14, v13, vcc
	v_cndmask_b32_e32 v14, v15, v16, vcc
	v_lshlrev_b32_e32 v15, 16, v2
	v_mov_b32_e32 v16, 0x3b800000
	v_lshlrev_b32_e32 v13, 20, v13
	v_and_b32_e32 v15, 0x80000000, v15
	v_lshl_add_u32 v14, v14, 23, v16
	v_or3_b32 v14, v15, v14, v13
.LBB2_6416:
	s_or_b64 exec, exec, s[6:7]
	s_nop 0
	v_mfma_f32_16x16x4f32 a[0:3], v12, v14, a[0:3]
	s_movk_i32 s4, 0xff
	v_and_b32_sdwa v13, v6, s4 dst_sel:DWORD dst_unused:UNUSED_PAD src0_sel:WORD_1 src1_sel:DWORD
	s_movk_i32 s4, 0x7f
	v_cmp_lt_i16_e32 vcc, s4, v13
	s_mov_b64 s[4:5], 0
                                        ; implicit-def: $sgpr10
	s_and_saveexec_b64 s[6:7], vcc
	s_xor_b64 s[6:7], exec, s[6:7]
	s_cbranch_execz .LBB2_6417
; %bb.42257:
	s_getpc_b64 s[14:15]
.Lpost_getpc24712:
	s_add_u32 s14, s14, (.LBB2_20753-.Lpost_getpc24712)&4294967295
	s_addc_u32 s15, s15, (.LBB2_20753-.Lpost_getpc24712)>>32
	s_setpc_b64 s[14:15]
.LBB2_6417:
	s_or_saveexec_b64 s[6:7], s[6:7]
	v_mov_b32_e32 v12, s10
	s_xor_b64 exec, exec, s[6:7]
	s_cbranch_execz .LBB2_6418
; %bb.42259:
	s_getpc_b64 s[14:15]
.Lpost_getpc24713:
	s_add_u32 s14, s14, (.LBB2_20756-.Lpost_getpc24713)&4294967295
	s_addc_u32 s15, s15, (.LBB2_20756-.Lpost_getpc24713)>>32
	s_setpc_b64 s[14:15]
.LBB2_6418:
	s_or_b64 exec, exec, s[6:7]
	s_and_saveexec_b64 s[6:7], s[4:5]
	s_cbranch_execz .LBB2_6420
.LBB2_6419:
	v_bfe_u32 v12, v6, 16, 3
	v_ffbh_u32_e32 v15, v12
	v_min_u32_e32 v15, 32, v15
	v_lshrrev_b32_e32 v13, 19, v6
	v_subrev_u32_e32 v16, 28, v15
	v_and_b32_e32 v13, 15, v13
	v_lshlrev_b32_sdwa v16, v16, v6 dst_sel:DWORD dst_unused:UNUSED_PAD src0_sel:DWORD src1_sel:WORD_1
	v_bfe_u32 v14, v6, 19, 4
	v_sub_u32_e32 v15, 29, v15
	v_and_b32_e32 v16, 7, v16
	v_cmp_eq_u16_e32 vcc, 0, v13
	v_cndmask_b32_e32 v12, v12, v16, vcc
	v_cndmask_b32_e32 v13, v14, v15, vcc
	v_lshlrev_b32_e32 v14, 8, v6
	v_mov_b32_e32 v15, 0x3b800000
	v_lshlrev_b32_e32 v12, 20, v12
	v_and_b32_e32 v14, 0x80000000, v14
	v_lshl_add_u32 v13, v13, 23, v15
	v_or3_b32 v12, v14, v13, v12
.LBB2_6420:
	s_or_b64 exec, exec, s[6:7]
	s_movk_i32 s4, 0xff
	v_and_b32_sdwa v13, v2, s4 dst_sel:DWORD dst_unused:UNUSED_PAD src0_sel:WORD_1 src1_sel:DWORD
	s_movk_i32 s4, 0x7f
	v_cmp_lt_i16_e32 vcc, s4, v13
	s_mov_b64 s[4:5], 0
                                        ; implicit-def: $sgpr10
	s_and_saveexec_b64 s[6:7], vcc
	s_xor_b64 s[6:7], exec, s[6:7]
	s_cbranch_execz .LBB2_6421
; %bb.42261:
	s_getpc_b64 s[14:15]
.Lpost_getpc24714:
	s_add_u32 s14, s14, (.LBB2_20757-.Lpost_getpc24714)&4294967295
	s_addc_u32 s15, s15, (.LBB2_20757-.Lpost_getpc24714)>>32
	s_setpc_b64 s[14:15]
.LBB2_6421:
	s_or_saveexec_b64 s[6:7], s[6:7]
	v_mov_b32_e32 v14, s10
	s_xor_b64 exec, exec, s[6:7]
	s_cbranch_execz .LBB2_6422
; %bb.42263:
	s_getpc_b64 s[14:15]
.Lpost_getpc24715:
	s_add_u32 s14, s14, (.LBB2_20760-.Lpost_getpc24715)&4294967295
	s_addc_u32 s15, s15, (.LBB2_20760-.Lpost_getpc24715)>>32
	s_setpc_b64 s[14:15]
.LBB2_6422:
	s_or_b64 exec, exec, s[6:7]
	s_and_saveexec_b64 s[6:7], s[4:5]
	s_cbranch_execz .LBB2_6424
.LBB2_6423:
	v_bfe_u32 v13, v2, 16, 3
	v_ffbh_u32_e32 v16, v13
	v_min_u32_e32 v16, 32, v16
	v_lshrrev_b32_e32 v14, 19, v2
	v_subrev_u32_e32 v17, 28, v16
	v_and_b32_e32 v14, 15, v14
	v_lshlrev_b32_sdwa v17, v17, v2 dst_sel:DWORD dst_unused:UNUSED_PAD src0_sel:DWORD src1_sel:WORD_1
	v_bfe_u32 v15, v2, 19, 4
	v_sub_u32_e32 v16, 29, v16
	v_and_b32_e32 v17, 7, v17
	v_cmp_eq_u16_e32 vcc, 0, v14
	v_cndmask_b32_e32 v13, v13, v17, vcc
	v_cndmask_b32_e32 v14, v15, v16, vcc
	v_lshlrev_b32_e32 v15, 8, v2
	v_mov_b32_e32 v16, 0x3b800000
	v_lshlrev_b32_e32 v13, 20, v13
	v_and_b32_e32 v15, 0x80000000, v15
	v_lshl_add_u32 v14, v14, 23, v16
	v_or3_b32 v14, v15, v14, v13
.LBB2_6424:
	s_or_b64 exec, exec, s[6:7]
	s_nop 0
	v_mfma_f32_16x16x4f32 a[0:3], v12, v14, a[0:3]
	s_movk_i32 s4, 0x7f
	v_cmp_gt_i16_sdwa s[6:7], v6, s4 src0_sel:BYTE_3 src1_sel:DWORD
	s_mov_b64 s[4:5], 0
                                        ; implicit-def: $sgpr10
	s_and_saveexec_b64 s[8:9], s[6:7]
	s_xor_b64 s[6:7], exec, s[8:9]
	s_cbranch_execz .LBB2_6425
; %bb.42265:
	s_getpc_b64 s[14:15]
.Lpost_getpc24716:
	s_add_u32 s14, s14, (.LBB2_20761-.Lpost_getpc24716)&4294967295
	s_addc_u32 s15, s15, (.LBB2_20761-.Lpost_getpc24716)>>32
	s_setpc_b64 s[14:15]
.LBB2_6425:
	s_or_saveexec_b64 s[6:7], s[6:7]
	v_mov_b32_e32 v12, s10
	s_xor_b64 exec, exec, s[6:7]
	s_cbranch_execz .LBB2_6426
; %bb.42267:
	s_getpc_b64 s[14:15]
.Lpost_getpc24717:
	s_add_u32 s14, s14, (.LBB2_20764-.Lpost_getpc24717)&4294967295
	s_addc_u32 s15, s15, (.LBB2_20764-.Lpost_getpc24717)>>32
	s_setpc_b64 s[14:15]
.LBB2_6426:
	s_or_b64 exec, exec, s[6:7]
	s_and_saveexec_b64 s[6:7], s[4:5]
	s_cbranch_execz .LBB2_6428
.LBB2_6427:
	v_bfe_u32 v12, v6, 24, 3
	v_ffbh_u32_e32 v16, v12
	v_min_u32_e32 v16, 32, v16
	v_lshrrev_b32_e32 v14, 27, v6
	v_subrev_u32_e32 v17, 28, v16
	v_and_b32_e32 v13, 0x80000000, v6
	v_and_b32_e32 v14, 15, v14
	v_bfe_u32 v15, v6, 27, 4
	v_lshlrev_b32_sdwa v6, v17, v6 dst_sel:DWORD dst_unused:UNUSED_PAD src0_sel:DWORD src1_sel:BYTE_3
	v_sub_u32_e32 v16, 29, v16
	v_and_b32_e32 v6, 7, v6
	v_cmp_eq_u16_e32 vcc, 0, v14
	v_cndmask_b32_e32 v6, v12, v6, vcc
	v_cndmask_b32_e32 v12, v15, v16, vcc
	v_mov_b32_e32 v14, 0x3b800000
	v_lshlrev_b32_e32 v6, 20, v6
	v_lshl_add_u32 v12, v12, 23, v14
	v_or3_b32 v12, v13, v12, v6
.LBB2_6428:
	s_or_b64 exec, exec, s[6:7]
	s_movk_i32 s4, 0x7f
	v_cmp_gt_i16_sdwa s[6:7], v2, s4 src0_sel:BYTE_3 src1_sel:DWORD
	s_mov_b64 s[4:5], 0
                                        ; implicit-def: $sgpr10
	s_and_saveexec_b64 s[8:9], s[6:7]
	s_xor_b64 s[6:7], exec, s[8:9]
	s_cbranch_execz .LBB2_6429
; %bb.42269:
	s_getpc_b64 s[14:15]
.Lpost_getpc24718:
	s_add_u32 s14, s14, (.LBB2_20765-.Lpost_getpc24718)&4294967295
	s_addc_u32 s15, s15, (.LBB2_20765-.Lpost_getpc24718)>>32
	s_setpc_b64 s[14:15]
.LBB2_6429:
	s_or_saveexec_b64 s[6:7], s[6:7]
	v_mov_b32_e32 v6, s10
	s_xor_b64 exec, exec, s[6:7]
	s_cbranch_execz .LBB2_6430
; %bb.42271:
	s_getpc_b64 s[14:15]
.Lpost_getpc24719:
	s_add_u32 s14, s14, (.LBB2_20768-.Lpost_getpc24719)&4294967295
	s_addc_u32 s15, s15, (.LBB2_20768-.Lpost_getpc24719)>>32
	s_setpc_b64 s[14:15]
.LBB2_6430:
	s_or_b64 exec, exec, s[6:7]
	s_and_saveexec_b64 s[6:7], s[4:5]
	s_cbranch_execz .LBB2_6432
.LBB2_6431:
	v_bfe_u32 v6, v2, 24, 3
	v_ffbh_u32_e32 v16, v6
	v_min_u32_e32 v16, 32, v16
	v_lshrrev_b32_e32 v14, 27, v2
	v_subrev_u32_e32 v17, 28, v16
	v_and_b32_e32 v13, 0x80000000, v2
	v_and_b32_e32 v14, 15, v14
	v_bfe_u32 v15, v2, 27, 4
	v_lshlrev_b32_sdwa v2, v17, v2 dst_sel:DWORD dst_unused:UNUSED_PAD src0_sel:DWORD src1_sel:BYTE_3
	v_sub_u32_e32 v16, 29, v16
	v_and_b32_e32 v2, 7, v2
	v_cmp_eq_u16_e32 vcc, 0, v14
	v_cndmask_b32_e32 v2, v6, v2, vcc
	v_cndmask_b32_e32 v6, v15, v16, vcc
	v_mov_b32_e32 v14, 0x3b800000
	v_lshlrev_b32_e32 v2, 20, v2
	v_lshl_add_u32 v6, v6, 23, v14
	v_or3_b32 v6, v13, v6, v2
.LBB2_6432:
	s_or_b64 exec, exec, s[6:7]
	s_nop 0
	v_mfma_f32_16x16x4f32 a[0:3], v12, v6, a[0:3]
	s_movk_i32 s4, 0x7f
	v_cmp_gt_i16_sdwa s[6:7], v7, s4 src0_sel:BYTE_0 src1_sel:DWORD
	s_mov_b64 s[4:5], 0
                                        ; implicit-def: $sgpr10
	s_and_saveexec_b64 s[8:9], s[6:7]
	s_xor_b64 s[6:7], exec, s[8:9]
	s_cbranch_execz .LBB2_6433
; %bb.42273:
	s_getpc_b64 s[14:15]
.Lpost_getpc24720:
	s_add_u32 s14, s14, (.LBB2_20769-.Lpost_getpc24720)&4294967295
	s_addc_u32 s15, s15, (.LBB2_20769-.Lpost_getpc24720)>>32
	s_setpc_b64 s[14:15]
.LBB2_6433:
	s_or_saveexec_b64 s[6:7], s[6:7]
	v_mov_b32_e32 v2, s10
	s_xor_b64 exec, exec, s[6:7]
	s_cbranch_execz .LBB2_6434
; %bb.42275:
	s_getpc_b64 s[14:15]
.Lpost_getpc24721:
	s_add_u32 s14, s14, (.LBB2_20772-.Lpost_getpc24721)&4294967295
	s_addc_u32 s15, s15, (.LBB2_20772-.Lpost_getpc24721)>>32
	s_setpc_b64 s[14:15]
.LBB2_6434:
	s_or_b64 exec, exec, s[6:7]
	s_and_saveexec_b64 s[6:7], s[4:5]
	s_cbranch_execz .LBB2_6436
.LBB2_6435:
	v_and_b32_e32 v2, 7, v7
	v_ffbh_u32_e32 v12, v2
	v_min_u32_e32 v12, 32, v12
	v_lshrrev_b16_e32 v6, 3, v7
	v_subrev_u32_e32 v13, 28, v12
	v_and_b32_e32 v6, 15, v6
	v_lshlrev_b32_e32 v13, v13, v7
	v_sub_u32_e32 v12, 29, v12
	v_and_b32_e32 v13, 7, v13
	v_cmp_eq_u16_e32 vcc, 0, v6
	v_cndmask_b32_e32 v2, v2, v13, vcc
	v_cndmask_b32_e32 v6, v6, v12, vcc
	v_lshlrev_b32_e32 v12, 24, v7
	v_mov_b32_e32 v13, 0x3b800000
	v_lshlrev_b32_e32 v2, 20, v2
	v_and_b32_e32 v12, 0x80000000, v12
	v_lshl_add_u32 v6, v6, 23, v13
	v_or3_b32 v2, v12, v6, v2
.LBB2_6436:
	s_or_b64 exec, exec, s[6:7]
	s_movk_i32 s4, 0x7f
	v_cmp_gt_i16_sdwa s[6:7], v3, s4 src0_sel:BYTE_0 src1_sel:DWORD
	s_mov_b64 s[4:5], 0
                                        ; implicit-def: $sgpr10
	s_and_saveexec_b64 s[8:9], s[6:7]
	s_xor_b64 s[6:7], exec, s[8:9]
	s_cbranch_execz .LBB2_6437
; %bb.42277:
	s_getpc_b64 s[14:15]
.Lpost_getpc24722:
	s_add_u32 s14, s14, (.LBB2_20773-.Lpost_getpc24722)&4294967295
	s_addc_u32 s15, s15, (.LBB2_20773-.Lpost_getpc24722)>>32
	s_setpc_b64 s[14:15]
.LBB2_6437:
	s_or_saveexec_b64 s[6:7], s[6:7]
	v_mov_b32_e32 v6, s10
	s_xor_b64 exec, exec, s[6:7]
	s_cbranch_execz .LBB2_6438
; %bb.42279:
	s_getpc_b64 s[14:15]
.Lpost_getpc24723:
	s_add_u32 s14, s14, (.LBB2_20776-.Lpost_getpc24723)&4294967295
	s_addc_u32 s15, s15, (.LBB2_20776-.Lpost_getpc24723)>>32
	s_setpc_b64 s[14:15]
.LBB2_6438:
	s_or_b64 exec, exec, s[6:7]
	s_and_saveexec_b64 s[6:7], s[4:5]
	s_cbranch_execz .LBB2_6440
.LBB2_6439:
	v_and_b32_e32 v6, 7, v3
	v_ffbh_u32_e32 v13, v6
	v_min_u32_e32 v13, 32, v13
	v_lshrrev_b16_e32 v12, 3, v3
	v_subrev_u32_e32 v14, 28, v13
	v_and_b32_e32 v12, 15, v12
	v_lshlrev_b32_e32 v14, v14, v3
	v_sub_u32_e32 v13, 29, v13
	v_and_b32_e32 v14, 7, v14
	v_cmp_eq_u16_e32 vcc, 0, v12
	v_cndmask_b32_e32 v6, v6, v14, vcc
	v_cndmask_b32_e32 v12, v12, v13, vcc
	v_lshlrev_b32_e32 v13, 24, v3
	v_mov_b32_e32 v14, 0x3b800000
	v_lshlrev_b32_e32 v6, 20, v6
	v_and_b32_e32 v13, 0x80000000, v13
	v_lshl_add_u32 v12, v12, 23, v14
	v_or3_b32 v6, v13, v12, v6
.LBB2_6440:
	s_or_b64 exec, exec, s[6:7]
	s_nop 0
	v_mfma_f32_16x16x4f32 a[0:3], v2, v6, a[0:3]
	v_lshrrev_b32_e32 v6, 8, v7
	s_movk_i32 s4, 0x7f
	v_cmp_gt_i16_sdwa s[6:7], v6, s4 src0_sel:BYTE_0 src1_sel:DWORD
	s_mov_b64 s[4:5], 0
                                        ; implicit-def: $sgpr10
	s_and_saveexec_b64 s[8:9], s[6:7]
	s_xor_b64 s[6:7], exec, s[8:9]
	s_cbranch_execz .LBB2_6441
; %bb.42281:
	s_getpc_b64 s[14:15]
.Lpost_getpc24724:
	s_add_u32 s14, s14, (.LBB2_20777-.Lpost_getpc24724)&4294967295
	s_addc_u32 s15, s15, (.LBB2_20777-.Lpost_getpc24724)>>32
	s_setpc_b64 s[14:15]
.LBB2_6441:
	s_or_saveexec_b64 s[6:7], s[6:7]
	v_mov_b32_e32 v2, s10
	s_xor_b64 exec, exec, s[6:7]
	s_cbranch_execz .LBB2_6442
; %bb.42283:
	s_getpc_b64 s[14:15]
.Lpost_getpc24725:
	s_add_u32 s14, s14, (.LBB2_20780-.Lpost_getpc24725)&4294967295
	s_addc_u32 s15, s15, (.LBB2_20780-.Lpost_getpc24725)>>32
	s_setpc_b64 s[14:15]
.LBB2_6442:
	s_or_b64 exec, exec, s[6:7]
	s_and_saveexec_b64 s[6:7], s[4:5]
	s_cbranch_execz .LBB2_6444
.LBB2_6443:
	v_bfe_u32 v2, v7, 8, 3
	v_ffbh_u32_e32 v13, v2
	v_min_u32_e32 v13, 32, v13
	v_lshrrev_b16_e32 v12, 3, v6
	v_subrev_u32_e32 v14, 28, v13
	v_and_b32_e32 v12, 15, v12
	v_lshlrev_b32_e32 v6, v14, v6
	v_sub_u32_e32 v13, 29, v13
	v_and_b32_e32 v6, 7, v6
	v_cmp_eq_u16_e32 vcc, 0, v12
	v_cndmask_b32_e32 v2, v2, v6, vcc
	v_cndmask_b32_e32 v6, v12, v13, vcc
	v_lshlrev_b32_e32 v12, 16, v7
	v_mov_b32_e32 v13, 0x3b800000
	v_lshlrev_b32_e32 v2, 20, v2
	v_and_b32_e32 v12, 0x80000000, v12
	v_lshl_add_u32 v6, v6, 23, v13
	v_or3_b32 v2, v12, v6, v2
.LBB2_6444:
	s_or_b64 exec, exec, s[6:7]
	v_lshrrev_b32_e32 v6, 8, v3
	s_movk_i32 s4, 0x7f
	v_cmp_gt_i16_sdwa s[6:7], v6, s4 src0_sel:BYTE_0 src1_sel:DWORD
	s_mov_b64 s[4:5], 0
                                        ; implicit-def: $sgpr10
	s_and_saveexec_b64 s[8:9], s[6:7]
	s_xor_b64 s[6:7], exec, s[8:9]
	s_cbranch_execz .LBB2_6445
; %bb.42285:
	s_getpc_b64 s[14:15]
.Lpost_getpc24726:
	s_add_u32 s14, s14, (.LBB2_20781-.Lpost_getpc24726)&4294967295
	s_addc_u32 s15, s15, (.LBB2_20781-.Lpost_getpc24726)>>32
	s_setpc_b64 s[14:15]
.LBB2_6445:
	s_or_saveexec_b64 s[6:7], s[6:7]
	v_mov_b32_e32 v12, s10
	s_xor_b64 exec, exec, s[6:7]
	s_cbranch_execz .LBB2_6446
; %bb.42287:
	s_getpc_b64 s[14:15]
.Lpost_getpc24727:
	s_add_u32 s14, s14, (.LBB2_20784-.Lpost_getpc24727)&4294967295
	s_addc_u32 s15, s15, (.LBB2_20784-.Lpost_getpc24727)>>32
	s_setpc_b64 s[14:15]
.LBB2_6446:
	s_or_b64 exec, exec, s[6:7]
	s_and_saveexec_b64 s[6:7], s[4:5]
	s_cbranch_execz .LBB2_6448
.LBB2_6447:
	v_bfe_u32 v12, v3, 8, 3
	v_ffbh_u32_e32 v14, v12
	v_min_u32_e32 v14, 32, v14
	v_lshrrev_b16_e32 v13, 3, v6
	v_subrev_u32_e32 v15, 28, v14
	v_and_b32_e32 v13, 15, v13
	v_lshlrev_b32_e32 v6, v15, v6
	v_sub_u32_e32 v14, 29, v14
	v_and_b32_e32 v6, 7, v6
	v_cmp_eq_u16_e32 vcc, 0, v13
	v_cndmask_b32_e32 v6, v12, v6, vcc
	v_cndmask_b32_e32 v12, v13, v14, vcc
	v_lshlrev_b32_e32 v13, 16, v3
	v_mov_b32_e32 v14, 0x3b800000
	v_lshlrev_b32_e32 v6, 20, v6
	v_and_b32_e32 v13, 0x80000000, v13
	v_lshl_add_u32 v12, v12, 23, v14
	v_or3_b32 v12, v13, v12, v6
.LBB2_6448:
	s_or_b64 exec, exec, s[6:7]
	s_nop 0
	v_mfma_f32_16x16x4f32 a[0:3], v2, v12, a[0:3]
	s_movk_i32 s4, 0xff
	v_and_b32_sdwa v6, v7, s4 dst_sel:DWORD dst_unused:UNUSED_PAD src0_sel:WORD_1 src1_sel:DWORD
	s_movk_i32 s4, 0x7f
	v_cmp_lt_i16_e32 vcc, s4, v6
	s_mov_b64 s[4:5], 0
                                        ; implicit-def: $sgpr10
	s_and_saveexec_b64 s[6:7], vcc
	s_xor_b64 s[6:7], exec, s[6:7]
	s_cbranch_execz .LBB2_6449
; %bb.42289:
	s_getpc_b64 s[14:15]
.Lpost_getpc24728:
	s_add_u32 s14, s14, (.LBB2_20785-.Lpost_getpc24728)&4294967295
	s_addc_u32 s15, s15, (.LBB2_20785-.Lpost_getpc24728)>>32
	s_setpc_b64 s[14:15]
.LBB2_6449:
	s_or_saveexec_b64 s[6:7], s[6:7]
	v_mov_b32_e32 v2, s10
	s_xor_b64 exec, exec, s[6:7]
	s_cbranch_execz .LBB2_6450
; %bb.42291:
	s_getpc_b64 s[14:15]
.Lpost_getpc24729:
	s_add_u32 s14, s14, (.LBB2_20788-.Lpost_getpc24729)&4294967295
	s_addc_u32 s15, s15, (.LBB2_20788-.Lpost_getpc24729)>>32
	s_setpc_b64 s[14:15]
.LBB2_6450:
	s_or_b64 exec, exec, s[6:7]
	s_and_saveexec_b64 s[6:7], s[4:5]
	s_cbranch_execz .LBB2_6452
.LBB2_6451:
	v_bfe_u32 v2, v7, 16, 3
	v_ffbh_u32_e32 v13, v2
	v_min_u32_e32 v13, 32, v13
	v_lshrrev_b32_e32 v6, 19, v7
	v_subrev_u32_e32 v14, 28, v13
	v_and_b32_e32 v6, 15, v6
	v_lshlrev_b32_sdwa v14, v14, v7 dst_sel:DWORD dst_unused:UNUSED_PAD src0_sel:DWORD src1_sel:WORD_1
	v_bfe_u32 v12, v7, 19, 4
	v_sub_u32_e32 v13, 29, v13
	v_and_b32_e32 v14, 7, v14
	v_cmp_eq_u16_e32 vcc, 0, v6
	v_cndmask_b32_e32 v2, v2, v14, vcc
	v_cndmask_b32_e32 v6, v12, v13, vcc
	v_lshlrev_b32_e32 v12, 8, v7
	v_mov_b32_e32 v13, 0x3b800000
	v_lshlrev_b32_e32 v2, 20, v2
	v_and_b32_e32 v12, 0x80000000, v12
	v_lshl_add_u32 v6, v6, 23, v13
	v_or3_b32 v2, v12, v6, v2
.LBB2_6452:
	s_or_b64 exec, exec, s[6:7]
	s_movk_i32 s4, 0xff
	v_and_b32_sdwa v6, v3, s4 dst_sel:DWORD dst_unused:UNUSED_PAD src0_sel:WORD_1 src1_sel:DWORD
	s_movk_i32 s4, 0x7f
	v_cmp_lt_i16_e32 vcc, s4, v6
	s_mov_b64 s[4:5], 0
                                        ; implicit-def: $sgpr10
	s_and_saveexec_b64 s[6:7], vcc
	s_xor_b64 s[6:7], exec, s[6:7]
	s_cbranch_execz .LBB2_6453
; %bb.42293:
	s_getpc_b64 s[14:15]
.Lpost_getpc24730:
	s_add_u32 s14, s14, (.LBB2_20789-.Lpost_getpc24730)&4294967295
	s_addc_u32 s15, s15, (.LBB2_20789-.Lpost_getpc24730)>>32
	s_setpc_b64 s[14:15]
.LBB2_6453:
	s_or_saveexec_b64 s[6:7], s[6:7]
	v_mov_b32_e32 v12, s10
	s_xor_b64 exec, exec, s[6:7]
	s_cbranch_execz .LBB2_6454
; %bb.42295:
	s_getpc_b64 s[14:15]
.Lpost_getpc24731:
	s_add_u32 s14, s14, (.LBB2_20792-.Lpost_getpc24731)&4294967295
	s_addc_u32 s15, s15, (.LBB2_20792-.Lpost_getpc24731)>>32
	s_setpc_b64 s[14:15]
.LBB2_6454:
	s_or_b64 exec, exec, s[6:7]
	s_and_saveexec_b64 s[6:7], s[4:5]
	s_cbranch_execz .LBB2_6456
.LBB2_6455:
	v_bfe_u32 v6, v3, 16, 3
	v_ffbh_u32_e32 v14, v6
	v_min_u32_e32 v14, 32, v14
	v_lshrrev_b32_e32 v12, 19, v3
	v_subrev_u32_e32 v15, 28, v14
	v_and_b32_e32 v12, 15, v12
	v_lshlrev_b32_sdwa v15, v15, v3 dst_sel:DWORD dst_unused:UNUSED_PAD src0_sel:DWORD src1_sel:WORD_1
	v_bfe_u32 v13, v3, 19, 4
	v_sub_u32_e32 v14, 29, v14
	v_and_b32_e32 v15, 7, v15
	v_cmp_eq_u16_e32 vcc, 0, v12
	v_cndmask_b32_e32 v6, v6, v15, vcc
	v_cndmask_b32_e32 v12, v13, v14, vcc
	v_lshlrev_b32_e32 v13, 8, v3
	v_mov_b32_e32 v14, 0x3b800000
	v_lshlrev_b32_e32 v6, 20, v6
	v_and_b32_e32 v13, 0x80000000, v13
	v_lshl_add_u32 v12, v12, 23, v14
	v_or3_b32 v12, v13, v12, v6
.LBB2_6456:
	s_or_b64 exec, exec, s[6:7]
	s_nop 0
	v_mfma_f32_16x16x4f32 a[0:3], v2, v12, a[0:3]
	s_movk_i32 s4, 0x7f
	v_cmp_gt_i16_sdwa s[6:7], v7, s4 src0_sel:BYTE_3 src1_sel:DWORD
	s_mov_b64 s[4:5], 0
                                        ; implicit-def: $sgpr10
	s_and_saveexec_b64 s[8:9], s[6:7]
	s_xor_b64 s[6:7], exec, s[8:9]
	s_cbranch_execz .LBB2_6457
; %bb.42297:
	s_getpc_b64 s[14:15]
.Lpost_getpc24732:
	s_add_u32 s14, s14, (.LBB2_20793-.Lpost_getpc24732)&4294967295
	s_addc_u32 s15, s15, (.LBB2_20793-.Lpost_getpc24732)>>32
	s_setpc_b64 s[14:15]
.LBB2_6457:
	s_or_saveexec_b64 s[6:7], s[6:7]
	v_mov_b32_e32 v2, s10
	s_xor_b64 exec, exec, s[6:7]
	s_cbranch_execz .LBB2_6458
; %bb.42299:
	s_getpc_b64 s[14:15]
.Lpost_getpc24733:
	s_add_u32 s14, s14, (.LBB2_20796-.Lpost_getpc24733)&4294967295
	s_addc_u32 s15, s15, (.LBB2_20796-.Lpost_getpc24733)>>32
	s_setpc_b64 s[14:15]
.LBB2_6458:
	s_or_b64 exec, exec, s[6:7]
	s_and_saveexec_b64 s[6:7], s[4:5]
	s_cbranch_execz .LBB2_6460
.LBB2_6459:
	v_bfe_u32 v2, v7, 24, 3
	v_ffbh_u32_e32 v14, v2
	v_min_u32_e32 v14, 32, v14
	v_lshrrev_b32_e32 v12, 27, v7
	v_subrev_u32_e32 v15, 28, v14
	v_and_b32_e32 v6, 0x80000000, v7
	v_and_b32_e32 v12, 15, v12
	v_bfe_u32 v13, v7, 27, 4
	v_lshlrev_b32_sdwa v7, v15, v7 dst_sel:DWORD dst_unused:UNUSED_PAD src0_sel:DWORD src1_sel:BYTE_3
	v_sub_u32_e32 v14, 29, v14
	v_and_b32_e32 v7, 7, v7
	v_cmp_eq_u16_e32 vcc, 0, v12
	v_cndmask_b32_e32 v2, v2, v7, vcc
	v_cndmask_b32_e32 v7, v13, v14, vcc
	v_mov_b32_e32 v12, 0x3b800000
	v_lshlrev_b32_e32 v2, 20, v2
	v_lshl_add_u32 v7, v7, 23, v12
	v_or3_b32 v2, v6, v7, v2
.LBB2_6460:
	s_or_b64 exec, exec, s[6:7]
	s_movk_i32 s4, 0x7f
	v_cmp_gt_i16_sdwa s[6:7], v3, s4 src0_sel:BYTE_3 src1_sel:DWORD
	s_mov_b64 s[4:5], 0
                                        ; implicit-def: $sgpr10
	s_and_saveexec_b64 s[8:9], s[6:7]
	s_xor_b64 s[6:7], exec, s[8:9]
	s_cbranch_execz .LBB2_6461
; %bb.42301:
	s_getpc_b64 s[14:15]
.Lpost_getpc24734:
	s_add_u32 s14, s14, (.LBB2_20797-.Lpost_getpc24734)&4294967295
	s_addc_u32 s15, s15, (.LBB2_20797-.Lpost_getpc24734)>>32
	s_setpc_b64 s[14:15]
.LBB2_6461:
	s_or_saveexec_b64 s[6:7], s[6:7]
	v_mov_b32_e32 v6, s10
	s_xor_b64 exec, exec, s[6:7]
	s_cbranch_execz .LBB2_6462
; %bb.42303:
	s_getpc_b64 s[14:15]
.Lpost_getpc24735:
	s_add_u32 s14, s14, (.LBB2_20800-.Lpost_getpc24735)&4294967295
	s_addc_u32 s15, s15, (.LBB2_20800-.Lpost_getpc24735)>>32
	s_setpc_b64 s[14:15]
.LBB2_6462:
	s_or_b64 exec, exec, s[6:7]
	s_and_saveexec_b64 s[6:7], s[4:5]
	s_cbranch_execz .LBB2_6464
.LBB2_6463:
	v_bfe_u32 v6, v3, 24, 3
	v_ffbh_u32_e32 v14, v6
	v_min_u32_e32 v14, 32, v14
	v_lshrrev_b32_e32 v12, 27, v3
	v_subrev_u32_e32 v15, 28, v14
	v_and_b32_e32 v7, 0x80000000, v3
	v_and_b32_e32 v12, 15, v12
	v_bfe_u32 v13, v3, 27, 4
	v_lshlrev_b32_sdwa v3, v15, v3 dst_sel:DWORD dst_unused:UNUSED_PAD src0_sel:DWORD src1_sel:BYTE_3
	v_sub_u32_e32 v14, 29, v14
	v_and_b32_e32 v3, 7, v3
	v_cmp_eq_u16_e32 vcc, 0, v12
	v_cndmask_b32_e32 v3, v6, v3, vcc
	v_cndmask_b32_e32 v6, v13, v14, vcc
	v_mov_b32_e32 v12, 0x3b800000
	v_lshlrev_b32_e32 v3, 20, v3
	v_lshl_add_u32 v6, v6, 23, v12
	v_or3_b32 v6, v7, v6, v3
.LBB2_6464:
	s_or_b64 exec, exec, s[6:7]
	s_nop 0
	v_mfma_f32_16x16x4f32 a[0:3], v2, v6, a[0:3]
	s_movk_i32 s4, 0x7f
	v_cmp_gt_i16_sdwa s[6:7], v8, s4 src0_sel:BYTE_0 src1_sel:DWORD
	s_mov_b64 s[4:5], 0
                                        ; implicit-def: $sgpr10
	s_and_saveexec_b64 s[8:9], s[6:7]
	s_xor_b64 s[6:7], exec, s[8:9]
	s_cbranch_execz .LBB2_6465
; %bb.42305:
	s_getpc_b64 s[14:15]
.Lpost_getpc24736:
	s_add_u32 s14, s14, (.LBB2_20801-.Lpost_getpc24736)&4294967295
	s_addc_u32 s15, s15, (.LBB2_20801-.Lpost_getpc24736)>>32
	s_setpc_b64 s[14:15]
.LBB2_6465:
	s_or_saveexec_b64 s[6:7], s[6:7]
	v_mov_b32_e32 v2, s10
	s_xor_b64 exec, exec, s[6:7]
	s_cbranch_execz .LBB2_6466
; %bb.42307:
	s_getpc_b64 s[14:15]
.Lpost_getpc24737:
	s_add_u32 s14, s14, (.LBB2_20804-.Lpost_getpc24737)&4294967295
	s_addc_u32 s15, s15, (.LBB2_20804-.Lpost_getpc24737)>>32
	s_setpc_b64 s[14:15]
.LBB2_6466:
	s_or_b64 exec, exec, s[6:7]
	s_and_saveexec_b64 s[6:7], s[4:5]
	s_cbranch_execz .LBB2_6468
.LBB2_6467:
	v_and_b32_e32 v2, 7, v8
	v_ffbh_u32_e32 v6, v2
	v_min_u32_e32 v6, 32, v6
	v_lshrrev_b16_e32 v3, 3, v8
	v_subrev_u32_e32 v7, 28, v6
	v_and_b32_e32 v3, 15, v3
	v_lshlrev_b32_e32 v7, v7, v8
	v_sub_u32_e32 v6, 29, v6
	v_and_b32_e32 v7, 7, v7
	v_cmp_eq_u16_e32 vcc, 0, v3
	v_cndmask_b32_e32 v2, v2, v7, vcc
	v_cndmask_b32_e32 v3, v3, v6, vcc
	v_lshlrev_b32_e32 v6, 24, v8
	v_mov_b32_e32 v7, 0x3b800000
	v_lshlrev_b32_e32 v2, 20, v2
	v_and_b32_e32 v6, 0x80000000, v6
	v_lshl_add_u32 v3, v3, 23, v7
	v_or3_b32 v2, v6, v3, v2
.LBB2_6468:
	s_or_b64 exec, exec, s[6:7]
	s_movk_i32 s4, 0x7f
	v_cmp_gt_i16_sdwa s[6:7], v4, s4 src0_sel:BYTE_0 src1_sel:DWORD
	s_mov_b64 s[4:5], 0
                                        ; implicit-def: $sgpr10
	s_and_saveexec_b64 s[8:9], s[6:7]
	s_xor_b64 s[6:7], exec, s[8:9]
	s_cbranch_execz .LBB2_6469
; %bb.42309:
	s_getpc_b64 s[14:15]
.Lpost_getpc24738:
	s_add_u32 s14, s14, (.LBB2_20805-.Lpost_getpc24738)&4294967295
	s_addc_u32 s15, s15, (.LBB2_20805-.Lpost_getpc24738)>>32
	s_setpc_b64 s[14:15]
.LBB2_6469:
	s_or_saveexec_b64 s[6:7], s[6:7]
	v_mov_b32_e32 v3, s10
	s_xor_b64 exec, exec, s[6:7]
	s_cbranch_execz .LBB2_6470
; %bb.42311:
	s_getpc_b64 s[14:15]
.Lpost_getpc24739:
	s_add_u32 s14, s14, (.LBB2_20808-.Lpost_getpc24739)&4294967295
	s_addc_u32 s15, s15, (.LBB2_20808-.Lpost_getpc24739)>>32
	s_setpc_b64 s[14:15]
.LBB2_6470:
	s_or_b64 exec, exec, s[6:7]
	s_and_saveexec_b64 s[6:7], s[4:5]
	s_cbranch_execz .LBB2_6472
.LBB2_6471:
	v_and_b32_e32 v3, 7, v4
	v_ffbh_u32_e32 v7, v3
	v_min_u32_e32 v7, 32, v7
	v_lshrrev_b16_e32 v6, 3, v4
	v_subrev_u32_e32 v12, 28, v7
	v_and_b32_e32 v6, 15, v6
	v_lshlrev_b32_e32 v12, v12, v4
	v_sub_u32_e32 v7, 29, v7
	v_and_b32_e32 v12, 7, v12
	v_cmp_eq_u16_e32 vcc, 0, v6
	v_cndmask_b32_e32 v3, v3, v12, vcc
	v_cndmask_b32_e32 v6, v6, v7, vcc
	v_lshlrev_b32_e32 v7, 24, v4
	v_mov_b32_e32 v12, 0x3b800000
	v_lshlrev_b32_e32 v3, 20, v3
	v_and_b32_e32 v7, 0x80000000, v7
	v_lshl_add_u32 v6, v6, 23, v12
	v_or3_b32 v3, v7, v6, v3
.LBB2_6472:
	s_or_b64 exec, exec, s[6:7]
	s_nop 0
	v_mfma_f32_16x16x4f32 a[0:3], v2, v3, a[0:3]
	v_lshrrev_b32_e32 v3, 8, v8
	s_movk_i32 s4, 0x7f
	v_cmp_gt_i16_sdwa s[6:7], v3, s4 src0_sel:BYTE_0 src1_sel:DWORD
	s_mov_b64 s[4:5], 0
                                        ; implicit-def: $sgpr10
	s_and_saveexec_b64 s[8:9], s[6:7]
	s_xor_b64 s[6:7], exec, s[8:9]
	s_cbranch_execz .LBB2_6473
; %bb.42313:
	s_getpc_b64 s[14:15]
.Lpost_getpc24740:
	s_add_u32 s14, s14, (.LBB2_20809-.Lpost_getpc24740)&4294967295
	s_addc_u32 s15, s15, (.LBB2_20809-.Lpost_getpc24740)>>32
	s_setpc_b64 s[14:15]
.LBB2_6473:
	s_or_saveexec_b64 s[6:7], s[6:7]
	v_mov_b32_e32 v2, s10
	s_xor_b64 exec, exec, s[6:7]
	s_cbranch_execz .LBB2_6474
; %bb.42315:
	s_getpc_b64 s[14:15]
.Lpost_getpc24741:
	s_add_u32 s14, s14, (.LBB2_20812-.Lpost_getpc24741)&4294967295
	s_addc_u32 s15, s15, (.LBB2_20812-.Lpost_getpc24741)>>32
	s_setpc_b64 s[14:15]
.LBB2_6474:
	s_or_b64 exec, exec, s[6:7]
	s_and_saveexec_b64 s[6:7], s[4:5]
	s_cbranch_execz .LBB2_6476
.LBB2_6475:
	v_bfe_u32 v2, v8, 8, 3
	v_ffbh_u32_e32 v7, v2
	v_min_u32_e32 v7, 32, v7
	v_lshrrev_b16_e32 v6, 3, v3
	v_subrev_u32_e32 v12, 28, v7
	v_and_b32_e32 v6, 15, v6
	v_lshlrev_b32_e32 v3, v12, v3
	v_sub_u32_e32 v7, 29, v7
	v_and_b32_e32 v3, 7, v3
	v_cmp_eq_u16_e32 vcc, 0, v6
	v_cndmask_b32_e32 v2, v2, v3, vcc
	v_cndmask_b32_e32 v3, v6, v7, vcc
	v_lshlrev_b32_e32 v6, 16, v8
	v_mov_b32_e32 v7, 0x3b800000
	v_lshlrev_b32_e32 v2, 20, v2
	v_and_b32_e32 v6, 0x80000000, v6
	v_lshl_add_u32 v3, v3, 23, v7
	v_or3_b32 v2, v6, v3, v2
.LBB2_6476:
	s_or_b64 exec, exec, s[6:7]
	v_lshrrev_b32_e32 v3, 8, v4
	s_movk_i32 s4, 0x7f
	v_cmp_gt_i16_sdwa s[6:7], v3, s4 src0_sel:BYTE_0 src1_sel:DWORD
	s_mov_b64 s[4:5], 0
                                        ; implicit-def: $sgpr10
	s_and_saveexec_b64 s[8:9], s[6:7]
	s_xor_b64 s[6:7], exec, s[8:9]
	s_cbranch_execz .LBB2_6477
; %bb.42317:
	s_getpc_b64 s[14:15]
.Lpost_getpc24742:
	s_add_u32 s14, s14, (.LBB2_20813-.Lpost_getpc24742)&4294967295
	s_addc_u32 s15, s15, (.LBB2_20813-.Lpost_getpc24742)>>32
	s_setpc_b64 s[14:15]
.LBB2_6477:
	s_or_saveexec_b64 s[6:7], s[6:7]
	v_mov_b32_e32 v6, s10
	s_xor_b64 exec, exec, s[6:7]
	s_cbranch_execz .LBB2_6478
; %bb.42319:
	s_getpc_b64 s[14:15]
.Lpost_getpc24743:
	s_add_u32 s14, s14, (.LBB2_20816-.Lpost_getpc24743)&4294967295
	s_addc_u32 s15, s15, (.LBB2_20816-.Lpost_getpc24743)>>32
	s_setpc_b64 s[14:15]
.LBB2_6478:
	s_or_b64 exec, exec, s[6:7]
	s_and_saveexec_b64 s[6:7], s[4:5]
	s_cbranch_execz .LBB2_6480
.LBB2_6479:
	v_bfe_u32 v6, v4, 8, 3
	v_ffbh_u32_e32 v12, v6
	v_min_u32_e32 v12, 32, v12
	v_lshrrev_b16_e32 v7, 3, v3
	v_subrev_u32_e32 v13, 28, v12
	v_and_b32_e32 v7, 15, v7
	v_lshlrev_b32_e32 v3, v13, v3
	v_sub_u32_e32 v12, 29, v12
	v_and_b32_e32 v3, 7, v3
	v_cmp_eq_u16_e32 vcc, 0, v7
	v_cndmask_b32_e32 v3, v6, v3, vcc
	v_cndmask_b32_e32 v6, v7, v12, vcc
	v_lshlrev_b32_e32 v7, 16, v4
	v_mov_b32_e32 v12, 0x3b800000
	v_lshlrev_b32_e32 v3, 20, v3
	v_and_b32_e32 v7, 0x80000000, v7
	v_lshl_add_u32 v6, v6, 23, v12
	v_or3_b32 v6, v7, v6, v3
.LBB2_6480:
	s_or_b64 exec, exec, s[6:7]
	s_nop 0
	v_mfma_f32_16x16x4f32 a[0:3], v2, v6, a[0:3]
	s_movk_i32 s4, 0xff
	v_and_b32_sdwa v3, v8, s4 dst_sel:DWORD dst_unused:UNUSED_PAD src0_sel:WORD_1 src1_sel:DWORD
	s_movk_i32 s4, 0x7f
	v_cmp_lt_i16_e32 vcc, s4, v3
	s_mov_b64 s[4:5], 0
                                        ; implicit-def: $sgpr10
	s_and_saveexec_b64 s[6:7], vcc
	s_xor_b64 s[6:7], exec, s[6:7]
	s_cbranch_execz .LBB2_6481
; %bb.42321:
	s_getpc_b64 s[14:15]
.Lpost_getpc24744:
	s_add_u32 s14, s14, (.LBB2_20817-.Lpost_getpc24744)&4294967295
	s_addc_u32 s15, s15, (.LBB2_20817-.Lpost_getpc24744)>>32
	s_setpc_b64 s[14:15]
.LBB2_6481:
	s_or_saveexec_b64 s[6:7], s[6:7]
	v_mov_b32_e32 v2, s10
	s_xor_b64 exec, exec, s[6:7]
	s_cbranch_execz .LBB2_6482
; %bb.42323:
	s_getpc_b64 s[14:15]
.Lpost_getpc24745:
	s_add_u32 s14, s14, (.LBB2_20820-.Lpost_getpc24745)&4294967295
	s_addc_u32 s15, s15, (.LBB2_20820-.Lpost_getpc24745)>>32
	s_setpc_b64 s[14:15]
.LBB2_6482:
	s_or_b64 exec, exec, s[6:7]
	s_and_saveexec_b64 s[6:7], s[4:5]
	s_cbranch_execz .LBB2_6484
.LBB2_6483:
	v_bfe_u32 v2, v8, 16, 3
	v_ffbh_u32_e32 v7, v2
	v_min_u32_e32 v7, 32, v7
	v_lshrrev_b32_e32 v3, 19, v8
	v_subrev_u32_e32 v12, 28, v7
	v_and_b32_e32 v3, 15, v3
	v_lshlrev_b32_sdwa v12, v12, v8 dst_sel:DWORD dst_unused:UNUSED_PAD src0_sel:DWORD src1_sel:WORD_1
	v_bfe_u32 v6, v8, 19, 4
	v_sub_u32_e32 v7, 29, v7
	v_and_b32_e32 v12, 7, v12
	v_cmp_eq_u16_e32 vcc, 0, v3
	v_cndmask_b32_e32 v2, v2, v12, vcc
	v_cndmask_b32_e32 v3, v6, v7, vcc
	v_lshlrev_b32_e32 v6, 8, v8
	v_mov_b32_e32 v7, 0x3b800000
	v_lshlrev_b32_e32 v2, 20, v2
	v_and_b32_e32 v6, 0x80000000, v6
	v_lshl_add_u32 v3, v3, 23, v7
	v_or3_b32 v2, v6, v3, v2
.LBB2_6484:
	s_or_b64 exec, exec, s[6:7]
	s_movk_i32 s4, 0xff
	v_and_b32_sdwa v3, v4, s4 dst_sel:DWORD dst_unused:UNUSED_PAD src0_sel:WORD_1 src1_sel:DWORD
	s_movk_i32 s4, 0x7f
	v_cmp_lt_i16_e32 vcc, s4, v3
	s_mov_b64 s[4:5], 0
                                        ; implicit-def: $sgpr10
	s_and_saveexec_b64 s[6:7], vcc
	s_xor_b64 s[6:7], exec, s[6:7]
	s_cbranch_execz .LBB2_6485
; %bb.42325:
	s_getpc_b64 s[14:15]
.Lpost_getpc24746:
	s_add_u32 s14, s14, (.LBB2_20821-.Lpost_getpc24746)&4294967295
	s_addc_u32 s15, s15, (.LBB2_20821-.Lpost_getpc24746)>>32
	s_setpc_b64 s[14:15]
.LBB2_6485:
	s_or_saveexec_b64 s[6:7], s[6:7]
	v_mov_b32_e32 v6, s10
	s_xor_b64 exec, exec, s[6:7]
	s_cbranch_execz .LBB2_6486
; %bb.42327:
	s_getpc_b64 s[14:15]
.Lpost_getpc24747:
	s_add_u32 s14, s14, (.LBB2_20824-.Lpost_getpc24747)&4294967295
	s_addc_u32 s15, s15, (.LBB2_20824-.Lpost_getpc24747)>>32
	s_setpc_b64 s[14:15]
.LBB2_6486:
	s_or_b64 exec, exec, s[6:7]
	s_and_saveexec_b64 s[6:7], s[4:5]
	s_cbranch_execz .LBB2_6488
.LBB2_6487:
	v_bfe_u32 v3, v4, 16, 3
	v_ffbh_u32_e32 v12, v3
	v_min_u32_e32 v12, 32, v12
	v_lshrrev_b32_e32 v6, 19, v4
	v_subrev_u32_e32 v13, 28, v12
	v_and_b32_e32 v6, 15, v6
	v_lshlrev_b32_sdwa v13, v13, v4 dst_sel:DWORD dst_unused:UNUSED_PAD src0_sel:DWORD src1_sel:WORD_1
	v_bfe_u32 v7, v4, 19, 4
	v_sub_u32_e32 v12, 29, v12
	v_and_b32_e32 v13, 7, v13
	v_cmp_eq_u16_e32 vcc, 0, v6
	v_cndmask_b32_e32 v3, v3, v13, vcc
	v_cndmask_b32_e32 v6, v7, v12, vcc
	v_lshlrev_b32_e32 v7, 8, v4
	v_mov_b32_e32 v12, 0x3b800000
	v_lshlrev_b32_e32 v3, 20, v3
	v_and_b32_e32 v7, 0x80000000, v7
	v_lshl_add_u32 v6, v6, 23, v12
	v_or3_b32 v6, v7, v6, v3
.LBB2_6488:
	s_or_b64 exec, exec, s[6:7]
	s_nop 0
	v_mfma_f32_16x16x4f32 a[0:3], v2, v6, a[0:3]
	s_movk_i32 s4, 0x7f
	v_cmp_gt_i16_sdwa s[6:7], v8, s4 src0_sel:BYTE_3 src1_sel:DWORD
	s_mov_b64 s[4:5], 0
                                        ; implicit-def: $sgpr10
	s_and_saveexec_b64 s[8:9], s[6:7]
	s_xor_b64 s[6:7], exec, s[8:9]
	s_cbranch_execz .LBB2_6489
; %bb.42329:
	s_getpc_b64 s[14:15]
.Lpost_getpc24748:
	s_add_u32 s14, s14, (.LBB2_20825-.Lpost_getpc24748)&4294967295
	s_addc_u32 s15, s15, (.LBB2_20825-.Lpost_getpc24748)>>32
	s_setpc_b64 s[14:15]
.LBB2_6489:
	s_or_saveexec_b64 s[6:7], s[6:7]
	v_mov_b32_e32 v2, s10
	s_xor_b64 exec, exec, s[6:7]
	s_cbranch_execz .LBB2_6490
; %bb.42331:
	s_getpc_b64 s[14:15]
.Lpost_getpc24749:
	s_add_u32 s14, s14, (.LBB2_20828-.Lpost_getpc24749)&4294967295
	s_addc_u32 s15, s15, (.LBB2_20828-.Lpost_getpc24749)>>32
	s_setpc_b64 s[14:15]
.LBB2_6490:
	s_or_b64 exec, exec, s[6:7]
	s_and_saveexec_b64 s[6:7], s[4:5]
	s_cbranch_execz .LBB2_6492
.LBB2_6491:
	v_bfe_u32 v2, v8, 24, 3
	v_ffbh_u32_e32 v12, v2
	v_min_u32_e32 v12, 32, v12
	v_lshrrev_b32_e32 v6, 27, v8
	v_subrev_u32_e32 v13, 28, v12
	v_and_b32_e32 v3, 0x80000000, v8
	v_and_b32_e32 v6, 15, v6
	v_bfe_u32 v7, v8, 27, 4
	v_lshlrev_b32_sdwa v8, v13, v8 dst_sel:DWORD dst_unused:UNUSED_PAD src0_sel:DWORD src1_sel:BYTE_3
	v_sub_u32_e32 v12, 29, v12
	v_and_b32_e32 v8, 7, v8
	v_cmp_eq_u16_e32 vcc, 0, v6
	v_cndmask_b32_e32 v2, v2, v8, vcc
	v_cndmask_b32_e32 v6, v7, v12, vcc
	v_mov_b32_e32 v7, 0x3b800000
	v_lshlrev_b32_e32 v2, 20, v2
	v_lshl_add_u32 v6, v6, 23, v7
	v_or3_b32 v2, v3, v6, v2
.LBB2_6492:
	s_or_b64 exec, exec, s[6:7]
	s_movk_i32 s4, 0x7f
	v_cmp_gt_i16_sdwa s[6:7], v4, s4 src0_sel:BYTE_3 src1_sel:DWORD
	s_mov_b64 s[4:5], 0
                                        ; implicit-def: $sgpr10
	s_and_saveexec_b64 s[8:9], s[6:7]
	s_xor_b64 s[6:7], exec, s[8:9]
	s_cbranch_execz .LBB2_6493
; %bb.42333:
	s_getpc_b64 s[14:15]
.Lpost_getpc24750:
	s_add_u32 s14, s14, (.LBB2_20829-.Lpost_getpc24750)&4294967295
	s_addc_u32 s15, s15, (.LBB2_20829-.Lpost_getpc24750)>>32
	s_setpc_b64 s[14:15]
.LBB2_6493:
	s_or_saveexec_b64 s[6:7], s[6:7]
	v_mov_b32_e32 v3, s10
	s_xor_b64 exec, exec, s[6:7]
	s_cbranch_execz .LBB2_6494
; %bb.42335:
	s_getpc_b64 s[14:15]
.Lpost_getpc24751:
	s_add_u32 s14, s14, (.LBB2_20832-.Lpost_getpc24751)&4294967295
	s_addc_u32 s15, s15, (.LBB2_20832-.Lpost_getpc24751)>>32
	s_setpc_b64 s[14:15]
.LBB2_6494:
	s_or_b64 exec, exec, s[6:7]
	s_and_saveexec_b64 s[6:7], s[4:5]
	s_cbranch_execz .LBB2_6496
.LBB2_6495:
	v_bfe_u32 v3, v4, 24, 3
	v_ffbh_u32_e32 v12, v3
	v_min_u32_e32 v12, 32, v12
	v_lshrrev_b32_e32 v7, 27, v4
	v_subrev_u32_e32 v13, 28, v12
	v_and_b32_e32 v6, 0x80000000, v4
	v_and_b32_e32 v7, 15, v7
	v_bfe_u32 v8, v4, 27, 4
	v_lshlrev_b32_sdwa v4, v13, v4 dst_sel:DWORD dst_unused:UNUSED_PAD src0_sel:DWORD src1_sel:BYTE_3
	v_sub_u32_e32 v12, 29, v12
	v_and_b32_e32 v4, 7, v4
	v_cmp_eq_u16_e32 vcc, 0, v7
	v_cndmask_b32_e32 v3, v3, v4, vcc
	v_cndmask_b32_e32 v4, v8, v12, vcc
	v_mov_b32_e32 v7, 0x3b800000
	v_lshlrev_b32_e32 v3, 20, v3
	v_lshl_add_u32 v4, v4, 23, v7
	v_or3_b32 v3, v6, v4, v3
.LBB2_6496:
	s_or_b64 exec, exec, s[6:7]
	s_nop 0
	v_mfma_f32_16x16x4f32 a[0:3], v2, v3, a[0:3]
	s_movk_i32 s4, 0x7f
	v_cmp_gt_i16_sdwa s[6:7], v9, s4 src0_sel:BYTE_0 src1_sel:DWORD
	s_mov_b64 s[4:5], 0
                                        ; implicit-def: $sgpr10
	s_and_saveexec_b64 s[8:9], s[6:7]
	s_xor_b64 s[6:7], exec, s[8:9]
	s_cbranch_execz .LBB2_6497
; %bb.42337:
	s_getpc_b64 s[14:15]
.Lpost_getpc24752:
	s_add_u32 s14, s14, (.LBB2_20833-.Lpost_getpc24752)&4294967295
	s_addc_u32 s15, s15, (.LBB2_20833-.Lpost_getpc24752)>>32
	s_setpc_b64 s[14:15]
.LBB2_6497:
	s_or_saveexec_b64 s[6:7], s[6:7]
	v_mov_b32_e32 v2, s10
	s_xor_b64 exec, exec, s[6:7]
	s_cbranch_execz .LBB2_6498
; %bb.42339:
	s_getpc_b64 s[14:15]
.Lpost_getpc24753:
	s_add_u32 s14, s14, (.LBB2_20836-.Lpost_getpc24753)&4294967295
	s_addc_u32 s15, s15, (.LBB2_20836-.Lpost_getpc24753)>>32
	s_setpc_b64 s[14:15]
.LBB2_6498:
	s_or_b64 exec, exec, s[6:7]
	s_and_saveexec_b64 s[6:7], s[4:5]
	s_cbranch_execz .LBB2_6500
.LBB2_6499:
	v_mov_b32_e32 v2, 8
	v_and_b32_e32 v3, 7, v9
	v_lshrrev_b32_sdwa v2, v2, v9 dst_sel:BYTE_1 dst_unused:UNUSED_PAD src0_sel:DWORD src1_sel:DWORD
	v_ffbh_u32_e32 v4, v3
	v_or_b32_sdwa v2, v9, v2 dst_sel:DWORD dst_unused:UNUSED_PAD src0_sel:BYTE_0 src1_sel:DWORD
	v_min_u32_e32 v4, 32, v4
	v_lshrrev_b16_e32 v2, 3, v2
	v_subrev_u32_e32 v6, 28, v4
	v_and_b32_e32 v2, 15, v2
	v_lshlrev_b32_e32 v6, v6, v9
	v_sub_u32_e32 v4, 29, v4
	v_and_b32_e32 v6, 7, v6
	v_cmp_eq_u16_e32 vcc, 0, v2
	v_cndmask_b32_e32 v3, v3, v6, vcc
	v_cndmask_b32_e32 v2, v2, v4, vcc
	v_lshlrev_b32_e32 v4, 24, v9
	v_mov_b32_e32 v6, 0x3b800000
	v_lshlrev_b32_e32 v3, 20, v3
	v_and_b32_e32 v4, 0x80000000, v4
	v_lshl_add_u32 v2, v2, 23, v6
	v_or3_b32 v2, v4, v2, v3
.LBB2_6500:
	s_or_b64 exec, exec, s[6:7]
	s_movk_i32 s4, 0x7f
	v_cmp_gt_i16_sdwa s[6:7], v5, s4 src0_sel:BYTE_0 src1_sel:DWORD
	s_mov_b64 s[4:5], 0
                                        ; implicit-def: $sgpr10
	s_and_saveexec_b64 s[8:9], s[6:7]
	s_xor_b64 s[6:7], exec, s[8:9]
	s_cbranch_execz .LBB2_6501
; %bb.42341:
	s_getpc_b64 s[14:15]
.Lpost_getpc24754:
	s_add_u32 s14, s14, (.LBB2_20837-.Lpost_getpc24754)&4294967295
	s_addc_u32 s15, s15, (.LBB2_20837-.Lpost_getpc24754)>>32
	s_setpc_b64 s[14:15]
.LBB2_6501:
	s_or_saveexec_b64 s[6:7], s[6:7]
	v_mov_b32_e32 v3, s10
	s_xor_b64 exec, exec, s[6:7]
	s_cbranch_execz .LBB2_6502
; %bb.42343:
	s_getpc_b64 s[14:15]
.Lpost_getpc24755:
	s_add_u32 s14, s14, (.LBB2_20840-.Lpost_getpc24755)&4294967295
	s_addc_u32 s15, s15, (.LBB2_20840-.Lpost_getpc24755)>>32
	s_setpc_b64 s[14:15]
.LBB2_6502:
	s_or_b64 exec, exec, s[6:7]
	s_and_saveexec_b64 s[6:7], s[4:5]
	s_cbranch_execz .LBB2_6504
.LBB2_6503:
	v_mov_b32_e32 v3, 8
	v_and_b32_e32 v4, 7, v5
	v_lshrrev_b32_sdwa v3, v3, v5 dst_sel:BYTE_1 dst_unused:UNUSED_PAD src0_sel:DWORD src1_sel:DWORD
	v_ffbh_u32_e32 v6, v4
	v_or_b32_sdwa v3, v5, v3 dst_sel:DWORD dst_unused:UNUSED_PAD src0_sel:BYTE_0 src1_sel:DWORD
	v_min_u32_e32 v6, 32, v6
	v_lshrrev_b16_e32 v3, 3, v3
	v_subrev_u32_e32 v7, 28, v6
	v_and_b32_e32 v3, 15, v3
	v_lshlrev_b32_e32 v7, v7, v5
	v_sub_u32_e32 v6, 29, v6
	v_and_b32_e32 v7, 7, v7
	v_cmp_eq_u16_e32 vcc, 0, v3
	v_cndmask_b32_e32 v4, v4, v7, vcc
	v_cndmask_b32_e32 v3, v3, v6, vcc
	v_lshlrev_b32_e32 v6, 24, v5
	v_mov_b32_e32 v7, 0x3b800000
	v_lshlrev_b32_e32 v4, 20, v4
	v_and_b32_e32 v6, 0x80000000, v6
	v_lshl_add_u32 v3, v3, 23, v7
	v_or3_b32 v3, v6, v3, v4
.LBB2_6504:
	s_or_b64 exec, exec, s[6:7]
	s_nop 0
	v_mfma_f32_16x16x4f32 a[0:3], v2, v3, a[0:3]
	v_lshrrev_b32_e32 v3, 8, v9
	s_movk_i32 s4, 0x7f
	v_cmp_gt_i16_sdwa s[6:7], v3, s4 src0_sel:BYTE_0 src1_sel:DWORD
	s_mov_b64 s[4:5], 0
                                        ; implicit-def: $sgpr10
	s_and_saveexec_b64 s[8:9], s[6:7]
	s_xor_b64 s[6:7], exec, s[8:9]
	s_cbranch_execz .LBB2_6505
; %bb.42345:
	s_getpc_b64 s[14:15]
.Lpost_getpc24756:
	s_add_u32 s14, s14, (.LBB2_20841-.Lpost_getpc24756)&4294967295
	s_addc_u32 s15, s15, (.LBB2_20841-.Lpost_getpc24756)>>32
	s_setpc_b64 s[14:15]
.LBB2_6505:
	s_or_saveexec_b64 s[6:7], s[6:7]
	v_mov_b32_e32 v2, s10
	s_xor_b64 exec, exec, s[6:7]
	s_cbranch_execz .LBB2_6506
; %bb.42347:
	s_getpc_b64 s[14:15]
.Lpost_getpc24757:
	s_add_u32 s14, s14, (.LBB2_20844-.Lpost_getpc24757)&4294967295
	s_addc_u32 s15, s15, (.LBB2_20844-.Lpost_getpc24757)>>32
	s_setpc_b64 s[14:15]
.LBB2_6506:
	s_or_b64 exec, exec, s[6:7]
	s_and_saveexec_b64 s[6:7], s[4:5]
	s_cbranch_execz .LBB2_6508
.LBB2_6507:
	v_bfe_u32 v2, v9, 8, 3
	v_ffbh_u32_e32 v6, v2
	v_min_u32_e32 v6, 32, v6
	v_lshrrev_b16_e32 v4, 3, v3
	v_subrev_u32_e32 v7, 28, v6
	v_and_b32_e32 v4, 15, v4
	v_lshlrev_b32_e32 v3, v7, v3
	v_sub_u32_e32 v6, 29, v6
	v_and_b32_e32 v3, 7, v3
	v_cmp_eq_u16_e32 vcc, 0, v4
	v_cndmask_b32_e32 v2, v2, v3, vcc
	v_cndmask_b32_e32 v3, v4, v6, vcc
	v_lshlrev_b32_e32 v4, 16, v9
	v_mov_b32_e32 v6, 0x3b800000
	v_lshlrev_b32_e32 v2, 20, v2
	v_and_b32_e32 v4, 0x80000000, v4
	v_lshl_add_u32 v3, v3, 23, v6
	v_or3_b32 v2, v4, v3, v2
.LBB2_6508:
	s_or_b64 exec, exec, s[6:7]
	v_lshrrev_b32_e32 v3, 8, v5
	s_movk_i32 s4, 0x7f
	v_cmp_gt_i16_sdwa s[6:7], v3, s4 src0_sel:BYTE_0 src1_sel:DWORD
	s_mov_b64 s[4:5], 0
                                        ; implicit-def: $sgpr10
	s_and_saveexec_b64 s[8:9], s[6:7]
	s_xor_b64 s[6:7], exec, s[8:9]
	s_cbranch_execz .LBB2_6509
; %bb.42349:
	s_getpc_b64 s[14:15]
.Lpost_getpc24758:
	s_add_u32 s14, s14, (.LBB2_20845-.Lpost_getpc24758)&4294967295
	s_addc_u32 s15, s15, (.LBB2_20845-.Lpost_getpc24758)>>32
	s_setpc_b64 s[14:15]
.LBB2_6509:
	s_or_saveexec_b64 s[6:7], s[6:7]
	v_mov_b32_e32 v4, s10
	s_xor_b64 exec, exec, s[6:7]
	s_cbranch_execz .LBB2_6510
; %bb.42351:
	s_getpc_b64 s[14:15]
.Lpost_getpc24759:
	s_add_u32 s14, s14, (.LBB2_20848-.Lpost_getpc24759)&4294967295
	s_addc_u32 s15, s15, (.LBB2_20848-.Lpost_getpc24759)>>32
	s_setpc_b64 s[14:15]
.LBB2_6510:
	s_or_b64 exec, exec, s[6:7]
	s_and_saveexec_b64 s[6:7], s[4:5]
	s_cbranch_execz .LBB2_6512
.LBB2_6511:
	v_bfe_u32 v4, v5, 8, 3
	v_ffbh_u32_e32 v7, v4
	v_min_u32_e32 v7, 32, v7
	v_lshrrev_b16_e32 v6, 3, v3
	v_subrev_u32_e32 v8, 28, v7
	v_and_b32_e32 v6, 15, v6
	v_lshlrev_b32_e32 v3, v8, v3
	v_sub_u32_e32 v7, 29, v7
	v_and_b32_e32 v3, 7, v3
	v_cmp_eq_u16_e32 vcc, 0, v6
	v_cndmask_b32_e32 v3, v4, v3, vcc
	v_cndmask_b32_e32 v4, v6, v7, vcc
	v_lshlrev_b32_e32 v6, 16, v5
	v_mov_b32_e32 v7, 0x3b800000
	v_lshlrev_b32_e32 v3, 20, v3
	v_and_b32_e32 v6, 0x80000000, v6
	v_lshl_add_u32 v4, v4, 23, v7
	v_or3_b32 v4, v6, v4, v3
.LBB2_6512:
	s_or_b64 exec, exec, s[6:7]
	s_nop 0
	v_mfma_f32_16x16x4f32 a[0:3], v2, v4, a[0:3]
	s_movk_i32 s4, 0xff
	v_and_b32_sdwa v3, v9, s4 dst_sel:DWORD dst_unused:UNUSED_PAD src0_sel:WORD_1 src1_sel:DWORD
	s_movk_i32 s4, 0x7f
	v_cmp_lt_i16_e32 vcc, s4, v3
	s_mov_b64 s[4:5], 0
                                        ; implicit-def: $sgpr10
	s_and_saveexec_b64 s[6:7], vcc
	s_xor_b64 s[6:7], exec, s[6:7]
	s_cbranch_execz .LBB2_6513
; %bb.42353:
	s_getpc_b64 s[14:15]
.Lpost_getpc24760:
	s_add_u32 s14, s14, (.LBB2_20849-.Lpost_getpc24760)&4294967295
	s_addc_u32 s15, s15, (.LBB2_20849-.Lpost_getpc24760)>>32
	s_setpc_b64 s[14:15]
.LBB2_6513:
	s_or_saveexec_b64 s[6:7], s[6:7]
	v_mov_b32_e32 v2, s10
	s_xor_b64 exec, exec, s[6:7]
	s_cbranch_execz .LBB2_6514
; %bb.42355:
	s_getpc_b64 s[14:15]
.Lpost_getpc24761:
	s_add_u32 s14, s14, (.LBB2_20852-.Lpost_getpc24761)&4294967295
	s_addc_u32 s15, s15, (.LBB2_20852-.Lpost_getpc24761)>>32
	s_setpc_b64 s[14:15]
.LBB2_6514:
	s_or_b64 exec, exec, s[6:7]
	s_and_saveexec_b64 s[6:7], s[4:5]
	s_cbranch_execz .LBB2_6516
.LBB2_6515:
	v_bfe_u32 v2, v9, 16, 3
	v_ffbh_u32_e32 v6, v2
	v_min_u32_e32 v6, 32, v6
	v_lshrrev_b32_e32 v3, 19, v9
	v_subrev_u32_e32 v7, 28, v6
	v_and_b32_e32 v3, 15, v3
	v_lshlrev_b32_sdwa v7, v7, v9 dst_sel:DWORD dst_unused:UNUSED_PAD src0_sel:DWORD src1_sel:WORD_1
	v_bfe_u32 v4, v9, 19, 4
	v_sub_u32_e32 v6, 29, v6
	v_and_b32_e32 v7, 7, v7
	v_cmp_eq_u16_e32 vcc, 0, v3
	v_cndmask_b32_e32 v2, v2, v7, vcc
	v_cndmask_b32_e32 v3, v4, v6, vcc
	v_lshlrev_b32_e32 v4, 8, v9
	v_mov_b32_e32 v6, 0x3b800000
	v_lshlrev_b32_e32 v2, 20, v2
	v_and_b32_e32 v4, 0x80000000, v4
	v_lshl_add_u32 v3, v3, 23, v6
	v_or3_b32 v2, v4, v3, v2
.LBB2_6516:
	s_or_b64 exec, exec, s[6:7]
	s_movk_i32 s4, 0xff
	v_and_b32_sdwa v3, v5, s4 dst_sel:DWORD dst_unused:UNUSED_PAD src0_sel:WORD_1 src1_sel:DWORD
	s_movk_i32 s4, 0x7f
	v_cmp_lt_i16_e32 vcc, s4, v3
	s_mov_b64 s[4:5], 0
                                        ; implicit-def: $sgpr10
	s_and_saveexec_b64 s[6:7], vcc
	s_xor_b64 s[6:7], exec, s[6:7]
	s_cbranch_execz .LBB2_6517
; %bb.42357:
	s_getpc_b64 s[14:15]
.Lpost_getpc24762:
	s_add_u32 s14, s14, (.LBB2_20853-.Lpost_getpc24762)&4294967295
	s_addc_u32 s15, s15, (.LBB2_20853-.Lpost_getpc24762)>>32
	s_setpc_b64 s[14:15]
.LBB2_6517:
	s_or_saveexec_b64 s[6:7], s[6:7]
	v_mov_b32_e32 v4, s10
	s_xor_b64 exec, exec, s[6:7]
	s_cbranch_execz .LBB2_6518
; %bb.42359:
	s_getpc_b64 s[14:15]
.Lpost_getpc24763:
	s_add_u32 s14, s14, (.LBB2_20856-.Lpost_getpc24763)&4294967295
	s_addc_u32 s15, s15, (.LBB2_20856-.Lpost_getpc24763)>>32
	s_setpc_b64 s[14:15]
.LBB2_6518:
	s_or_b64 exec, exec, s[6:7]
	s_and_saveexec_b64 s[6:7], s[4:5]
	s_cbranch_execz .LBB2_6520
.LBB2_6519:
	v_bfe_u32 v3, v5, 16, 3
	v_ffbh_u32_e32 v7, v3
	v_min_u32_e32 v7, 32, v7
	v_lshrrev_b32_e32 v4, 19, v5
	v_subrev_u32_e32 v8, 28, v7
	v_and_b32_e32 v4, 15, v4
	v_lshlrev_b32_sdwa v8, v8, v5 dst_sel:DWORD dst_unused:UNUSED_PAD src0_sel:DWORD src1_sel:WORD_1
	v_bfe_u32 v6, v5, 19, 4
	v_sub_u32_e32 v7, 29, v7
	v_and_b32_e32 v8, 7, v8
	v_cmp_eq_u16_e32 vcc, 0, v4
	v_cndmask_b32_e32 v3, v3, v8, vcc
	v_cndmask_b32_e32 v4, v6, v7, vcc
	v_lshlrev_b32_e32 v6, 8, v5
	v_mov_b32_e32 v7, 0x3b800000
	v_lshlrev_b32_e32 v3, 20, v3
	v_and_b32_e32 v6, 0x80000000, v6
	v_lshl_add_u32 v4, v4, 23, v7
	v_or3_b32 v4, v6, v4, v3
.LBB2_6520:
	s_or_b64 exec, exec, s[6:7]
	s_nop 0
	v_mfma_f32_16x16x4f32 a[0:3], v2, v4, a[0:3]
	s_movk_i32 s4, 0x7f
	v_cmp_gt_i16_sdwa s[6:7], v9, s4 src0_sel:BYTE_3 src1_sel:DWORD
	s_mov_b64 s[4:5], 0
                                        ; implicit-def: $sgpr10
	s_and_saveexec_b64 s[8:9], s[6:7]
	s_xor_b64 s[6:7], exec, s[8:9]
	s_cbranch_execz .LBB2_6521
; %bb.42361:
	s_getpc_b64 s[14:15]
.Lpost_getpc24764:
	s_add_u32 s14, s14, (.LBB2_20857-.Lpost_getpc24764)&4294967295
	s_addc_u32 s15, s15, (.LBB2_20857-.Lpost_getpc24764)>>32
	s_setpc_b64 s[14:15]
.LBB2_6521:
	s_or_saveexec_b64 s[6:7], s[6:7]
	v_mov_b32_e32 v2, s10
	s_xor_b64 exec, exec, s[6:7]
	s_cbranch_execz .LBB2_6522
; %bb.42363:
	s_getpc_b64 s[14:15]
.Lpost_getpc24765:
	s_add_u32 s14, s14, (.LBB2_20860-.Lpost_getpc24765)&4294967295
	s_addc_u32 s15, s15, (.LBB2_20860-.Lpost_getpc24765)>>32
	s_setpc_b64 s[14:15]
.LBB2_6522:
	s_or_b64 exec, exec, s[6:7]
	s_and_saveexec_b64 s[6:7], s[4:5]
	s_cbranch_execz .LBB2_6524
.LBB2_6523:
	v_bfe_u32 v2, v9, 24, 3
	v_ffbh_u32_e32 v7, v2
	v_min_u32_e32 v7, 32, v7
	v_lshrrev_b32_e32 v4, 27, v9
	v_subrev_u32_e32 v8, 28, v7
	v_and_b32_e32 v4, 15, v4
	v_lshlrev_b32_sdwa v8, v8, v9 dst_sel:DWORD dst_unused:UNUSED_PAD src0_sel:DWORD src1_sel:BYTE_3
	v_bfe_u32 v6, v9, 27, 4
	v_sub_u32_e32 v7, 29, v7
	v_and_b32_e32 v8, 7, v8
	v_cmp_eq_u16_e32 vcc, 0, v4
	v_cndmask_b32_e32 v2, v2, v8, vcc
	v_cndmask_b32_e32 v4, v6, v7, vcc
	v_mov_b32_e32 v6, 0x3b800000
	v_and_b32_e32 v3, 0x80000000, v9
	v_lshlrev_b32_e32 v2, 20, v2
	v_lshl_add_u32 v4, v4, 23, v6
	v_or3_b32 v2, v3, v4, v2
.LBB2_6524:
	s_or_b64 exec, exec, s[6:7]
	s_movk_i32 s4, 0x7f
	v_cmp_gt_i16_sdwa s[6:7], v5, s4 src0_sel:BYTE_3 src1_sel:DWORD
	s_mov_b64 s[4:5], 0
                                        ; implicit-def: $sgpr10
	s_and_saveexec_b64 s[8:9], s[6:7]
	s_xor_b64 s[6:7], exec, s[8:9]
	s_cbranch_execz .LBB2_6525
; %bb.42365:
	s_getpc_b64 s[14:15]
.Lpost_getpc24766:
	s_add_u32 s14, s14, (.LBB2_20861-.Lpost_getpc24766)&4294967295
	s_addc_u32 s15, s15, (.LBB2_20861-.Lpost_getpc24766)>>32
	s_setpc_b64 s[14:15]
.LBB2_6525:
	s_or_saveexec_b64 s[6:7], s[6:7]
	v_mov_b32_e32 v3, s10
	s_xor_b64 exec, exec, s[6:7]
	s_cbranch_execz .LBB2_6526
; %bb.42367:
	s_getpc_b64 s[14:15]
.Lpost_getpc24767:
	s_add_u32 s14, s14, (.LBB2_20864-.Lpost_getpc24767)&4294967295
	s_addc_u32 s15, s15, (.LBB2_20864-.Lpost_getpc24767)>>32
	s_setpc_b64 s[14:15]
.LBB2_6526:
	s_or_b64 exec, exec, s[6:7]
	s_and_saveexec_b64 s[6:7], s[4:5]
	s_cbranch_execz .LBB2_6528
.LBB2_6527:
	v_bfe_u32 v3, v5, 24, 3
	v_ffbh_u32_e32 v8, v3
	v_min_u32_e32 v8, 32, v8
	v_lshrrev_b32_e32 v6, 27, v5
	v_subrev_u32_e32 v9, 28, v8
	v_and_b32_e32 v4, 0x80000000, v5
	v_and_b32_e32 v6, 15, v6
	v_bfe_u32 v7, v5, 27, 4
	v_lshlrev_b32_sdwa v5, v9, v5 dst_sel:DWORD dst_unused:UNUSED_PAD src0_sel:DWORD src1_sel:BYTE_3
	v_sub_u32_e32 v8, 29, v8
	v_and_b32_e32 v5, 7, v5
	v_cmp_eq_u16_e32 vcc, 0, v6
	v_cndmask_b32_e32 v3, v3, v5, vcc
	v_cndmask_b32_e32 v5, v7, v8, vcc
	v_mov_b32_e32 v6, 0x3b800000
	v_lshlrev_b32_e32 v3, 20, v3
	v_lshl_add_u32 v5, v5, 23, v6
	v_or3_b32 v3, v4, v5, v3
.LBB2_6528:
	s_or_b64 exec, exec, s[6:7]
	s_nop 0
	v_mfma_f32_16x16x4f32 a[0:3], v2, v3, a[0:3]
	s_movk_i32 s4, 0x7f
                                        ; implicit-def: $sgpr10
	s_nop 7
	s_nop 1
	flat_store_dwordx4 v[10:11], a[0:3] offset:800
	flat_load_dwordx4 v[12:15], v[0:1]
	s_nop 0
	flat_load_dwordx2 v[10:11], v[0:1] offset:16
	s_waitcnt vmcnt(0) lgkmcnt(0)
	flat_load_dwordx4 v[6:9], v[12:13] offset:96
	flat_load_dwordx4 v[2:5], v[14:15] offset:48
	s_waitcnt vmcnt(0) lgkmcnt(0)
	v_cmp_gt_i16_sdwa s[6:7], v6, s4 src0_sel:BYTE_0 src1_sel:DWORD
	s_mov_b64 s[4:5], 0
	s_and_saveexec_b64 s[8:9], s[6:7]
	s_xor_b64 s[6:7], exec, s[8:9]
	s_cbranch_execz .LBB2_6529
; %bb.42369:
	s_getpc_b64 s[14:15]
.Lpost_getpc24768:
	s_add_u32 s14, s14, (.LBB2_20865-.Lpost_getpc24768)&4294967295
	s_addc_u32 s15, s15, (.LBB2_20865-.Lpost_getpc24768)>>32
	s_setpc_b64 s[14:15]
.LBB2_6529:
	s_or_saveexec_b64 s[6:7], s[6:7]
	v_mov_b32_e32 v12, s10
	s_xor_b64 exec, exec, s[6:7]
	s_cbranch_execz .LBB2_6530
; %bb.42371:
	s_getpc_b64 s[14:15]
.Lpost_getpc24769:
	s_add_u32 s14, s14, (.LBB2_20868-.Lpost_getpc24769)&4294967295
	s_addc_u32 s15, s15, (.LBB2_20868-.Lpost_getpc24769)>>32
	s_setpc_b64 s[14:15]
.LBB2_6530:
	s_or_b64 exec, exec, s[6:7]
	s_and_saveexec_b64 s[6:7], s[4:5]
	s_cbranch_execz .LBB2_6532
.LBB2_6531:
	v_and_b32_e32 v12, 7, v6
	v_ffbh_u32_e32 v14, v12
	v_min_u32_e32 v14, 32, v14
	v_lshrrev_b16_e32 v13, 3, v6
	v_subrev_u32_e32 v15, 28, v14
	v_and_b32_e32 v13, 15, v13
	v_lshlrev_b32_e32 v15, v15, v6
	v_sub_u32_e32 v14, 29, v14
	v_and_b32_e32 v15, 7, v15
	v_cmp_eq_u16_e32 vcc, 0, v13
	v_cndmask_b32_e32 v12, v12, v15, vcc
	v_cndmask_b32_e32 v13, v13, v14, vcc
	v_lshlrev_b32_e32 v14, 24, v6
	v_mov_b32_e32 v15, 0x3b800000
	v_lshlrev_b32_e32 v12, 20, v12
	v_and_b32_e32 v14, 0x80000000, v14
	v_lshl_add_u32 v13, v13, 23, v15
	v_or3_b32 v12, v14, v13, v12
.LBB2_6532:
	s_or_b64 exec, exec, s[6:7]
	s_movk_i32 s4, 0x7f
	v_cmp_gt_i16_sdwa s[6:7], v2, s4 src0_sel:BYTE_0 src1_sel:DWORD
	s_mov_b64 s[4:5], 0
                                        ; implicit-def: $sgpr10
	s_and_saveexec_b64 s[8:9], s[6:7]
	s_xor_b64 s[6:7], exec, s[8:9]
	s_cbranch_execz .LBB2_6533
; %bb.42373:
	s_getpc_b64 s[14:15]
.Lpost_getpc24770:
	s_add_u32 s14, s14, (.LBB2_20869-.Lpost_getpc24770)&4294967295
	s_addc_u32 s15, s15, (.LBB2_20869-.Lpost_getpc24770)>>32
	s_setpc_b64 s[14:15]
.LBB2_6533:
	s_or_saveexec_b64 s[6:7], s[6:7]
	v_mov_b32_e32 v13, s10
	s_xor_b64 exec, exec, s[6:7]
	s_cbranch_execz .LBB2_6534
; %bb.42375:
	s_getpc_b64 s[14:15]
.Lpost_getpc24771:
	s_add_u32 s14, s14, (.LBB2_20872-.Lpost_getpc24771)&4294967295
	s_addc_u32 s15, s15, (.LBB2_20872-.Lpost_getpc24771)>>32
	s_setpc_b64 s[14:15]
.LBB2_6534:
	s_or_b64 exec, exec, s[6:7]
	s_and_saveexec_b64 s[6:7], s[4:5]
	s_cbranch_execz .LBB2_6536
.LBB2_6535:
	v_and_b32_e32 v13, 7, v2
	v_ffbh_u32_e32 v15, v13
	v_min_u32_e32 v15, 32, v15
	v_lshrrev_b16_e32 v14, 3, v2
	v_subrev_u32_e32 v16, 28, v15
	v_and_b32_e32 v14, 15, v14
	v_lshlrev_b32_e32 v16, v16, v2
	v_sub_u32_e32 v15, 29, v15
	v_and_b32_e32 v16, 7, v16
	v_cmp_eq_u16_e32 vcc, 0, v14
	v_cndmask_b32_e32 v13, v13, v16, vcc
	v_cndmask_b32_e32 v14, v14, v15, vcc
	v_lshlrev_b32_e32 v15, 24, v2
	v_mov_b32_e32 v16, 0x3b800000
	v_lshlrev_b32_e32 v13, 20, v13
	v_and_b32_e32 v15, 0x80000000, v15
	v_lshl_add_u32 v14, v14, 23, v16
	v_or3_b32 v13, v15, v14, v13
.LBB2_6536:
	s_or_b64 exec, exec, s[6:7]
	flat_load_dwordx4 a[0:3], v[10:11] offset:816
	s_movk_i32 s4, 0x7f
                                        ; implicit-def: $sgpr10
	s_waitcnt vmcnt(0) lgkmcnt(0)
	v_mfma_f32_16x16x4f32 a[0:3], v12, v13, a[0:3]
	v_lshrrev_b32_e32 v13, 8, v6
	v_cmp_gt_i16_sdwa s[6:7], v13, s4 src0_sel:BYTE_0 src1_sel:DWORD
	s_mov_b64 s[4:5], 0
	s_and_saveexec_b64 s[8:9], s[6:7]
	s_xor_b64 s[6:7], exec, s[8:9]
	s_cbranch_execz .LBB2_6537
; %bb.42377:
	s_getpc_b64 s[14:15]
.Lpost_getpc24772:
	s_add_u32 s14, s14, (.LBB2_20873-.Lpost_getpc24772)&4294967295
	s_addc_u32 s15, s15, (.LBB2_20873-.Lpost_getpc24772)>>32
	s_setpc_b64 s[14:15]
.LBB2_6537:
	s_or_saveexec_b64 s[6:7], s[6:7]
	v_mov_b32_e32 v12, s10
	s_xor_b64 exec, exec, s[6:7]
	s_cbranch_execz .LBB2_6538
; %bb.42379:
	s_getpc_b64 s[14:15]
.Lpost_getpc24773:
	s_add_u32 s14, s14, (.LBB2_20876-.Lpost_getpc24773)&4294967295
	s_addc_u32 s15, s15, (.LBB2_20876-.Lpost_getpc24773)>>32
	s_setpc_b64 s[14:15]
.LBB2_6538:
	s_or_b64 exec, exec, s[6:7]
	s_and_saveexec_b64 s[6:7], s[4:5]
	s_cbranch_execz .LBB2_6540
.LBB2_6539:
	v_bfe_u32 v12, v6, 8, 3
	v_ffbh_u32_e32 v15, v12
	v_min_u32_e32 v15, 32, v15
	v_lshrrev_b16_e32 v14, 3, v13
	v_subrev_u32_e32 v16, 28, v15
	v_and_b32_e32 v14, 15, v14
	v_lshlrev_b32_e32 v13, v16, v13
	v_sub_u32_e32 v15, 29, v15
	v_and_b32_e32 v13, 7, v13
	v_cmp_eq_u16_e32 vcc, 0, v14
	v_cndmask_b32_e32 v12, v12, v13, vcc
	v_cndmask_b32_e32 v13, v14, v15, vcc
	v_lshlrev_b32_e32 v14, 16, v6
	v_mov_b32_e32 v15, 0x3b800000
	v_lshlrev_b32_e32 v12, 20, v12
	v_and_b32_e32 v14, 0x80000000, v14
	v_lshl_add_u32 v13, v13, 23, v15
	v_or3_b32 v12, v14, v13, v12
.LBB2_6540:
	s_or_b64 exec, exec, s[6:7]
	v_lshrrev_b32_e32 v13, 8, v2
	s_movk_i32 s4, 0x7f
	v_cmp_gt_i16_sdwa s[6:7], v13, s4 src0_sel:BYTE_0 src1_sel:DWORD
	s_mov_b64 s[4:5], 0
                                        ; implicit-def: $sgpr10
	s_and_saveexec_b64 s[8:9], s[6:7]
	s_xor_b64 s[6:7], exec, s[8:9]
	s_cbranch_execz .LBB2_6541
; %bb.42381:
	s_getpc_b64 s[14:15]
.Lpost_getpc24774:
	s_add_u32 s14, s14, (.LBB2_20877-.Lpost_getpc24774)&4294967295
	s_addc_u32 s15, s15, (.LBB2_20877-.Lpost_getpc24774)>>32
	s_setpc_b64 s[14:15]
.LBB2_6541:
	s_or_saveexec_b64 s[6:7], s[6:7]
	v_mov_b32_e32 v14, s10
	s_xor_b64 exec, exec, s[6:7]
	s_cbranch_execz .LBB2_6542
; %bb.42383:
	s_getpc_b64 s[14:15]
.Lpost_getpc24775:
	s_add_u32 s14, s14, (.LBB2_20880-.Lpost_getpc24775)&4294967295
	s_addc_u32 s15, s15, (.LBB2_20880-.Lpost_getpc24775)>>32
	s_setpc_b64 s[14:15]
.LBB2_6542:
	s_or_b64 exec, exec, s[6:7]
	s_and_saveexec_b64 s[6:7], s[4:5]
	s_cbranch_execz .LBB2_6544
.LBB2_6543:
	v_bfe_u32 v14, v2, 8, 3
	v_ffbh_u32_e32 v16, v14
	v_min_u32_e32 v16, 32, v16
	v_lshrrev_b16_e32 v15, 3, v13
	v_subrev_u32_e32 v17, 28, v16
	v_and_b32_e32 v15, 15, v15
	v_lshlrev_b32_e32 v13, v17, v13
	v_sub_u32_e32 v16, 29, v16
	v_and_b32_e32 v13, 7, v13
	v_cmp_eq_u16_e32 vcc, 0, v15
	v_cndmask_b32_e32 v13, v14, v13, vcc
	v_cndmask_b32_e32 v14, v15, v16, vcc
	v_lshlrev_b32_e32 v15, 16, v2
	v_mov_b32_e32 v16, 0x3b800000
	v_lshlrev_b32_e32 v13, 20, v13
	v_and_b32_e32 v15, 0x80000000, v15
	v_lshl_add_u32 v14, v14, 23, v16
	v_or3_b32 v14, v15, v14, v13
.LBB2_6544:
	s_or_b64 exec, exec, s[6:7]
	s_nop 0
	v_mfma_f32_16x16x4f32 a[0:3], v12, v14, a[0:3]
	s_movk_i32 s4, 0xff
	v_and_b32_sdwa v13, v6, s4 dst_sel:DWORD dst_unused:UNUSED_PAD src0_sel:WORD_1 src1_sel:DWORD
	s_movk_i32 s4, 0x7f
	v_cmp_lt_i16_e32 vcc, s4, v13
	s_mov_b64 s[4:5], 0
                                        ; implicit-def: $sgpr10
	s_and_saveexec_b64 s[6:7], vcc
	s_xor_b64 s[6:7], exec, s[6:7]
	s_cbranch_execz .LBB2_6545
; %bb.42385:
	s_getpc_b64 s[14:15]
.Lpost_getpc24776:
	s_add_u32 s14, s14, (.LBB2_20881-.Lpost_getpc24776)&4294967295
	s_addc_u32 s15, s15, (.LBB2_20881-.Lpost_getpc24776)>>32
	s_setpc_b64 s[14:15]
.LBB2_6545:
	s_or_saveexec_b64 s[6:7], s[6:7]
	v_mov_b32_e32 v12, s10
	s_xor_b64 exec, exec, s[6:7]
	s_cbranch_execz .LBB2_6546
; %bb.42387:
	s_getpc_b64 s[14:15]
.Lpost_getpc24777:
	s_add_u32 s14, s14, (.LBB2_20884-.Lpost_getpc24777)&4294967295
	s_addc_u32 s15, s15, (.LBB2_20884-.Lpost_getpc24777)>>32
	s_setpc_b64 s[14:15]
.LBB2_6546:
	s_or_b64 exec, exec, s[6:7]
	s_and_saveexec_b64 s[6:7], s[4:5]
	s_cbranch_execz .LBB2_6548
.LBB2_6547:
	v_bfe_u32 v12, v6, 16, 3
	v_ffbh_u32_e32 v15, v12
	v_min_u32_e32 v15, 32, v15
	v_lshrrev_b32_e32 v13, 19, v6
	v_subrev_u32_e32 v16, 28, v15
	v_and_b32_e32 v13, 15, v13
	v_lshlrev_b32_sdwa v16, v16, v6 dst_sel:DWORD dst_unused:UNUSED_PAD src0_sel:DWORD src1_sel:WORD_1
	v_bfe_u32 v14, v6, 19, 4
	v_sub_u32_e32 v15, 29, v15
	v_and_b32_e32 v16, 7, v16
	v_cmp_eq_u16_e32 vcc, 0, v13
	v_cndmask_b32_e32 v12, v12, v16, vcc
	v_cndmask_b32_e32 v13, v14, v15, vcc
	v_lshlrev_b32_e32 v14, 8, v6
	v_mov_b32_e32 v15, 0x3b800000
	v_lshlrev_b32_e32 v12, 20, v12
	v_and_b32_e32 v14, 0x80000000, v14
	v_lshl_add_u32 v13, v13, 23, v15
	v_or3_b32 v12, v14, v13, v12
.LBB2_6548:
	s_or_b64 exec, exec, s[6:7]
	s_movk_i32 s4, 0xff
	v_and_b32_sdwa v13, v2, s4 dst_sel:DWORD dst_unused:UNUSED_PAD src0_sel:WORD_1 src1_sel:DWORD
	s_movk_i32 s4, 0x7f
	v_cmp_lt_i16_e32 vcc, s4, v13
	s_mov_b64 s[4:5], 0
                                        ; implicit-def: $sgpr10
	s_and_saveexec_b64 s[6:7], vcc
	s_xor_b64 s[6:7], exec, s[6:7]
	s_cbranch_execz .LBB2_6549
; %bb.42389:
	s_getpc_b64 s[14:15]
.Lpost_getpc24778:
	s_add_u32 s14, s14, (.LBB2_20885-.Lpost_getpc24778)&4294967295
	s_addc_u32 s15, s15, (.LBB2_20885-.Lpost_getpc24778)>>32
	s_setpc_b64 s[14:15]
.LBB2_6549:
	s_or_saveexec_b64 s[6:7], s[6:7]
	v_mov_b32_e32 v14, s10
	s_xor_b64 exec, exec, s[6:7]
	s_cbranch_execz .LBB2_6550
; %bb.42391:
	s_getpc_b64 s[14:15]
.Lpost_getpc24779:
	s_add_u32 s14, s14, (.LBB2_20888-.Lpost_getpc24779)&4294967295
	s_addc_u32 s15, s15, (.LBB2_20888-.Lpost_getpc24779)>>32
	s_setpc_b64 s[14:15]
.LBB2_6550:
	s_or_b64 exec, exec, s[6:7]
	s_and_saveexec_b64 s[6:7], s[4:5]
	s_cbranch_execz .LBB2_6552
.LBB2_6551:
	v_bfe_u32 v13, v2, 16, 3
	v_ffbh_u32_e32 v16, v13
	v_min_u32_e32 v16, 32, v16
	v_lshrrev_b32_e32 v14, 19, v2
	v_subrev_u32_e32 v17, 28, v16
	v_and_b32_e32 v14, 15, v14
	v_lshlrev_b32_sdwa v17, v17, v2 dst_sel:DWORD dst_unused:UNUSED_PAD src0_sel:DWORD src1_sel:WORD_1
	v_bfe_u32 v15, v2, 19, 4
	v_sub_u32_e32 v16, 29, v16
	v_and_b32_e32 v17, 7, v17
	v_cmp_eq_u16_e32 vcc, 0, v14
	v_cndmask_b32_e32 v13, v13, v17, vcc
	v_cndmask_b32_e32 v14, v15, v16, vcc
	v_lshlrev_b32_e32 v15, 8, v2
	v_mov_b32_e32 v16, 0x3b800000
	v_lshlrev_b32_e32 v13, 20, v13
	v_and_b32_e32 v15, 0x80000000, v15
	v_lshl_add_u32 v14, v14, 23, v16
	v_or3_b32 v14, v15, v14, v13
.LBB2_6552:
	s_or_b64 exec, exec, s[6:7]
	s_nop 0
	v_mfma_f32_16x16x4f32 a[0:3], v12, v14, a[0:3]
	s_movk_i32 s4, 0x7f
	v_cmp_gt_i16_sdwa s[6:7], v6, s4 src0_sel:BYTE_3 src1_sel:DWORD
	s_mov_b64 s[4:5], 0
                                        ; implicit-def: $sgpr10
	s_and_saveexec_b64 s[8:9], s[6:7]
	s_xor_b64 s[6:7], exec, s[8:9]
	s_cbranch_execz .LBB2_6553
; %bb.42393:
	s_getpc_b64 s[14:15]
.Lpost_getpc24780:
	s_add_u32 s14, s14, (.LBB2_20889-.Lpost_getpc24780)&4294967295
	s_addc_u32 s15, s15, (.LBB2_20889-.Lpost_getpc24780)>>32
	s_setpc_b64 s[14:15]
.LBB2_6553:
	s_or_saveexec_b64 s[6:7], s[6:7]
	v_mov_b32_e32 v12, s10
	s_xor_b64 exec, exec, s[6:7]
	s_cbranch_execz .LBB2_6554
; %bb.42395:
	s_getpc_b64 s[14:15]
.Lpost_getpc24781:
	s_add_u32 s14, s14, (.LBB2_20892-.Lpost_getpc24781)&4294967295
	s_addc_u32 s15, s15, (.LBB2_20892-.Lpost_getpc24781)>>32
	s_setpc_b64 s[14:15]
.LBB2_6554:
	s_or_b64 exec, exec, s[6:7]
	s_and_saveexec_b64 s[6:7], s[4:5]
	s_cbranch_execz .LBB2_6556
.LBB2_6555:
	v_bfe_u32 v12, v6, 24, 3
	v_ffbh_u32_e32 v16, v12
	v_min_u32_e32 v16, 32, v16
	v_lshrrev_b32_e32 v14, 27, v6
	v_subrev_u32_e32 v17, 28, v16
	v_and_b32_e32 v13, 0x80000000, v6
	v_and_b32_e32 v14, 15, v14
	v_bfe_u32 v15, v6, 27, 4
	v_lshlrev_b32_sdwa v6, v17, v6 dst_sel:DWORD dst_unused:UNUSED_PAD src0_sel:DWORD src1_sel:BYTE_3
	v_sub_u32_e32 v16, 29, v16
	v_and_b32_e32 v6, 7, v6
	v_cmp_eq_u16_e32 vcc, 0, v14
	v_cndmask_b32_e32 v6, v12, v6, vcc
	v_cndmask_b32_e32 v12, v15, v16, vcc
	v_mov_b32_e32 v14, 0x3b800000
	v_lshlrev_b32_e32 v6, 20, v6
	v_lshl_add_u32 v12, v12, 23, v14
	v_or3_b32 v12, v13, v12, v6
.LBB2_6556:
	s_or_b64 exec, exec, s[6:7]
	s_movk_i32 s4, 0x7f
	v_cmp_gt_i16_sdwa s[6:7], v2, s4 src0_sel:BYTE_3 src1_sel:DWORD
	s_mov_b64 s[4:5], 0
                                        ; implicit-def: $sgpr10
	s_and_saveexec_b64 s[8:9], s[6:7]
	s_xor_b64 s[6:7], exec, s[8:9]
	s_cbranch_execz .LBB2_6557
; %bb.42397:
	s_getpc_b64 s[14:15]
.Lpost_getpc24782:
	s_add_u32 s14, s14, (.LBB2_20893-.Lpost_getpc24782)&4294967295
	s_addc_u32 s15, s15, (.LBB2_20893-.Lpost_getpc24782)>>32
	s_setpc_b64 s[14:15]
.LBB2_6557:
	s_or_saveexec_b64 s[6:7], s[6:7]
	v_mov_b32_e32 v6, s10
	s_xor_b64 exec, exec, s[6:7]
	s_cbranch_execz .LBB2_6558
; %bb.42399:
	s_getpc_b64 s[14:15]
.Lpost_getpc24783:
	s_add_u32 s14, s14, (.LBB2_20896-.Lpost_getpc24783)&4294967295
	s_addc_u32 s15, s15, (.LBB2_20896-.Lpost_getpc24783)>>32
	s_setpc_b64 s[14:15]
.LBB2_6558:
	s_or_b64 exec, exec, s[6:7]
	s_and_saveexec_b64 s[6:7], s[4:5]
	s_cbranch_execz .LBB2_6560
.LBB2_6559:
	v_bfe_u32 v6, v2, 24, 3
	v_ffbh_u32_e32 v16, v6
	v_min_u32_e32 v16, 32, v16
	v_lshrrev_b32_e32 v14, 27, v2
	v_subrev_u32_e32 v17, 28, v16
	v_and_b32_e32 v13, 0x80000000, v2
	v_and_b32_e32 v14, 15, v14
	v_bfe_u32 v15, v2, 27, 4
	v_lshlrev_b32_sdwa v2, v17, v2 dst_sel:DWORD dst_unused:UNUSED_PAD src0_sel:DWORD src1_sel:BYTE_3
	v_sub_u32_e32 v16, 29, v16
	v_and_b32_e32 v2, 7, v2
	v_cmp_eq_u16_e32 vcc, 0, v14
	v_cndmask_b32_e32 v2, v6, v2, vcc
	v_cndmask_b32_e32 v6, v15, v16, vcc
	v_mov_b32_e32 v14, 0x3b800000
	v_lshlrev_b32_e32 v2, 20, v2
	v_lshl_add_u32 v6, v6, 23, v14
	v_or3_b32 v6, v13, v6, v2
.LBB2_6560:
	s_or_b64 exec, exec, s[6:7]
	s_nop 0
	v_mfma_f32_16x16x4f32 a[0:3], v12, v6, a[0:3]
	s_movk_i32 s4, 0x7f
	v_cmp_gt_i16_sdwa s[6:7], v7, s4 src0_sel:BYTE_0 src1_sel:DWORD
	s_mov_b64 s[4:5], 0
                                        ; implicit-def: $sgpr10
	s_and_saveexec_b64 s[8:9], s[6:7]
	s_xor_b64 s[6:7], exec, s[8:9]
	s_cbranch_execz .LBB2_6561
; %bb.42401:
	s_getpc_b64 s[14:15]
.Lpost_getpc24784:
	s_add_u32 s14, s14, (.LBB2_20897-.Lpost_getpc24784)&4294967295
	s_addc_u32 s15, s15, (.LBB2_20897-.Lpost_getpc24784)>>32
	s_setpc_b64 s[14:15]
.LBB2_6561:
	s_or_saveexec_b64 s[6:7], s[6:7]
	v_mov_b32_e32 v2, s10
	s_xor_b64 exec, exec, s[6:7]
	s_cbranch_execz .LBB2_6562
; %bb.42403:
	s_getpc_b64 s[14:15]
.Lpost_getpc24785:
	s_add_u32 s14, s14, (.LBB2_20900-.Lpost_getpc24785)&4294967295
	s_addc_u32 s15, s15, (.LBB2_20900-.Lpost_getpc24785)>>32
	s_setpc_b64 s[14:15]
.LBB2_6562:
	s_or_b64 exec, exec, s[6:7]
	s_and_saveexec_b64 s[6:7], s[4:5]
	s_cbranch_execz .LBB2_6564
.LBB2_6563:
	v_and_b32_e32 v2, 7, v7
	v_ffbh_u32_e32 v12, v2
	v_min_u32_e32 v12, 32, v12
	v_lshrrev_b16_e32 v6, 3, v7
	v_subrev_u32_e32 v13, 28, v12
	v_and_b32_e32 v6, 15, v6
	v_lshlrev_b32_e32 v13, v13, v7
	v_sub_u32_e32 v12, 29, v12
	v_and_b32_e32 v13, 7, v13
	v_cmp_eq_u16_e32 vcc, 0, v6
	v_cndmask_b32_e32 v2, v2, v13, vcc
	v_cndmask_b32_e32 v6, v6, v12, vcc
	v_lshlrev_b32_e32 v12, 24, v7
	v_mov_b32_e32 v13, 0x3b800000
	v_lshlrev_b32_e32 v2, 20, v2
	v_and_b32_e32 v12, 0x80000000, v12
	v_lshl_add_u32 v6, v6, 23, v13
	v_or3_b32 v2, v12, v6, v2
.LBB2_6564:
	s_or_b64 exec, exec, s[6:7]
	s_movk_i32 s4, 0x7f
	v_cmp_gt_i16_sdwa s[6:7], v3, s4 src0_sel:BYTE_0 src1_sel:DWORD
	s_mov_b64 s[4:5], 0
                                        ; implicit-def: $sgpr10
	s_and_saveexec_b64 s[8:9], s[6:7]
	s_xor_b64 s[6:7], exec, s[8:9]
	s_cbranch_execz .LBB2_6565
; %bb.42405:
	s_getpc_b64 s[14:15]
.Lpost_getpc24786:
	s_add_u32 s14, s14, (.LBB2_20901-.Lpost_getpc24786)&4294967295
	s_addc_u32 s15, s15, (.LBB2_20901-.Lpost_getpc24786)>>32
	s_setpc_b64 s[14:15]
.LBB2_6565:
	s_or_saveexec_b64 s[6:7], s[6:7]
	v_mov_b32_e32 v6, s10
	s_xor_b64 exec, exec, s[6:7]
	s_cbranch_execz .LBB2_6566
; %bb.42407:
	s_getpc_b64 s[14:15]
.Lpost_getpc24787:
	s_add_u32 s14, s14, (.LBB2_20904-.Lpost_getpc24787)&4294967295
	s_addc_u32 s15, s15, (.LBB2_20904-.Lpost_getpc24787)>>32
	s_setpc_b64 s[14:15]
.LBB2_6566:
	s_or_b64 exec, exec, s[6:7]
	s_and_saveexec_b64 s[6:7], s[4:5]
	s_cbranch_execz .LBB2_6568
.LBB2_6567:
	v_and_b32_e32 v6, 7, v3
	v_ffbh_u32_e32 v13, v6
	v_min_u32_e32 v13, 32, v13
	v_lshrrev_b16_e32 v12, 3, v3
	v_subrev_u32_e32 v14, 28, v13
	v_and_b32_e32 v12, 15, v12
	v_lshlrev_b32_e32 v14, v14, v3
	v_sub_u32_e32 v13, 29, v13
	v_and_b32_e32 v14, 7, v14
	v_cmp_eq_u16_e32 vcc, 0, v12
	v_cndmask_b32_e32 v6, v6, v14, vcc
	v_cndmask_b32_e32 v12, v12, v13, vcc
	v_lshlrev_b32_e32 v13, 24, v3
	v_mov_b32_e32 v14, 0x3b800000
	v_lshlrev_b32_e32 v6, 20, v6
	v_and_b32_e32 v13, 0x80000000, v13
	v_lshl_add_u32 v12, v12, 23, v14
	v_or3_b32 v6, v13, v12, v6
.LBB2_6568:
	s_or_b64 exec, exec, s[6:7]
	s_nop 0
	v_mfma_f32_16x16x4f32 a[0:3], v2, v6, a[0:3]
	v_lshrrev_b32_e32 v6, 8, v7
	s_movk_i32 s4, 0x7f
	v_cmp_gt_i16_sdwa s[6:7], v6, s4 src0_sel:BYTE_0 src1_sel:DWORD
	s_mov_b64 s[4:5], 0
                                        ; implicit-def: $sgpr10
	s_and_saveexec_b64 s[8:9], s[6:7]
	s_xor_b64 s[6:7], exec, s[8:9]
	s_cbranch_execz .LBB2_6569
; %bb.42409:
	s_getpc_b64 s[14:15]
.Lpost_getpc24788:
	s_add_u32 s14, s14, (.LBB2_20905-.Lpost_getpc24788)&4294967295
	s_addc_u32 s15, s15, (.LBB2_20905-.Lpost_getpc24788)>>32
	s_setpc_b64 s[14:15]
.LBB2_6569:
	s_or_saveexec_b64 s[6:7], s[6:7]
	v_mov_b32_e32 v2, s10
	s_xor_b64 exec, exec, s[6:7]
	s_cbranch_execz .LBB2_6570
; %bb.42411:
	s_getpc_b64 s[14:15]
.Lpost_getpc24789:
	s_add_u32 s14, s14, (.LBB2_20908-.Lpost_getpc24789)&4294967295
	s_addc_u32 s15, s15, (.LBB2_20908-.Lpost_getpc24789)>>32
	s_setpc_b64 s[14:15]
.LBB2_6570:
	s_or_b64 exec, exec, s[6:7]
	s_and_saveexec_b64 s[6:7], s[4:5]
	s_cbranch_execz .LBB2_6572
.LBB2_6571:
	v_bfe_u32 v2, v7, 8, 3
	v_ffbh_u32_e32 v13, v2
	v_min_u32_e32 v13, 32, v13
	v_lshrrev_b16_e32 v12, 3, v6
	v_subrev_u32_e32 v14, 28, v13
	v_and_b32_e32 v12, 15, v12
	v_lshlrev_b32_e32 v6, v14, v6
	v_sub_u32_e32 v13, 29, v13
	v_and_b32_e32 v6, 7, v6
	v_cmp_eq_u16_e32 vcc, 0, v12
	v_cndmask_b32_e32 v2, v2, v6, vcc
	v_cndmask_b32_e32 v6, v12, v13, vcc
	v_lshlrev_b32_e32 v12, 16, v7
	v_mov_b32_e32 v13, 0x3b800000
	v_lshlrev_b32_e32 v2, 20, v2
	v_and_b32_e32 v12, 0x80000000, v12
	v_lshl_add_u32 v6, v6, 23, v13
	v_or3_b32 v2, v12, v6, v2
.LBB2_6572:
	s_or_b64 exec, exec, s[6:7]
	v_lshrrev_b32_e32 v6, 8, v3
	s_movk_i32 s4, 0x7f
	v_cmp_gt_i16_sdwa s[6:7], v6, s4 src0_sel:BYTE_0 src1_sel:DWORD
	s_mov_b64 s[4:5], 0
                                        ; implicit-def: $sgpr10
	s_and_saveexec_b64 s[8:9], s[6:7]
	s_xor_b64 s[6:7], exec, s[8:9]
	s_cbranch_execz .LBB2_6573
; %bb.42413:
	s_getpc_b64 s[14:15]
.Lpost_getpc24790:
	s_add_u32 s14, s14, (.LBB2_20909-.Lpost_getpc24790)&4294967295
	s_addc_u32 s15, s15, (.LBB2_20909-.Lpost_getpc24790)>>32
	s_setpc_b64 s[14:15]
.LBB2_6573:
	s_or_saveexec_b64 s[6:7], s[6:7]
	v_mov_b32_e32 v12, s10
	s_xor_b64 exec, exec, s[6:7]
	s_cbranch_execz .LBB2_6574
; %bb.42415:
	s_getpc_b64 s[14:15]
.Lpost_getpc24791:
	s_add_u32 s14, s14, (.LBB2_20912-.Lpost_getpc24791)&4294967295
	s_addc_u32 s15, s15, (.LBB2_20912-.Lpost_getpc24791)>>32
	s_setpc_b64 s[14:15]
.LBB2_6574:
	s_or_b64 exec, exec, s[6:7]
	s_and_saveexec_b64 s[6:7], s[4:5]
	s_cbranch_execz .LBB2_6576
.LBB2_6575:
	v_bfe_u32 v12, v3, 8, 3
	v_ffbh_u32_e32 v14, v12
	v_min_u32_e32 v14, 32, v14
	v_lshrrev_b16_e32 v13, 3, v6
	v_subrev_u32_e32 v15, 28, v14
	v_and_b32_e32 v13, 15, v13
	v_lshlrev_b32_e32 v6, v15, v6
	v_sub_u32_e32 v14, 29, v14
	v_and_b32_e32 v6, 7, v6
	v_cmp_eq_u16_e32 vcc, 0, v13
	v_cndmask_b32_e32 v6, v12, v6, vcc
	v_cndmask_b32_e32 v12, v13, v14, vcc
	v_lshlrev_b32_e32 v13, 16, v3
	v_mov_b32_e32 v14, 0x3b800000
	v_lshlrev_b32_e32 v6, 20, v6
	v_and_b32_e32 v13, 0x80000000, v13
	v_lshl_add_u32 v12, v12, 23, v14
	v_or3_b32 v12, v13, v12, v6
.LBB2_6576:
	s_or_b64 exec, exec, s[6:7]
	s_nop 0
	v_mfma_f32_16x16x4f32 a[0:3], v2, v12, a[0:3]
	s_movk_i32 s4, 0xff
	v_and_b32_sdwa v6, v7, s4 dst_sel:DWORD dst_unused:UNUSED_PAD src0_sel:WORD_1 src1_sel:DWORD
	s_movk_i32 s4, 0x7f
	v_cmp_lt_i16_e32 vcc, s4, v6
	s_mov_b64 s[4:5], 0
                                        ; implicit-def: $sgpr10
	s_and_saveexec_b64 s[6:7], vcc
	s_xor_b64 s[6:7], exec, s[6:7]
	s_cbranch_execz .LBB2_6577
; %bb.42417:
	s_getpc_b64 s[14:15]
.Lpost_getpc24792:
	s_add_u32 s14, s14, (.LBB2_20913-.Lpost_getpc24792)&4294967295
	s_addc_u32 s15, s15, (.LBB2_20913-.Lpost_getpc24792)>>32
	s_setpc_b64 s[14:15]
.LBB2_6577:
	s_or_saveexec_b64 s[6:7], s[6:7]
	v_mov_b32_e32 v2, s10
	s_xor_b64 exec, exec, s[6:7]
	s_cbranch_execz .LBB2_6578
; %bb.42419:
	s_getpc_b64 s[14:15]
.Lpost_getpc24793:
	s_add_u32 s14, s14, (.LBB2_20916-.Lpost_getpc24793)&4294967295
	s_addc_u32 s15, s15, (.LBB2_20916-.Lpost_getpc24793)>>32
	s_setpc_b64 s[14:15]
.LBB2_6578:
	s_or_b64 exec, exec, s[6:7]
	s_and_saveexec_b64 s[6:7], s[4:5]
	s_cbranch_execz .LBB2_6580
.LBB2_6579:
	v_bfe_u32 v2, v7, 16, 3
	v_ffbh_u32_e32 v13, v2
	v_min_u32_e32 v13, 32, v13
	v_lshrrev_b32_e32 v6, 19, v7
	v_subrev_u32_e32 v14, 28, v13
	v_and_b32_e32 v6, 15, v6
	v_lshlrev_b32_sdwa v14, v14, v7 dst_sel:DWORD dst_unused:UNUSED_PAD src0_sel:DWORD src1_sel:WORD_1
	v_bfe_u32 v12, v7, 19, 4
	v_sub_u32_e32 v13, 29, v13
	v_and_b32_e32 v14, 7, v14
	v_cmp_eq_u16_e32 vcc, 0, v6
	v_cndmask_b32_e32 v2, v2, v14, vcc
	v_cndmask_b32_e32 v6, v12, v13, vcc
	v_lshlrev_b32_e32 v12, 8, v7
	v_mov_b32_e32 v13, 0x3b800000
	v_lshlrev_b32_e32 v2, 20, v2
	v_and_b32_e32 v12, 0x80000000, v12
	v_lshl_add_u32 v6, v6, 23, v13
	v_or3_b32 v2, v12, v6, v2
.LBB2_6580:
	s_or_b64 exec, exec, s[6:7]
	s_movk_i32 s4, 0xff
	v_and_b32_sdwa v6, v3, s4 dst_sel:DWORD dst_unused:UNUSED_PAD src0_sel:WORD_1 src1_sel:DWORD
	s_movk_i32 s4, 0x7f
	v_cmp_lt_i16_e32 vcc, s4, v6
	s_mov_b64 s[4:5], 0
                                        ; implicit-def: $sgpr10
	s_and_saveexec_b64 s[6:7], vcc
	s_xor_b64 s[6:7], exec, s[6:7]
	s_cbranch_execz .LBB2_6581
; %bb.42421:
	s_getpc_b64 s[14:15]
.Lpost_getpc24794:
	s_add_u32 s14, s14, (.LBB2_20917-.Lpost_getpc24794)&4294967295
	s_addc_u32 s15, s15, (.LBB2_20917-.Lpost_getpc24794)>>32
	s_setpc_b64 s[14:15]
.LBB2_6581:
	s_or_saveexec_b64 s[6:7], s[6:7]
	v_mov_b32_e32 v12, s10
	s_xor_b64 exec, exec, s[6:7]
	s_cbranch_execz .LBB2_6582
; %bb.42423:
	s_getpc_b64 s[14:15]
.Lpost_getpc24795:
	s_add_u32 s14, s14, (.LBB2_20920-.Lpost_getpc24795)&4294967295
	s_addc_u32 s15, s15, (.LBB2_20920-.Lpost_getpc24795)>>32
	s_setpc_b64 s[14:15]
.LBB2_6582:
	s_or_b64 exec, exec, s[6:7]
	s_and_saveexec_b64 s[6:7], s[4:5]
	s_cbranch_execz .LBB2_6584
.LBB2_6583:
	v_bfe_u32 v6, v3, 16, 3
	v_ffbh_u32_e32 v14, v6
	v_min_u32_e32 v14, 32, v14
	v_lshrrev_b32_e32 v12, 19, v3
	v_subrev_u32_e32 v15, 28, v14
	v_and_b32_e32 v12, 15, v12
	v_lshlrev_b32_sdwa v15, v15, v3 dst_sel:DWORD dst_unused:UNUSED_PAD src0_sel:DWORD src1_sel:WORD_1
	v_bfe_u32 v13, v3, 19, 4
	v_sub_u32_e32 v14, 29, v14
	v_and_b32_e32 v15, 7, v15
	v_cmp_eq_u16_e32 vcc, 0, v12
	v_cndmask_b32_e32 v6, v6, v15, vcc
	v_cndmask_b32_e32 v12, v13, v14, vcc
	v_lshlrev_b32_e32 v13, 8, v3
	v_mov_b32_e32 v14, 0x3b800000
	v_lshlrev_b32_e32 v6, 20, v6
	v_and_b32_e32 v13, 0x80000000, v13
	v_lshl_add_u32 v12, v12, 23, v14
	v_or3_b32 v12, v13, v12, v6
.LBB2_6584:
	s_or_b64 exec, exec, s[6:7]
	s_nop 0
	v_mfma_f32_16x16x4f32 a[0:3], v2, v12, a[0:3]
	s_movk_i32 s4, 0x7f
	v_cmp_gt_i16_sdwa s[6:7], v7, s4 src0_sel:BYTE_3 src1_sel:DWORD
	s_mov_b64 s[4:5], 0
                                        ; implicit-def: $sgpr10
	s_and_saveexec_b64 s[8:9], s[6:7]
	s_xor_b64 s[6:7], exec, s[8:9]
	s_cbranch_execz .LBB2_6585
; %bb.42425:
	s_getpc_b64 s[14:15]
.Lpost_getpc24796:
	s_add_u32 s14, s14, (.LBB2_20921-.Lpost_getpc24796)&4294967295
	s_addc_u32 s15, s15, (.LBB2_20921-.Lpost_getpc24796)>>32
	s_setpc_b64 s[14:15]
.LBB2_6585:
	s_or_saveexec_b64 s[6:7], s[6:7]
	v_mov_b32_e32 v2, s10
	s_xor_b64 exec, exec, s[6:7]
	s_cbranch_execz .LBB2_6586
; %bb.42427:
	s_getpc_b64 s[14:15]
.Lpost_getpc24797:
	s_add_u32 s14, s14, (.LBB2_20924-.Lpost_getpc24797)&4294967295
	s_addc_u32 s15, s15, (.LBB2_20924-.Lpost_getpc24797)>>32
	s_setpc_b64 s[14:15]
.LBB2_6586:
	s_or_b64 exec, exec, s[6:7]
	s_and_saveexec_b64 s[6:7], s[4:5]
	s_cbranch_execz .LBB2_6588
.LBB2_6587:
	v_bfe_u32 v2, v7, 24, 3
	v_ffbh_u32_e32 v14, v2
	v_min_u32_e32 v14, 32, v14
	v_lshrrev_b32_e32 v12, 27, v7
	v_subrev_u32_e32 v15, 28, v14
	v_and_b32_e32 v6, 0x80000000, v7
	v_and_b32_e32 v12, 15, v12
	v_bfe_u32 v13, v7, 27, 4
	v_lshlrev_b32_sdwa v7, v15, v7 dst_sel:DWORD dst_unused:UNUSED_PAD src0_sel:DWORD src1_sel:BYTE_3
	v_sub_u32_e32 v14, 29, v14
	v_and_b32_e32 v7, 7, v7
	v_cmp_eq_u16_e32 vcc, 0, v12
	v_cndmask_b32_e32 v2, v2, v7, vcc
	v_cndmask_b32_e32 v7, v13, v14, vcc
	v_mov_b32_e32 v12, 0x3b800000
	v_lshlrev_b32_e32 v2, 20, v2
	v_lshl_add_u32 v7, v7, 23, v12
	v_or3_b32 v2, v6, v7, v2
.LBB2_6588:
	s_or_b64 exec, exec, s[6:7]
	s_movk_i32 s4, 0x7f
	v_cmp_gt_i16_sdwa s[6:7], v3, s4 src0_sel:BYTE_3 src1_sel:DWORD
	s_mov_b64 s[4:5], 0
                                        ; implicit-def: $sgpr10
	s_and_saveexec_b64 s[8:9], s[6:7]
	s_xor_b64 s[6:7], exec, s[8:9]
	s_cbranch_execz .LBB2_6589
; %bb.42429:
	s_getpc_b64 s[14:15]
.Lpost_getpc24798:
	s_add_u32 s14, s14, (.LBB2_20925-.Lpost_getpc24798)&4294967295
	s_addc_u32 s15, s15, (.LBB2_20925-.Lpost_getpc24798)>>32
	s_setpc_b64 s[14:15]
.LBB2_6589:
	s_or_saveexec_b64 s[6:7], s[6:7]
	v_mov_b32_e32 v6, s10
	s_xor_b64 exec, exec, s[6:7]
	s_cbranch_execz .LBB2_6590
; %bb.42431:
	s_getpc_b64 s[14:15]
.Lpost_getpc24799:
	s_add_u32 s14, s14, (.LBB2_20928-.Lpost_getpc24799)&4294967295
	s_addc_u32 s15, s15, (.LBB2_20928-.Lpost_getpc24799)>>32
	s_setpc_b64 s[14:15]
.LBB2_6590:
	s_or_b64 exec, exec, s[6:7]
	s_and_saveexec_b64 s[6:7], s[4:5]
	s_cbranch_execz .LBB2_6592
.LBB2_6591:
	v_bfe_u32 v6, v3, 24, 3
	v_ffbh_u32_e32 v14, v6
	v_min_u32_e32 v14, 32, v14
	v_lshrrev_b32_e32 v12, 27, v3
	v_subrev_u32_e32 v15, 28, v14
	v_and_b32_e32 v7, 0x80000000, v3
	v_and_b32_e32 v12, 15, v12
	v_bfe_u32 v13, v3, 27, 4
	v_lshlrev_b32_sdwa v3, v15, v3 dst_sel:DWORD dst_unused:UNUSED_PAD src0_sel:DWORD src1_sel:BYTE_3
	v_sub_u32_e32 v14, 29, v14
	v_and_b32_e32 v3, 7, v3
	v_cmp_eq_u16_e32 vcc, 0, v12
	v_cndmask_b32_e32 v3, v6, v3, vcc
	v_cndmask_b32_e32 v6, v13, v14, vcc
	v_mov_b32_e32 v12, 0x3b800000
	v_lshlrev_b32_e32 v3, 20, v3
	v_lshl_add_u32 v6, v6, 23, v12
	v_or3_b32 v6, v7, v6, v3
.LBB2_6592:
	s_or_b64 exec, exec, s[6:7]
	s_nop 0
	v_mfma_f32_16x16x4f32 a[0:3], v2, v6, a[0:3]
	s_movk_i32 s4, 0x7f
	v_cmp_gt_i16_sdwa s[6:7], v8, s4 src0_sel:BYTE_0 src1_sel:DWORD
	s_mov_b64 s[4:5], 0
                                        ; implicit-def: $sgpr10
	s_and_saveexec_b64 s[8:9], s[6:7]
	s_xor_b64 s[6:7], exec, s[8:9]
	s_cbranch_execz .LBB2_6593
; %bb.42433:
	s_getpc_b64 s[14:15]
.Lpost_getpc24800:
	s_add_u32 s14, s14, (.LBB2_20929-.Lpost_getpc24800)&4294967295
	s_addc_u32 s15, s15, (.LBB2_20929-.Lpost_getpc24800)>>32
	s_setpc_b64 s[14:15]
.LBB2_6593:
	s_or_saveexec_b64 s[6:7], s[6:7]
	v_mov_b32_e32 v2, s10
	s_xor_b64 exec, exec, s[6:7]
	s_cbranch_execz .LBB2_6594
; %bb.42435:
	s_getpc_b64 s[14:15]
.Lpost_getpc24801:
	s_add_u32 s14, s14, (.LBB2_20932-.Lpost_getpc24801)&4294967295
	s_addc_u32 s15, s15, (.LBB2_20932-.Lpost_getpc24801)>>32
	s_setpc_b64 s[14:15]
.LBB2_6594:
	s_or_b64 exec, exec, s[6:7]
	s_and_saveexec_b64 s[6:7], s[4:5]
	s_cbranch_execz .LBB2_6596
.LBB2_6595:
	v_and_b32_e32 v2, 7, v8
	v_ffbh_u32_e32 v6, v2
	v_min_u32_e32 v6, 32, v6
	v_lshrrev_b16_e32 v3, 3, v8
	v_subrev_u32_e32 v7, 28, v6
	v_and_b32_e32 v3, 15, v3
	v_lshlrev_b32_e32 v7, v7, v8
	v_sub_u32_e32 v6, 29, v6
	v_and_b32_e32 v7, 7, v7
	v_cmp_eq_u16_e32 vcc, 0, v3
	v_cndmask_b32_e32 v2, v2, v7, vcc
	v_cndmask_b32_e32 v3, v3, v6, vcc
	v_lshlrev_b32_e32 v6, 24, v8
	v_mov_b32_e32 v7, 0x3b800000
	v_lshlrev_b32_e32 v2, 20, v2
	v_and_b32_e32 v6, 0x80000000, v6
	v_lshl_add_u32 v3, v3, 23, v7
	v_or3_b32 v2, v6, v3, v2
.LBB2_6596:
	s_or_b64 exec, exec, s[6:7]
	s_movk_i32 s4, 0x7f
	v_cmp_gt_i16_sdwa s[6:7], v4, s4 src0_sel:BYTE_0 src1_sel:DWORD
	s_mov_b64 s[4:5], 0
                                        ; implicit-def: $sgpr10
	s_and_saveexec_b64 s[8:9], s[6:7]
	s_xor_b64 s[6:7], exec, s[8:9]
	s_cbranch_execz .LBB2_6597
; %bb.42437:
	s_getpc_b64 s[14:15]
.Lpost_getpc24802:
	s_add_u32 s14, s14, (.LBB2_20933-.Lpost_getpc24802)&4294967295
	s_addc_u32 s15, s15, (.LBB2_20933-.Lpost_getpc24802)>>32
	s_setpc_b64 s[14:15]
.LBB2_6597:
	s_or_saveexec_b64 s[6:7], s[6:7]
	v_mov_b32_e32 v3, s10
	s_xor_b64 exec, exec, s[6:7]
	s_cbranch_execz .LBB2_6598
; %bb.42439:
	s_getpc_b64 s[14:15]
.Lpost_getpc24803:
	s_add_u32 s14, s14, (.LBB2_20936-.Lpost_getpc24803)&4294967295
	s_addc_u32 s15, s15, (.LBB2_20936-.Lpost_getpc24803)>>32
	s_setpc_b64 s[14:15]
.LBB2_6598:
	s_or_b64 exec, exec, s[6:7]
	s_and_saveexec_b64 s[6:7], s[4:5]
	s_cbranch_execz .LBB2_6600
.LBB2_6599:
	v_and_b32_e32 v3, 7, v4
	v_ffbh_u32_e32 v7, v3
	v_min_u32_e32 v7, 32, v7
	v_lshrrev_b16_e32 v6, 3, v4
	v_subrev_u32_e32 v12, 28, v7
	v_and_b32_e32 v6, 15, v6
	v_lshlrev_b32_e32 v12, v12, v4
	v_sub_u32_e32 v7, 29, v7
	v_and_b32_e32 v12, 7, v12
	v_cmp_eq_u16_e32 vcc, 0, v6
	v_cndmask_b32_e32 v3, v3, v12, vcc
	v_cndmask_b32_e32 v6, v6, v7, vcc
	v_lshlrev_b32_e32 v7, 24, v4
	v_mov_b32_e32 v12, 0x3b800000
	v_lshlrev_b32_e32 v3, 20, v3
	v_and_b32_e32 v7, 0x80000000, v7
	v_lshl_add_u32 v6, v6, 23, v12
	v_or3_b32 v3, v7, v6, v3
.LBB2_6600:
	s_or_b64 exec, exec, s[6:7]
	s_nop 0
	v_mfma_f32_16x16x4f32 a[0:3], v2, v3, a[0:3]
	v_lshrrev_b32_e32 v3, 8, v8
	s_movk_i32 s4, 0x7f
	v_cmp_gt_i16_sdwa s[6:7], v3, s4 src0_sel:BYTE_0 src1_sel:DWORD
	s_mov_b64 s[4:5], 0
                                        ; implicit-def: $sgpr10
	s_and_saveexec_b64 s[8:9], s[6:7]
	s_xor_b64 s[6:7], exec, s[8:9]
	s_cbranch_execz .LBB2_6601
; %bb.42441:
	s_getpc_b64 s[14:15]
.Lpost_getpc24804:
	s_add_u32 s14, s14, (.LBB2_20937-.Lpost_getpc24804)&4294967295
	s_addc_u32 s15, s15, (.LBB2_20937-.Lpost_getpc24804)>>32
	s_setpc_b64 s[14:15]
.LBB2_6601:
	s_or_saveexec_b64 s[6:7], s[6:7]
	v_mov_b32_e32 v2, s10
	s_xor_b64 exec, exec, s[6:7]
	s_cbranch_execz .LBB2_6602
; %bb.42443:
	s_getpc_b64 s[14:15]
.Lpost_getpc24805:
	s_add_u32 s14, s14, (.LBB2_20940-.Lpost_getpc24805)&4294967295
	s_addc_u32 s15, s15, (.LBB2_20940-.Lpost_getpc24805)>>32
	s_setpc_b64 s[14:15]
.LBB2_6602:
	s_or_b64 exec, exec, s[6:7]
	s_and_saveexec_b64 s[6:7], s[4:5]
	s_cbranch_execz .LBB2_6604
.LBB2_6603:
	v_bfe_u32 v2, v8, 8, 3
	v_ffbh_u32_e32 v7, v2
	v_min_u32_e32 v7, 32, v7
	v_lshrrev_b16_e32 v6, 3, v3
	v_subrev_u32_e32 v12, 28, v7
	v_and_b32_e32 v6, 15, v6
	v_lshlrev_b32_e32 v3, v12, v3
	v_sub_u32_e32 v7, 29, v7
	v_and_b32_e32 v3, 7, v3
	v_cmp_eq_u16_e32 vcc, 0, v6
	v_cndmask_b32_e32 v2, v2, v3, vcc
	v_cndmask_b32_e32 v3, v6, v7, vcc
	v_lshlrev_b32_e32 v6, 16, v8
	v_mov_b32_e32 v7, 0x3b800000
	v_lshlrev_b32_e32 v2, 20, v2
	v_and_b32_e32 v6, 0x80000000, v6
	v_lshl_add_u32 v3, v3, 23, v7
	v_or3_b32 v2, v6, v3, v2
.LBB2_6604:
	s_or_b64 exec, exec, s[6:7]
	v_lshrrev_b32_e32 v3, 8, v4
	s_movk_i32 s4, 0x7f
	v_cmp_gt_i16_sdwa s[6:7], v3, s4 src0_sel:BYTE_0 src1_sel:DWORD
	s_mov_b64 s[4:5], 0
                                        ; implicit-def: $sgpr10
	s_and_saveexec_b64 s[8:9], s[6:7]
	s_xor_b64 s[6:7], exec, s[8:9]
	s_cbranch_execz .LBB2_6605
; %bb.42445:
	s_getpc_b64 s[14:15]
.Lpost_getpc24806:
	s_add_u32 s14, s14, (.LBB2_20941-.Lpost_getpc24806)&4294967295
	s_addc_u32 s15, s15, (.LBB2_20941-.Lpost_getpc24806)>>32
	s_setpc_b64 s[14:15]
.LBB2_6605:
	s_or_saveexec_b64 s[6:7], s[6:7]
	v_mov_b32_e32 v6, s10
	s_xor_b64 exec, exec, s[6:7]
	s_cbranch_execz .LBB2_6606
; %bb.42447:
	s_getpc_b64 s[14:15]
.Lpost_getpc24807:
	s_add_u32 s14, s14, (.LBB2_20944-.Lpost_getpc24807)&4294967295
	s_addc_u32 s15, s15, (.LBB2_20944-.Lpost_getpc24807)>>32
	s_setpc_b64 s[14:15]
.LBB2_6606:
	s_or_b64 exec, exec, s[6:7]
	s_and_saveexec_b64 s[6:7], s[4:5]
	s_cbranch_execz .LBB2_6608
.LBB2_6607:
	v_bfe_u32 v6, v4, 8, 3
	v_ffbh_u32_e32 v12, v6
	v_min_u32_e32 v12, 32, v12
	v_lshrrev_b16_e32 v7, 3, v3
	v_subrev_u32_e32 v13, 28, v12
	v_and_b32_e32 v7, 15, v7
	v_lshlrev_b32_e32 v3, v13, v3
	v_sub_u32_e32 v12, 29, v12
	v_and_b32_e32 v3, 7, v3
	v_cmp_eq_u16_e32 vcc, 0, v7
	v_cndmask_b32_e32 v3, v6, v3, vcc
	v_cndmask_b32_e32 v6, v7, v12, vcc
	v_lshlrev_b32_e32 v7, 16, v4
	v_mov_b32_e32 v12, 0x3b800000
	v_lshlrev_b32_e32 v3, 20, v3
	v_and_b32_e32 v7, 0x80000000, v7
	v_lshl_add_u32 v6, v6, 23, v12
	v_or3_b32 v6, v7, v6, v3
.LBB2_6608:
	s_or_b64 exec, exec, s[6:7]
	s_nop 0
	v_mfma_f32_16x16x4f32 a[0:3], v2, v6, a[0:3]
	s_movk_i32 s4, 0xff
	v_and_b32_sdwa v3, v8, s4 dst_sel:DWORD dst_unused:UNUSED_PAD src0_sel:WORD_1 src1_sel:DWORD
	s_movk_i32 s4, 0x7f
	v_cmp_lt_i16_e32 vcc, s4, v3
	s_mov_b64 s[4:5], 0
                                        ; implicit-def: $sgpr10
	s_and_saveexec_b64 s[6:7], vcc
	s_xor_b64 s[6:7], exec, s[6:7]
	s_cbranch_execz .LBB2_6609
; %bb.42449:
	s_getpc_b64 s[14:15]
.Lpost_getpc24808:
	s_add_u32 s14, s14, (.LBB2_20945-.Lpost_getpc24808)&4294967295
	s_addc_u32 s15, s15, (.LBB2_20945-.Lpost_getpc24808)>>32
	s_setpc_b64 s[14:15]
.LBB2_6609:
	s_or_saveexec_b64 s[6:7], s[6:7]
	v_mov_b32_e32 v2, s10
	s_xor_b64 exec, exec, s[6:7]
	s_cbranch_execz .LBB2_6610
; %bb.42451:
	s_getpc_b64 s[14:15]
.Lpost_getpc24809:
	s_add_u32 s14, s14, (.LBB2_20948-.Lpost_getpc24809)&4294967295
	s_addc_u32 s15, s15, (.LBB2_20948-.Lpost_getpc24809)>>32
	s_setpc_b64 s[14:15]
.LBB2_6610:
	s_or_b64 exec, exec, s[6:7]
	s_and_saveexec_b64 s[6:7], s[4:5]
	s_cbranch_execz .LBB2_6612
.LBB2_6611:
	v_bfe_u32 v2, v8, 16, 3
	v_ffbh_u32_e32 v7, v2
	v_min_u32_e32 v7, 32, v7
	v_lshrrev_b32_e32 v3, 19, v8
	v_subrev_u32_e32 v12, 28, v7
	v_and_b32_e32 v3, 15, v3
	v_lshlrev_b32_sdwa v12, v12, v8 dst_sel:DWORD dst_unused:UNUSED_PAD src0_sel:DWORD src1_sel:WORD_1
	v_bfe_u32 v6, v8, 19, 4
	v_sub_u32_e32 v7, 29, v7
	v_and_b32_e32 v12, 7, v12
	v_cmp_eq_u16_e32 vcc, 0, v3
	v_cndmask_b32_e32 v2, v2, v12, vcc
	v_cndmask_b32_e32 v3, v6, v7, vcc
	v_lshlrev_b32_e32 v6, 8, v8
	v_mov_b32_e32 v7, 0x3b800000
	v_lshlrev_b32_e32 v2, 20, v2
	v_and_b32_e32 v6, 0x80000000, v6
	v_lshl_add_u32 v3, v3, 23, v7
	v_or3_b32 v2, v6, v3, v2
.LBB2_6612:
	s_or_b64 exec, exec, s[6:7]
	s_movk_i32 s4, 0xff
	v_and_b32_sdwa v3, v4, s4 dst_sel:DWORD dst_unused:UNUSED_PAD src0_sel:WORD_1 src1_sel:DWORD
	s_movk_i32 s4, 0x7f
	v_cmp_lt_i16_e32 vcc, s4, v3
	s_mov_b64 s[4:5], 0
                                        ; implicit-def: $sgpr10
	s_and_saveexec_b64 s[6:7], vcc
	s_xor_b64 s[6:7], exec, s[6:7]
	s_cbranch_execz .LBB2_6613
; %bb.42453:
	s_getpc_b64 s[14:15]
.Lpost_getpc24810:
	s_add_u32 s14, s14, (.LBB2_20949-.Lpost_getpc24810)&4294967295
	s_addc_u32 s15, s15, (.LBB2_20949-.Lpost_getpc24810)>>32
	s_setpc_b64 s[14:15]
.LBB2_6613:
	s_or_saveexec_b64 s[6:7], s[6:7]
	v_mov_b32_e32 v6, s10
	s_xor_b64 exec, exec, s[6:7]
	s_cbranch_execz .LBB2_6614
; %bb.42455:
	s_getpc_b64 s[14:15]
.Lpost_getpc24811:
	s_add_u32 s14, s14, (.LBB2_20952-.Lpost_getpc24811)&4294967295
	s_addc_u32 s15, s15, (.LBB2_20952-.Lpost_getpc24811)>>32
	s_setpc_b64 s[14:15]
.LBB2_6614:
	s_or_b64 exec, exec, s[6:7]
	s_and_saveexec_b64 s[6:7], s[4:5]
	s_cbranch_execz .LBB2_6616
.LBB2_6615:
	v_bfe_u32 v3, v4, 16, 3
	v_ffbh_u32_e32 v12, v3
	v_min_u32_e32 v12, 32, v12
	v_lshrrev_b32_e32 v6, 19, v4
	v_subrev_u32_e32 v13, 28, v12
	v_and_b32_e32 v6, 15, v6
	v_lshlrev_b32_sdwa v13, v13, v4 dst_sel:DWORD dst_unused:UNUSED_PAD src0_sel:DWORD src1_sel:WORD_1
	v_bfe_u32 v7, v4, 19, 4
	v_sub_u32_e32 v12, 29, v12
	v_and_b32_e32 v13, 7, v13
	v_cmp_eq_u16_e32 vcc, 0, v6
	v_cndmask_b32_e32 v3, v3, v13, vcc
	v_cndmask_b32_e32 v6, v7, v12, vcc
	v_lshlrev_b32_e32 v7, 8, v4
	v_mov_b32_e32 v12, 0x3b800000
	v_lshlrev_b32_e32 v3, 20, v3
	v_and_b32_e32 v7, 0x80000000, v7
	v_lshl_add_u32 v6, v6, 23, v12
	v_or3_b32 v6, v7, v6, v3
.LBB2_6616:
	s_or_b64 exec, exec, s[6:7]
	s_nop 0
	v_mfma_f32_16x16x4f32 a[0:3], v2, v6, a[0:3]
	s_movk_i32 s4, 0x7f
	v_cmp_gt_i16_sdwa s[6:7], v8, s4 src0_sel:BYTE_3 src1_sel:DWORD
	s_mov_b64 s[4:5], 0
                                        ; implicit-def: $sgpr10
	s_and_saveexec_b64 s[8:9], s[6:7]
	s_xor_b64 s[6:7], exec, s[8:9]
	s_cbranch_execz .LBB2_6617
; %bb.42457:
	s_getpc_b64 s[14:15]
.Lpost_getpc24812:
	s_add_u32 s14, s14, (.LBB2_20953-.Lpost_getpc24812)&4294967295
	s_addc_u32 s15, s15, (.LBB2_20953-.Lpost_getpc24812)>>32
	s_setpc_b64 s[14:15]
.LBB2_6617:
	s_or_saveexec_b64 s[6:7], s[6:7]
	v_mov_b32_e32 v2, s10
	s_xor_b64 exec, exec, s[6:7]
	s_cbranch_execz .LBB2_6618
; %bb.42459:
	s_getpc_b64 s[14:15]
.Lpost_getpc24813:
	s_add_u32 s14, s14, (.LBB2_20956-.Lpost_getpc24813)&4294967295
	s_addc_u32 s15, s15, (.LBB2_20956-.Lpost_getpc24813)>>32
	s_setpc_b64 s[14:15]
.LBB2_6618:
	s_or_b64 exec, exec, s[6:7]
	s_and_saveexec_b64 s[6:7], s[4:5]
	s_cbranch_execz .LBB2_6620
.LBB2_6619:
	v_bfe_u32 v2, v8, 24, 3
	v_ffbh_u32_e32 v12, v2
	v_min_u32_e32 v12, 32, v12
	v_lshrrev_b32_e32 v6, 27, v8
	v_subrev_u32_e32 v13, 28, v12
	v_and_b32_e32 v3, 0x80000000, v8
	v_and_b32_e32 v6, 15, v6
	v_bfe_u32 v7, v8, 27, 4
	v_lshlrev_b32_sdwa v8, v13, v8 dst_sel:DWORD dst_unused:UNUSED_PAD src0_sel:DWORD src1_sel:BYTE_3
	v_sub_u32_e32 v12, 29, v12
	v_and_b32_e32 v8, 7, v8
	v_cmp_eq_u16_e32 vcc, 0, v6
	v_cndmask_b32_e32 v2, v2, v8, vcc
	v_cndmask_b32_e32 v6, v7, v12, vcc
	v_mov_b32_e32 v7, 0x3b800000
	v_lshlrev_b32_e32 v2, 20, v2
	v_lshl_add_u32 v6, v6, 23, v7
	v_or3_b32 v2, v3, v6, v2
.LBB2_6620:
	s_or_b64 exec, exec, s[6:7]
	s_movk_i32 s4, 0x7f
	v_cmp_gt_i16_sdwa s[6:7], v4, s4 src0_sel:BYTE_3 src1_sel:DWORD
	s_mov_b64 s[4:5], 0
                                        ; implicit-def: $sgpr10
	s_and_saveexec_b64 s[8:9], s[6:7]
	s_xor_b64 s[6:7], exec, s[8:9]
	s_cbranch_execz .LBB2_6621
; %bb.42461:
	s_getpc_b64 s[14:15]
.Lpost_getpc24814:
	s_add_u32 s14, s14, (.LBB2_20957-.Lpost_getpc24814)&4294967295
	s_addc_u32 s15, s15, (.LBB2_20957-.Lpost_getpc24814)>>32
	s_setpc_b64 s[14:15]
.LBB2_6621:
	s_or_saveexec_b64 s[6:7], s[6:7]
	v_mov_b32_e32 v3, s10
	s_xor_b64 exec, exec, s[6:7]
	s_cbranch_execz .LBB2_6622
; %bb.42463:
	s_getpc_b64 s[14:15]
.Lpost_getpc24815:
	s_add_u32 s14, s14, (.LBB2_20960-.Lpost_getpc24815)&4294967295
	s_addc_u32 s15, s15, (.LBB2_20960-.Lpost_getpc24815)>>32
	s_setpc_b64 s[14:15]
.LBB2_6622:
	s_or_b64 exec, exec, s[6:7]
	s_and_saveexec_b64 s[6:7], s[4:5]
	s_cbranch_execz .LBB2_6624
.LBB2_6623:
	v_bfe_u32 v3, v4, 24, 3
	v_ffbh_u32_e32 v12, v3
	v_min_u32_e32 v12, 32, v12
	v_lshrrev_b32_e32 v7, 27, v4
	v_subrev_u32_e32 v13, 28, v12
	v_and_b32_e32 v6, 0x80000000, v4
	v_and_b32_e32 v7, 15, v7
	v_bfe_u32 v8, v4, 27, 4
	v_lshlrev_b32_sdwa v4, v13, v4 dst_sel:DWORD dst_unused:UNUSED_PAD src0_sel:DWORD src1_sel:BYTE_3
	v_sub_u32_e32 v12, 29, v12
	v_and_b32_e32 v4, 7, v4
	v_cmp_eq_u16_e32 vcc, 0, v7
	v_cndmask_b32_e32 v3, v3, v4, vcc
	v_cndmask_b32_e32 v4, v8, v12, vcc
	v_mov_b32_e32 v7, 0x3b800000
	v_lshlrev_b32_e32 v3, 20, v3
	v_lshl_add_u32 v4, v4, 23, v7
	v_or3_b32 v3, v6, v4, v3
.LBB2_6624:
	s_or_b64 exec, exec, s[6:7]
	s_nop 0
	v_mfma_f32_16x16x4f32 a[0:3], v2, v3, a[0:3]
	s_movk_i32 s4, 0x7f
	v_cmp_gt_i16_sdwa s[6:7], v9, s4 src0_sel:BYTE_0 src1_sel:DWORD
	s_mov_b64 s[4:5], 0
                                        ; implicit-def: $sgpr10
	s_and_saveexec_b64 s[8:9], s[6:7]
	s_xor_b64 s[6:7], exec, s[8:9]
	s_cbranch_execz .LBB2_6625
; %bb.42465:
	s_getpc_b64 s[14:15]
.Lpost_getpc24816:
	s_add_u32 s14, s14, (.LBB2_20961-.Lpost_getpc24816)&4294967295
	s_addc_u32 s15, s15, (.LBB2_20961-.Lpost_getpc24816)>>32
	s_setpc_b64 s[14:15]
.LBB2_6625:
	s_or_saveexec_b64 s[6:7], s[6:7]
	v_mov_b32_e32 v2, s10
	s_xor_b64 exec, exec, s[6:7]
	s_cbranch_execz .LBB2_6626
; %bb.42467:
	s_getpc_b64 s[14:15]
.Lpost_getpc24817:
	s_add_u32 s14, s14, (.LBB2_20964-.Lpost_getpc24817)&4294967295
	s_addc_u32 s15, s15, (.LBB2_20964-.Lpost_getpc24817)>>32
	s_setpc_b64 s[14:15]
.LBB2_6626:
	s_or_b64 exec, exec, s[6:7]
	s_and_saveexec_b64 s[6:7], s[4:5]
	s_cbranch_execz .LBB2_6628
.LBB2_6627:
	v_mov_b32_e32 v2, 8
	v_and_b32_e32 v3, 7, v9
	v_lshrrev_b32_sdwa v2, v2, v9 dst_sel:BYTE_1 dst_unused:UNUSED_PAD src0_sel:DWORD src1_sel:DWORD
	v_ffbh_u32_e32 v4, v3
	v_or_b32_sdwa v2, v9, v2 dst_sel:DWORD dst_unused:UNUSED_PAD src0_sel:BYTE_0 src1_sel:DWORD
	v_min_u32_e32 v4, 32, v4
	v_lshrrev_b16_e32 v2, 3, v2
	v_subrev_u32_e32 v6, 28, v4
	v_and_b32_e32 v2, 15, v2
	v_lshlrev_b32_e32 v6, v6, v9
	v_sub_u32_e32 v4, 29, v4
	v_and_b32_e32 v6, 7, v6
	v_cmp_eq_u16_e32 vcc, 0, v2
	v_cndmask_b32_e32 v3, v3, v6, vcc
	v_cndmask_b32_e32 v2, v2, v4, vcc
	v_lshlrev_b32_e32 v4, 24, v9
	v_mov_b32_e32 v6, 0x3b800000
	v_lshlrev_b32_e32 v3, 20, v3
	v_and_b32_e32 v4, 0x80000000, v4
	v_lshl_add_u32 v2, v2, 23, v6
	v_or3_b32 v2, v4, v2, v3
.LBB2_6628:
	s_or_b64 exec, exec, s[6:7]
	s_movk_i32 s4, 0x7f
	v_cmp_gt_i16_sdwa s[6:7], v5, s4 src0_sel:BYTE_0 src1_sel:DWORD
	s_mov_b64 s[4:5], 0
                                        ; implicit-def: $sgpr10
	s_and_saveexec_b64 s[8:9], s[6:7]
	s_xor_b64 s[6:7], exec, s[8:9]
	s_cbranch_execz .LBB2_6629
; %bb.42469:
	s_getpc_b64 s[14:15]
.Lpost_getpc24818:
	s_add_u32 s14, s14, (.LBB2_20965-.Lpost_getpc24818)&4294967295
	s_addc_u32 s15, s15, (.LBB2_20965-.Lpost_getpc24818)>>32
	s_setpc_b64 s[14:15]
.LBB2_6629:
	s_or_saveexec_b64 s[6:7], s[6:7]
	v_mov_b32_e32 v3, s10
	s_xor_b64 exec, exec, s[6:7]
	s_cbranch_execz .LBB2_6630
; %bb.42471:
	s_getpc_b64 s[14:15]
.Lpost_getpc24819:
	s_add_u32 s14, s14, (.LBB2_20968-.Lpost_getpc24819)&4294967295
	s_addc_u32 s15, s15, (.LBB2_20968-.Lpost_getpc24819)>>32
	s_setpc_b64 s[14:15]
.LBB2_6630:
	s_or_b64 exec, exec, s[6:7]
	s_and_saveexec_b64 s[6:7], s[4:5]
	s_cbranch_execz .LBB2_6632
.LBB2_6631:
	v_mov_b32_e32 v3, 8
	v_and_b32_e32 v4, 7, v5
	v_lshrrev_b32_sdwa v3, v3, v5 dst_sel:BYTE_1 dst_unused:UNUSED_PAD src0_sel:DWORD src1_sel:DWORD
	v_ffbh_u32_e32 v6, v4
	v_or_b32_sdwa v3, v5, v3 dst_sel:DWORD dst_unused:UNUSED_PAD src0_sel:BYTE_0 src1_sel:DWORD
	v_min_u32_e32 v6, 32, v6
	v_lshrrev_b16_e32 v3, 3, v3
	v_subrev_u32_e32 v7, 28, v6
	v_and_b32_e32 v3, 15, v3
	v_lshlrev_b32_e32 v7, v7, v5
	v_sub_u32_e32 v6, 29, v6
	v_and_b32_e32 v7, 7, v7
	v_cmp_eq_u16_e32 vcc, 0, v3
	v_cndmask_b32_e32 v4, v4, v7, vcc
	v_cndmask_b32_e32 v3, v3, v6, vcc
	v_lshlrev_b32_e32 v6, 24, v5
	v_mov_b32_e32 v7, 0x3b800000
	v_lshlrev_b32_e32 v4, 20, v4
	v_and_b32_e32 v6, 0x80000000, v6
	v_lshl_add_u32 v3, v3, 23, v7
	v_or3_b32 v3, v6, v3, v4
.LBB2_6632:
	s_or_b64 exec, exec, s[6:7]
	s_nop 0
	v_mfma_f32_16x16x4f32 a[0:3], v2, v3, a[0:3]
	v_lshrrev_b32_e32 v3, 8, v9
	s_movk_i32 s4, 0x7f
	v_cmp_gt_i16_sdwa s[6:7], v3, s4 src0_sel:BYTE_0 src1_sel:DWORD
	s_mov_b64 s[4:5], 0
                                        ; implicit-def: $sgpr10
	s_and_saveexec_b64 s[8:9], s[6:7]
	s_xor_b64 s[6:7], exec, s[8:9]
	s_cbranch_execz .LBB2_6633
; %bb.42473:
	s_getpc_b64 s[14:15]
.Lpost_getpc24820:
	s_add_u32 s14, s14, (.LBB2_20969-.Lpost_getpc24820)&4294967295
	s_addc_u32 s15, s15, (.LBB2_20969-.Lpost_getpc24820)>>32
	s_setpc_b64 s[14:15]
.LBB2_6633:
	s_or_saveexec_b64 s[6:7], s[6:7]
	v_mov_b32_e32 v2, s10
	s_xor_b64 exec, exec, s[6:7]
	s_cbranch_execz .LBB2_6634
; %bb.42475:
	s_getpc_b64 s[14:15]
.Lpost_getpc24821:
	s_add_u32 s14, s14, (.LBB2_20972-.Lpost_getpc24821)&4294967295
	s_addc_u32 s15, s15, (.LBB2_20972-.Lpost_getpc24821)>>32
	s_setpc_b64 s[14:15]
.LBB2_6634:
	s_or_b64 exec, exec, s[6:7]
	s_and_saveexec_b64 s[6:7], s[4:5]
	s_cbranch_execz .LBB2_6636
.LBB2_6635:
	v_bfe_u32 v2, v9, 8, 3
	v_ffbh_u32_e32 v6, v2
	v_min_u32_e32 v6, 32, v6
	v_lshrrev_b16_e32 v4, 3, v3
	v_subrev_u32_e32 v7, 28, v6
	v_and_b32_e32 v4, 15, v4
	v_lshlrev_b32_e32 v3, v7, v3
	v_sub_u32_e32 v6, 29, v6
	v_and_b32_e32 v3, 7, v3
	v_cmp_eq_u16_e32 vcc, 0, v4
	v_cndmask_b32_e32 v2, v2, v3, vcc
	v_cndmask_b32_e32 v3, v4, v6, vcc
	v_lshlrev_b32_e32 v4, 16, v9
	v_mov_b32_e32 v6, 0x3b800000
	v_lshlrev_b32_e32 v2, 20, v2
	v_and_b32_e32 v4, 0x80000000, v4
	v_lshl_add_u32 v3, v3, 23, v6
	v_or3_b32 v2, v4, v3, v2
.LBB2_6636:
	s_or_b64 exec, exec, s[6:7]
	v_lshrrev_b32_e32 v3, 8, v5
	s_movk_i32 s4, 0x7f
	v_cmp_gt_i16_sdwa s[6:7], v3, s4 src0_sel:BYTE_0 src1_sel:DWORD
	s_mov_b64 s[4:5], 0
                                        ; implicit-def: $sgpr10
	s_and_saveexec_b64 s[8:9], s[6:7]
	s_xor_b64 s[6:7], exec, s[8:9]
	s_cbranch_execz .LBB2_6637
; %bb.42477:
	s_getpc_b64 s[14:15]
.Lpost_getpc24822:
	s_add_u32 s14, s14, (.LBB2_20973-.Lpost_getpc24822)&4294967295
	s_addc_u32 s15, s15, (.LBB2_20973-.Lpost_getpc24822)>>32
	s_setpc_b64 s[14:15]
.LBB2_6637:
	s_or_saveexec_b64 s[6:7], s[6:7]
	v_mov_b32_e32 v4, s10
	s_xor_b64 exec, exec, s[6:7]
	s_cbranch_execz .LBB2_6638
; %bb.42479:
	s_getpc_b64 s[14:15]
.Lpost_getpc24823:
	s_add_u32 s14, s14, (.LBB2_20976-.Lpost_getpc24823)&4294967295
	s_addc_u32 s15, s15, (.LBB2_20976-.Lpost_getpc24823)>>32
	s_setpc_b64 s[14:15]
.LBB2_6638:
	s_or_b64 exec, exec, s[6:7]
	s_and_saveexec_b64 s[6:7], s[4:5]
	s_cbranch_execz .LBB2_6640
.LBB2_6639:
	v_bfe_u32 v4, v5, 8, 3
	v_ffbh_u32_e32 v7, v4
	v_min_u32_e32 v7, 32, v7
	v_lshrrev_b16_e32 v6, 3, v3
	v_subrev_u32_e32 v8, 28, v7
	v_and_b32_e32 v6, 15, v6
	v_lshlrev_b32_e32 v3, v8, v3
	v_sub_u32_e32 v7, 29, v7
	v_and_b32_e32 v3, 7, v3
	v_cmp_eq_u16_e32 vcc, 0, v6
	v_cndmask_b32_e32 v3, v4, v3, vcc
	v_cndmask_b32_e32 v4, v6, v7, vcc
	v_lshlrev_b32_e32 v6, 16, v5
	v_mov_b32_e32 v7, 0x3b800000
	v_lshlrev_b32_e32 v3, 20, v3
	v_and_b32_e32 v6, 0x80000000, v6
	v_lshl_add_u32 v4, v4, 23, v7
	v_or3_b32 v4, v6, v4, v3
.LBB2_6640:
	s_or_b64 exec, exec, s[6:7]
	s_nop 0
	v_mfma_f32_16x16x4f32 a[0:3], v2, v4, a[0:3]
	s_movk_i32 s4, 0xff
	v_and_b32_sdwa v3, v9, s4 dst_sel:DWORD dst_unused:UNUSED_PAD src0_sel:WORD_1 src1_sel:DWORD
	s_movk_i32 s4, 0x7f
	v_cmp_lt_i16_e32 vcc, s4, v3
	s_mov_b64 s[4:5], 0
                                        ; implicit-def: $sgpr10
	s_and_saveexec_b64 s[6:7], vcc
	s_xor_b64 s[6:7], exec, s[6:7]
	s_cbranch_execz .LBB2_6641
; %bb.42481:
	s_getpc_b64 s[14:15]
.Lpost_getpc24824:
	s_add_u32 s14, s14, (.LBB2_20977-.Lpost_getpc24824)&4294967295
	s_addc_u32 s15, s15, (.LBB2_20977-.Lpost_getpc24824)>>32
	s_setpc_b64 s[14:15]
.LBB2_6641:
	s_or_saveexec_b64 s[6:7], s[6:7]
	v_mov_b32_e32 v2, s10
	s_xor_b64 exec, exec, s[6:7]
	s_cbranch_execz .LBB2_6642
; %bb.42483:
	s_getpc_b64 s[14:15]
.Lpost_getpc24825:
	s_add_u32 s14, s14, (.LBB2_20980-.Lpost_getpc24825)&4294967295
	s_addc_u32 s15, s15, (.LBB2_20980-.Lpost_getpc24825)>>32
	s_setpc_b64 s[14:15]
.LBB2_6642:
	s_or_b64 exec, exec, s[6:7]
	s_and_saveexec_b64 s[6:7], s[4:5]
	s_cbranch_execz .LBB2_6644
.LBB2_6643:
	v_bfe_u32 v2, v9, 16, 3
	v_ffbh_u32_e32 v6, v2
	v_min_u32_e32 v6, 32, v6
	v_lshrrev_b32_e32 v3, 19, v9
	v_subrev_u32_e32 v7, 28, v6
	v_and_b32_e32 v3, 15, v3
	v_lshlrev_b32_sdwa v7, v7, v9 dst_sel:DWORD dst_unused:UNUSED_PAD src0_sel:DWORD src1_sel:WORD_1
	v_bfe_u32 v4, v9, 19, 4
	v_sub_u32_e32 v6, 29, v6
	v_and_b32_e32 v7, 7, v7
	v_cmp_eq_u16_e32 vcc, 0, v3
	v_cndmask_b32_e32 v2, v2, v7, vcc
	v_cndmask_b32_e32 v3, v4, v6, vcc
	v_lshlrev_b32_e32 v4, 8, v9
	v_mov_b32_e32 v6, 0x3b800000
	v_lshlrev_b32_e32 v2, 20, v2
	v_and_b32_e32 v4, 0x80000000, v4
	v_lshl_add_u32 v3, v3, 23, v6
	v_or3_b32 v2, v4, v3, v2
.LBB2_6644:
	s_or_b64 exec, exec, s[6:7]
	s_movk_i32 s4, 0xff
	v_and_b32_sdwa v3, v5, s4 dst_sel:DWORD dst_unused:UNUSED_PAD src0_sel:WORD_1 src1_sel:DWORD
	s_movk_i32 s4, 0x7f
	v_cmp_lt_i16_e32 vcc, s4, v3
	s_mov_b64 s[4:5], 0
                                        ; implicit-def: $sgpr10
	s_and_saveexec_b64 s[6:7], vcc
	s_xor_b64 s[6:7], exec, s[6:7]
	s_cbranch_execz .LBB2_6645
; %bb.42485:
	s_getpc_b64 s[14:15]
.Lpost_getpc24826:
	s_add_u32 s14, s14, (.LBB2_20981-.Lpost_getpc24826)&4294967295
	s_addc_u32 s15, s15, (.LBB2_20981-.Lpost_getpc24826)>>32
	s_setpc_b64 s[14:15]
.LBB2_6645:
	s_or_saveexec_b64 s[6:7], s[6:7]
	v_mov_b32_e32 v4, s10
	s_xor_b64 exec, exec, s[6:7]
	s_cbranch_execz .LBB2_6646
; %bb.42487:
	s_getpc_b64 s[14:15]
.Lpost_getpc24827:
	s_add_u32 s14, s14, (.LBB2_20984-.Lpost_getpc24827)&4294967295
	s_addc_u32 s15, s15, (.LBB2_20984-.Lpost_getpc24827)>>32
	s_setpc_b64 s[14:15]
.LBB2_6646:
	s_or_b64 exec, exec, s[6:7]
	s_and_saveexec_b64 s[6:7], s[4:5]
	s_cbranch_execz .LBB2_6648
.LBB2_6647:
	v_bfe_u32 v3, v5, 16, 3
	v_ffbh_u32_e32 v7, v3
	v_min_u32_e32 v7, 32, v7
	v_lshrrev_b32_e32 v4, 19, v5
	v_subrev_u32_e32 v8, 28, v7
	v_and_b32_e32 v4, 15, v4
	v_lshlrev_b32_sdwa v8, v8, v5 dst_sel:DWORD dst_unused:UNUSED_PAD src0_sel:DWORD src1_sel:WORD_1
	v_bfe_u32 v6, v5, 19, 4
	v_sub_u32_e32 v7, 29, v7
	v_and_b32_e32 v8, 7, v8
	v_cmp_eq_u16_e32 vcc, 0, v4
	v_cndmask_b32_e32 v3, v3, v8, vcc
	v_cndmask_b32_e32 v4, v6, v7, vcc
	v_lshlrev_b32_e32 v6, 8, v5
	v_mov_b32_e32 v7, 0x3b800000
	v_lshlrev_b32_e32 v3, 20, v3
	v_and_b32_e32 v6, 0x80000000, v6
	v_lshl_add_u32 v4, v4, 23, v7
	v_or3_b32 v4, v6, v4, v3
.LBB2_6648:
	s_or_b64 exec, exec, s[6:7]
	s_nop 0
	v_mfma_f32_16x16x4f32 a[0:3], v2, v4, a[0:3]
	s_movk_i32 s4, 0x7f
	v_cmp_gt_i16_sdwa s[6:7], v9, s4 src0_sel:BYTE_3 src1_sel:DWORD
	s_mov_b64 s[4:5], 0
                                        ; implicit-def: $sgpr10
	s_and_saveexec_b64 s[8:9], s[6:7]
	s_xor_b64 s[6:7], exec, s[8:9]
	s_cbranch_execz .LBB2_6649
; %bb.42489:
	s_getpc_b64 s[14:15]
.Lpost_getpc24828:
	s_add_u32 s14, s14, (.LBB2_20985-.Lpost_getpc24828)&4294967295
	s_addc_u32 s15, s15, (.LBB2_20985-.Lpost_getpc24828)>>32
	s_setpc_b64 s[14:15]
.LBB2_6649:
	s_or_saveexec_b64 s[6:7], s[6:7]
	v_mov_b32_e32 v2, s10
	s_xor_b64 exec, exec, s[6:7]
	s_cbranch_execz .LBB2_6650
; %bb.42491:
	s_getpc_b64 s[14:15]
.Lpost_getpc24829:
	s_add_u32 s14, s14, (.LBB2_20988-.Lpost_getpc24829)&4294967295
	s_addc_u32 s15, s15, (.LBB2_20988-.Lpost_getpc24829)>>32
	s_setpc_b64 s[14:15]
.LBB2_6650:
	s_or_b64 exec, exec, s[6:7]
	s_and_saveexec_b64 s[6:7], s[4:5]
	s_cbranch_execz .LBB2_6652
.LBB2_6651:
	v_bfe_u32 v2, v9, 24, 3
	v_ffbh_u32_e32 v7, v2
	v_min_u32_e32 v7, 32, v7
	v_lshrrev_b32_e32 v4, 27, v9
	v_subrev_u32_e32 v8, 28, v7
	v_and_b32_e32 v4, 15, v4
	v_lshlrev_b32_sdwa v8, v8, v9 dst_sel:DWORD dst_unused:UNUSED_PAD src0_sel:DWORD src1_sel:BYTE_3
	v_bfe_u32 v6, v9, 27, 4
	v_sub_u32_e32 v7, 29, v7
	v_and_b32_e32 v8, 7, v8
	v_cmp_eq_u16_e32 vcc, 0, v4
	v_cndmask_b32_e32 v2, v2, v8, vcc
	v_cndmask_b32_e32 v4, v6, v7, vcc
	v_mov_b32_e32 v6, 0x3b800000
	v_and_b32_e32 v3, 0x80000000, v9
	v_lshlrev_b32_e32 v2, 20, v2
	v_lshl_add_u32 v4, v4, 23, v6
	v_or3_b32 v2, v3, v4, v2
.LBB2_6652:
	s_or_b64 exec, exec, s[6:7]
	s_movk_i32 s4, 0x7f
	v_cmp_gt_i16_sdwa s[6:7], v5, s4 src0_sel:BYTE_3 src1_sel:DWORD
	s_mov_b64 s[4:5], 0
                                        ; implicit-def: $sgpr10
	s_and_saveexec_b64 s[8:9], s[6:7]
	s_xor_b64 s[6:7], exec, s[8:9]
	s_cbranch_execz .LBB2_6653
; %bb.42493:
	s_getpc_b64 s[14:15]
.Lpost_getpc24830:
	s_add_u32 s14, s14, (.LBB2_20989-.Lpost_getpc24830)&4294967295
	s_addc_u32 s15, s15, (.LBB2_20989-.Lpost_getpc24830)>>32
	s_setpc_b64 s[14:15]
.LBB2_6653:
	s_or_saveexec_b64 s[6:7], s[6:7]
	v_mov_b32_e32 v3, s10
	s_xor_b64 exec, exec, s[6:7]
	s_cbranch_execz .LBB2_6654
; %bb.42495:
	s_getpc_b64 s[14:15]
.Lpost_getpc24831:
	s_add_u32 s14, s14, (.LBB2_20992-.Lpost_getpc24831)&4294967295
	s_addc_u32 s15, s15, (.LBB2_20992-.Lpost_getpc24831)>>32
	s_setpc_b64 s[14:15]
.LBB2_6654:
	s_or_b64 exec, exec, s[6:7]
	s_and_saveexec_b64 s[6:7], s[4:5]
	s_cbranch_execz .LBB2_6656
.LBB2_6655:
	v_bfe_u32 v3, v5, 24, 3
	v_ffbh_u32_e32 v8, v3
	v_min_u32_e32 v8, 32, v8
	v_lshrrev_b32_e32 v6, 27, v5
	v_subrev_u32_e32 v9, 28, v8
	v_and_b32_e32 v4, 0x80000000, v5
	v_and_b32_e32 v6, 15, v6
	v_bfe_u32 v7, v5, 27, 4
	v_lshlrev_b32_sdwa v5, v9, v5 dst_sel:DWORD dst_unused:UNUSED_PAD src0_sel:DWORD src1_sel:BYTE_3
	v_sub_u32_e32 v8, 29, v8
	v_and_b32_e32 v5, 7, v5
	v_cmp_eq_u16_e32 vcc, 0, v6
	v_cndmask_b32_e32 v3, v3, v5, vcc
	v_cndmask_b32_e32 v5, v7, v8, vcc
	v_mov_b32_e32 v6, 0x3b800000
	v_lshlrev_b32_e32 v3, 20, v3
	v_lshl_add_u32 v5, v5, 23, v6
	v_or3_b32 v3, v4, v5, v3
.LBB2_6656:
	s_or_b64 exec, exec, s[6:7]
	s_nop 0
	v_mfma_f32_16x16x4f32 a[0:3], v2, v3, a[0:3]
	s_movk_i32 s4, 0x7f
                                        ; implicit-def: $sgpr10
	s_nop 7
	s_nop 1
	flat_store_dwordx4 v[10:11], a[0:3] offset:816
	flat_load_dwordx4 v[12:15], v[0:1]
	s_nop 0
	flat_load_dwordx2 v[10:11], v[0:1] offset:16
	s_waitcnt vmcnt(0) lgkmcnt(0)
	flat_load_dwordx4 v[6:9], v[12:13] offset:96
	flat_load_dwordx4 v[2:5], v[14:15] offset:64
	s_waitcnt vmcnt(0) lgkmcnt(0)
	v_cmp_gt_i16_sdwa s[6:7], v6, s4 src0_sel:BYTE_0 src1_sel:DWORD
	s_mov_b64 s[4:5], 0
	s_and_saveexec_b64 s[8:9], s[6:7]
	s_xor_b64 s[6:7], exec, s[8:9]
	s_cbranch_execz .LBB2_6657
; %bb.42497:
	s_getpc_b64 s[14:15]
.Lpost_getpc24832:
	s_add_u32 s14, s14, (.LBB2_20993-.Lpost_getpc24832)&4294967295
	s_addc_u32 s15, s15, (.LBB2_20993-.Lpost_getpc24832)>>32
	s_setpc_b64 s[14:15]
.LBB2_6657:
	s_or_saveexec_b64 s[6:7], s[6:7]
	v_mov_b32_e32 v12, s10
	s_xor_b64 exec, exec, s[6:7]
	s_cbranch_execz .LBB2_6658
; %bb.42499:
	s_getpc_b64 s[14:15]
.Lpost_getpc24833:
	s_add_u32 s14, s14, (.LBB2_20996-.Lpost_getpc24833)&4294967295
	s_addc_u32 s15, s15, (.LBB2_20996-.Lpost_getpc24833)>>32
	s_setpc_b64 s[14:15]
.LBB2_6658:
	s_or_b64 exec, exec, s[6:7]
	s_and_saveexec_b64 s[6:7], s[4:5]
	s_cbranch_execz .LBB2_6660
.LBB2_6659:
	v_and_b32_e32 v12, 7, v6
	v_ffbh_u32_e32 v14, v12
	v_min_u32_e32 v14, 32, v14
	v_lshrrev_b16_e32 v13, 3, v6
	v_subrev_u32_e32 v15, 28, v14
	v_and_b32_e32 v13, 15, v13
	v_lshlrev_b32_e32 v15, v15, v6
	v_sub_u32_e32 v14, 29, v14
	v_and_b32_e32 v15, 7, v15
	v_cmp_eq_u16_e32 vcc, 0, v13
	v_cndmask_b32_e32 v12, v12, v15, vcc
	v_cndmask_b32_e32 v13, v13, v14, vcc
	v_lshlrev_b32_e32 v14, 24, v6
	v_mov_b32_e32 v15, 0x3b800000
	v_lshlrev_b32_e32 v12, 20, v12
	v_and_b32_e32 v14, 0x80000000, v14
	v_lshl_add_u32 v13, v13, 23, v15
	v_or3_b32 v12, v14, v13, v12
.LBB2_6660:
	s_or_b64 exec, exec, s[6:7]
	s_movk_i32 s4, 0x7f
	v_cmp_gt_i16_sdwa s[6:7], v2, s4 src0_sel:BYTE_0 src1_sel:DWORD
	s_mov_b64 s[4:5], 0
                                        ; implicit-def: $sgpr10
	s_and_saveexec_b64 s[8:9], s[6:7]
	s_xor_b64 s[6:7], exec, s[8:9]
	s_cbranch_execz .LBB2_6661
; %bb.42501:
	s_getpc_b64 s[14:15]
.Lpost_getpc24834:
	s_add_u32 s14, s14, (.LBB2_20997-.Lpost_getpc24834)&4294967295
	s_addc_u32 s15, s15, (.LBB2_20997-.Lpost_getpc24834)>>32
	s_setpc_b64 s[14:15]
.LBB2_6661:
	s_or_saveexec_b64 s[6:7], s[6:7]
	v_mov_b32_e32 v13, s10
	s_xor_b64 exec, exec, s[6:7]
	s_cbranch_execz .LBB2_6662
; %bb.42503:
	s_getpc_b64 s[14:15]
.Lpost_getpc24835:
	s_add_u32 s14, s14, (.LBB2_21000-.Lpost_getpc24835)&4294967295
	s_addc_u32 s15, s15, (.LBB2_21000-.Lpost_getpc24835)>>32
	s_setpc_b64 s[14:15]
.LBB2_6662:
	s_or_b64 exec, exec, s[6:7]
	s_and_saveexec_b64 s[6:7], s[4:5]
	s_cbranch_execz .LBB2_6664
.LBB2_6663:
	v_and_b32_e32 v13, 7, v2
	v_ffbh_u32_e32 v15, v13
	v_min_u32_e32 v15, 32, v15
	v_lshrrev_b16_e32 v14, 3, v2
	v_subrev_u32_e32 v16, 28, v15
	v_and_b32_e32 v14, 15, v14
	v_lshlrev_b32_e32 v16, v16, v2
	v_sub_u32_e32 v15, 29, v15
	v_and_b32_e32 v16, 7, v16
	v_cmp_eq_u16_e32 vcc, 0, v14
	v_cndmask_b32_e32 v13, v13, v16, vcc
	v_cndmask_b32_e32 v14, v14, v15, vcc
	v_lshlrev_b32_e32 v15, 24, v2
	v_mov_b32_e32 v16, 0x3b800000
	v_lshlrev_b32_e32 v13, 20, v13
	v_and_b32_e32 v15, 0x80000000, v15
	v_lshl_add_u32 v14, v14, 23, v16
	v_or3_b32 v13, v15, v14, v13
.LBB2_6664:
	s_or_b64 exec, exec, s[6:7]
	flat_load_dwordx4 a[0:3], v[10:11] offset:832
	s_movk_i32 s4, 0x7f
                                        ; implicit-def: $sgpr10
	s_waitcnt vmcnt(0) lgkmcnt(0)
	v_mfma_f32_16x16x4f32 a[0:3], v12, v13, a[0:3]
	v_lshrrev_b32_e32 v13, 8, v6
	v_cmp_gt_i16_sdwa s[6:7], v13, s4 src0_sel:BYTE_0 src1_sel:DWORD
	s_mov_b64 s[4:5], 0
	s_and_saveexec_b64 s[8:9], s[6:7]
	s_xor_b64 s[6:7], exec, s[8:9]
	s_cbranch_execz .LBB2_6665
; %bb.42505:
	s_getpc_b64 s[14:15]
.Lpost_getpc24836:
	s_add_u32 s14, s14, (.LBB2_21001-.Lpost_getpc24836)&4294967295
	s_addc_u32 s15, s15, (.LBB2_21001-.Lpost_getpc24836)>>32
	s_setpc_b64 s[14:15]
.LBB2_6665:
	s_or_saveexec_b64 s[6:7], s[6:7]
	v_mov_b32_e32 v12, s10
	s_xor_b64 exec, exec, s[6:7]
	s_cbranch_execz .LBB2_6666
; %bb.42507:
	s_getpc_b64 s[14:15]
.Lpost_getpc24837:
	s_add_u32 s14, s14, (.LBB2_21004-.Lpost_getpc24837)&4294967295
	s_addc_u32 s15, s15, (.LBB2_21004-.Lpost_getpc24837)>>32
	s_setpc_b64 s[14:15]
.LBB2_6666:
	s_or_b64 exec, exec, s[6:7]
	s_and_saveexec_b64 s[6:7], s[4:5]
	s_cbranch_execz .LBB2_6668
.LBB2_6667:
	v_bfe_u32 v12, v6, 8, 3
	v_ffbh_u32_e32 v15, v12
	v_min_u32_e32 v15, 32, v15
	v_lshrrev_b16_e32 v14, 3, v13
	v_subrev_u32_e32 v16, 28, v15
	v_and_b32_e32 v14, 15, v14
	v_lshlrev_b32_e32 v13, v16, v13
	v_sub_u32_e32 v15, 29, v15
	v_and_b32_e32 v13, 7, v13
	v_cmp_eq_u16_e32 vcc, 0, v14
	v_cndmask_b32_e32 v12, v12, v13, vcc
	v_cndmask_b32_e32 v13, v14, v15, vcc
	v_lshlrev_b32_e32 v14, 16, v6
	v_mov_b32_e32 v15, 0x3b800000
	v_lshlrev_b32_e32 v12, 20, v12
	v_and_b32_e32 v14, 0x80000000, v14
	v_lshl_add_u32 v13, v13, 23, v15
	v_or3_b32 v12, v14, v13, v12
.LBB2_6668:
	s_or_b64 exec, exec, s[6:7]
	v_lshrrev_b32_e32 v13, 8, v2
	s_movk_i32 s4, 0x7f
	v_cmp_gt_i16_sdwa s[6:7], v13, s4 src0_sel:BYTE_0 src1_sel:DWORD
	s_mov_b64 s[4:5], 0
                                        ; implicit-def: $sgpr10
	s_and_saveexec_b64 s[8:9], s[6:7]
	s_xor_b64 s[6:7], exec, s[8:9]
	s_cbranch_execz .LBB2_6669
; %bb.42509:
	s_getpc_b64 s[14:15]
.Lpost_getpc24838:
	s_add_u32 s14, s14, (.LBB2_21005-.Lpost_getpc24838)&4294967295
	s_addc_u32 s15, s15, (.LBB2_21005-.Lpost_getpc24838)>>32
	s_setpc_b64 s[14:15]
.LBB2_6669:
	s_or_saveexec_b64 s[6:7], s[6:7]
	v_mov_b32_e32 v14, s10
	s_xor_b64 exec, exec, s[6:7]
	s_cbranch_execz .LBB2_6670
; %bb.42511:
	s_getpc_b64 s[14:15]
.Lpost_getpc24839:
	s_add_u32 s14, s14, (.LBB2_21008-.Lpost_getpc24839)&4294967295
	s_addc_u32 s15, s15, (.LBB2_21008-.Lpost_getpc24839)>>32
	s_setpc_b64 s[14:15]
.LBB2_6670:
	s_or_b64 exec, exec, s[6:7]
	s_and_saveexec_b64 s[6:7], s[4:5]
	s_cbranch_execz .LBB2_6672
.LBB2_6671:
	v_bfe_u32 v14, v2, 8, 3
	v_ffbh_u32_e32 v16, v14
	v_min_u32_e32 v16, 32, v16
	v_lshrrev_b16_e32 v15, 3, v13
	v_subrev_u32_e32 v17, 28, v16
	v_and_b32_e32 v15, 15, v15
	v_lshlrev_b32_e32 v13, v17, v13
	v_sub_u32_e32 v16, 29, v16
	v_and_b32_e32 v13, 7, v13
	v_cmp_eq_u16_e32 vcc, 0, v15
	v_cndmask_b32_e32 v13, v14, v13, vcc
	v_cndmask_b32_e32 v14, v15, v16, vcc
	v_lshlrev_b32_e32 v15, 16, v2
	v_mov_b32_e32 v16, 0x3b800000
	v_lshlrev_b32_e32 v13, 20, v13
	v_and_b32_e32 v15, 0x80000000, v15
	v_lshl_add_u32 v14, v14, 23, v16
	v_or3_b32 v14, v15, v14, v13
.LBB2_6672:
	s_or_b64 exec, exec, s[6:7]
	s_nop 0
	v_mfma_f32_16x16x4f32 a[0:3], v12, v14, a[0:3]
	s_movk_i32 s4, 0xff
	v_and_b32_sdwa v13, v6, s4 dst_sel:DWORD dst_unused:UNUSED_PAD src0_sel:WORD_1 src1_sel:DWORD
	s_movk_i32 s4, 0x7f
	v_cmp_lt_i16_e32 vcc, s4, v13
	s_mov_b64 s[4:5], 0
                                        ; implicit-def: $sgpr10
	s_and_saveexec_b64 s[6:7], vcc
	s_xor_b64 s[6:7], exec, s[6:7]
	s_cbranch_execz .LBB2_6673
; %bb.42513:
	s_getpc_b64 s[14:15]
.Lpost_getpc24840:
	s_add_u32 s14, s14, (.LBB2_21009-.Lpost_getpc24840)&4294967295
	s_addc_u32 s15, s15, (.LBB2_21009-.Lpost_getpc24840)>>32
	s_setpc_b64 s[14:15]
.LBB2_6673:
	s_or_saveexec_b64 s[6:7], s[6:7]
	v_mov_b32_e32 v12, s10
	s_xor_b64 exec, exec, s[6:7]
	s_cbranch_execz .LBB2_6674
; %bb.42515:
	s_getpc_b64 s[14:15]
.Lpost_getpc24841:
	s_add_u32 s14, s14, (.LBB2_21012-.Lpost_getpc24841)&4294967295
	s_addc_u32 s15, s15, (.LBB2_21012-.Lpost_getpc24841)>>32
	s_setpc_b64 s[14:15]
.LBB2_6674:
	s_or_b64 exec, exec, s[6:7]
	s_and_saveexec_b64 s[6:7], s[4:5]
	s_cbranch_execz .LBB2_6676
.LBB2_6675:
	v_bfe_u32 v12, v6, 16, 3
	v_ffbh_u32_e32 v15, v12
	v_min_u32_e32 v15, 32, v15
	v_lshrrev_b32_e32 v13, 19, v6
	v_subrev_u32_e32 v16, 28, v15
	v_and_b32_e32 v13, 15, v13
	v_lshlrev_b32_sdwa v16, v16, v6 dst_sel:DWORD dst_unused:UNUSED_PAD src0_sel:DWORD src1_sel:WORD_1
	v_bfe_u32 v14, v6, 19, 4
	v_sub_u32_e32 v15, 29, v15
	v_and_b32_e32 v16, 7, v16
	v_cmp_eq_u16_e32 vcc, 0, v13
	v_cndmask_b32_e32 v12, v12, v16, vcc
	v_cndmask_b32_e32 v13, v14, v15, vcc
	v_lshlrev_b32_e32 v14, 8, v6
	v_mov_b32_e32 v15, 0x3b800000
	v_lshlrev_b32_e32 v12, 20, v12
	v_and_b32_e32 v14, 0x80000000, v14
	v_lshl_add_u32 v13, v13, 23, v15
	v_or3_b32 v12, v14, v13, v12
.LBB2_6676:
	s_or_b64 exec, exec, s[6:7]
	s_movk_i32 s4, 0xff
	v_and_b32_sdwa v13, v2, s4 dst_sel:DWORD dst_unused:UNUSED_PAD src0_sel:WORD_1 src1_sel:DWORD
	s_movk_i32 s4, 0x7f
	v_cmp_lt_i16_e32 vcc, s4, v13
	s_mov_b64 s[4:5], 0
                                        ; implicit-def: $sgpr10
	s_and_saveexec_b64 s[6:7], vcc
	s_xor_b64 s[6:7], exec, s[6:7]
	s_cbranch_execz .LBB2_6677
; %bb.42517:
	s_getpc_b64 s[14:15]
.Lpost_getpc24842:
	s_add_u32 s14, s14, (.LBB2_21013-.Lpost_getpc24842)&4294967295
	s_addc_u32 s15, s15, (.LBB2_21013-.Lpost_getpc24842)>>32
	s_setpc_b64 s[14:15]
.LBB2_6677:
	s_or_saveexec_b64 s[6:7], s[6:7]
	v_mov_b32_e32 v14, s10
	s_xor_b64 exec, exec, s[6:7]
	s_cbranch_execz .LBB2_6678
; %bb.42519:
	s_getpc_b64 s[14:15]
.Lpost_getpc24843:
	s_add_u32 s14, s14, (.LBB2_21016-.Lpost_getpc24843)&4294967295
	s_addc_u32 s15, s15, (.LBB2_21016-.Lpost_getpc24843)>>32
	s_setpc_b64 s[14:15]
.LBB2_6678:
	s_or_b64 exec, exec, s[6:7]
	s_and_saveexec_b64 s[6:7], s[4:5]
	s_cbranch_execz .LBB2_6680
.LBB2_6679:
	v_bfe_u32 v13, v2, 16, 3
	v_ffbh_u32_e32 v16, v13
	v_min_u32_e32 v16, 32, v16
	v_lshrrev_b32_e32 v14, 19, v2
	v_subrev_u32_e32 v17, 28, v16
	v_and_b32_e32 v14, 15, v14
	v_lshlrev_b32_sdwa v17, v17, v2 dst_sel:DWORD dst_unused:UNUSED_PAD src0_sel:DWORD src1_sel:WORD_1
	v_bfe_u32 v15, v2, 19, 4
	v_sub_u32_e32 v16, 29, v16
	v_and_b32_e32 v17, 7, v17
	v_cmp_eq_u16_e32 vcc, 0, v14
	v_cndmask_b32_e32 v13, v13, v17, vcc
	v_cndmask_b32_e32 v14, v15, v16, vcc
	v_lshlrev_b32_e32 v15, 8, v2
	v_mov_b32_e32 v16, 0x3b800000
	v_lshlrev_b32_e32 v13, 20, v13
	v_and_b32_e32 v15, 0x80000000, v15
	v_lshl_add_u32 v14, v14, 23, v16
	v_or3_b32 v14, v15, v14, v13
.LBB2_6680:
	s_or_b64 exec, exec, s[6:7]
	s_nop 0
	v_mfma_f32_16x16x4f32 a[0:3], v12, v14, a[0:3]
	s_movk_i32 s4, 0x7f
	v_cmp_gt_i16_sdwa s[6:7], v6, s4 src0_sel:BYTE_3 src1_sel:DWORD
	s_mov_b64 s[4:5], 0
                                        ; implicit-def: $sgpr10
	s_and_saveexec_b64 s[8:9], s[6:7]
	s_xor_b64 s[6:7], exec, s[8:9]
	s_cbranch_execz .LBB2_6681
; %bb.42521:
	s_getpc_b64 s[14:15]
.Lpost_getpc24844:
	s_add_u32 s14, s14, (.LBB2_21017-.Lpost_getpc24844)&4294967295
	s_addc_u32 s15, s15, (.LBB2_21017-.Lpost_getpc24844)>>32
	s_setpc_b64 s[14:15]
.LBB2_6681:
	s_or_saveexec_b64 s[6:7], s[6:7]
	v_mov_b32_e32 v12, s10
	s_xor_b64 exec, exec, s[6:7]
	s_cbranch_execz .LBB2_6682
; %bb.42523:
	s_getpc_b64 s[14:15]
.Lpost_getpc24845:
	s_add_u32 s14, s14, (.LBB2_21020-.Lpost_getpc24845)&4294967295
	s_addc_u32 s15, s15, (.LBB2_21020-.Lpost_getpc24845)>>32
	s_setpc_b64 s[14:15]
.LBB2_6682:
	s_or_b64 exec, exec, s[6:7]
	s_and_saveexec_b64 s[6:7], s[4:5]
	s_cbranch_execz .LBB2_6684
.LBB2_6683:
	v_bfe_u32 v12, v6, 24, 3
	v_ffbh_u32_e32 v16, v12
	v_min_u32_e32 v16, 32, v16
	v_lshrrev_b32_e32 v14, 27, v6
	v_subrev_u32_e32 v17, 28, v16
	v_and_b32_e32 v13, 0x80000000, v6
	v_and_b32_e32 v14, 15, v14
	v_bfe_u32 v15, v6, 27, 4
	v_lshlrev_b32_sdwa v6, v17, v6 dst_sel:DWORD dst_unused:UNUSED_PAD src0_sel:DWORD src1_sel:BYTE_3
	v_sub_u32_e32 v16, 29, v16
	v_and_b32_e32 v6, 7, v6
	v_cmp_eq_u16_e32 vcc, 0, v14
	v_cndmask_b32_e32 v6, v12, v6, vcc
	v_cndmask_b32_e32 v12, v15, v16, vcc
	v_mov_b32_e32 v14, 0x3b800000
	v_lshlrev_b32_e32 v6, 20, v6
	v_lshl_add_u32 v12, v12, 23, v14
	v_or3_b32 v12, v13, v12, v6
.LBB2_6684:
	s_or_b64 exec, exec, s[6:7]
	s_movk_i32 s4, 0x7f
	v_cmp_gt_i16_sdwa s[6:7], v2, s4 src0_sel:BYTE_3 src1_sel:DWORD
	s_mov_b64 s[4:5], 0
                                        ; implicit-def: $sgpr10
	s_and_saveexec_b64 s[8:9], s[6:7]
	s_xor_b64 s[6:7], exec, s[8:9]
	s_cbranch_execz .LBB2_6685
; %bb.42525:
	s_getpc_b64 s[14:15]
.Lpost_getpc24846:
	s_add_u32 s14, s14, (.LBB2_21021-.Lpost_getpc24846)&4294967295
	s_addc_u32 s15, s15, (.LBB2_21021-.Lpost_getpc24846)>>32
	s_setpc_b64 s[14:15]
.LBB2_6685:
	s_or_saveexec_b64 s[6:7], s[6:7]
	v_mov_b32_e32 v6, s10
	s_xor_b64 exec, exec, s[6:7]
	s_cbranch_execz .LBB2_6686
; %bb.42527:
	s_getpc_b64 s[14:15]
.Lpost_getpc24847:
	s_add_u32 s14, s14, (.LBB2_21024-.Lpost_getpc24847)&4294967295
	s_addc_u32 s15, s15, (.LBB2_21024-.Lpost_getpc24847)>>32
	s_setpc_b64 s[14:15]
.LBB2_6686:
	s_or_b64 exec, exec, s[6:7]
	s_and_saveexec_b64 s[6:7], s[4:5]
	s_cbranch_execz .LBB2_6688
.LBB2_6687:
	v_bfe_u32 v6, v2, 24, 3
	v_ffbh_u32_e32 v16, v6
	v_min_u32_e32 v16, 32, v16
	v_lshrrev_b32_e32 v14, 27, v2
	v_subrev_u32_e32 v17, 28, v16
	v_and_b32_e32 v13, 0x80000000, v2
	v_and_b32_e32 v14, 15, v14
	v_bfe_u32 v15, v2, 27, 4
	v_lshlrev_b32_sdwa v2, v17, v2 dst_sel:DWORD dst_unused:UNUSED_PAD src0_sel:DWORD src1_sel:BYTE_3
	v_sub_u32_e32 v16, 29, v16
	v_and_b32_e32 v2, 7, v2
	v_cmp_eq_u16_e32 vcc, 0, v14
	v_cndmask_b32_e32 v2, v6, v2, vcc
	v_cndmask_b32_e32 v6, v15, v16, vcc
	v_mov_b32_e32 v14, 0x3b800000
	v_lshlrev_b32_e32 v2, 20, v2
	v_lshl_add_u32 v6, v6, 23, v14
	v_or3_b32 v6, v13, v6, v2
.LBB2_6688:
	s_or_b64 exec, exec, s[6:7]
	s_nop 0
	v_mfma_f32_16x16x4f32 a[0:3], v12, v6, a[0:3]
	s_movk_i32 s4, 0x7f
	v_cmp_gt_i16_sdwa s[6:7], v7, s4 src0_sel:BYTE_0 src1_sel:DWORD
	s_mov_b64 s[4:5], 0
                                        ; implicit-def: $sgpr10
	s_and_saveexec_b64 s[8:9], s[6:7]
	s_xor_b64 s[6:7], exec, s[8:9]
	s_cbranch_execz .LBB2_6689
; %bb.42529:
	s_getpc_b64 s[14:15]
.Lpost_getpc24848:
	s_add_u32 s14, s14, (.LBB2_21025-.Lpost_getpc24848)&4294967295
	s_addc_u32 s15, s15, (.LBB2_21025-.Lpost_getpc24848)>>32
	s_setpc_b64 s[14:15]
.LBB2_6689:
	s_or_saveexec_b64 s[6:7], s[6:7]
	v_mov_b32_e32 v2, s10
	s_xor_b64 exec, exec, s[6:7]
	s_cbranch_execz .LBB2_6690
; %bb.42531:
	s_getpc_b64 s[14:15]
.Lpost_getpc24849:
	s_add_u32 s14, s14, (.LBB2_21028-.Lpost_getpc24849)&4294967295
	s_addc_u32 s15, s15, (.LBB2_21028-.Lpost_getpc24849)>>32
	s_setpc_b64 s[14:15]
.LBB2_6690:
	s_or_b64 exec, exec, s[6:7]
	s_and_saveexec_b64 s[6:7], s[4:5]
	s_cbranch_execz .LBB2_6692
.LBB2_6691:
	v_and_b32_e32 v2, 7, v7
	v_ffbh_u32_e32 v12, v2
	v_min_u32_e32 v12, 32, v12
	v_lshrrev_b16_e32 v6, 3, v7
	v_subrev_u32_e32 v13, 28, v12
	v_and_b32_e32 v6, 15, v6
	v_lshlrev_b32_e32 v13, v13, v7
	v_sub_u32_e32 v12, 29, v12
	v_and_b32_e32 v13, 7, v13
	v_cmp_eq_u16_e32 vcc, 0, v6
	v_cndmask_b32_e32 v2, v2, v13, vcc
	v_cndmask_b32_e32 v6, v6, v12, vcc
	v_lshlrev_b32_e32 v12, 24, v7
	v_mov_b32_e32 v13, 0x3b800000
	v_lshlrev_b32_e32 v2, 20, v2
	v_and_b32_e32 v12, 0x80000000, v12
	v_lshl_add_u32 v6, v6, 23, v13
	v_or3_b32 v2, v12, v6, v2
.LBB2_6692:
	s_or_b64 exec, exec, s[6:7]
	s_movk_i32 s4, 0x7f
	v_cmp_gt_i16_sdwa s[6:7], v3, s4 src0_sel:BYTE_0 src1_sel:DWORD
	s_mov_b64 s[4:5], 0
                                        ; implicit-def: $sgpr10
	s_and_saveexec_b64 s[8:9], s[6:7]
	s_xor_b64 s[6:7], exec, s[8:9]
	s_cbranch_execz .LBB2_6693
; %bb.42533:
	s_getpc_b64 s[14:15]
.Lpost_getpc24850:
	s_add_u32 s14, s14, (.LBB2_21029-.Lpost_getpc24850)&4294967295
	s_addc_u32 s15, s15, (.LBB2_21029-.Lpost_getpc24850)>>32
	s_setpc_b64 s[14:15]
.LBB2_6693:
	s_or_saveexec_b64 s[6:7], s[6:7]
	v_mov_b32_e32 v6, s10
	s_xor_b64 exec, exec, s[6:7]
	s_cbranch_execz .LBB2_6694
; %bb.42535:
	s_getpc_b64 s[14:15]
.Lpost_getpc24851:
	s_add_u32 s14, s14, (.LBB2_21032-.Lpost_getpc24851)&4294967295
	s_addc_u32 s15, s15, (.LBB2_21032-.Lpost_getpc24851)>>32
	s_setpc_b64 s[14:15]
.LBB2_6694:
	s_or_b64 exec, exec, s[6:7]
	s_and_saveexec_b64 s[6:7], s[4:5]
	s_cbranch_execz .LBB2_6696
.LBB2_6695:
	v_and_b32_e32 v6, 7, v3
	v_ffbh_u32_e32 v13, v6
	v_min_u32_e32 v13, 32, v13
	v_lshrrev_b16_e32 v12, 3, v3
	v_subrev_u32_e32 v14, 28, v13
	v_and_b32_e32 v12, 15, v12
	v_lshlrev_b32_e32 v14, v14, v3
	v_sub_u32_e32 v13, 29, v13
	v_and_b32_e32 v14, 7, v14
	v_cmp_eq_u16_e32 vcc, 0, v12
	v_cndmask_b32_e32 v6, v6, v14, vcc
	v_cndmask_b32_e32 v12, v12, v13, vcc
	v_lshlrev_b32_e32 v13, 24, v3
	v_mov_b32_e32 v14, 0x3b800000
	v_lshlrev_b32_e32 v6, 20, v6
	v_and_b32_e32 v13, 0x80000000, v13
	v_lshl_add_u32 v12, v12, 23, v14
	v_or3_b32 v6, v13, v12, v6
.LBB2_6696:
	s_or_b64 exec, exec, s[6:7]
	s_nop 0
	v_mfma_f32_16x16x4f32 a[0:3], v2, v6, a[0:3]
	v_lshrrev_b32_e32 v6, 8, v7
	s_movk_i32 s4, 0x7f
	v_cmp_gt_i16_sdwa s[6:7], v6, s4 src0_sel:BYTE_0 src1_sel:DWORD
	s_mov_b64 s[4:5], 0
                                        ; implicit-def: $sgpr10
	s_and_saveexec_b64 s[8:9], s[6:7]
	s_xor_b64 s[6:7], exec, s[8:9]
	s_cbranch_execz .LBB2_6697
; %bb.42537:
	s_getpc_b64 s[14:15]
.Lpost_getpc24852:
	s_add_u32 s14, s14, (.LBB2_21033-.Lpost_getpc24852)&4294967295
	s_addc_u32 s15, s15, (.LBB2_21033-.Lpost_getpc24852)>>32
	s_setpc_b64 s[14:15]
.LBB2_6697:
	s_or_saveexec_b64 s[6:7], s[6:7]
	v_mov_b32_e32 v2, s10
	s_xor_b64 exec, exec, s[6:7]
	s_cbranch_execz .LBB2_6698
; %bb.42539:
	s_getpc_b64 s[14:15]
.Lpost_getpc24853:
	s_add_u32 s14, s14, (.LBB2_21036-.Lpost_getpc24853)&4294967295
	s_addc_u32 s15, s15, (.LBB2_21036-.Lpost_getpc24853)>>32
	s_setpc_b64 s[14:15]
.LBB2_6698:
	s_or_b64 exec, exec, s[6:7]
	s_and_saveexec_b64 s[6:7], s[4:5]
	s_cbranch_execz .LBB2_6700
.LBB2_6699:
	v_bfe_u32 v2, v7, 8, 3
	v_ffbh_u32_e32 v13, v2
	v_min_u32_e32 v13, 32, v13
	v_lshrrev_b16_e32 v12, 3, v6
	v_subrev_u32_e32 v14, 28, v13
	v_and_b32_e32 v12, 15, v12
	v_lshlrev_b32_e32 v6, v14, v6
	v_sub_u32_e32 v13, 29, v13
	v_and_b32_e32 v6, 7, v6
	v_cmp_eq_u16_e32 vcc, 0, v12
	v_cndmask_b32_e32 v2, v2, v6, vcc
	v_cndmask_b32_e32 v6, v12, v13, vcc
	v_lshlrev_b32_e32 v12, 16, v7
	v_mov_b32_e32 v13, 0x3b800000
	v_lshlrev_b32_e32 v2, 20, v2
	v_and_b32_e32 v12, 0x80000000, v12
	v_lshl_add_u32 v6, v6, 23, v13
	v_or3_b32 v2, v12, v6, v2
.LBB2_6700:
	s_or_b64 exec, exec, s[6:7]
	v_lshrrev_b32_e32 v6, 8, v3
	s_movk_i32 s4, 0x7f
	v_cmp_gt_i16_sdwa s[6:7], v6, s4 src0_sel:BYTE_0 src1_sel:DWORD
	s_mov_b64 s[4:5], 0
                                        ; implicit-def: $sgpr10
	s_and_saveexec_b64 s[8:9], s[6:7]
	s_xor_b64 s[6:7], exec, s[8:9]
	s_cbranch_execz .LBB2_6701
; %bb.42541:
	s_getpc_b64 s[14:15]
.Lpost_getpc24854:
	s_add_u32 s14, s14, (.LBB2_21037-.Lpost_getpc24854)&4294967295
	s_addc_u32 s15, s15, (.LBB2_21037-.Lpost_getpc24854)>>32
	s_setpc_b64 s[14:15]
.LBB2_6701:
	s_or_saveexec_b64 s[6:7], s[6:7]
	v_mov_b32_e32 v12, s10
	s_xor_b64 exec, exec, s[6:7]
	s_cbranch_execz .LBB2_6702
; %bb.42543:
	s_getpc_b64 s[14:15]
.Lpost_getpc24855:
	s_add_u32 s14, s14, (.LBB2_21040-.Lpost_getpc24855)&4294967295
	s_addc_u32 s15, s15, (.LBB2_21040-.Lpost_getpc24855)>>32
	s_setpc_b64 s[14:15]
.LBB2_6702:
	s_or_b64 exec, exec, s[6:7]
	s_and_saveexec_b64 s[6:7], s[4:5]
	s_cbranch_execz .LBB2_6704
.LBB2_6703:
	v_bfe_u32 v12, v3, 8, 3
	v_ffbh_u32_e32 v14, v12
	v_min_u32_e32 v14, 32, v14
	v_lshrrev_b16_e32 v13, 3, v6
	v_subrev_u32_e32 v15, 28, v14
	v_and_b32_e32 v13, 15, v13
	v_lshlrev_b32_e32 v6, v15, v6
	v_sub_u32_e32 v14, 29, v14
	v_and_b32_e32 v6, 7, v6
	v_cmp_eq_u16_e32 vcc, 0, v13
	v_cndmask_b32_e32 v6, v12, v6, vcc
	v_cndmask_b32_e32 v12, v13, v14, vcc
	v_lshlrev_b32_e32 v13, 16, v3
	v_mov_b32_e32 v14, 0x3b800000
	v_lshlrev_b32_e32 v6, 20, v6
	v_and_b32_e32 v13, 0x80000000, v13
	v_lshl_add_u32 v12, v12, 23, v14
	v_or3_b32 v12, v13, v12, v6
.LBB2_6704:
	s_or_b64 exec, exec, s[6:7]
	s_nop 0
	v_mfma_f32_16x16x4f32 a[0:3], v2, v12, a[0:3]
	s_movk_i32 s4, 0xff
	v_and_b32_sdwa v6, v7, s4 dst_sel:DWORD dst_unused:UNUSED_PAD src0_sel:WORD_1 src1_sel:DWORD
	s_movk_i32 s4, 0x7f
	v_cmp_lt_i16_e32 vcc, s4, v6
	s_mov_b64 s[4:5], 0
                                        ; implicit-def: $sgpr10
	s_and_saveexec_b64 s[6:7], vcc
	s_xor_b64 s[6:7], exec, s[6:7]
	s_cbranch_execz .LBB2_6705
; %bb.42545:
	s_getpc_b64 s[14:15]
.Lpost_getpc24856:
	s_add_u32 s14, s14, (.LBB2_21041-.Lpost_getpc24856)&4294967295
	s_addc_u32 s15, s15, (.LBB2_21041-.Lpost_getpc24856)>>32
	s_setpc_b64 s[14:15]
.LBB2_6705:
	s_or_saveexec_b64 s[6:7], s[6:7]
	v_mov_b32_e32 v2, s10
	s_xor_b64 exec, exec, s[6:7]
	s_cbranch_execz .LBB2_6706
; %bb.42547:
	s_getpc_b64 s[14:15]
.Lpost_getpc24857:
	s_add_u32 s14, s14, (.LBB2_21044-.Lpost_getpc24857)&4294967295
	s_addc_u32 s15, s15, (.LBB2_21044-.Lpost_getpc24857)>>32
	s_setpc_b64 s[14:15]
.LBB2_6706:
	s_or_b64 exec, exec, s[6:7]
	s_and_saveexec_b64 s[6:7], s[4:5]
	s_cbranch_execz .LBB2_6708
.LBB2_6707:
	v_bfe_u32 v2, v7, 16, 3
	v_ffbh_u32_e32 v13, v2
	v_min_u32_e32 v13, 32, v13
	v_lshrrev_b32_e32 v6, 19, v7
	v_subrev_u32_e32 v14, 28, v13
	v_and_b32_e32 v6, 15, v6
	v_lshlrev_b32_sdwa v14, v14, v7 dst_sel:DWORD dst_unused:UNUSED_PAD src0_sel:DWORD src1_sel:WORD_1
	v_bfe_u32 v12, v7, 19, 4
	v_sub_u32_e32 v13, 29, v13
	v_and_b32_e32 v14, 7, v14
	v_cmp_eq_u16_e32 vcc, 0, v6
	v_cndmask_b32_e32 v2, v2, v14, vcc
	v_cndmask_b32_e32 v6, v12, v13, vcc
	v_lshlrev_b32_e32 v12, 8, v7
	v_mov_b32_e32 v13, 0x3b800000
	v_lshlrev_b32_e32 v2, 20, v2
	v_and_b32_e32 v12, 0x80000000, v12
	v_lshl_add_u32 v6, v6, 23, v13
	v_or3_b32 v2, v12, v6, v2
.LBB2_6708:
	s_or_b64 exec, exec, s[6:7]
	s_movk_i32 s4, 0xff
	v_and_b32_sdwa v6, v3, s4 dst_sel:DWORD dst_unused:UNUSED_PAD src0_sel:WORD_1 src1_sel:DWORD
	s_movk_i32 s4, 0x7f
	v_cmp_lt_i16_e32 vcc, s4, v6
	s_mov_b64 s[4:5], 0
                                        ; implicit-def: $sgpr10
	s_and_saveexec_b64 s[6:7], vcc
	s_xor_b64 s[6:7], exec, s[6:7]
	s_cbranch_execz .LBB2_6709
; %bb.42549:
	s_getpc_b64 s[14:15]
.Lpost_getpc24858:
	s_add_u32 s14, s14, (.LBB2_21045-.Lpost_getpc24858)&4294967295
	s_addc_u32 s15, s15, (.LBB2_21045-.Lpost_getpc24858)>>32
	s_setpc_b64 s[14:15]
.LBB2_6709:
	s_or_saveexec_b64 s[6:7], s[6:7]
	v_mov_b32_e32 v12, s10
	s_xor_b64 exec, exec, s[6:7]
	s_cbranch_execz .LBB2_6710
; %bb.42551:
	s_getpc_b64 s[14:15]
.Lpost_getpc24859:
	s_add_u32 s14, s14, (.LBB2_21048-.Lpost_getpc24859)&4294967295
	s_addc_u32 s15, s15, (.LBB2_21048-.Lpost_getpc24859)>>32
	s_setpc_b64 s[14:15]
.LBB2_6710:
	s_or_b64 exec, exec, s[6:7]
	s_and_saveexec_b64 s[6:7], s[4:5]
	s_cbranch_execz .LBB2_6712
.LBB2_6711:
	v_bfe_u32 v6, v3, 16, 3
	v_ffbh_u32_e32 v14, v6
	v_min_u32_e32 v14, 32, v14
	v_lshrrev_b32_e32 v12, 19, v3
	v_subrev_u32_e32 v15, 28, v14
	v_and_b32_e32 v12, 15, v12
	v_lshlrev_b32_sdwa v15, v15, v3 dst_sel:DWORD dst_unused:UNUSED_PAD src0_sel:DWORD src1_sel:WORD_1
	v_bfe_u32 v13, v3, 19, 4
	v_sub_u32_e32 v14, 29, v14
	v_and_b32_e32 v15, 7, v15
	v_cmp_eq_u16_e32 vcc, 0, v12
	v_cndmask_b32_e32 v6, v6, v15, vcc
	v_cndmask_b32_e32 v12, v13, v14, vcc
	v_lshlrev_b32_e32 v13, 8, v3
	v_mov_b32_e32 v14, 0x3b800000
	v_lshlrev_b32_e32 v6, 20, v6
	v_and_b32_e32 v13, 0x80000000, v13
	v_lshl_add_u32 v12, v12, 23, v14
	v_or3_b32 v12, v13, v12, v6
.LBB2_6712:
	s_or_b64 exec, exec, s[6:7]
	s_nop 0
	v_mfma_f32_16x16x4f32 a[0:3], v2, v12, a[0:3]
	s_movk_i32 s4, 0x7f
	v_cmp_gt_i16_sdwa s[6:7], v7, s4 src0_sel:BYTE_3 src1_sel:DWORD
	s_mov_b64 s[4:5], 0
                                        ; implicit-def: $sgpr10
	s_and_saveexec_b64 s[8:9], s[6:7]
	s_xor_b64 s[6:7], exec, s[8:9]
	s_cbranch_execz .LBB2_6713
; %bb.42553:
	s_getpc_b64 s[14:15]
.Lpost_getpc24860:
	s_add_u32 s14, s14, (.LBB2_21049-.Lpost_getpc24860)&4294967295
	s_addc_u32 s15, s15, (.LBB2_21049-.Lpost_getpc24860)>>32
	s_setpc_b64 s[14:15]
.LBB2_6713:
	s_or_saveexec_b64 s[6:7], s[6:7]
	v_mov_b32_e32 v2, s10
	s_xor_b64 exec, exec, s[6:7]
	s_cbranch_execz .LBB2_6714
; %bb.42555:
	s_getpc_b64 s[14:15]
.Lpost_getpc24861:
	s_add_u32 s14, s14, (.LBB2_21052-.Lpost_getpc24861)&4294967295
	s_addc_u32 s15, s15, (.LBB2_21052-.Lpost_getpc24861)>>32
	s_setpc_b64 s[14:15]
.LBB2_6714:
	s_or_b64 exec, exec, s[6:7]
	s_and_saveexec_b64 s[6:7], s[4:5]
	s_cbranch_execz .LBB2_6716
.LBB2_6715:
	v_bfe_u32 v2, v7, 24, 3
	v_ffbh_u32_e32 v14, v2
	v_min_u32_e32 v14, 32, v14
	v_lshrrev_b32_e32 v12, 27, v7
	v_subrev_u32_e32 v15, 28, v14
	v_and_b32_e32 v6, 0x80000000, v7
	v_and_b32_e32 v12, 15, v12
	v_bfe_u32 v13, v7, 27, 4
	v_lshlrev_b32_sdwa v7, v15, v7 dst_sel:DWORD dst_unused:UNUSED_PAD src0_sel:DWORD src1_sel:BYTE_3
	v_sub_u32_e32 v14, 29, v14
	v_and_b32_e32 v7, 7, v7
	v_cmp_eq_u16_e32 vcc, 0, v12
	v_cndmask_b32_e32 v2, v2, v7, vcc
	v_cndmask_b32_e32 v7, v13, v14, vcc
	v_mov_b32_e32 v12, 0x3b800000
	v_lshlrev_b32_e32 v2, 20, v2
	v_lshl_add_u32 v7, v7, 23, v12
	v_or3_b32 v2, v6, v7, v2
.LBB2_6716:
	s_or_b64 exec, exec, s[6:7]
	s_movk_i32 s4, 0x7f
	v_cmp_gt_i16_sdwa s[6:7], v3, s4 src0_sel:BYTE_3 src1_sel:DWORD
	s_mov_b64 s[4:5], 0
                                        ; implicit-def: $sgpr10
	s_and_saveexec_b64 s[8:9], s[6:7]
	s_xor_b64 s[6:7], exec, s[8:9]
	s_cbranch_execz .LBB2_6717
; %bb.42557:
	s_getpc_b64 s[14:15]
.Lpost_getpc24862:
	s_add_u32 s14, s14, (.LBB2_21053-.Lpost_getpc24862)&4294967295
	s_addc_u32 s15, s15, (.LBB2_21053-.Lpost_getpc24862)>>32
	s_setpc_b64 s[14:15]
.LBB2_6717:
	s_or_saveexec_b64 s[6:7], s[6:7]
	v_mov_b32_e32 v6, s10
	s_xor_b64 exec, exec, s[6:7]
	s_cbranch_execz .LBB2_6718
; %bb.42559:
	s_getpc_b64 s[14:15]
.Lpost_getpc24863:
	s_add_u32 s14, s14, (.LBB2_21056-.Lpost_getpc24863)&4294967295
	s_addc_u32 s15, s15, (.LBB2_21056-.Lpost_getpc24863)>>32
	s_setpc_b64 s[14:15]
.LBB2_6718:
	s_or_b64 exec, exec, s[6:7]
	s_and_saveexec_b64 s[6:7], s[4:5]
	s_cbranch_execz .LBB2_6720
.LBB2_6719:
	v_bfe_u32 v6, v3, 24, 3
	v_ffbh_u32_e32 v14, v6
	v_min_u32_e32 v14, 32, v14
	v_lshrrev_b32_e32 v12, 27, v3
	v_subrev_u32_e32 v15, 28, v14
	v_and_b32_e32 v7, 0x80000000, v3
	v_and_b32_e32 v12, 15, v12
	v_bfe_u32 v13, v3, 27, 4
	v_lshlrev_b32_sdwa v3, v15, v3 dst_sel:DWORD dst_unused:UNUSED_PAD src0_sel:DWORD src1_sel:BYTE_3
	v_sub_u32_e32 v14, 29, v14
	v_and_b32_e32 v3, 7, v3
	v_cmp_eq_u16_e32 vcc, 0, v12
	v_cndmask_b32_e32 v3, v6, v3, vcc
	v_cndmask_b32_e32 v6, v13, v14, vcc
	v_mov_b32_e32 v12, 0x3b800000
	v_lshlrev_b32_e32 v3, 20, v3
	v_lshl_add_u32 v6, v6, 23, v12
	v_or3_b32 v6, v7, v6, v3
.LBB2_6720:
	s_or_b64 exec, exec, s[6:7]
	s_nop 0
	v_mfma_f32_16x16x4f32 a[0:3], v2, v6, a[0:3]
	s_movk_i32 s4, 0x7f
	v_cmp_gt_i16_sdwa s[6:7], v8, s4 src0_sel:BYTE_0 src1_sel:DWORD
	s_mov_b64 s[4:5], 0
                                        ; implicit-def: $sgpr10
	s_and_saveexec_b64 s[8:9], s[6:7]
	s_xor_b64 s[6:7], exec, s[8:9]
	s_cbranch_execz .LBB2_6721
; %bb.42561:
	s_getpc_b64 s[14:15]
.Lpost_getpc24864:
	s_add_u32 s14, s14, (.LBB2_21057-.Lpost_getpc24864)&4294967295
	s_addc_u32 s15, s15, (.LBB2_21057-.Lpost_getpc24864)>>32
	s_setpc_b64 s[14:15]
.LBB2_6721:
	s_or_saveexec_b64 s[6:7], s[6:7]
	v_mov_b32_e32 v2, s10
	s_xor_b64 exec, exec, s[6:7]
	s_cbranch_execz .LBB2_6722
; %bb.42563:
	s_getpc_b64 s[14:15]
.Lpost_getpc24865:
	s_add_u32 s14, s14, (.LBB2_21060-.Lpost_getpc24865)&4294967295
	s_addc_u32 s15, s15, (.LBB2_21060-.Lpost_getpc24865)>>32
	s_setpc_b64 s[14:15]
.LBB2_6722:
	s_or_b64 exec, exec, s[6:7]
	s_and_saveexec_b64 s[6:7], s[4:5]
	s_cbranch_execz .LBB2_6724
.LBB2_6723:
	v_and_b32_e32 v2, 7, v8
	v_ffbh_u32_e32 v6, v2
	v_min_u32_e32 v6, 32, v6
	v_lshrrev_b16_e32 v3, 3, v8
	v_subrev_u32_e32 v7, 28, v6
	v_and_b32_e32 v3, 15, v3
	v_lshlrev_b32_e32 v7, v7, v8
	v_sub_u32_e32 v6, 29, v6
	v_and_b32_e32 v7, 7, v7
	v_cmp_eq_u16_e32 vcc, 0, v3
	v_cndmask_b32_e32 v2, v2, v7, vcc
	v_cndmask_b32_e32 v3, v3, v6, vcc
	v_lshlrev_b32_e32 v6, 24, v8
	v_mov_b32_e32 v7, 0x3b800000
	v_lshlrev_b32_e32 v2, 20, v2
	v_and_b32_e32 v6, 0x80000000, v6
	v_lshl_add_u32 v3, v3, 23, v7
	v_or3_b32 v2, v6, v3, v2
.LBB2_6724:
	s_or_b64 exec, exec, s[6:7]
	s_movk_i32 s4, 0x7f
	v_cmp_gt_i16_sdwa s[6:7], v4, s4 src0_sel:BYTE_0 src1_sel:DWORD
	s_mov_b64 s[4:5], 0
                                        ; implicit-def: $sgpr10
	s_and_saveexec_b64 s[8:9], s[6:7]
	s_xor_b64 s[6:7], exec, s[8:9]
	s_cbranch_execz .LBB2_6725
; %bb.42565:
	s_getpc_b64 s[14:15]
.Lpost_getpc24866:
	s_add_u32 s14, s14, (.LBB2_21061-.Lpost_getpc24866)&4294967295
	s_addc_u32 s15, s15, (.LBB2_21061-.Lpost_getpc24866)>>32
	s_setpc_b64 s[14:15]
.LBB2_6725:
	s_or_saveexec_b64 s[6:7], s[6:7]
	v_mov_b32_e32 v3, s10
	s_xor_b64 exec, exec, s[6:7]
	s_cbranch_execz .LBB2_6726
; %bb.42567:
	s_getpc_b64 s[14:15]
.Lpost_getpc24867:
	s_add_u32 s14, s14, (.LBB2_21064-.Lpost_getpc24867)&4294967295
	s_addc_u32 s15, s15, (.LBB2_21064-.Lpost_getpc24867)>>32
	s_setpc_b64 s[14:15]
.LBB2_6726:
	s_or_b64 exec, exec, s[6:7]
	s_and_saveexec_b64 s[6:7], s[4:5]
	s_cbranch_execz .LBB2_6728
.LBB2_6727:
	v_and_b32_e32 v3, 7, v4
	v_ffbh_u32_e32 v7, v3
	v_min_u32_e32 v7, 32, v7
	v_lshrrev_b16_e32 v6, 3, v4
	v_subrev_u32_e32 v12, 28, v7
	v_and_b32_e32 v6, 15, v6
	v_lshlrev_b32_e32 v12, v12, v4
	v_sub_u32_e32 v7, 29, v7
	v_and_b32_e32 v12, 7, v12
	v_cmp_eq_u16_e32 vcc, 0, v6
	v_cndmask_b32_e32 v3, v3, v12, vcc
	v_cndmask_b32_e32 v6, v6, v7, vcc
	v_lshlrev_b32_e32 v7, 24, v4
	v_mov_b32_e32 v12, 0x3b800000
	v_lshlrev_b32_e32 v3, 20, v3
	v_and_b32_e32 v7, 0x80000000, v7
	v_lshl_add_u32 v6, v6, 23, v12
	v_or3_b32 v3, v7, v6, v3
.LBB2_6728:
	s_or_b64 exec, exec, s[6:7]
	s_nop 0
	v_mfma_f32_16x16x4f32 a[0:3], v2, v3, a[0:3]
	v_lshrrev_b32_e32 v3, 8, v8
	s_movk_i32 s4, 0x7f
	v_cmp_gt_i16_sdwa s[6:7], v3, s4 src0_sel:BYTE_0 src1_sel:DWORD
	s_mov_b64 s[4:5], 0
                                        ; implicit-def: $sgpr10
	s_and_saveexec_b64 s[8:9], s[6:7]
	s_xor_b64 s[6:7], exec, s[8:9]
	s_cbranch_execz .LBB2_6729
; %bb.42569:
	s_getpc_b64 s[14:15]
.Lpost_getpc24868:
	s_add_u32 s14, s14, (.LBB2_21065-.Lpost_getpc24868)&4294967295
	s_addc_u32 s15, s15, (.LBB2_21065-.Lpost_getpc24868)>>32
	s_setpc_b64 s[14:15]
.LBB2_6729:
	s_or_saveexec_b64 s[6:7], s[6:7]
	v_mov_b32_e32 v2, s10
	s_xor_b64 exec, exec, s[6:7]
	s_cbranch_execz .LBB2_6730
; %bb.42571:
	s_getpc_b64 s[14:15]
.Lpost_getpc24869:
	s_add_u32 s14, s14, (.LBB2_21068-.Lpost_getpc24869)&4294967295
	s_addc_u32 s15, s15, (.LBB2_21068-.Lpost_getpc24869)>>32
	s_setpc_b64 s[14:15]
.LBB2_6730:
	s_or_b64 exec, exec, s[6:7]
	s_and_saveexec_b64 s[6:7], s[4:5]
	s_cbranch_execz .LBB2_6732
.LBB2_6731:
	v_bfe_u32 v2, v8, 8, 3
	v_ffbh_u32_e32 v7, v2
	v_min_u32_e32 v7, 32, v7
	v_lshrrev_b16_e32 v6, 3, v3
	v_subrev_u32_e32 v12, 28, v7
	v_and_b32_e32 v6, 15, v6
	v_lshlrev_b32_e32 v3, v12, v3
	v_sub_u32_e32 v7, 29, v7
	v_and_b32_e32 v3, 7, v3
	v_cmp_eq_u16_e32 vcc, 0, v6
	v_cndmask_b32_e32 v2, v2, v3, vcc
	v_cndmask_b32_e32 v3, v6, v7, vcc
	v_lshlrev_b32_e32 v6, 16, v8
	v_mov_b32_e32 v7, 0x3b800000
	v_lshlrev_b32_e32 v2, 20, v2
	v_and_b32_e32 v6, 0x80000000, v6
	v_lshl_add_u32 v3, v3, 23, v7
	v_or3_b32 v2, v6, v3, v2
.LBB2_6732:
	s_or_b64 exec, exec, s[6:7]
	v_lshrrev_b32_e32 v3, 8, v4
	s_movk_i32 s4, 0x7f
	v_cmp_gt_i16_sdwa s[6:7], v3, s4 src0_sel:BYTE_0 src1_sel:DWORD
	s_mov_b64 s[4:5], 0
                                        ; implicit-def: $sgpr10
	s_and_saveexec_b64 s[8:9], s[6:7]
	s_xor_b64 s[6:7], exec, s[8:9]
	s_cbranch_execz .LBB2_6733
; %bb.42573:
	s_getpc_b64 s[14:15]
.Lpost_getpc24870:
	s_add_u32 s14, s14, (.LBB2_21069-.Lpost_getpc24870)&4294967295
	s_addc_u32 s15, s15, (.LBB2_21069-.Lpost_getpc24870)>>32
	s_setpc_b64 s[14:15]
.LBB2_6733:
	s_or_saveexec_b64 s[6:7], s[6:7]
	v_mov_b32_e32 v6, s10
	s_xor_b64 exec, exec, s[6:7]
	s_cbranch_execz .LBB2_6734
; %bb.42575:
	s_getpc_b64 s[14:15]
.Lpost_getpc24871:
	s_add_u32 s14, s14, (.LBB2_21072-.Lpost_getpc24871)&4294967295
	s_addc_u32 s15, s15, (.LBB2_21072-.Lpost_getpc24871)>>32
	s_setpc_b64 s[14:15]
.LBB2_6734:
	s_or_b64 exec, exec, s[6:7]
	s_and_saveexec_b64 s[6:7], s[4:5]
	s_cbranch_execz .LBB2_6736
.LBB2_6735:
	v_bfe_u32 v6, v4, 8, 3
	v_ffbh_u32_e32 v12, v6
	v_min_u32_e32 v12, 32, v12
	v_lshrrev_b16_e32 v7, 3, v3
	v_subrev_u32_e32 v13, 28, v12
	v_and_b32_e32 v7, 15, v7
	v_lshlrev_b32_e32 v3, v13, v3
	v_sub_u32_e32 v12, 29, v12
	v_and_b32_e32 v3, 7, v3
	v_cmp_eq_u16_e32 vcc, 0, v7
	v_cndmask_b32_e32 v3, v6, v3, vcc
	v_cndmask_b32_e32 v6, v7, v12, vcc
	v_lshlrev_b32_e32 v7, 16, v4
	v_mov_b32_e32 v12, 0x3b800000
	v_lshlrev_b32_e32 v3, 20, v3
	v_and_b32_e32 v7, 0x80000000, v7
	v_lshl_add_u32 v6, v6, 23, v12
	v_or3_b32 v6, v7, v6, v3
.LBB2_6736:
	s_or_b64 exec, exec, s[6:7]
	s_nop 0
	v_mfma_f32_16x16x4f32 a[0:3], v2, v6, a[0:3]
	s_movk_i32 s4, 0xff
	v_and_b32_sdwa v3, v8, s4 dst_sel:DWORD dst_unused:UNUSED_PAD src0_sel:WORD_1 src1_sel:DWORD
	s_movk_i32 s4, 0x7f
	v_cmp_lt_i16_e32 vcc, s4, v3
	s_mov_b64 s[4:5], 0
                                        ; implicit-def: $sgpr10
	s_and_saveexec_b64 s[6:7], vcc
	s_xor_b64 s[6:7], exec, s[6:7]
	s_cbranch_execz .LBB2_6737
; %bb.42577:
	s_getpc_b64 s[14:15]
.Lpost_getpc24872:
	s_add_u32 s14, s14, (.LBB2_21073-.Lpost_getpc24872)&4294967295
	s_addc_u32 s15, s15, (.LBB2_21073-.Lpost_getpc24872)>>32
	s_setpc_b64 s[14:15]
.LBB2_6737:
	s_or_saveexec_b64 s[6:7], s[6:7]
	v_mov_b32_e32 v2, s10
	s_xor_b64 exec, exec, s[6:7]
	s_cbranch_execz .LBB2_6738
; %bb.42579:
	s_getpc_b64 s[14:15]
.Lpost_getpc24873:
	s_add_u32 s14, s14, (.LBB2_21076-.Lpost_getpc24873)&4294967295
	s_addc_u32 s15, s15, (.LBB2_21076-.Lpost_getpc24873)>>32
	s_setpc_b64 s[14:15]
.LBB2_6738:
	s_or_b64 exec, exec, s[6:7]
	s_and_saveexec_b64 s[6:7], s[4:5]
	s_cbranch_execz .LBB2_6740
.LBB2_6739:
	v_bfe_u32 v2, v8, 16, 3
	v_ffbh_u32_e32 v7, v2
	v_min_u32_e32 v7, 32, v7
	v_lshrrev_b32_e32 v3, 19, v8
	v_subrev_u32_e32 v12, 28, v7
	v_and_b32_e32 v3, 15, v3
	v_lshlrev_b32_sdwa v12, v12, v8 dst_sel:DWORD dst_unused:UNUSED_PAD src0_sel:DWORD src1_sel:WORD_1
	v_bfe_u32 v6, v8, 19, 4
	v_sub_u32_e32 v7, 29, v7
	v_and_b32_e32 v12, 7, v12
	v_cmp_eq_u16_e32 vcc, 0, v3
	v_cndmask_b32_e32 v2, v2, v12, vcc
	v_cndmask_b32_e32 v3, v6, v7, vcc
	v_lshlrev_b32_e32 v6, 8, v8
	v_mov_b32_e32 v7, 0x3b800000
	v_lshlrev_b32_e32 v2, 20, v2
	v_and_b32_e32 v6, 0x80000000, v6
	v_lshl_add_u32 v3, v3, 23, v7
	v_or3_b32 v2, v6, v3, v2
.LBB2_6740:
	s_or_b64 exec, exec, s[6:7]
	s_movk_i32 s4, 0xff
	v_and_b32_sdwa v3, v4, s4 dst_sel:DWORD dst_unused:UNUSED_PAD src0_sel:WORD_1 src1_sel:DWORD
	s_movk_i32 s4, 0x7f
	v_cmp_lt_i16_e32 vcc, s4, v3
	s_mov_b64 s[4:5], 0
                                        ; implicit-def: $sgpr10
	s_and_saveexec_b64 s[6:7], vcc
	s_xor_b64 s[6:7], exec, s[6:7]
	s_cbranch_execz .LBB2_6741
; %bb.42581:
	s_getpc_b64 s[14:15]
.Lpost_getpc24874:
	s_add_u32 s14, s14, (.LBB2_21077-.Lpost_getpc24874)&4294967295
	s_addc_u32 s15, s15, (.LBB2_21077-.Lpost_getpc24874)>>32
	s_setpc_b64 s[14:15]
.LBB2_6741:
	s_or_saveexec_b64 s[6:7], s[6:7]
	v_mov_b32_e32 v6, s10
	s_xor_b64 exec, exec, s[6:7]
	s_cbranch_execz .LBB2_6742
; %bb.42583:
	s_getpc_b64 s[14:15]
.Lpost_getpc24875:
	s_add_u32 s14, s14, (.LBB2_21080-.Lpost_getpc24875)&4294967295
	s_addc_u32 s15, s15, (.LBB2_21080-.Lpost_getpc24875)>>32
	s_setpc_b64 s[14:15]
.LBB2_6742:
	s_or_b64 exec, exec, s[6:7]
	s_and_saveexec_b64 s[6:7], s[4:5]
	s_cbranch_execz .LBB2_6744
.LBB2_6743:
	v_bfe_u32 v3, v4, 16, 3
	v_ffbh_u32_e32 v12, v3
	v_min_u32_e32 v12, 32, v12
	v_lshrrev_b32_e32 v6, 19, v4
	v_subrev_u32_e32 v13, 28, v12
	v_and_b32_e32 v6, 15, v6
	v_lshlrev_b32_sdwa v13, v13, v4 dst_sel:DWORD dst_unused:UNUSED_PAD src0_sel:DWORD src1_sel:WORD_1
	v_bfe_u32 v7, v4, 19, 4
	v_sub_u32_e32 v12, 29, v12
	v_and_b32_e32 v13, 7, v13
	v_cmp_eq_u16_e32 vcc, 0, v6
	v_cndmask_b32_e32 v3, v3, v13, vcc
	v_cndmask_b32_e32 v6, v7, v12, vcc
	v_lshlrev_b32_e32 v7, 8, v4
	v_mov_b32_e32 v12, 0x3b800000
	v_lshlrev_b32_e32 v3, 20, v3
	v_and_b32_e32 v7, 0x80000000, v7
	v_lshl_add_u32 v6, v6, 23, v12
	v_or3_b32 v6, v7, v6, v3
.LBB2_6744:
	s_or_b64 exec, exec, s[6:7]
	s_nop 0
	v_mfma_f32_16x16x4f32 a[0:3], v2, v6, a[0:3]
	s_movk_i32 s4, 0x7f
	v_cmp_gt_i16_sdwa s[6:7], v8, s4 src0_sel:BYTE_3 src1_sel:DWORD
	s_mov_b64 s[4:5], 0
                                        ; implicit-def: $sgpr10
	s_and_saveexec_b64 s[8:9], s[6:7]
	s_xor_b64 s[6:7], exec, s[8:9]
	s_cbranch_execz .LBB2_6745
; %bb.42585:
	s_getpc_b64 s[14:15]
.Lpost_getpc24876:
	s_add_u32 s14, s14, (.LBB2_21081-.Lpost_getpc24876)&4294967295
	s_addc_u32 s15, s15, (.LBB2_21081-.Lpost_getpc24876)>>32
	s_setpc_b64 s[14:15]
.LBB2_6745:
	s_or_saveexec_b64 s[6:7], s[6:7]
	v_mov_b32_e32 v2, s10
	s_xor_b64 exec, exec, s[6:7]
	s_cbranch_execz .LBB2_6746
; %bb.42587:
	s_getpc_b64 s[14:15]
.Lpost_getpc24877:
	s_add_u32 s14, s14, (.LBB2_21084-.Lpost_getpc24877)&4294967295
	s_addc_u32 s15, s15, (.LBB2_21084-.Lpost_getpc24877)>>32
	s_setpc_b64 s[14:15]
.LBB2_6746:
	s_or_b64 exec, exec, s[6:7]
	s_and_saveexec_b64 s[6:7], s[4:5]
	s_cbranch_execz .LBB2_6748
.LBB2_6747:
	v_bfe_u32 v2, v8, 24, 3
	v_ffbh_u32_e32 v12, v2
	v_min_u32_e32 v12, 32, v12
	v_lshrrev_b32_e32 v6, 27, v8
	v_subrev_u32_e32 v13, 28, v12
	v_and_b32_e32 v3, 0x80000000, v8
	v_and_b32_e32 v6, 15, v6
	v_bfe_u32 v7, v8, 27, 4
	v_lshlrev_b32_sdwa v8, v13, v8 dst_sel:DWORD dst_unused:UNUSED_PAD src0_sel:DWORD src1_sel:BYTE_3
	v_sub_u32_e32 v12, 29, v12
	v_and_b32_e32 v8, 7, v8
	v_cmp_eq_u16_e32 vcc, 0, v6
	v_cndmask_b32_e32 v2, v2, v8, vcc
	v_cndmask_b32_e32 v6, v7, v12, vcc
	v_mov_b32_e32 v7, 0x3b800000
	v_lshlrev_b32_e32 v2, 20, v2
	v_lshl_add_u32 v6, v6, 23, v7
	v_or3_b32 v2, v3, v6, v2
.LBB2_6748:
	s_or_b64 exec, exec, s[6:7]
	s_movk_i32 s4, 0x7f
	v_cmp_gt_i16_sdwa s[6:7], v4, s4 src0_sel:BYTE_3 src1_sel:DWORD
	s_mov_b64 s[4:5], 0
                                        ; implicit-def: $sgpr10
	s_and_saveexec_b64 s[8:9], s[6:7]
	s_xor_b64 s[6:7], exec, s[8:9]
	s_cbranch_execz .LBB2_6749
; %bb.42589:
	s_getpc_b64 s[14:15]
.Lpost_getpc24878:
	s_add_u32 s14, s14, (.LBB2_21085-.Lpost_getpc24878)&4294967295
	s_addc_u32 s15, s15, (.LBB2_21085-.Lpost_getpc24878)>>32
	s_setpc_b64 s[14:15]
.LBB2_6749:
	s_or_saveexec_b64 s[6:7], s[6:7]
	v_mov_b32_e32 v3, s10
	s_xor_b64 exec, exec, s[6:7]
	s_cbranch_execz .LBB2_6750
; %bb.42591:
	s_getpc_b64 s[14:15]
.Lpost_getpc24879:
	s_add_u32 s14, s14, (.LBB2_21088-.Lpost_getpc24879)&4294967295
	s_addc_u32 s15, s15, (.LBB2_21088-.Lpost_getpc24879)>>32
	s_setpc_b64 s[14:15]
.LBB2_6750:
	s_or_b64 exec, exec, s[6:7]
	s_and_saveexec_b64 s[6:7], s[4:5]
	s_cbranch_execz .LBB2_6752
.LBB2_6751:
	v_bfe_u32 v3, v4, 24, 3
	v_ffbh_u32_e32 v12, v3
	v_min_u32_e32 v12, 32, v12
	v_lshrrev_b32_e32 v7, 27, v4
	v_subrev_u32_e32 v13, 28, v12
	v_and_b32_e32 v6, 0x80000000, v4
	v_and_b32_e32 v7, 15, v7
	v_bfe_u32 v8, v4, 27, 4
	v_lshlrev_b32_sdwa v4, v13, v4 dst_sel:DWORD dst_unused:UNUSED_PAD src0_sel:DWORD src1_sel:BYTE_3
	v_sub_u32_e32 v12, 29, v12
	v_and_b32_e32 v4, 7, v4
	v_cmp_eq_u16_e32 vcc, 0, v7
	v_cndmask_b32_e32 v3, v3, v4, vcc
	v_cndmask_b32_e32 v4, v8, v12, vcc
	v_mov_b32_e32 v7, 0x3b800000
	v_lshlrev_b32_e32 v3, 20, v3
	v_lshl_add_u32 v4, v4, 23, v7
	v_or3_b32 v3, v6, v4, v3
.LBB2_6752:
	s_or_b64 exec, exec, s[6:7]
	s_nop 0
	v_mfma_f32_16x16x4f32 a[0:3], v2, v3, a[0:3]
	s_movk_i32 s4, 0x7f
	v_cmp_gt_i16_sdwa s[6:7], v9, s4 src0_sel:BYTE_0 src1_sel:DWORD
	s_mov_b64 s[4:5], 0
                                        ; implicit-def: $sgpr10
	s_and_saveexec_b64 s[8:9], s[6:7]
	s_xor_b64 s[6:7], exec, s[8:9]
	s_cbranch_execz .LBB2_6753
; %bb.42593:
	s_getpc_b64 s[14:15]
.Lpost_getpc24880:
	s_add_u32 s14, s14, (.LBB2_21089-.Lpost_getpc24880)&4294967295
	s_addc_u32 s15, s15, (.LBB2_21089-.Lpost_getpc24880)>>32
	s_setpc_b64 s[14:15]
.LBB2_6753:
	s_or_saveexec_b64 s[6:7], s[6:7]
	v_mov_b32_e32 v2, s10
	s_xor_b64 exec, exec, s[6:7]
	s_cbranch_execz .LBB2_6754
; %bb.42595:
	s_getpc_b64 s[14:15]
.Lpost_getpc24881:
	s_add_u32 s14, s14, (.LBB2_21092-.Lpost_getpc24881)&4294967295
	s_addc_u32 s15, s15, (.LBB2_21092-.Lpost_getpc24881)>>32
	s_setpc_b64 s[14:15]
.LBB2_6754:
	s_or_b64 exec, exec, s[6:7]
	s_and_saveexec_b64 s[6:7], s[4:5]
	s_cbranch_execz .LBB2_6756
.LBB2_6755:
	v_mov_b32_e32 v2, 8
	v_and_b32_e32 v3, 7, v9
	v_lshrrev_b32_sdwa v2, v2, v9 dst_sel:BYTE_1 dst_unused:UNUSED_PAD src0_sel:DWORD src1_sel:DWORD
	v_ffbh_u32_e32 v4, v3
	v_or_b32_sdwa v2, v9, v2 dst_sel:DWORD dst_unused:UNUSED_PAD src0_sel:BYTE_0 src1_sel:DWORD
	v_min_u32_e32 v4, 32, v4
	v_lshrrev_b16_e32 v2, 3, v2
	v_subrev_u32_e32 v6, 28, v4
	v_and_b32_e32 v2, 15, v2
	v_lshlrev_b32_e32 v6, v6, v9
	v_sub_u32_e32 v4, 29, v4
	v_and_b32_e32 v6, 7, v6
	v_cmp_eq_u16_e32 vcc, 0, v2
	v_cndmask_b32_e32 v3, v3, v6, vcc
	v_cndmask_b32_e32 v2, v2, v4, vcc
	v_lshlrev_b32_e32 v4, 24, v9
	v_mov_b32_e32 v6, 0x3b800000
	v_lshlrev_b32_e32 v3, 20, v3
	v_and_b32_e32 v4, 0x80000000, v4
	v_lshl_add_u32 v2, v2, 23, v6
	v_or3_b32 v2, v4, v2, v3
.LBB2_6756:
	s_or_b64 exec, exec, s[6:7]
	s_movk_i32 s4, 0x7f
	v_cmp_gt_i16_sdwa s[6:7], v5, s4 src0_sel:BYTE_0 src1_sel:DWORD
	s_mov_b64 s[4:5], 0
                                        ; implicit-def: $sgpr10
	s_and_saveexec_b64 s[8:9], s[6:7]
	s_xor_b64 s[6:7], exec, s[8:9]
	s_cbranch_execz .LBB2_6757
; %bb.42597:
	s_getpc_b64 s[14:15]
.Lpost_getpc24882:
	s_add_u32 s14, s14, (.LBB2_21093-.Lpost_getpc24882)&4294967295
	s_addc_u32 s15, s15, (.LBB2_21093-.Lpost_getpc24882)>>32
	s_setpc_b64 s[14:15]
.LBB2_6757:
	s_or_saveexec_b64 s[6:7], s[6:7]
	v_mov_b32_e32 v3, s10
	s_xor_b64 exec, exec, s[6:7]
	s_cbranch_execz .LBB2_6758
; %bb.42599:
	s_getpc_b64 s[14:15]
.Lpost_getpc24883:
	s_add_u32 s14, s14, (.LBB2_21096-.Lpost_getpc24883)&4294967295
	s_addc_u32 s15, s15, (.LBB2_21096-.Lpost_getpc24883)>>32
	s_setpc_b64 s[14:15]
.LBB2_6758:
	s_or_b64 exec, exec, s[6:7]
	s_and_saveexec_b64 s[6:7], s[4:5]
	s_cbranch_execz .LBB2_6760
.LBB2_6759:
	v_mov_b32_e32 v3, 8
	v_and_b32_e32 v4, 7, v5
	v_lshrrev_b32_sdwa v3, v3, v5 dst_sel:BYTE_1 dst_unused:UNUSED_PAD src0_sel:DWORD src1_sel:DWORD
	v_ffbh_u32_e32 v6, v4
	v_or_b32_sdwa v3, v5, v3 dst_sel:DWORD dst_unused:UNUSED_PAD src0_sel:BYTE_0 src1_sel:DWORD
	v_min_u32_e32 v6, 32, v6
	v_lshrrev_b16_e32 v3, 3, v3
	v_subrev_u32_e32 v7, 28, v6
	v_and_b32_e32 v3, 15, v3
	v_lshlrev_b32_e32 v7, v7, v5
	v_sub_u32_e32 v6, 29, v6
	v_and_b32_e32 v7, 7, v7
	v_cmp_eq_u16_e32 vcc, 0, v3
	v_cndmask_b32_e32 v4, v4, v7, vcc
	v_cndmask_b32_e32 v3, v3, v6, vcc
	v_lshlrev_b32_e32 v6, 24, v5
	v_mov_b32_e32 v7, 0x3b800000
	v_lshlrev_b32_e32 v4, 20, v4
	v_and_b32_e32 v6, 0x80000000, v6
	v_lshl_add_u32 v3, v3, 23, v7
	v_or3_b32 v3, v6, v3, v4
.LBB2_6760:
	s_or_b64 exec, exec, s[6:7]
	s_nop 0
	v_mfma_f32_16x16x4f32 a[0:3], v2, v3, a[0:3]
	v_lshrrev_b32_e32 v3, 8, v9
	s_movk_i32 s4, 0x7f
	v_cmp_gt_i16_sdwa s[6:7], v3, s4 src0_sel:BYTE_0 src1_sel:DWORD
	s_mov_b64 s[4:5], 0
                                        ; implicit-def: $sgpr10
	s_and_saveexec_b64 s[8:9], s[6:7]
	s_xor_b64 s[6:7], exec, s[8:9]
	s_cbranch_execz .LBB2_6761
; %bb.42601:
	s_getpc_b64 s[14:15]
.Lpost_getpc24884:
	s_add_u32 s14, s14, (.LBB2_21097-.Lpost_getpc24884)&4294967295
	s_addc_u32 s15, s15, (.LBB2_21097-.Lpost_getpc24884)>>32
	s_setpc_b64 s[14:15]
.LBB2_6761:
	s_or_saveexec_b64 s[6:7], s[6:7]
	v_mov_b32_e32 v2, s10
	s_xor_b64 exec, exec, s[6:7]
	s_cbranch_execz .LBB2_6762
; %bb.42603:
	s_getpc_b64 s[14:15]
.Lpost_getpc24885:
	s_add_u32 s14, s14, (.LBB2_21100-.Lpost_getpc24885)&4294967295
	s_addc_u32 s15, s15, (.LBB2_21100-.Lpost_getpc24885)>>32
	s_setpc_b64 s[14:15]
.LBB2_6762:
	s_or_b64 exec, exec, s[6:7]
	s_and_saveexec_b64 s[6:7], s[4:5]
	s_cbranch_execz .LBB2_6764
.LBB2_6763:
	v_bfe_u32 v2, v9, 8, 3
	v_ffbh_u32_e32 v6, v2
	v_min_u32_e32 v6, 32, v6
	v_lshrrev_b16_e32 v4, 3, v3
	v_subrev_u32_e32 v7, 28, v6
	v_and_b32_e32 v4, 15, v4
	v_lshlrev_b32_e32 v3, v7, v3
	v_sub_u32_e32 v6, 29, v6
	v_and_b32_e32 v3, 7, v3
	v_cmp_eq_u16_e32 vcc, 0, v4
	v_cndmask_b32_e32 v2, v2, v3, vcc
	v_cndmask_b32_e32 v3, v4, v6, vcc
	v_lshlrev_b32_e32 v4, 16, v9
	v_mov_b32_e32 v6, 0x3b800000
	v_lshlrev_b32_e32 v2, 20, v2
	v_and_b32_e32 v4, 0x80000000, v4
	v_lshl_add_u32 v3, v3, 23, v6
	v_or3_b32 v2, v4, v3, v2
.LBB2_6764:
	s_or_b64 exec, exec, s[6:7]
	v_lshrrev_b32_e32 v3, 8, v5
	s_movk_i32 s4, 0x7f
	v_cmp_gt_i16_sdwa s[6:7], v3, s4 src0_sel:BYTE_0 src1_sel:DWORD
	s_mov_b64 s[4:5], 0
                                        ; implicit-def: $sgpr10
	s_and_saveexec_b64 s[8:9], s[6:7]
	s_xor_b64 s[6:7], exec, s[8:9]
	s_cbranch_execz .LBB2_6765
; %bb.42605:
	s_getpc_b64 s[14:15]
.Lpost_getpc24886:
	s_add_u32 s14, s14, (.LBB2_21101-.Lpost_getpc24886)&4294967295
	s_addc_u32 s15, s15, (.LBB2_21101-.Lpost_getpc24886)>>32
	s_setpc_b64 s[14:15]
.LBB2_6765:
	s_or_saveexec_b64 s[6:7], s[6:7]
	v_mov_b32_e32 v4, s10
	s_xor_b64 exec, exec, s[6:7]
	s_cbranch_execz .LBB2_6766
; %bb.42607:
	s_getpc_b64 s[14:15]
.Lpost_getpc24887:
	s_add_u32 s14, s14, (.LBB2_21104-.Lpost_getpc24887)&4294967295
	s_addc_u32 s15, s15, (.LBB2_21104-.Lpost_getpc24887)>>32
	s_setpc_b64 s[14:15]
.LBB2_6766:
	s_or_b64 exec, exec, s[6:7]
	s_and_saveexec_b64 s[6:7], s[4:5]
	s_cbranch_execz .LBB2_6768
.LBB2_6767:
	v_bfe_u32 v4, v5, 8, 3
	v_ffbh_u32_e32 v7, v4
	v_min_u32_e32 v7, 32, v7
	v_lshrrev_b16_e32 v6, 3, v3
	v_subrev_u32_e32 v8, 28, v7
	v_and_b32_e32 v6, 15, v6
	v_lshlrev_b32_e32 v3, v8, v3
	v_sub_u32_e32 v7, 29, v7
	v_and_b32_e32 v3, 7, v3
	v_cmp_eq_u16_e32 vcc, 0, v6
	v_cndmask_b32_e32 v3, v4, v3, vcc
	v_cndmask_b32_e32 v4, v6, v7, vcc
	v_lshlrev_b32_e32 v6, 16, v5
	v_mov_b32_e32 v7, 0x3b800000
	v_lshlrev_b32_e32 v3, 20, v3
	v_and_b32_e32 v6, 0x80000000, v6
	v_lshl_add_u32 v4, v4, 23, v7
	v_or3_b32 v4, v6, v4, v3
.LBB2_6768:
	s_or_b64 exec, exec, s[6:7]
	s_nop 0
	v_mfma_f32_16x16x4f32 a[0:3], v2, v4, a[0:3]
	s_movk_i32 s4, 0xff
	v_and_b32_sdwa v3, v9, s4 dst_sel:DWORD dst_unused:UNUSED_PAD src0_sel:WORD_1 src1_sel:DWORD
	s_movk_i32 s4, 0x7f
	v_cmp_lt_i16_e32 vcc, s4, v3
	s_mov_b64 s[4:5], 0
                                        ; implicit-def: $sgpr10
	s_and_saveexec_b64 s[6:7], vcc
	s_xor_b64 s[6:7], exec, s[6:7]
	s_cbranch_execz .LBB2_6769
; %bb.42609:
	s_getpc_b64 s[14:15]
.Lpost_getpc24888:
	s_add_u32 s14, s14, (.LBB2_21105-.Lpost_getpc24888)&4294967295
	s_addc_u32 s15, s15, (.LBB2_21105-.Lpost_getpc24888)>>32
	s_setpc_b64 s[14:15]
.LBB2_6769:
	s_or_saveexec_b64 s[6:7], s[6:7]
	v_mov_b32_e32 v2, s10
	s_xor_b64 exec, exec, s[6:7]
	s_cbranch_execz .LBB2_6770
; %bb.42611:
	s_getpc_b64 s[14:15]
.Lpost_getpc24889:
	s_add_u32 s14, s14, (.LBB2_21108-.Lpost_getpc24889)&4294967295
	s_addc_u32 s15, s15, (.LBB2_21108-.Lpost_getpc24889)>>32
	s_setpc_b64 s[14:15]
.LBB2_6770:
	s_or_b64 exec, exec, s[6:7]
	s_and_saveexec_b64 s[6:7], s[4:5]
	s_cbranch_execz .LBB2_6772
.LBB2_6771:
	v_bfe_u32 v2, v9, 16, 3
	v_ffbh_u32_e32 v6, v2
	v_min_u32_e32 v6, 32, v6
	v_lshrrev_b32_e32 v3, 19, v9
	v_subrev_u32_e32 v7, 28, v6
	v_and_b32_e32 v3, 15, v3
	v_lshlrev_b32_sdwa v7, v7, v9 dst_sel:DWORD dst_unused:UNUSED_PAD src0_sel:DWORD src1_sel:WORD_1
	v_bfe_u32 v4, v9, 19, 4
	v_sub_u32_e32 v6, 29, v6
	v_and_b32_e32 v7, 7, v7
	v_cmp_eq_u16_e32 vcc, 0, v3
	v_cndmask_b32_e32 v2, v2, v7, vcc
	v_cndmask_b32_e32 v3, v4, v6, vcc
	v_lshlrev_b32_e32 v4, 8, v9
	v_mov_b32_e32 v6, 0x3b800000
	v_lshlrev_b32_e32 v2, 20, v2
	v_and_b32_e32 v4, 0x80000000, v4
	v_lshl_add_u32 v3, v3, 23, v6
	v_or3_b32 v2, v4, v3, v2
.LBB2_6772:
	s_or_b64 exec, exec, s[6:7]
	s_movk_i32 s4, 0xff
	v_and_b32_sdwa v3, v5, s4 dst_sel:DWORD dst_unused:UNUSED_PAD src0_sel:WORD_1 src1_sel:DWORD
	s_movk_i32 s4, 0x7f
	v_cmp_lt_i16_e32 vcc, s4, v3
	s_mov_b64 s[4:5], 0
                                        ; implicit-def: $sgpr10
	s_and_saveexec_b64 s[6:7], vcc
	s_xor_b64 s[6:7], exec, s[6:7]
	s_cbranch_execz .LBB2_6773
; %bb.42613:
	s_getpc_b64 s[14:15]
.Lpost_getpc24890:
	s_add_u32 s14, s14, (.LBB2_21109-.Lpost_getpc24890)&4294967295
	s_addc_u32 s15, s15, (.LBB2_21109-.Lpost_getpc24890)>>32
	s_setpc_b64 s[14:15]
.LBB2_6773:
	s_or_saveexec_b64 s[6:7], s[6:7]
	v_mov_b32_e32 v4, s10
	s_xor_b64 exec, exec, s[6:7]
	s_cbranch_execz .LBB2_6774
; %bb.42615:
	s_getpc_b64 s[14:15]
.Lpost_getpc24891:
	s_add_u32 s14, s14, (.LBB2_21112-.Lpost_getpc24891)&4294967295
	s_addc_u32 s15, s15, (.LBB2_21112-.Lpost_getpc24891)>>32
	s_setpc_b64 s[14:15]
.LBB2_6774:
	s_or_b64 exec, exec, s[6:7]
	s_and_saveexec_b64 s[6:7], s[4:5]
	s_cbranch_execz .LBB2_6776
.LBB2_6775:
	v_bfe_u32 v3, v5, 16, 3
	v_ffbh_u32_e32 v7, v3
	v_min_u32_e32 v7, 32, v7
	v_lshrrev_b32_e32 v4, 19, v5
	v_subrev_u32_e32 v8, 28, v7
	v_and_b32_e32 v4, 15, v4
	v_lshlrev_b32_sdwa v8, v8, v5 dst_sel:DWORD dst_unused:UNUSED_PAD src0_sel:DWORD src1_sel:WORD_1
	v_bfe_u32 v6, v5, 19, 4
	v_sub_u32_e32 v7, 29, v7
	v_and_b32_e32 v8, 7, v8
	v_cmp_eq_u16_e32 vcc, 0, v4
	v_cndmask_b32_e32 v3, v3, v8, vcc
	v_cndmask_b32_e32 v4, v6, v7, vcc
	v_lshlrev_b32_e32 v6, 8, v5
	v_mov_b32_e32 v7, 0x3b800000
	v_lshlrev_b32_e32 v3, 20, v3
	v_and_b32_e32 v6, 0x80000000, v6
	v_lshl_add_u32 v4, v4, 23, v7
	v_or3_b32 v4, v6, v4, v3
.LBB2_6776:
	s_or_b64 exec, exec, s[6:7]
	s_nop 0
	v_mfma_f32_16x16x4f32 a[0:3], v2, v4, a[0:3]
	s_movk_i32 s4, 0x7f
	v_cmp_gt_i16_sdwa s[6:7], v9, s4 src0_sel:BYTE_3 src1_sel:DWORD
	s_mov_b64 s[4:5], 0
                                        ; implicit-def: $sgpr10
	s_and_saveexec_b64 s[8:9], s[6:7]
	s_xor_b64 s[6:7], exec, s[8:9]
	s_cbranch_execz .LBB2_6777
; %bb.42617:
	s_getpc_b64 s[14:15]
.Lpost_getpc24892:
	s_add_u32 s14, s14, (.LBB2_21113-.Lpost_getpc24892)&4294967295
	s_addc_u32 s15, s15, (.LBB2_21113-.Lpost_getpc24892)>>32
	s_setpc_b64 s[14:15]
.LBB2_6777:
	s_or_saveexec_b64 s[6:7], s[6:7]
	v_mov_b32_e32 v2, s10
	s_xor_b64 exec, exec, s[6:7]
	s_cbranch_execz .LBB2_6778
; %bb.42619:
	s_getpc_b64 s[14:15]
.Lpost_getpc24893:
	s_add_u32 s14, s14, (.LBB2_21116-.Lpost_getpc24893)&4294967295
	s_addc_u32 s15, s15, (.LBB2_21116-.Lpost_getpc24893)>>32
	s_setpc_b64 s[14:15]
.LBB2_6778:
	s_or_b64 exec, exec, s[6:7]
	s_and_saveexec_b64 s[6:7], s[4:5]
	s_cbranch_execz .LBB2_6780
.LBB2_6779:
	v_bfe_u32 v2, v9, 24, 3
	v_ffbh_u32_e32 v7, v2
	v_min_u32_e32 v7, 32, v7
	v_lshrrev_b32_e32 v4, 27, v9
	v_subrev_u32_e32 v8, 28, v7
	v_and_b32_e32 v4, 15, v4
	v_lshlrev_b32_sdwa v8, v8, v9 dst_sel:DWORD dst_unused:UNUSED_PAD src0_sel:DWORD src1_sel:BYTE_3
	v_bfe_u32 v6, v9, 27, 4
	v_sub_u32_e32 v7, 29, v7
	v_and_b32_e32 v8, 7, v8
	v_cmp_eq_u16_e32 vcc, 0, v4
	v_cndmask_b32_e32 v2, v2, v8, vcc
	v_cndmask_b32_e32 v4, v6, v7, vcc
	v_mov_b32_e32 v6, 0x3b800000
	v_and_b32_e32 v3, 0x80000000, v9
	v_lshlrev_b32_e32 v2, 20, v2
	v_lshl_add_u32 v4, v4, 23, v6
	v_or3_b32 v2, v3, v4, v2
.LBB2_6780:
	s_or_b64 exec, exec, s[6:7]
	s_movk_i32 s4, 0x7f
	v_cmp_gt_i16_sdwa s[6:7], v5, s4 src0_sel:BYTE_3 src1_sel:DWORD
	s_mov_b64 s[4:5], 0
                                        ; implicit-def: $sgpr10
	s_and_saveexec_b64 s[8:9], s[6:7]
	s_xor_b64 s[6:7], exec, s[8:9]
	s_cbranch_execz .LBB2_6781
; %bb.42621:
	s_getpc_b64 s[14:15]
.Lpost_getpc24894:
	s_add_u32 s14, s14, (.LBB2_21117-.Lpost_getpc24894)&4294967295
	s_addc_u32 s15, s15, (.LBB2_21117-.Lpost_getpc24894)>>32
	s_setpc_b64 s[14:15]
.LBB2_6781:
	s_or_saveexec_b64 s[6:7], s[6:7]
	v_mov_b32_e32 v3, s10
	s_xor_b64 exec, exec, s[6:7]
	s_cbranch_execz .LBB2_6782
; %bb.42623:
	s_getpc_b64 s[14:15]
.Lpost_getpc24895:
	s_add_u32 s14, s14, (.LBB2_21120-.Lpost_getpc24895)&4294967295
	s_addc_u32 s15, s15, (.LBB2_21120-.Lpost_getpc24895)>>32
	s_setpc_b64 s[14:15]
.LBB2_6782:
	s_or_b64 exec, exec, s[6:7]
	s_and_saveexec_b64 s[6:7], s[4:5]
	s_cbranch_execz .LBB2_6784
.LBB2_6783:
	v_bfe_u32 v3, v5, 24, 3
	v_ffbh_u32_e32 v8, v3
	v_min_u32_e32 v8, 32, v8
	v_lshrrev_b32_e32 v6, 27, v5
	v_subrev_u32_e32 v9, 28, v8
	v_and_b32_e32 v4, 0x80000000, v5
	v_and_b32_e32 v6, 15, v6
	v_bfe_u32 v7, v5, 27, 4
	v_lshlrev_b32_sdwa v5, v9, v5 dst_sel:DWORD dst_unused:UNUSED_PAD src0_sel:DWORD src1_sel:BYTE_3
	v_sub_u32_e32 v8, 29, v8
	v_and_b32_e32 v5, 7, v5
	v_cmp_eq_u16_e32 vcc, 0, v6
	v_cndmask_b32_e32 v3, v3, v5, vcc
	v_cndmask_b32_e32 v5, v7, v8, vcc
	v_mov_b32_e32 v6, 0x3b800000
	v_lshlrev_b32_e32 v3, 20, v3
	v_lshl_add_u32 v5, v5, 23, v6
	v_or3_b32 v3, v4, v5, v3
.LBB2_6784:
	s_or_b64 exec, exec, s[6:7]
	s_nop 0
	v_mfma_f32_16x16x4f32 a[0:3], v2, v3, a[0:3]
	s_movk_i32 s4, 0x7f
                                        ; implicit-def: $sgpr10
	s_nop 7
	s_nop 1
	flat_store_dwordx4 v[10:11], a[0:3] offset:832
	flat_load_dwordx4 v[12:15], v[0:1]
	s_nop 0
	flat_load_dwordx2 v[10:11], v[0:1] offset:16
	s_waitcnt vmcnt(0) lgkmcnt(0)
	flat_load_dwordx4 v[6:9], v[12:13] offset:96
	flat_load_dwordx4 v[2:5], v[14:15] offset:80
	s_waitcnt vmcnt(0) lgkmcnt(0)
	v_cmp_gt_i16_sdwa s[6:7], v6, s4 src0_sel:BYTE_0 src1_sel:DWORD
	s_mov_b64 s[4:5], 0
	s_and_saveexec_b64 s[8:9], s[6:7]
	s_xor_b64 s[6:7], exec, s[8:9]
	s_cbranch_execz .LBB2_6785
; %bb.42625:
	s_getpc_b64 s[14:15]
.Lpost_getpc24896:
	s_add_u32 s14, s14, (.LBB2_21121-.Lpost_getpc24896)&4294967295
	s_addc_u32 s15, s15, (.LBB2_21121-.Lpost_getpc24896)>>32
	s_setpc_b64 s[14:15]
.LBB2_6785:
	s_or_saveexec_b64 s[6:7], s[6:7]
	v_mov_b32_e32 v12, s10
	s_xor_b64 exec, exec, s[6:7]
	s_cbranch_execz .LBB2_6786
; %bb.42627:
	s_getpc_b64 s[14:15]
.Lpost_getpc24897:
	s_add_u32 s14, s14, (.LBB2_21124-.Lpost_getpc24897)&4294967295
	s_addc_u32 s15, s15, (.LBB2_21124-.Lpost_getpc24897)>>32
	s_setpc_b64 s[14:15]
.LBB2_6786:
	s_or_b64 exec, exec, s[6:7]
	s_and_saveexec_b64 s[6:7], s[4:5]
	s_cbranch_execz .LBB2_6788
.LBB2_6787:
	v_and_b32_e32 v12, 7, v6
	v_ffbh_u32_e32 v14, v12
	v_min_u32_e32 v14, 32, v14
	v_lshrrev_b16_e32 v13, 3, v6
	v_subrev_u32_e32 v15, 28, v14
	v_and_b32_e32 v13, 15, v13
	v_lshlrev_b32_e32 v15, v15, v6
	v_sub_u32_e32 v14, 29, v14
	v_and_b32_e32 v15, 7, v15
	v_cmp_eq_u16_e32 vcc, 0, v13
	v_cndmask_b32_e32 v12, v12, v15, vcc
	v_cndmask_b32_e32 v13, v13, v14, vcc
	v_lshlrev_b32_e32 v14, 24, v6
	v_mov_b32_e32 v15, 0x3b800000
	v_lshlrev_b32_e32 v12, 20, v12
	v_and_b32_e32 v14, 0x80000000, v14
	v_lshl_add_u32 v13, v13, 23, v15
	v_or3_b32 v12, v14, v13, v12
.LBB2_6788:
	s_or_b64 exec, exec, s[6:7]
	s_movk_i32 s4, 0x7f
	v_cmp_gt_i16_sdwa s[6:7], v2, s4 src0_sel:BYTE_0 src1_sel:DWORD
	s_mov_b64 s[4:5], 0
                                        ; implicit-def: $sgpr10
	s_and_saveexec_b64 s[8:9], s[6:7]
	s_xor_b64 s[6:7], exec, s[8:9]
	s_cbranch_execz .LBB2_6789
; %bb.42629:
	s_getpc_b64 s[14:15]
.Lpost_getpc24898:
	s_add_u32 s14, s14, (.LBB2_21125-.Lpost_getpc24898)&4294967295
	s_addc_u32 s15, s15, (.LBB2_21125-.Lpost_getpc24898)>>32
	s_setpc_b64 s[14:15]
.LBB2_6789:
	s_or_saveexec_b64 s[6:7], s[6:7]
	v_mov_b32_e32 v13, s10
	s_xor_b64 exec, exec, s[6:7]
	s_cbranch_execz .LBB2_6790
; %bb.42631:
	s_getpc_b64 s[14:15]
.Lpost_getpc24899:
	s_add_u32 s14, s14, (.LBB2_21128-.Lpost_getpc24899)&4294967295
	s_addc_u32 s15, s15, (.LBB2_21128-.Lpost_getpc24899)>>32
	s_setpc_b64 s[14:15]
.LBB2_6790:
	s_or_b64 exec, exec, s[6:7]
	s_and_saveexec_b64 s[6:7], s[4:5]
	s_cbranch_execz .LBB2_6792
.LBB2_6791:
	v_and_b32_e32 v13, 7, v2
	v_ffbh_u32_e32 v15, v13
	v_min_u32_e32 v15, 32, v15
	v_lshrrev_b16_e32 v14, 3, v2
	v_subrev_u32_e32 v16, 28, v15
	v_and_b32_e32 v14, 15, v14
	v_lshlrev_b32_e32 v16, v16, v2
	v_sub_u32_e32 v15, 29, v15
	v_and_b32_e32 v16, 7, v16
	v_cmp_eq_u16_e32 vcc, 0, v14
	v_cndmask_b32_e32 v13, v13, v16, vcc
	v_cndmask_b32_e32 v14, v14, v15, vcc
	v_lshlrev_b32_e32 v15, 24, v2
	v_mov_b32_e32 v16, 0x3b800000
	v_lshlrev_b32_e32 v13, 20, v13
	v_and_b32_e32 v15, 0x80000000, v15
	v_lshl_add_u32 v14, v14, 23, v16
	v_or3_b32 v13, v15, v14, v13
.LBB2_6792:
	s_or_b64 exec, exec, s[6:7]
	flat_load_dwordx4 a[0:3], v[10:11] offset:848
	s_movk_i32 s4, 0x7f
                                        ; implicit-def: $sgpr10
	s_waitcnt vmcnt(0) lgkmcnt(0)
	v_mfma_f32_16x16x4f32 a[0:3], v12, v13, a[0:3]
	v_lshrrev_b32_e32 v13, 8, v6
	v_cmp_gt_i16_sdwa s[6:7], v13, s4 src0_sel:BYTE_0 src1_sel:DWORD
	s_mov_b64 s[4:5], 0
	s_and_saveexec_b64 s[8:9], s[6:7]
	s_xor_b64 s[6:7], exec, s[8:9]
	s_cbranch_execz .LBB2_6793
; %bb.42633:
	s_getpc_b64 s[14:15]
.Lpost_getpc24900:
	s_add_u32 s14, s14, (.LBB2_21129-.Lpost_getpc24900)&4294967295
	s_addc_u32 s15, s15, (.LBB2_21129-.Lpost_getpc24900)>>32
	s_setpc_b64 s[14:15]
.LBB2_6793:
	s_or_saveexec_b64 s[6:7], s[6:7]
	v_mov_b32_e32 v12, s10
	s_xor_b64 exec, exec, s[6:7]
	s_cbranch_execz .LBB2_6794
; %bb.42635:
	s_getpc_b64 s[14:15]
.Lpost_getpc24901:
	s_add_u32 s14, s14, (.LBB2_21132-.Lpost_getpc24901)&4294967295
	s_addc_u32 s15, s15, (.LBB2_21132-.Lpost_getpc24901)>>32
	s_setpc_b64 s[14:15]
.LBB2_6794:
	s_or_b64 exec, exec, s[6:7]
	s_and_saveexec_b64 s[6:7], s[4:5]
	s_cbranch_execz .LBB2_6796
.LBB2_6795:
	v_bfe_u32 v12, v6, 8, 3
	v_ffbh_u32_e32 v15, v12
	v_min_u32_e32 v15, 32, v15
	v_lshrrev_b16_e32 v14, 3, v13
	v_subrev_u32_e32 v16, 28, v15
	v_and_b32_e32 v14, 15, v14
	v_lshlrev_b32_e32 v13, v16, v13
	v_sub_u32_e32 v15, 29, v15
	v_and_b32_e32 v13, 7, v13
	v_cmp_eq_u16_e32 vcc, 0, v14
	v_cndmask_b32_e32 v12, v12, v13, vcc
	v_cndmask_b32_e32 v13, v14, v15, vcc
	v_lshlrev_b32_e32 v14, 16, v6
	v_mov_b32_e32 v15, 0x3b800000
	v_lshlrev_b32_e32 v12, 20, v12
	v_and_b32_e32 v14, 0x80000000, v14
	v_lshl_add_u32 v13, v13, 23, v15
	v_or3_b32 v12, v14, v13, v12
.LBB2_6796:
	s_or_b64 exec, exec, s[6:7]
	v_lshrrev_b32_e32 v13, 8, v2
	s_movk_i32 s4, 0x7f
	v_cmp_gt_i16_sdwa s[6:7], v13, s4 src0_sel:BYTE_0 src1_sel:DWORD
	s_mov_b64 s[4:5], 0
                                        ; implicit-def: $sgpr10
	s_and_saveexec_b64 s[8:9], s[6:7]
	s_xor_b64 s[6:7], exec, s[8:9]
	s_cbranch_execz .LBB2_6797
; %bb.42637:
	s_getpc_b64 s[14:15]
.Lpost_getpc24902:
	s_add_u32 s14, s14, (.LBB2_21133-.Lpost_getpc24902)&4294967295
	s_addc_u32 s15, s15, (.LBB2_21133-.Lpost_getpc24902)>>32
	s_setpc_b64 s[14:15]
.LBB2_6797:
	s_or_saveexec_b64 s[6:7], s[6:7]
	v_mov_b32_e32 v14, s10
	s_xor_b64 exec, exec, s[6:7]
	s_cbranch_execz .LBB2_6798
; %bb.42639:
	s_getpc_b64 s[14:15]
.Lpost_getpc24903:
	s_add_u32 s14, s14, (.LBB2_21136-.Lpost_getpc24903)&4294967295
	s_addc_u32 s15, s15, (.LBB2_21136-.Lpost_getpc24903)>>32
	s_setpc_b64 s[14:15]
.LBB2_6798:
	s_or_b64 exec, exec, s[6:7]
	s_and_saveexec_b64 s[6:7], s[4:5]
	s_cbranch_execz .LBB2_6800
.LBB2_6799:
	v_bfe_u32 v14, v2, 8, 3
	v_ffbh_u32_e32 v16, v14
	v_min_u32_e32 v16, 32, v16
	v_lshrrev_b16_e32 v15, 3, v13
	v_subrev_u32_e32 v17, 28, v16
	v_and_b32_e32 v15, 15, v15
	v_lshlrev_b32_e32 v13, v17, v13
	v_sub_u32_e32 v16, 29, v16
	v_and_b32_e32 v13, 7, v13
	v_cmp_eq_u16_e32 vcc, 0, v15
	v_cndmask_b32_e32 v13, v14, v13, vcc
	v_cndmask_b32_e32 v14, v15, v16, vcc
	v_lshlrev_b32_e32 v15, 16, v2
	v_mov_b32_e32 v16, 0x3b800000
	v_lshlrev_b32_e32 v13, 20, v13
	v_and_b32_e32 v15, 0x80000000, v15
	v_lshl_add_u32 v14, v14, 23, v16
	v_or3_b32 v14, v15, v14, v13
.LBB2_6800:
	s_or_b64 exec, exec, s[6:7]
	s_nop 0
	v_mfma_f32_16x16x4f32 a[0:3], v12, v14, a[0:3]
	s_movk_i32 s4, 0xff
	v_and_b32_sdwa v13, v6, s4 dst_sel:DWORD dst_unused:UNUSED_PAD src0_sel:WORD_1 src1_sel:DWORD
	s_movk_i32 s4, 0x7f
	v_cmp_lt_i16_e32 vcc, s4, v13
	s_mov_b64 s[4:5], 0
                                        ; implicit-def: $sgpr10
	s_and_saveexec_b64 s[6:7], vcc
	s_xor_b64 s[6:7], exec, s[6:7]
	s_cbranch_execz .LBB2_6801
; %bb.42641:
	s_getpc_b64 s[14:15]
.Lpost_getpc24904:
	s_add_u32 s14, s14, (.LBB2_21137-.Lpost_getpc24904)&4294967295
	s_addc_u32 s15, s15, (.LBB2_21137-.Lpost_getpc24904)>>32
	s_setpc_b64 s[14:15]
.LBB2_6801:
	s_or_saveexec_b64 s[6:7], s[6:7]
	v_mov_b32_e32 v12, s10
	s_xor_b64 exec, exec, s[6:7]
	s_cbranch_execz .LBB2_6802
; %bb.42643:
	s_getpc_b64 s[14:15]
.Lpost_getpc24905:
	s_add_u32 s14, s14, (.LBB2_21140-.Lpost_getpc24905)&4294967295
	s_addc_u32 s15, s15, (.LBB2_21140-.Lpost_getpc24905)>>32
	s_setpc_b64 s[14:15]
.LBB2_6802:
	s_or_b64 exec, exec, s[6:7]
	s_and_saveexec_b64 s[6:7], s[4:5]
	s_cbranch_execz .LBB2_6804
.LBB2_6803:
	v_bfe_u32 v12, v6, 16, 3
	v_ffbh_u32_e32 v15, v12
	v_min_u32_e32 v15, 32, v15
	v_lshrrev_b32_e32 v13, 19, v6
	v_subrev_u32_e32 v16, 28, v15
	v_and_b32_e32 v13, 15, v13
	v_lshlrev_b32_sdwa v16, v16, v6 dst_sel:DWORD dst_unused:UNUSED_PAD src0_sel:DWORD src1_sel:WORD_1
	v_bfe_u32 v14, v6, 19, 4
	v_sub_u32_e32 v15, 29, v15
	v_and_b32_e32 v16, 7, v16
	v_cmp_eq_u16_e32 vcc, 0, v13
	v_cndmask_b32_e32 v12, v12, v16, vcc
	v_cndmask_b32_e32 v13, v14, v15, vcc
	v_lshlrev_b32_e32 v14, 8, v6
	v_mov_b32_e32 v15, 0x3b800000
	v_lshlrev_b32_e32 v12, 20, v12
	v_and_b32_e32 v14, 0x80000000, v14
	v_lshl_add_u32 v13, v13, 23, v15
	v_or3_b32 v12, v14, v13, v12
.LBB2_6804:
	s_or_b64 exec, exec, s[6:7]
	s_movk_i32 s4, 0xff
	v_and_b32_sdwa v13, v2, s4 dst_sel:DWORD dst_unused:UNUSED_PAD src0_sel:WORD_1 src1_sel:DWORD
	s_movk_i32 s4, 0x7f
	v_cmp_lt_i16_e32 vcc, s4, v13
	s_mov_b64 s[4:5], 0
                                        ; implicit-def: $sgpr10
	s_and_saveexec_b64 s[6:7], vcc
	s_xor_b64 s[6:7], exec, s[6:7]
	s_cbranch_execz .LBB2_6805
; %bb.42645:
	s_getpc_b64 s[14:15]
.Lpost_getpc24906:
	s_add_u32 s14, s14, (.LBB2_21141-.Lpost_getpc24906)&4294967295
	s_addc_u32 s15, s15, (.LBB2_21141-.Lpost_getpc24906)>>32
	s_setpc_b64 s[14:15]
.LBB2_6805:
	s_or_saveexec_b64 s[6:7], s[6:7]
	v_mov_b32_e32 v14, s10
	s_xor_b64 exec, exec, s[6:7]
	s_cbranch_execz .LBB2_6806
; %bb.42647:
	s_getpc_b64 s[14:15]
.Lpost_getpc24907:
	s_add_u32 s14, s14, (.LBB2_21144-.Lpost_getpc24907)&4294967295
	s_addc_u32 s15, s15, (.LBB2_21144-.Lpost_getpc24907)>>32
	s_setpc_b64 s[14:15]
.LBB2_6806:
	s_or_b64 exec, exec, s[6:7]
	s_and_saveexec_b64 s[6:7], s[4:5]
	s_cbranch_execz .LBB2_6808
.LBB2_6807:
	v_bfe_u32 v13, v2, 16, 3
	v_ffbh_u32_e32 v16, v13
	v_min_u32_e32 v16, 32, v16
	v_lshrrev_b32_e32 v14, 19, v2
	v_subrev_u32_e32 v17, 28, v16
	v_and_b32_e32 v14, 15, v14
	v_lshlrev_b32_sdwa v17, v17, v2 dst_sel:DWORD dst_unused:UNUSED_PAD src0_sel:DWORD src1_sel:WORD_1
	v_bfe_u32 v15, v2, 19, 4
	v_sub_u32_e32 v16, 29, v16
	v_and_b32_e32 v17, 7, v17
	v_cmp_eq_u16_e32 vcc, 0, v14
	v_cndmask_b32_e32 v13, v13, v17, vcc
	v_cndmask_b32_e32 v14, v15, v16, vcc
	v_lshlrev_b32_e32 v15, 8, v2
	v_mov_b32_e32 v16, 0x3b800000
	v_lshlrev_b32_e32 v13, 20, v13
	v_and_b32_e32 v15, 0x80000000, v15
	v_lshl_add_u32 v14, v14, 23, v16
	v_or3_b32 v14, v15, v14, v13
.LBB2_6808:
	s_or_b64 exec, exec, s[6:7]
	s_nop 0
	v_mfma_f32_16x16x4f32 a[0:3], v12, v14, a[0:3]
	s_movk_i32 s4, 0x7f
	v_cmp_gt_i16_sdwa s[6:7], v6, s4 src0_sel:BYTE_3 src1_sel:DWORD
	s_mov_b64 s[4:5], 0
                                        ; implicit-def: $sgpr10
	s_and_saveexec_b64 s[8:9], s[6:7]
	s_xor_b64 s[6:7], exec, s[8:9]
	s_cbranch_execz .LBB2_6809
; %bb.42649:
	s_getpc_b64 s[14:15]
.Lpost_getpc24908:
	s_add_u32 s14, s14, (.LBB2_21145-.Lpost_getpc24908)&4294967295
	s_addc_u32 s15, s15, (.LBB2_21145-.Lpost_getpc24908)>>32
	s_setpc_b64 s[14:15]
.LBB2_6809:
	s_or_saveexec_b64 s[6:7], s[6:7]
	v_mov_b32_e32 v12, s10
	s_xor_b64 exec, exec, s[6:7]
	s_cbranch_execz .LBB2_6810
; %bb.42651:
	s_getpc_b64 s[14:15]
.Lpost_getpc24909:
	s_add_u32 s14, s14, (.LBB2_21148-.Lpost_getpc24909)&4294967295
	s_addc_u32 s15, s15, (.LBB2_21148-.Lpost_getpc24909)>>32
	s_setpc_b64 s[14:15]
.LBB2_6810:
	s_or_b64 exec, exec, s[6:7]
	s_and_saveexec_b64 s[6:7], s[4:5]
	s_cbranch_execz .LBB2_6812
.LBB2_6811:
	v_bfe_u32 v12, v6, 24, 3
	v_ffbh_u32_e32 v16, v12
	v_min_u32_e32 v16, 32, v16
	v_lshrrev_b32_e32 v14, 27, v6
	v_subrev_u32_e32 v17, 28, v16
	v_and_b32_e32 v13, 0x80000000, v6
	v_and_b32_e32 v14, 15, v14
	v_bfe_u32 v15, v6, 27, 4
	v_lshlrev_b32_sdwa v6, v17, v6 dst_sel:DWORD dst_unused:UNUSED_PAD src0_sel:DWORD src1_sel:BYTE_3
	v_sub_u32_e32 v16, 29, v16
	v_and_b32_e32 v6, 7, v6
	v_cmp_eq_u16_e32 vcc, 0, v14
	v_cndmask_b32_e32 v6, v12, v6, vcc
	v_cndmask_b32_e32 v12, v15, v16, vcc
	v_mov_b32_e32 v14, 0x3b800000
	v_lshlrev_b32_e32 v6, 20, v6
	v_lshl_add_u32 v12, v12, 23, v14
	v_or3_b32 v12, v13, v12, v6
.LBB2_6812:
	s_or_b64 exec, exec, s[6:7]
	s_movk_i32 s4, 0x7f
	v_cmp_gt_i16_sdwa s[6:7], v2, s4 src0_sel:BYTE_3 src1_sel:DWORD
	s_mov_b64 s[4:5], 0
                                        ; implicit-def: $sgpr10
	s_and_saveexec_b64 s[8:9], s[6:7]
	s_xor_b64 s[6:7], exec, s[8:9]
	s_cbranch_execz .LBB2_6813
; %bb.42653:
	s_getpc_b64 s[14:15]
.Lpost_getpc24910:
	s_add_u32 s14, s14, (.LBB2_21149-.Lpost_getpc24910)&4294967295
	s_addc_u32 s15, s15, (.LBB2_21149-.Lpost_getpc24910)>>32
	s_setpc_b64 s[14:15]
.LBB2_6813:
	s_or_saveexec_b64 s[6:7], s[6:7]
	v_mov_b32_e32 v6, s10
	s_xor_b64 exec, exec, s[6:7]
	s_cbranch_execz .LBB2_6814
; %bb.42655:
	s_getpc_b64 s[14:15]
.Lpost_getpc24911:
	s_add_u32 s14, s14, (.LBB2_21152-.Lpost_getpc24911)&4294967295
	s_addc_u32 s15, s15, (.LBB2_21152-.Lpost_getpc24911)>>32
	s_setpc_b64 s[14:15]
.LBB2_6814:
	s_or_b64 exec, exec, s[6:7]
	s_and_saveexec_b64 s[6:7], s[4:5]
	s_cbranch_execz .LBB2_6816
.LBB2_6815:
	v_bfe_u32 v6, v2, 24, 3
	v_ffbh_u32_e32 v16, v6
	v_min_u32_e32 v16, 32, v16
	v_lshrrev_b32_e32 v14, 27, v2
	v_subrev_u32_e32 v17, 28, v16
	v_and_b32_e32 v13, 0x80000000, v2
	v_and_b32_e32 v14, 15, v14
	v_bfe_u32 v15, v2, 27, 4
	v_lshlrev_b32_sdwa v2, v17, v2 dst_sel:DWORD dst_unused:UNUSED_PAD src0_sel:DWORD src1_sel:BYTE_3
	v_sub_u32_e32 v16, 29, v16
	v_and_b32_e32 v2, 7, v2
	v_cmp_eq_u16_e32 vcc, 0, v14
	v_cndmask_b32_e32 v2, v6, v2, vcc
	v_cndmask_b32_e32 v6, v15, v16, vcc
	v_mov_b32_e32 v14, 0x3b800000
	v_lshlrev_b32_e32 v2, 20, v2
	v_lshl_add_u32 v6, v6, 23, v14
	v_or3_b32 v6, v13, v6, v2
.LBB2_6816:
	s_or_b64 exec, exec, s[6:7]
	s_nop 0
	v_mfma_f32_16x16x4f32 a[0:3], v12, v6, a[0:3]
	s_movk_i32 s4, 0x7f
	v_cmp_gt_i16_sdwa s[6:7], v7, s4 src0_sel:BYTE_0 src1_sel:DWORD
	s_mov_b64 s[4:5], 0
                                        ; implicit-def: $sgpr10
	s_and_saveexec_b64 s[8:9], s[6:7]
	s_xor_b64 s[6:7], exec, s[8:9]
	s_cbranch_execz .LBB2_6817
; %bb.42657:
	s_getpc_b64 s[14:15]
.Lpost_getpc24912:
	s_add_u32 s14, s14, (.LBB2_21153-.Lpost_getpc24912)&4294967295
	s_addc_u32 s15, s15, (.LBB2_21153-.Lpost_getpc24912)>>32
	s_setpc_b64 s[14:15]
.LBB2_6817:
	s_or_saveexec_b64 s[6:7], s[6:7]
	v_mov_b32_e32 v2, s10
	s_xor_b64 exec, exec, s[6:7]
	s_cbranch_execz .LBB2_6818
; %bb.42659:
	s_getpc_b64 s[14:15]
.Lpost_getpc24913:
	s_add_u32 s14, s14, (.LBB2_21156-.Lpost_getpc24913)&4294967295
	s_addc_u32 s15, s15, (.LBB2_21156-.Lpost_getpc24913)>>32
	s_setpc_b64 s[14:15]
.LBB2_6818:
	s_or_b64 exec, exec, s[6:7]
	s_and_saveexec_b64 s[6:7], s[4:5]
	s_cbranch_execz .LBB2_6820
.LBB2_6819:
	v_and_b32_e32 v2, 7, v7
	v_ffbh_u32_e32 v12, v2
	v_min_u32_e32 v12, 32, v12
	v_lshrrev_b16_e32 v6, 3, v7
	v_subrev_u32_e32 v13, 28, v12
	v_and_b32_e32 v6, 15, v6
	v_lshlrev_b32_e32 v13, v13, v7
	v_sub_u32_e32 v12, 29, v12
	v_and_b32_e32 v13, 7, v13
	v_cmp_eq_u16_e32 vcc, 0, v6
	v_cndmask_b32_e32 v2, v2, v13, vcc
	v_cndmask_b32_e32 v6, v6, v12, vcc
	v_lshlrev_b32_e32 v12, 24, v7
	v_mov_b32_e32 v13, 0x3b800000
	v_lshlrev_b32_e32 v2, 20, v2
	v_and_b32_e32 v12, 0x80000000, v12
	v_lshl_add_u32 v6, v6, 23, v13
	v_or3_b32 v2, v12, v6, v2
.LBB2_6820:
	s_or_b64 exec, exec, s[6:7]
	s_movk_i32 s4, 0x7f
	v_cmp_gt_i16_sdwa s[6:7], v3, s4 src0_sel:BYTE_0 src1_sel:DWORD
	s_mov_b64 s[4:5], 0
                                        ; implicit-def: $sgpr10
	s_and_saveexec_b64 s[8:9], s[6:7]
	s_xor_b64 s[6:7], exec, s[8:9]
	s_cbranch_execz .LBB2_6821
; %bb.42661:
	s_getpc_b64 s[14:15]
.Lpost_getpc24914:
	s_add_u32 s14, s14, (.LBB2_21157-.Lpost_getpc24914)&4294967295
	s_addc_u32 s15, s15, (.LBB2_21157-.Lpost_getpc24914)>>32
	s_setpc_b64 s[14:15]
.LBB2_6821:
	s_or_saveexec_b64 s[6:7], s[6:7]
	v_mov_b32_e32 v6, s10
	s_xor_b64 exec, exec, s[6:7]
	s_cbranch_execz .LBB2_6822
; %bb.42663:
	s_getpc_b64 s[14:15]
.Lpost_getpc24915:
	s_add_u32 s14, s14, (.LBB2_21160-.Lpost_getpc24915)&4294967295
	s_addc_u32 s15, s15, (.LBB2_21160-.Lpost_getpc24915)>>32
	s_setpc_b64 s[14:15]
.LBB2_6822:
	s_or_b64 exec, exec, s[6:7]
	s_and_saveexec_b64 s[6:7], s[4:5]
	s_cbranch_execz .LBB2_6824
.LBB2_6823:
	v_and_b32_e32 v6, 7, v3
	v_ffbh_u32_e32 v13, v6
	v_min_u32_e32 v13, 32, v13
	v_lshrrev_b16_e32 v12, 3, v3
	v_subrev_u32_e32 v14, 28, v13
	v_and_b32_e32 v12, 15, v12
	v_lshlrev_b32_e32 v14, v14, v3
	v_sub_u32_e32 v13, 29, v13
	v_and_b32_e32 v14, 7, v14
	v_cmp_eq_u16_e32 vcc, 0, v12
	v_cndmask_b32_e32 v6, v6, v14, vcc
	v_cndmask_b32_e32 v12, v12, v13, vcc
	v_lshlrev_b32_e32 v13, 24, v3
	v_mov_b32_e32 v14, 0x3b800000
	v_lshlrev_b32_e32 v6, 20, v6
	v_and_b32_e32 v13, 0x80000000, v13
	v_lshl_add_u32 v12, v12, 23, v14
	v_or3_b32 v6, v13, v12, v6
.LBB2_6824:
	s_or_b64 exec, exec, s[6:7]
	s_nop 0
	v_mfma_f32_16x16x4f32 a[0:3], v2, v6, a[0:3]
	v_lshrrev_b32_e32 v6, 8, v7
	s_movk_i32 s4, 0x7f
	v_cmp_gt_i16_sdwa s[6:7], v6, s4 src0_sel:BYTE_0 src1_sel:DWORD
	s_mov_b64 s[4:5], 0
                                        ; implicit-def: $sgpr10
	s_and_saveexec_b64 s[8:9], s[6:7]
	s_xor_b64 s[6:7], exec, s[8:9]
	s_cbranch_execz .LBB2_6825
; %bb.42665:
	s_getpc_b64 s[14:15]
.Lpost_getpc24916:
	s_add_u32 s14, s14, (.LBB2_21161-.Lpost_getpc24916)&4294967295
	s_addc_u32 s15, s15, (.LBB2_21161-.Lpost_getpc24916)>>32
	s_setpc_b64 s[14:15]
.LBB2_6825:
	s_or_saveexec_b64 s[6:7], s[6:7]
	v_mov_b32_e32 v2, s10
	s_xor_b64 exec, exec, s[6:7]
	s_cbranch_execz .LBB2_6826
; %bb.42667:
	s_getpc_b64 s[14:15]
.Lpost_getpc24917:
	s_add_u32 s14, s14, (.LBB2_21164-.Lpost_getpc24917)&4294967295
	s_addc_u32 s15, s15, (.LBB2_21164-.Lpost_getpc24917)>>32
	s_setpc_b64 s[14:15]
.LBB2_6826:
	s_or_b64 exec, exec, s[6:7]
	s_and_saveexec_b64 s[6:7], s[4:5]
	s_cbranch_execz .LBB2_6828
.LBB2_6827:
	v_bfe_u32 v2, v7, 8, 3
	v_ffbh_u32_e32 v13, v2
	v_min_u32_e32 v13, 32, v13
	v_lshrrev_b16_e32 v12, 3, v6
	v_subrev_u32_e32 v14, 28, v13
	v_and_b32_e32 v12, 15, v12
	v_lshlrev_b32_e32 v6, v14, v6
	v_sub_u32_e32 v13, 29, v13
	v_and_b32_e32 v6, 7, v6
	v_cmp_eq_u16_e32 vcc, 0, v12
	v_cndmask_b32_e32 v2, v2, v6, vcc
	v_cndmask_b32_e32 v6, v12, v13, vcc
	v_lshlrev_b32_e32 v12, 16, v7
	v_mov_b32_e32 v13, 0x3b800000
	v_lshlrev_b32_e32 v2, 20, v2
	v_and_b32_e32 v12, 0x80000000, v12
	v_lshl_add_u32 v6, v6, 23, v13
	v_or3_b32 v2, v12, v6, v2
.LBB2_6828:
	s_or_b64 exec, exec, s[6:7]
	v_lshrrev_b32_e32 v6, 8, v3
	s_movk_i32 s4, 0x7f
	v_cmp_gt_i16_sdwa s[6:7], v6, s4 src0_sel:BYTE_0 src1_sel:DWORD
	s_mov_b64 s[4:5], 0
                                        ; implicit-def: $sgpr10
	s_and_saveexec_b64 s[8:9], s[6:7]
	s_xor_b64 s[6:7], exec, s[8:9]
	s_cbranch_execz .LBB2_6829
; %bb.42669:
	s_getpc_b64 s[14:15]
.Lpost_getpc24918:
	s_add_u32 s14, s14, (.LBB2_21165-.Lpost_getpc24918)&4294967295
	s_addc_u32 s15, s15, (.LBB2_21165-.Lpost_getpc24918)>>32
	s_setpc_b64 s[14:15]
.LBB2_6829:
	s_or_saveexec_b64 s[6:7], s[6:7]
	v_mov_b32_e32 v12, s10
	s_xor_b64 exec, exec, s[6:7]
	s_cbranch_execz .LBB2_6830
; %bb.42671:
	s_getpc_b64 s[14:15]
.Lpost_getpc24919:
	s_add_u32 s14, s14, (.LBB2_21168-.Lpost_getpc24919)&4294967295
	s_addc_u32 s15, s15, (.LBB2_21168-.Lpost_getpc24919)>>32
	s_setpc_b64 s[14:15]
.LBB2_6830:
	s_or_b64 exec, exec, s[6:7]
	s_and_saveexec_b64 s[6:7], s[4:5]
	s_cbranch_execz .LBB2_6832
.LBB2_6831:
	v_bfe_u32 v12, v3, 8, 3
	v_ffbh_u32_e32 v14, v12
	v_min_u32_e32 v14, 32, v14
	v_lshrrev_b16_e32 v13, 3, v6
	v_subrev_u32_e32 v15, 28, v14
	v_and_b32_e32 v13, 15, v13
	v_lshlrev_b32_e32 v6, v15, v6
	v_sub_u32_e32 v14, 29, v14
	v_and_b32_e32 v6, 7, v6
	v_cmp_eq_u16_e32 vcc, 0, v13
	v_cndmask_b32_e32 v6, v12, v6, vcc
	v_cndmask_b32_e32 v12, v13, v14, vcc
	v_lshlrev_b32_e32 v13, 16, v3
	v_mov_b32_e32 v14, 0x3b800000
	v_lshlrev_b32_e32 v6, 20, v6
	v_and_b32_e32 v13, 0x80000000, v13
	v_lshl_add_u32 v12, v12, 23, v14
	v_or3_b32 v12, v13, v12, v6
.LBB2_6832:
	s_or_b64 exec, exec, s[6:7]
	s_nop 0
	v_mfma_f32_16x16x4f32 a[0:3], v2, v12, a[0:3]
	s_movk_i32 s4, 0xff
	v_and_b32_sdwa v6, v7, s4 dst_sel:DWORD dst_unused:UNUSED_PAD src0_sel:WORD_1 src1_sel:DWORD
	s_movk_i32 s4, 0x7f
	v_cmp_lt_i16_e32 vcc, s4, v6
	s_mov_b64 s[4:5], 0
                                        ; implicit-def: $sgpr10
	s_and_saveexec_b64 s[6:7], vcc
	s_xor_b64 s[6:7], exec, s[6:7]
	s_cbranch_execz .LBB2_6833
; %bb.42673:
	s_getpc_b64 s[14:15]
.Lpost_getpc24920:
	s_add_u32 s14, s14, (.LBB2_21169-.Lpost_getpc24920)&4294967295
	s_addc_u32 s15, s15, (.LBB2_21169-.Lpost_getpc24920)>>32
	s_setpc_b64 s[14:15]
.LBB2_6833:
	s_or_saveexec_b64 s[6:7], s[6:7]
	v_mov_b32_e32 v2, s10
	s_xor_b64 exec, exec, s[6:7]
	s_cbranch_execz .LBB2_6834
; %bb.42675:
	s_getpc_b64 s[14:15]
.Lpost_getpc24921:
	s_add_u32 s14, s14, (.LBB2_21172-.Lpost_getpc24921)&4294967295
	s_addc_u32 s15, s15, (.LBB2_21172-.Lpost_getpc24921)>>32
	s_setpc_b64 s[14:15]
.LBB2_6834:
	s_or_b64 exec, exec, s[6:7]
	s_and_saveexec_b64 s[6:7], s[4:5]
	s_cbranch_execz .LBB2_6836
.LBB2_6835:
	v_bfe_u32 v2, v7, 16, 3
	v_ffbh_u32_e32 v13, v2
	v_min_u32_e32 v13, 32, v13
	v_lshrrev_b32_e32 v6, 19, v7
	v_subrev_u32_e32 v14, 28, v13
	v_and_b32_e32 v6, 15, v6
	v_lshlrev_b32_sdwa v14, v14, v7 dst_sel:DWORD dst_unused:UNUSED_PAD src0_sel:DWORD src1_sel:WORD_1
	v_bfe_u32 v12, v7, 19, 4
	v_sub_u32_e32 v13, 29, v13
	v_and_b32_e32 v14, 7, v14
	v_cmp_eq_u16_e32 vcc, 0, v6
	v_cndmask_b32_e32 v2, v2, v14, vcc
	v_cndmask_b32_e32 v6, v12, v13, vcc
	v_lshlrev_b32_e32 v12, 8, v7
	v_mov_b32_e32 v13, 0x3b800000
	v_lshlrev_b32_e32 v2, 20, v2
	v_and_b32_e32 v12, 0x80000000, v12
	v_lshl_add_u32 v6, v6, 23, v13
	v_or3_b32 v2, v12, v6, v2
.LBB2_6836:
	s_or_b64 exec, exec, s[6:7]
	s_movk_i32 s4, 0xff
	v_and_b32_sdwa v6, v3, s4 dst_sel:DWORD dst_unused:UNUSED_PAD src0_sel:WORD_1 src1_sel:DWORD
	s_movk_i32 s4, 0x7f
	v_cmp_lt_i16_e32 vcc, s4, v6
	s_mov_b64 s[4:5], 0
                                        ; implicit-def: $sgpr10
	s_and_saveexec_b64 s[6:7], vcc
	s_xor_b64 s[6:7], exec, s[6:7]
	s_cbranch_execz .LBB2_6837
; %bb.42677:
	s_getpc_b64 s[14:15]
.Lpost_getpc24922:
	s_add_u32 s14, s14, (.LBB2_21173-.Lpost_getpc24922)&4294967295
	s_addc_u32 s15, s15, (.LBB2_21173-.Lpost_getpc24922)>>32
	s_setpc_b64 s[14:15]
.LBB2_6837:
	s_or_saveexec_b64 s[6:7], s[6:7]
	v_mov_b32_e32 v12, s10
	s_xor_b64 exec, exec, s[6:7]
	s_cbranch_execz .LBB2_6838
; %bb.42679:
	s_getpc_b64 s[14:15]
.Lpost_getpc24923:
	s_add_u32 s14, s14, (.LBB2_21176-.Lpost_getpc24923)&4294967295
	s_addc_u32 s15, s15, (.LBB2_21176-.Lpost_getpc24923)>>32
	s_setpc_b64 s[14:15]
.LBB2_6838:
	s_or_b64 exec, exec, s[6:7]
	s_and_saveexec_b64 s[6:7], s[4:5]
	s_cbranch_execz .LBB2_6840
.LBB2_6839:
	v_bfe_u32 v6, v3, 16, 3
	v_ffbh_u32_e32 v14, v6
	v_min_u32_e32 v14, 32, v14
	v_lshrrev_b32_e32 v12, 19, v3
	v_subrev_u32_e32 v15, 28, v14
	v_and_b32_e32 v12, 15, v12
	v_lshlrev_b32_sdwa v15, v15, v3 dst_sel:DWORD dst_unused:UNUSED_PAD src0_sel:DWORD src1_sel:WORD_1
	v_bfe_u32 v13, v3, 19, 4
	v_sub_u32_e32 v14, 29, v14
	v_and_b32_e32 v15, 7, v15
	v_cmp_eq_u16_e32 vcc, 0, v12
	v_cndmask_b32_e32 v6, v6, v15, vcc
	v_cndmask_b32_e32 v12, v13, v14, vcc
	v_lshlrev_b32_e32 v13, 8, v3
	v_mov_b32_e32 v14, 0x3b800000
	v_lshlrev_b32_e32 v6, 20, v6
	v_and_b32_e32 v13, 0x80000000, v13
	v_lshl_add_u32 v12, v12, 23, v14
	v_or3_b32 v12, v13, v12, v6
.LBB2_6840:
	s_or_b64 exec, exec, s[6:7]
	s_nop 0
	v_mfma_f32_16x16x4f32 a[0:3], v2, v12, a[0:3]
	s_movk_i32 s4, 0x7f
	v_cmp_gt_i16_sdwa s[6:7], v7, s4 src0_sel:BYTE_3 src1_sel:DWORD
	s_mov_b64 s[4:5], 0
                                        ; implicit-def: $sgpr10
	s_and_saveexec_b64 s[8:9], s[6:7]
	s_xor_b64 s[6:7], exec, s[8:9]
	s_cbranch_execz .LBB2_6841
; %bb.42681:
	s_getpc_b64 s[14:15]
.Lpost_getpc24924:
	s_add_u32 s14, s14, (.LBB2_21177-.Lpost_getpc24924)&4294967295
	s_addc_u32 s15, s15, (.LBB2_21177-.Lpost_getpc24924)>>32
	s_setpc_b64 s[14:15]
.LBB2_6841:
	s_or_saveexec_b64 s[6:7], s[6:7]
	v_mov_b32_e32 v2, s10
	s_xor_b64 exec, exec, s[6:7]
	s_cbranch_execz .LBB2_6842
; %bb.42683:
	s_getpc_b64 s[14:15]
.Lpost_getpc24925:
	s_add_u32 s14, s14, (.LBB2_21180-.Lpost_getpc24925)&4294967295
	s_addc_u32 s15, s15, (.LBB2_21180-.Lpost_getpc24925)>>32
	s_setpc_b64 s[14:15]
.LBB2_6842:
	s_or_b64 exec, exec, s[6:7]
	s_and_saveexec_b64 s[6:7], s[4:5]
	s_cbranch_execz .LBB2_6844
.LBB2_6843:
	v_bfe_u32 v2, v7, 24, 3
	v_ffbh_u32_e32 v14, v2
	v_min_u32_e32 v14, 32, v14
	v_lshrrev_b32_e32 v12, 27, v7
	v_subrev_u32_e32 v15, 28, v14
	v_and_b32_e32 v6, 0x80000000, v7
	v_and_b32_e32 v12, 15, v12
	v_bfe_u32 v13, v7, 27, 4
	v_lshlrev_b32_sdwa v7, v15, v7 dst_sel:DWORD dst_unused:UNUSED_PAD src0_sel:DWORD src1_sel:BYTE_3
	v_sub_u32_e32 v14, 29, v14
	v_and_b32_e32 v7, 7, v7
	v_cmp_eq_u16_e32 vcc, 0, v12
	v_cndmask_b32_e32 v2, v2, v7, vcc
	v_cndmask_b32_e32 v7, v13, v14, vcc
	v_mov_b32_e32 v12, 0x3b800000
	v_lshlrev_b32_e32 v2, 20, v2
	v_lshl_add_u32 v7, v7, 23, v12
	v_or3_b32 v2, v6, v7, v2
.LBB2_6844:
	s_or_b64 exec, exec, s[6:7]
	s_movk_i32 s4, 0x7f
	v_cmp_gt_i16_sdwa s[6:7], v3, s4 src0_sel:BYTE_3 src1_sel:DWORD
	s_mov_b64 s[4:5], 0
                                        ; implicit-def: $sgpr10
	s_and_saveexec_b64 s[8:9], s[6:7]
	s_xor_b64 s[6:7], exec, s[8:9]
	s_cbranch_execz .LBB2_6845
; %bb.42685:
	s_getpc_b64 s[14:15]
.Lpost_getpc24926:
	s_add_u32 s14, s14, (.LBB2_21181-.Lpost_getpc24926)&4294967295
	s_addc_u32 s15, s15, (.LBB2_21181-.Lpost_getpc24926)>>32
	s_setpc_b64 s[14:15]
.LBB2_6845:
	s_or_saveexec_b64 s[6:7], s[6:7]
	v_mov_b32_e32 v6, s10
	s_xor_b64 exec, exec, s[6:7]
	s_cbranch_execz .LBB2_6846
; %bb.42687:
	s_getpc_b64 s[14:15]
.Lpost_getpc24927:
	s_add_u32 s14, s14, (.LBB2_21184-.Lpost_getpc24927)&4294967295
	s_addc_u32 s15, s15, (.LBB2_21184-.Lpost_getpc24927)>>32
	s_setpc_b64 s[14:15]
.LBB2_6846:
	s_or_b64 exec, exec, s[6:7]
	s_and_saveexec_b64 s[6:7], s[4:5]
	s_cbranch_execz .LBB2_6848
.LBB2_6847:
	v_bfe_u32 v6, v3, 24, 3
	v_ffbh_u32_e32 v14, v6
	v_min_u32_e32 v14, 32, v14
	v_lshrrev_b32_e32 v12, 27, v3
	v_subrev_u32_e32 v15, 28, v14
	v_and_b32_e32 v7, 0x80000000, v3
	v_and_b32_e32 v12, 15, v12
	v_bfe_u32 v13, v3, 27, 4
	v_lshlrev_b32_sdwa v3, v15, v3 dst_sel:DWORD dst_unused:UNUSED_PAD src0_sel:DWORD src1_sel:BYTE_3
	v_sub_u32_e32 v14, 29, v14
	v_and_b32_e32 v3, 7, v3
	v_cmp_eq_u16_e32 vcc, 0, v12
	v_cndmask_b32_e32 v3, v6, v3, vcc
	v_cndmask_b32_e32 v6, v13, v14, vcc
	v_mov_b32_e32 v12, 0x3b800000
	v_lshlrev_b32_e32 v3, 20, v3
	v_lshl_add_u32 v6, v6, 23, v12
	v_or3_b32 v6, v7, v6, v3
.LBB2_6848:
	s_or_b64 exec, exec, s[6:7]
	s_nop 0
	v_mfma_f32_16x16x4f32 a[0:3], v2, v6, a[0:3]
	s_movk_i32 s4, 0x7f
	v_cmp_gt_i16_sdwa s[6:7], v8, s4 src0_sel:BYTE_0 src1_sel:DWORD
	s_mov_b64 s[4:5], 0
                                        ; implicit-def: $sgpr10
	s_and_saveexec_b64 s[8:9], s[6:7]
	s_xor_b64 s[6:7], exec, s[8:9]
	s_cbranch_execz .LBB2_6849
; %bb.42689:
	s_getpc_b64 s[14:15]
.Lpost_getpc24928:
	s_add_u32 s14, s14, (.LBB2_21185-.Lpost_getpc24928)&4294967295
	s_addc_u32 s15, s15, (.LBB2_21185-.Lpost_getpc24928)>>32
	s_setpc_b64 s[14:15]
.LBB2_6849:
	s_or_saveexec_b64 s[6:7], s[6:7]
	v_mov_b32_e32 v2, s10
	s_xor_b64 exec, exec, s[6:7]
	s_cbranch_execz .LBB2_6850
; %bb.42691:
	s_getpc_b64 s[14:15]
.Lpost_getpc24929:
	s_add_u32 s14, s14, (.LBB2_21188-.Lpost_getpc24929)&4294967295
	s_addc_u32 s15, s15, (.LBB2_21188-.Lpost_getpc24929)>>32
	s_setpc_b64 s[14:15]
.LBB2_6850:
	s_or_b64 exec, exec, s[6:7]
	s_and_saveexec_b64 s[6:7], s[4:5]
	s_cbranch_execz .LBB2_6852
.LBB2_6851:
	v_and_b32_e32 v2, 7, v8
	v_ffbh_u32_e32 v6, v2
	v_min_u32_e32 v6, 32, v6
	v_lshrrev_b16_e32 v3, 3, v8
	v_subrev_u32_e32 v7, 28, v6
	v_and_b32_e32 v3, 15, v3
	v_lshlrev_b32_e32 v7, v7, v8
	v_sub_u32_e32 v6, 29, v6
	v_and_b32_e32 v7, 7, v7
	v_cmp_eq_u16_e32 vcc, 0, v3
	v_cndmask_b32_e32 v2, v2, v7, vcc
	v_cndmask_b32_e32 v3, v3, v6, vcc
	v_lshlrev_b32_e32 v6, 24, v8
	v_mov_b32_e32 v7, 0x3b800000
	v_lshlrev_b32_e32 v2, 20, v2
	v_and_b32_e32 v6, 0x80000000, v6
	v_lshl_add_u32 v3, v3, 23, v7
	v_or3_b32 v2, v6, v3, v2
.LBB2_6852:
	s_or_b64 exec, exec, s[6:7]
	s_movk_i32 s4, 0x7f
	v_cmp_gt_i16_sdwa s[6:7], v4, s4 src0_sel:BYTE_0 src1_sel:DWORD
	s_mov_b64 s[4:5], 0
                                        ; implicit-def: $sgpr10
	s_and_saveexec_b64 s[8:9], s[6:7]
	s_xor_b64 s[6:7], exec, s[8:9]
	s_cbranch_execz .LBB2_6853
; %bb.42693:
	s_getpc_b64 s[14:15]
.Lpost_getpc24930:
	s_add_u32 s14, s14, (.LBB2_21189-.Lpost_getpc24930)&4294967295
	s_addc_u32 s15, s15, (.LBB2_21189-.Lpost_getpc24930)>>32
	s_setpc_b64 s[14:15]
.LBB2_6853:
	s_or_saveexec_b64 s[6:7], s[6:7]
	v_mov_b32_e32 v3, s10
	s_xor_b64 exec, exec, s[6:7]
	s_cbranch_execz .LBB2_6854
; %bb.42695:
	s_getpc_b64 s[14:15]
.Lpost_getpc24931:
	s_add_u32 s14, s14, (.LBB2_21192-.Lpost_getpc24931)&4294967295
	s_addc_u32 s15, s15, (.LBB2_21192-.Lpost_getpc24931)>>32
	s_setpc_b64 s[14:15]
.LBB2_6854:
	s_or_b64 exec, exec, s[6:7]
	s_and_saveexec_b64 s[6:7], s[4:5]
	s_cbranch_execz .LBB2_6856
.LBB2_6855:
	v_and_b32_e32 v3, 7, v4
	v_ffbh_u32_e32 v7, v3
	v_min_u32_e32 v7, 32, v7
	v_lshrrev_b16_e32 v6, 3, v4
	v_subrev_u32_e32 v12, 28, v7
	v_and_b32_e32 v6, 15, v6
	v_lshlrev_b32_e32 v12, v12, v4
	v_sub_u32_e32 v7, 29, v7
	v_and_b32_e32 v12, 7, v12
	v_cmp_eq_u16_e32 vcc, 0, v6
	v_cndmask_b32_e32 v3, v3, v12, vcc
	v_cndmask_b32_e32 v6, v6, v7, vcc
	v_lshlrev_b32_e32 v7, 24, v4
	v_mov_b32_e32 v12, 0x3b800000
	v_lshlrev_b32_e32 v3, 20, v3
	v_and_b32_e32 v7, 0x80000000, v7
	v_lshl_add_u32 v6, v6, 23, v12
	v_or3_b32 v3, v7, v6, v3
.LBB2_6856:
	s_or_b64 exec, exec, s[6:7]
	s_nop 0
	v_mfma_f32_16x16x4f32 a[0:3], v2, v3, a[0:3]
	v_lshrrev_b32_e32 v3, 8, v8
	s_movk_i32 s4, 0x7f
	v_cmp_gt_i16_sdwa s[6:7], v3, s4 src0_sel:BYTE_0 src1_sel:DWORD
	s_mov_b64 s[4:5], 0
                                        ; implicit-def: $sgpr10
	s_and_saveexec_b64 s[8:9], s[6:7]
	s_xor_b64 s[6:7], exec, s[8:9]
	s_cbranch_execz .LBB2_6857
; %bb.42697:
	s_getpc_b64 s[14:15]
.Lpost_getpc24932:
	s_add_u32 s14, s14, (.LBB2_21193-.Lpost_getpc24932)&4294967295
	s_addc_u32 s15, s15, (.LBB2_21193-.Lpost_getpc24932)>>32
	s_setpc_b64 s[14:15]
.LBB2_6857:
	s_or_saveexec_b64 s[6:7], s[6:7]
	v_mov_b32_e32 v2, s10
	s_xor_b64 exec, exec, s[6:7]
	s_cbranch_execz .LBB2_6858
; %bb.42699:
	s_getpc_b64 s[14:15]
.Lpost_getpc24933:
	s_add_u32 s14, s14, (.LBB2_21196-.Lpost_getpc24933)&4294967295
	s_addc_u32 s15, s15, (.LBB2_21196-.Lpost_getpc24933)>>32
	s_setpc_b64 s[14:15]
.LBB2_6858:
	s_or_b64 exec, exec, s[6:7]
	s_and_saveexec_b64 s[6:7], s[4:5]
	s_cbranch_execz .LBB2_6860
.LBB2_6859:
	v_bfe_u32 v2, v8, 8, 3
	v_ffbh_u32_e32 v7, v2
	v_min_u32_e32 v7, 32, v7
	v_lshrrev_b16_e32 v6, 3, v3
	v_subrev_u32_e32 v12, 28, v7
	v_and_b32_e32 v6, 15, v6
	v_lshlrev_b32_e32 v3, v12, v3
	v_sub_u32_e32 v7, 29, v7
	v_and_b32_e32 v3, 7, v3
	v_cmp_eq_u16_e32 vcc, 0, v6
	v_cndmask_b32_e32 v2, v2, v3, vcc
	v_cndmask_b32_e32 v3, v6, v7, vcc
	v_lshlrev_b32_e32 v6, 16, v8
	v_mov_b32_e32 v7, 0x3b800000
	v_lshlrev_b32_e32 v2, 20, v2
	v_and_b32_e32 v6, 0x80000000, v6
	v_lshl_add_u32 v3, v3, 23, v7
	v_or3_b32 v2, v6, v3, v2
.LBB2_6860:
	s_or_b64 exec, exec, s[6:7]
	v_lshrrev_b32_e32 v3, 8, v4
	s_movk_i32 s4, 0x7f
	v_cmp_gt_i16_sdwa s[6:7], v3, s4 src0_sel:BYTE_0 src1_sel:DWORD
	s_mov_b64 s[4:5], 0
                                        ; implicit-def: $sgpr10
	s_and_saveexec_b64 s[8:9], s[6:7]
	s_xor_b64 s[6:7], exec, s[8:9]
	s_cbranch_execz .LBB2_6861
; %bb.42701:
	s_getpc_b64 s[14:15]
.Lpost_getpc24934:
	s_add_u32 s14, s14, (.LBB2_21197-.Lpost_getpc24934)&4294967295
	s_addc_u32 s15, s15, (.LBB2_21197-.Lpost_getpc24934)>>32
	s_setpc_b64 s[14:15]
.LBB2_6861:
	s_or_saveexec_b64 s[6:7], s[6:7]
	v_mov_b32_e32 v6, s10
	s_xor_b64 exec, exec, s[6:7]
	s_cbranch_execz .LBB2_6862
; %bb.42703:
	s_getpc_b64 s[14:15]
.Lpost_getpc24935:
	s_add_u32 s14, s14, (.LBB2_21200-.Lpost_getpc24935)&4294967295
	s_addc_u32 s15, s15, (.LBB2_21200-.Lpost_getpc24935)>>32
	s_setpc_b64 s[14:15]
.LBB2_6862:
	s_or_b64 exec, exec, s[6:7]
	s_and_saveexec_b64 s[6:7], s[4:5]
	s_cbranch_execz .LBB2_6864
.LBB2_6863:
	v_bfe_u32 v6, v4, 8, 3
	v_ffbh_u32_e32 v12, v6
	v_min_u32_e32 v12, 32, v12
	v_lshrrev_b16_e32 v7, 3, v3
	v_subrev_u32_e32 v13, 28, v12
	v_and_b32_e32 v7, 15, v7
	v_lshlrev_b32_e32 v3, v13, v3
	v_sub_u32_e32 v12, 29, v12
	v_and_b32_e32 v3, 7, v3
	v_cmp_eq_u16_e32 vcc, 0, v7
	v_cndmask_b32_e32 v3, v6, v3, vcc
	v_cndmask_b32_e32 v6, v7, v12, vcc
	v_lshlrev_b32_e32 v7, 16, v4
	v_mov_b32_e32 v12, 0x3b800000
	v_lshlrev_b32_e32 v3, 20, v3
	v_and_b32_e32 v7, 0x80000000, v7
	v_lshl_add_u32 v6, v6, 23, v12
	v_or3_b32 v6, v7, v6, v3
.LBB2_6864:
	s_or_b64 exec, exec, s[6:7]
	s_nop 0
	v_mfma_f32_16x16x4f32 a[0:3], v2, v6, a[0:3]
	s_movk_i32 s4, 0xff
	v_and_b32_sdwa v3, v8, s4 dst_sel:DWORD dst_unused:UNUSED_PAD src0_sel:WORD_1 src1_sel:DWORD
	s_movk_i32 s4, 0x7f
	v_cmp_lt_i16_e32 vcc, s4, v3
	s_mov_b64 s[4:5], 0
                                        ; implicit-def: $sgpr10
	s_and_saveexec_b64 s[6:7], vcc
	s_xor_b64 s[6:7], exec, s[6:7]
	s_cbranch_execz .LBB2_6865
; %bb.42705:
	s_getpc_b64 s[14:15]
.Lpost_getpc24936:
	s_add_u32 s14, s14, (.LBB2_21201-.Lpost_getpc24936)&4294967295
	s_addc_u32 s15, s15, (.LBB2_21201-.Lpost_getpc24936)>>32
	s_setpc_b64 s[14:15]
.LBB2_6865:
	s_or_saveexec_b64 s[6:7], s[6:7]
	v_mov_b32_e32 v2, s10
	s_xor_b64 exec, exec, s[6:7]
	s_cbranch_execz .LBB2_6866
; %bb.42707:
	s_getpc_b64 s[14:15]
.Lpost_getpc24937:
	s_add_u32 s14, s14, (.LBB2_21204-.Lpost_getpc24937)&4294967295
	s_addc_u32 s15, s15, (.LBB2_21204-.Lpost_getpc24937)>>32
	s_setpc_b64 s[14:15]
.LBB2_6866:
	s_or_b64 exec, exec, s[6:7]
	s_and_saveexec_b64 s[6:7], s[4:5]
	s_cbranch_execz .LBB2_6868
.LBB2_6867:
	v_bfe_u32 v2, v8, 16, 3
	v_ffbh_u32_e32 v7, v2
	v_min_u32_e32 v7, 32, v7
	v_lshrrev_b32_e32 v3, 19, v8
	v_subrev_u32_e32 v12, 28, v7
	v_and_b32_e32 v3, 15, v3
	v_lshlrev_b32_sdwa v12, v12, v8 dst_sel:DWORD dst_unused:UNUSED_PAD src0_sel:DWORD src1_sel:WORD_1
	v_bfe_u32 v6, v8, 19, 4
	v_sub_u32_e32 v7, 29, v7
	v_and_b32_e32 v12, 7, v12
	v_cmp_eq_u16_e32 vcc, 0, v3
	v_cndmask_b32_e32 v2, v2, v12, vcc
	v_cndmask_b32_e32 v3, v6, v7, vcc
	v_lshlrev_b32_e32 v6, 8, v8
	v_mov_b32_e32 v7, 0x3b800000
	v_lshlrev_b32_e32 v2, 20, v2
	v_and_b32_e32 v6, 0x80000000, v6
	v_lshl_add_u32 v3, v3, 23, v7
	v_or3_b32 v2, v6, v3, v2
.LBB2_6868:
	s_or_b64 exec, exec, s[6:7]
	s_movk_i32 s4, 0xff
	v_and_b32_sdwa v3, v4, s4 dst_sel:DWORD dst_unused:UNUSED_PAD src0_sel:WORD_1 src1_sel:DWORD
	s_movk_i32 s4, 0x7f
	v_cmp_lt_i16_e32 vcc, s4, v3
	s_mov_b64 s[4:5], 0
                                        ; implicit-def: $sgpr10
	s_and_saveexec_b64 s[6:7], vcc
	s_xor_b64 s[6:7], exec, s[6:7]
	s_cbranch_execz .LBB2_6869
; %bb.42709:
	s_getpc_b64 s[14:15]
.Lpost_getpc24938:
	s_add_u32 s14, s14, (.LBB2_21205-.Lpost_getpc24938)&4294967295
	s_addc_u32 s15, s15, (.LBB2_21205-.Lpost_getpc24938)>>32
	s_setpc_b64 s[14:15]
.LBB2_6869:
	s_or_saveexec_b64 s[6:7], s[6:7]
	v_mov_b32_e32 v6, s10
	s_xor_b64 exec, exec, s[6:7]
	s_cbranch_execz .LBB2_6870
; %bb.42711:
	s_getpc_b64 s[14:15]
.Lpost_getpc24939:
	s_add_u32 s14, s14, (.LBB2_21208-.Lpost_getpc24939)&4294967295
	s_addc_u32 s15, s15, (.LBB2_21208-.Lpost_getpc24939)>>32
	s_setpc_b64 s[14:15]
.LBB2_6870:
	s_or_b64 exec, exec, s[6:7]
	s_and_saveexec_b64 s[6:7], s[4:5]
	s_cbranch_execz .LBB2_6872
.LBB2_6871:
	v_bfe_u32 v3, v4, 16, 3
	v_ffbh_u32_e32 v12, v3
	v_min_u32_e32 v12, 32, v12
	v_lshrrev_b32_e32 v6, 19, v4
	v_subrev_u32_e32 v13, 28, v12
	v_and_b32_e32 v6, 15, v6
	v_lshlrev_b32_sdwa v13, v13, v4 dst_sel:DWORD dst_unused:UNUSED_PAD src0_sel:DWORD src1_sel:WORD_1
	v_bfe_u32 v7, v4, 19, 4
	v_sub_u32_e32 v12, 29, v12
	v_and_b32_e32 v13, 7, v13
	v_cmp_eq_u16_e32 vcc, 0, v6
	v_cndmask_b32_e32 v3, v3, v13, vcc
	v_cndmask_b32_e32 v6, v7, v12, vcc
	v_lshlrev_b32_e32 v7, 8, v4
	v_mov_b32_e32 v12, 0x3b800000
	v_lshlrev_b32_e32 v3, 20, v3
	v_and_b32_e32 v7, 0x80000000, v7
	v_lshl_add_u32 v6, v6, 23, v12
	v_or3_b32 v6, v7, v6, v3
.LBB2_6872:
	s_or_b64 exec, exec, s[6:7]
	s_nop 0
	v_mfma_f32_16x16x4f32 a[0:3], v2, v6, a[0:3]
	s_movk_i32 s4, 0x7f
	v_cmp_gt_i16_sdwa s[6:7], v8, s4 src0_sel:BYTE_3 src1_sel:DWORD
	s_mov_b64 s[4:5], 0
                                        ; implicit-def: $sgpr10
	s_and_saveexec_b64 s[8:9], s[6:7]
	s_xor_b64 s[6:7], exec, s[8:9]
	s_cbranch_execz .LBB2_6873
; %bb.42713:
	s_getpc_b64 s[14:15]
.Lpost_getpc24940:
	s_add_u32 s14, s14, (.LBB2_21209-.Lpost_getpc24940)&4294967295
	s_addc_u32 s15, s15, (.LBB2_21209-.Lpost_getpc24940)>>32
	s_setpc_b64 s[14:15]
.LBB2_6873:
	s_or_saveexec_b64 s[6:7], s[6:7]
	v_mov_b32_e32 v2, s10
	s_xor_b64 exec, exec, s[6:7]
	s_cbranch_execz .LBB2_6874
; %bb.42715:
	s_getpc_b64 s[14:15]
.Lpost_getpc24941:
	s_add_u32 s14, s14, (.LBB2_21212-.Lpost_getpc24941)&4294967295
	s_addc_u32 s15, s15, (.LBB2_21212-.Lpost_getpc24941)>>32
	s_setpc_b64 s[14:15]
.LBB2_6874:
	s_or_b64 exec, exec, s[6:7]
	s_and_saveexec_b64 s[6:7], s[4:5]
	s_cbranch_execz .LBB2_6876
.LBB2_6875:
	v_bfe_u32 v2, v8, 24, 3
	v_ffbh_u32_e32 v12, v2
	v_min_u32_e32 v12, 32, v12
	v_lshrrev_b32_e32 v6, 27, v8
	v_subrev_u32_e32 v13, 28, v12
	v_and_b32_e32 v3, 0x80000000, v8
	v_and_b32_e32 v6, 15, v6
	v_bfe_u32 v7, v8, 27, 4
	v_lshlrev_b32_sdwa v8, v13, v8 dst_sel:DWORD dst_unused:UNUSED_PAD src0_sel:DWORD src1_sel:BYTE_3
	v_sub_u32_e32 v12, 29, v12
	v_and_b32_e32 v8, 7, v8
	v_cmp_eq_u16_e32 vcc, 0, v6
	v_cndmask_b32_e32 v2, v2, v8, vcc
	v_cndmask_b32_e32 v6, v7, v12, vcc
	v_mov_b32_e32 v7, 0x3b800000
	v_lshlrev_b32_e32 v2, 20, v2
	v_lshl_add_u32 v6, v6, 23, v7
	v_or3_b32 v2, v3, v6, v2
.LBB2_6876:
	s_or_b64 exec, exec, s[6:7]
	s_movk_i32 s4, 0x7f
	v_cmp_gt_i16_sdwa s[6:7], v4, s4 src0_sel:BYTE_3 src1_sel:DWORD
	s_mov_b64 s[4:5], 0
                                        ; implicit-def: $sgpr10
	s_and_saveexec_b64 s[8:9], s[6:7]
	s_xor_b64 s[6:7], exec, s[8:9]
	s_cbranch_execz .LBB2_6877
; %bb.42717:
	s_getpc_b64 s[14:15]
.Lpost_getpc24942:
	s_add_u32 s14, s14, (.LBB2_21213-.Lpost_getpc24942)&4294967295
	s_addc_u32 s15, s15, (.LBB2_21213-.Lpost_getpc24942)>>32
	s_setpc_b64 s[14:15]
.LBB2_6877:
	s_or_saveexec_b64 s[6:7], s[6:7]
	v_mov_b32_e32 v3, s10
	s_xor_b64 exec, exec, s[6:7]
	s_cbranch_execz .LBB2_6878
; %bb.42719:
	s_getpc_b64 s[14:15]
.Lpost_getpc24943:
	s_add_u32 s14, s14, (.LBB2_21216-.Lpost_getpc24943)&4294967295
	s_addc_u32 s15, s15, (.LBB2_21216-.Lpost_getpc24943)>>32
	s_setpc_b64 s[14:15]
.LBB2_6878:
	s_or_b64 exec, exec, s[6:7]
	s_and_saveexec_b64 s[6:7], s[4:5]
	s_cbranch_execz .LBB2_6880
.LBB2_6879:
	v_bfe_u32 v3, v4, 24, 3
	v_ffbh_u32_e32 v12, v3
	v_min_u32_e32 v12, 32, v12
	v_lshrrev_b32_e32 v7, 27, v4
	v_subrev_u32_e32 v13, 28, v12
	v_and_b32_e32 v6, 0x80000000, v4
	v_and_b32_e32 v7, 15, v7
	v_bfe_u32 v8, v4, 27, 4
	v_lshlrev_b32_sdwa v4, v13, v4 dst_sel:DWORD dst_unused:UNUSED_PAD src0_sel:DWORD src1_sel:BYTE_3
	v_sub_u32_e32 v12, 29, v12
	v_and_b32_e32 v4, 7, v4
	v_cmp_eq_u16_e32 vcc, 0, v7
	v_cndmask_b32_e32 v3, v3, v4, vcc
	v_cndmask_b32_e32 v4, v8, v12, vcc
	v_mov_b32_e32 v7, 0x3b800000
	v_lshlrev_b32_e32 v3, 20, v3
	v_lshl_add_u32 v4, v4, 23, v7
	v_or3_b32 v3, v6, v4, v3
.LBB2_6880:
	s_or_b64 exec, exec, s[6:7]
	s_nop 0
	v_mfma_f32_16x16x4f32 a[0:3], v2, v3, a[0:3]
	s_movk_i32 s4, 0x7f
	v_cmp_gt_i16_sdwa s[6:7], v9, s4 src0_sel:BYTE_0 src1_sel:DWORD
	s_mov_b64 s[4:5], 0
                                        ; implicit-def: $sgpr10
	s_and_saveexec_b64 s[8:9], s[6:7]
	s_xor_b64 s[6:7], exec, s[8:9]
	s_cbranch_execz .LBB2_6881
; %bb.42721:
	s_getpc_b64 s[14:15]
.Lpost_getpc24944:
	s_add_u32 s14, s14, (.LBB2_21217-.Lpost_getpc24944)&4294967295
	s_addc_u32 s15, s15, (.LBB2_21217-.Lpost_getpc24944)>>32
	s_setpc_b64 s[14:15]
.LBB2_6881:
	s_or_saveexec_b64 s[6:7], s[6:7]
	v_mov_b32_e32 v2, s10
	s_xor_b64 exec, exec, s[6:7]
	s_cbranch_execz .LBB2_6882
; %bb.42723:
	s_getpc_b64 s[14:15]
.Lpost_getpc24945:
	s_add_u32 s14, s14, (.LBB2_21220-.Lpost_getpc24945)&4294967295
	s_addc_u32 s15, s15, (.LBB2_21220-.Lpost_getpc24945)>>32
	s_setpc_b64 s[14:15]
.LBB2_6882:
	s_or_b64 exec, exec, s[6:7]
	s_and_saveexec_b64 s[6:7], s[4:5]
	s_cbranch_execz .LBB2_6884
.LBB2_6883:
	v_mov_b32_e32 v2, 8
	v_and_b32_e32 v3, 7, v9
	v_lshrrev_b32_sdwa v2, v2, v9 dst_sel:BYTE_1 dst_unused:UNUSED_PAD src0_sel:DWORD src1_sel:DWORD
	v_ffbh_u32_e32 v4, v3
	v_or_b32_sdwa v2, v9, v2 dst_sel:DWORD dst_unused:UNUSED_PAD src0_sel:BYTE_0 src1_sel:DWORD
	v_min_u32_e32 v4, 32, v4
	v_lshrrev_b16_e32 v2, 3, v2
	v_subrev_u32_e32 v6, 28, v4
	v_and_b32_e32 v2, 15, v2
	v_lshlrev_b32_e32 v6, v6, v9
	v_sub_u32_e32 v4, 29, v4
	v_and_b32_e32 v6, 7, v6
	v_cmp_eq_u16_e32 vcc, 0, v2
	v_cndmask_b32_e32 v3, v3, v6, vcc
	v_cndmask_b32_e32 v2, v2, v4, vcc
	v_lshlrev_b32_e32 v4, 24, v9
	v_mov_b32_e32 v6, 0x3b800000
	v_lshlrev_b32_e32 v3, 20, v3
	v_and_b32_e32 v4, 0x80000000, v4
	v_lshl_add_u32 v2, v2, 23, v6
	v_or3_b32 v2, v4, v2, v3
.LBB2_6884:
	s_or_b64 exec, exec, s[6:7]
	s_movk_i32 s4, 0x7f
	v_cmp_gt_i16_sdwa s[6:7], v5, s4 src0_sel:BYTE_0 src1_sel:DWORD
	s_mov_b64 s[4:5], 0
                                        ; implicit-def: $sgpr10
	s_and_saveexec_b64 s[8:9], s[6:7]
	s_xor_b64 s[6:7], exec, s[8:9]
	s_cbranch_execz .LBB2_6885
; %bb.42725:
	s_getpc_b64 s[14:15]
.Lpost_getpc24946:
	s_add_u32 s14, s14, (.LBB2_21221-.Lpost_getpc24946)&4294967295
	s_addc_u32 s15, s15, (.LBB2_21221-.Lpost_getpc24946)>>32
	s_setpc_b64 s[14:15]
.LBB2_6885:
	s_or_saveexec_b64 s[6:7], s[6:7]
	v_mov_b32_e32 v3, s10
	s_xor_b64 exec, exec, s[6:7]
	s_cbranch_execz .LBB2_6886
; %bb.42727:
	s_getpc_b64 s[14:15]
.Lpost_getpc24947:
	s_add_u32 s14, s14, (.LBB2_21224-.Lpost_getpc24947)&4294967295
	s_addc_u32 s15, s15, (.LBB2_21224-.Lpost_getpc24947)>>32
	s_setpc_b64 s[14:15]
.LBB2_6886:
	s_or_b64 exec, exec, s[6:7]
	s_and_saveexec_b64 s[6:7], s[4:5]
	s_cbranch_execz .LBB2_6888
.LBB2_6887:
	v_mov_b32_e32 v3, 8
	v_and_b32_e32 v4, 7, v5
	v_lshrrev_b32_sdwa v3, v3, v5 dst_sel:BYTE_1 dst_unused:UNUSED_PAD src0_sel:DWORD src1_sel:DWORD
	v_ffbh_u32_e32 v6, v4
	v_or_b32_sdwa v3, v5, v3 dst_sel:DWORD dst_unused:UNUSED_PAD src0_sel:BYTE_0 src1_sel:DWORD
	v_min_u32_e32 v6, 32, v6
	v_lshrrev_b16_e32 v3, 3, v3
	v_subrev_u32_e32 v7, 28, v6
	v_and_b32_e32 v3, 15, v3
	v_lshlrev_b32_e32 v7, v7, v5
	v_sub_u32_e32 v6, 29, v6
	v_and_b32_e32 v7, 7, v7
	v_cmp_eq_u16_e32 vcc, 0, v3
	v_cndmask_b32_e32 v4, v4, v7, vcc
	v_cndmask_b32_e32 v3, v3, v6, vcc
	v_lshlrev_b32_e32 v6, 24, v5
	v_mov_b32_e32 v7, 0x3b800000
	v_lshlrev_b32_e32 v4, 20, v4
	v_and_b32_e32 v6, 0x80000000, v6
	v_lshl_add_u32 v3, v3, 23, v7
	v_or3_b32 v3, v6, v3, v4
.LBB2_6888:
	s_or_b64 exec, exec, s[6:7]
	s_nop 0
	v_mfma_f32_16x16x4f32 a[0:3], v2, v3, a[0:3]
	v_lshrrev_b32_e32 v3, 8, v9
	s_movk_i32 s4, 0x7f
	v_cmp_gt_i16_sdwa s[6:7], v3, s4 src0_sel:BYTE_0 src1_sel:DWORD
	s_mov_b64 s[4:5], 0
                                        ; implicit-def: $sgpr10
	s_and_saveexec_b64 s[8:9], s[6:7]
	s_xor_b64 s[6:7], exec, s[8:9]
	s_cbranch_execz .LBB2_6889
; %bb.42729:
	s_getpc_b64 s[14:15]
.Lpost_getpc24948:
	s_add_u32 s14, s14, (.LBB2_21225-.Lpost_getpc24948)&4294967295
	s_addc_u32 s15, s15, (.LBB2_21225-.Lpost_getpc24948)>>32
	s_setpc_b64 s[14:15]
.LBB2_6889:
	s_or_saveexec_b64 s[6:7], s[6:7]
	v_mov_b32_e32 v2, s10
	s_xor_b64 exec, exec, s[6:7]
	s_cbranch_execz .LBB2_6890
; %bb.42731:
	s_getpc_b64 s[14:15]
.Lpost_getpc24949:
	s_add_u32 s14, s14, (.LBB2_21228-.Lpost_getpc24949)&4294967295
	s_addc_u32 s15, s15, (.LBB2_21228-.Lpost_getpc24949)>>32
	s_setpc_b64 s[14:15]
.LBB2_6890:
	s_or_b64 exec, exec, s[6:7]
	s_and_saveexec_b64 s[6:7], s[4:5]
	s_cbranch_execz .LBB2_6892
.LBB2_6891:
	v_bfe_u32 v2, v9, 8, 3
	v_ffbh_u32_e32 v6, v2
	v_min_u32_e32 v6, 32, v6
	v_lshrrev_b16_e32 v4, 3, v3
	v_subrev_u32_e32 v7, 28, v6
	v_and_b32_e32 v4, 15, v4
	v_lshlrev_b32_e32 v3, v7, v3
	v_sub_u32_e32 v6, 29, v6
	v_and_b32_e32 v3, 7, v3
	v_cmp_eq_u16_e32 vcc, 0, v4
	v_cndmask_b32_e32 v2, v2, v3, vcc
	v_cndmask_b32_e32 v3, v4, v6, vcc
	v_lshlrev_b32_e32 v4, 16, v9
	v_mov_b32_e32 v6, 0x3b800000
	v_lshlrev_b32_e32 v2, 20, v2
	v_and_b32_e32 v4, 0x80000000, v4
	v_lshl_add_u32 v3, v3, 23, v6
	v_or3_b32 v2, v4, v3, v2
.LBB2_6892:
	s_or_b64 exec, exec, s[6:7]
	v_lshrrev_b32_e32 v3, 8, v5
	s_movk_i32 s4, 0x7f
	v_cmp_gt_i16_sdwa s[6:7], v3, s4 src0_sel:BYTE_0 src1_sel:DWORD
	s_mov_b64 s[4:5], 0
                                        ; implicit-def: $sgpr10
	s_and_saveexec_b64 s[8:9], s[6:7]
	s_xor_b64 s[6:7], exec, s[8:9]
	s_cbranch_execz .LBB2_6893
; %bb.42733:
	s_getpc_b64 s[14:15]
.Lpost_getpc24950:
	s_add_u32 s14, s14, (.LBB2_21229-.Lpost_getpc24950)&4294967295
	s_addc_u32 s15, s15, (.LBB2_21229-.Lpost_getpc24950)>>32
	s_setpc_b64 s[14:15]
.LBB2_6893:
	s_or_saveexec_b64 s[6:7], s[6:7]
	v_mov_b32_e32 v4, s10
	s_xor_b64 exec, exec, s[6:7]
	s_cbranch_execz .LBB2_6894
; %bb.42735:
	s_getpc_b64 s[14:15]
.Lpost_getpc24951:
	s_add_u32 s14, s14, (.LBB2_21232-.Lpost_getpc24951)&4294967295
	s_addc_u32 s15, s15, (.LBB2_21232-.Lpost_getpc24951)>>32
	s_setpc_b64 s[14:15]
.LBB2_6894:
	s_or_b64 exec, exec, s[6:7]
	s_and_saveexec_b64 s[6:7], s[4:5]
	s_cbranch_execz .LBB2_6896
.LBB2_6895:
	v_bfe_u32 v4, v5, 8, 3
	v_ffbh_u32_e32 v7, v4
	v_min_u32_e32 v7, 32, v7
	v_lshrrev_b16_e32 v6, 3, v3
	v_subrev_u32_e32 v8, 28, v7
	v_and_b32_e32 v6, 15, v6
	v_lshlrev_b32_e32 v3, v8, v3
	v_sub_u32_e32 v7, 29, v7
	v_and_b32_e32 v3, 7, v3
	v_cmp_eq_u16_e32 vcc, 0, v6
	v_cndmask_b32_e32 v3, v4, v3, vcc
	v_cndmask_b32_e32 v4, v6, v7, vcc
	v_lshlrev_b32_e32 v6, 16, v5
	v_mov_b32_e32 v7, 0x3b800000
	v_lshlrev_b32_e32 v3, 20, v3
	v_and_b32_e32 v6, 0x80000000, v6
	v_lshl_add_u32 v4, v4, 23, v7
	v_or3_b32 v4, v6, v4, v3
.LBB2_6896:
	s_or_b64 exec, exec, s[6:7]
	s_nop 0
	v_mfma_f32_16x16x4f32 a[0:3], v2, v4, a[0:3]
	s_movk_i32 s4, 0xff
	v_and_b32_sdwa v3, v9, s4 dst_sel:DWORD dst_unused:UNUSED_PAD src0_sel:WORD_1 src1_sel:DWORD
	s_movk_i32 s4, 0x7f
	v_cmp_lt_i16_e32 vcc, s4, v3
	s_mov_b64 s[4:5], 0
                                        ; implicit-def: $sgpr10
	s_and_saveexec_b64 s[6:7], vcc
	s_xor_b64 s[6:7], exec, s[6:7]
	s_cbranch_execz .LBB2_6897
; %bb.42737:
	s_getpc_b64 s[14:15]
.Lpost_getpc24952:
	s_add_u32 s14, s14, (.LBB2_21233-.Lpost_getpc24952)&4294967295
	s_addc_u32 s15, s15, (.LBB2_21233-.Lpost_getpc24952)>>32
	s_setpc_b64 s[14:15]
.LBB2_6897:
	s_or_saveexec_b64 s[6:7], s[6:7]
	v_mov_b32_e32 v2, s10
	s_xor_b64 exec, exec, s[6:7]
	s_cbranch_execz .LBB2_6898
; %bb.42739:
	s_getpc_b64 s[14:15]
.Lpost_getpc24953:
	s_add_u32 s14, s14, (.LBB2_21236-.Lpost_getpc24953)&4294967295
	s_addc_u32 s15, s15, (.LBB2_21236-.Lpost_getpc24953)>>32
	s_setpc_b64 s[14:15]
.LBB2_6898:
	s_or_b64 exec, exec, s[6:7]
	s_and_saveexec_b64 s[6:7], s[4:5]
	s_cbranch_execz .LBB2_6900
.LBB2_6899:
	v_bfe_u32 v2, v9, 16, 3
	v_ffbh_u32_e32 v6, v2
	v_min_u32_e32 v6, 32, v6
	v_lshrrev_b32_e32 v3, 19, v9
	v_subrev_u32_e32 v7, 28, v6
	v_and_b32_e32 v3, 15, v3
	v_lshlrev_b32_sdwa v7, v7, v9 dst_sel:DWORD dst_unused:UNUSED_PAD src0_sel:DWORD src1_sel:WORD_1
	v_bfe_u32 v4, v9, 19, 4
	v_sub_u32_e32 v6, 29, v6
	v_and_b32_e32 v7, 7, v7
	v_cmp_eq_u16_e32 vcc, 0, v3
	v_cndmask_b32_e32 v2, v2, v7, vcc
	v_cndmask_b32_e32 v3, v4, v6, vcc
	v_lshlrev_b32_e32 v4, 8, v9
	v_mov_b32_e32 v6, 0x3b800000
	v_lshlrev_b32_e32 v2, 20, v2
	v_and_b32_e32 v4, 0x80000000, v4
	v_lshl_add_u32 v3, v3, 23, v6
	v_or3_b32 v2, v4, v3, v2
.LBB2_6900:
	s_or_b64 exec, exec, s[6:7]
	s_movk_i32 s4, 0xff
	v_and_b32_sdwa v3, v5, s4 dst_sel:DWORD dst_unused:UNUSED_PAD src0_sel:WORD_1 src1_sel:DWORD
	s_movk_i32 s4, 0x7f
	v_cmp_lt_i16_e32 vcc, s4, v3
	s_mov_b64 s[4:5], 0
                                        ; implicit-def: $sgpr10
	s_and_saveexec_b64 s[6:7], vcc
	s_xor_b64 s[6:7], exec, s[6:7]
	s_cbranch_execz .LBB2_6901
; %bb.42741:
	s_getpc_b64 s[14:15]
.Lpost_getpc24954:
	s_add_u32 s14, s14, (.LBB2_21237-.Lpost_getpc24954)&4294967295
	s_addc_u32 s15, s15, (.LBB2_21237-.Lpost_getpc24954)>>32
	s_setpc_b64 s[14:15]
.LBB2_6901:
	s_or_saveexec_b64 s[6:7], s[6:7]
	v_mov_b32_e32 v4, s10
	s_xor_b64 exec, exec, s[6:7]
	s_cbranch_execz .LBB2_6902
; %bb.42743:
	s_getpc_b64 s[14:15]
.Lpost_getpc24955:
	s_add_u32 s14, s14, (.LBB2_21240-.Lpost_getpc24955)&4294967295
	s_addc_u32 s15, s15, (.LBB2_21240-.Lpost_getpc24955)>>32
	s_setpc_b64 s[14:15]
.LBB2_6902:
	s_or_b64 exec, exec, s[6:7]
	s_and_saveexec_b64 s[6:7], s[4:5]
	s_cbranch_execz .LBB2_6904
.LBB2_6903:
	v_bfe_u32 v3, v5, 16, 3
	v_ffbh_u32_e32 v7, v3
	v_min_u32_e32 v7, 32, v7
	v_lshrrev_b32_e32 v4, 19, v5
	v_subrev_u32_e32 v8, 28, v7
	v_and_b32_e32 v4, 15, v4
	v_lshlrev_b32_sdwa v8, v8, v5 dst_sel:DWORD dst_unused:UNUSED_PAD src0_sel:DWORD src1_sel:WORD_1
	v_bfe_u32 v6, v5, 19, 4
	v_sub_u32_e32 v7, 29, v7
	v_and_b32_e32 v8, 7, v8
	v_cmp_eq_u16_e32 vcc, 0, v4
	v_cndmask_b32_e32 v3, v3, v8, vcc
	v_cndmask_b32_e32 v4, v6, v7, vcc
	v_lshlrev_b32_e32 v6, 8, v5
	v_mov_b32_e32 v7, 0x3b800000
	v_lshlrev_b32_e32 v3, 20, v3
	v_and_b32_e32 v6, 0x80000000, v6
	v_lshl_add_u32 v4, v4, 23, v7
	v_or3_b32 v4, v6, v4, v3
.LBB2_6904:
	s_or_b64 exec, exec, s[6:7]
	s_nop 0
	v_mfma_f32_16x16x4f32 a[0:3], v2, v4, a[0:3]
	s_movk_i32 s4, 0x7f
	v_cmp_gt_i16_sdwa s[6:7], v9, s4 src0_sel:BYTE_3 src1_sel:DWORD
	s_mov_b64 s[4:5], 0
                                        ; implicit-def: $sgpr10
	s_and_saveexec_b64 s[8:9], s[6:7]
	s_xor_b64 s[6:7], exec, s[8:9]
	s_cbranch_execz .LBB2_6905
; %bb.42745:
	s_getpc_b64 s[14:15]
.Lpost_getpc24956:
	s_add_u32 s14, s14, (.LBB2_21241-.Lpost_getpc24956)&4294967295
	s_addc_u32 s15, s15, (.LBB2_21241-.Lpost_getpc24956)>>32
	s_setpc_b64 s[14:15]
.LBB2_6905:
	s_or_saveexec_b64 s[6:7], s[6:7]
	v_mov_b32_e32 v2, s10
	s_xor_b64 exec, exec, s[6:7]
	s_cbranch_execz .LBB2_6906
; %bb.42747:
	s_getpc_b64 s[14:15]
.Lpost_getpc24957:
	s_add_u32 s14, s14, (.LBB2_21244-.Lpost_getpc24957)&4294967295
	s_addc_u32 s15, s15, (.LBB2_21244-.Lpost_getpc24957)>>32
	s_setpc_b64 s[14:15]
.LBB2_6906:
	s_or_b64 exec, exec, s[6:7]
	s_and_saveexec_b64 s[6:7], s[4:5]
	s_cbranch_execz .LBB2_6908
.LBB2_6907:
	v_bfe_u32 v2, v9, 24, 3
	v_ffbh_u32_e32 v7, v2
	v_min_u32_e32 v7, 32, v7
	v_lshrrev_b32_e32 v4, 27, v9
	v_subrev_u32_e32 v8, 28, v7
	v_and_b32_e32 v4, 15, v4
	v_lshlrev_b32_sdwa v8, v8, v9 dst_sel:DWORD dst_unused:UNUSED_PAD src0_sel:DWORD src1_sel:BYTE_3
	v_bfe_u32 v6, v9, 27, 4
	v_sub_u32_e32 v7, 29, v7
	v_and_b32_e32 v8, 7, v8
	v_cmp_eq_u16_e32 vcc, 0, v4
	v_cndmask_b32_e32 v2, v2, v8, vcc
	v_cndmask_b32_e32 v4, v6, v7, vcc
	v_mov_b32_e32 v6, 0x3b800000
	v_and_b32_e32 v3, 0x80000000, v9
	v_lshlrev_b32_e32 v2, 20, v2
	v_lshl_add_u32 v4, v4, 23, v6
	v_or3_b32 v2, v3, v4, v2
.LBB2_6908:
	s_or_b64 exec, exec, s[6:7]
	s_movk_i32 s4, 0x7f
	v_cmp_gt_i16_sdwa s[6:7], v5, s4 src0_sel:BYTE_3 src1_sel:DWORD
	s_mov_b64 s[4:5], 0
                                        ; implicit-def: $sgpr10
	s_and_saveexec_b64 s[8:9], s[6:7]
	s_xor_b64 s[6:7], exec, s[8:9]
	s_cbranch_execz .LBB2_6909
; %bb.42749:
	s_getpc_b64 s[14:15]
.Lpost_getpc24958:
	s_add_u32 s14, s14, (.LBB2_21245-.Lpost_getpc24958)&4294967295
	s_addc_u32 s15, s15, (.LBB2_21245-.Lpost_getpc24958)>>32
	s_setpc_b64 s[14:15]
.LBB2_6909:
	s_or_saveexec_b64 s[6:7], s[6:7]
	v_mov_b32_e32 v3, s10
	s_xor_b64 exec, exec, s[6:7]
	s_cbranch_execz .LBB2_6910
; %bb.42751:
	s_getpc_b64 s[14:15]
.Lpost_getpc24959:
	s_add_u32 s14, s14, (.LBB2_21248-.Lpost_getpc24959)&4294967295
	s_addc_u32 s15, s15, (.LBB2_21248-.Lpost_getpc24959)>>32
	s_setpc_b64 s[14:15]
.LBB2_6910:
	s_or_b64 exec, exec, s[6:7]
	s_and_saveexec_b64 s[6:7], s[4:5]
	s_cbranch_execz .LBB2_6912
.LBB2_6911:
	v_bfe_u32 v3, v5, 24, 3
	v_ffbh_u32_e32 v8, v3
	v_min_u32_e32 v8, 32, v8
	v_lshrrev_b32_e32 v6, 27, v5
	v_subrev_u32_e32 v9, 28, v8
	v_and_b32_e32 v4, 0x80000000, v5
	v_and_b32_e32 v6, 15, v6
	v_bfe_u32 v7, v5, 27, 4
	v_lshlrev_b32_sdwa v5, v9, v5 dst_sel:DWORD dst_unused:UNUSED_PAD src0_sel:DWORD src1_sel:BYTE_3
	v_sub_u32_e32 v8, 29, v8
	v_and_b32_e32 v5, 7, v5
	v_cmp_eq_u16_e32 vcc, 0, v6
	v_cndmask_b32_e32 v3, v3, v5, vcc
	v_cndmask_b32_e32 v5, v7, v8, vcc
	v_mov_b32_e32 v6, 0x3b800000
	v_lshlrev_b32_e32 v3, 20, v3
	v_lshl_add_u32 v5, v5, 23, v6
	v_or3_b32 v3, v4, v5, v3
.LBB2_6912:
	s_or_b64 exec, exec, s[6:7]
	s_nop 0
	v_mfma_f32_16x16x4f32 a[0:3], v2, v3, a[0:3]
	s_movk_i32 s4, 0x7f
                                        ; implicit-def: $sgpr10
	s_nop 7
	s_nop 1
	flat_store_dwordx4 v[10:11], a[0:3] offset:848
	flat_load_dwordx4 v[12:15], v[0:1]
	s_nop 0
	flat_load_dwordx2 v[10:11], v[0:1] offset:16
	s_waitcnt vmcnt(0) lgkmcnt(0)
	flat_load_dwordx4 v[6:9], v[12:13] offset:96
	flat_load_dwordx4 v[2:5], v[14:15] offset:96
	s_waitcnt vmcnt(0) lgkmcnt(0)
	v_cmp_gt_i16_sdwa s[6:7], v6, s4 src0_sel:BYTE_0 src1_sel:DWORD
	s_mov_b64 s[4:5], 0
	s_and_saveexec_b64 s[8:9], s[6:7]
	s_xor_b64 s[6:7], exec, s[8:9]
	s_cbranch_execz .LBB2_6913
; %bb.42753:
	s_getpc_b64 s[14:15]
.Lpost_getpc24960:
	s_add_u32 s14, s14, (.LBB2_21249-.Lpost_getpc24960)&4294967295
	s_addc_u32 s15, s15, (.LBB2_21249-.Lpost_getpc24960)>>32
	s_setpc_b64 s[14:15]
.LBB2_6913:
	s_or_saveexec_b64 s[6:7], s[6:7]
	v_mov_b32_e32 v12, s10
	s_xor_b64 exec, exec, s[6:7]
	s_cbranch_execz .LBB2_6914
; %bb.42755:
	s_getpc_b64 s[14:15]
.Lpost_getpc24961:
	s_add_u32 s14, s14, (.LBB2_21252-.Lpost_getpc24961)&4294967295
	s_addc_u32 s15, s15, (.LBB2_21252-.Lpost_getpc24961)>>32
	s_setpc_b64 s[14:15]
.LBB2_6914:
	s_or_b64 exec, exec, s[6:7]
	s_and_saveexec_b64 s[6:7], s[4:5]
	s_cbranch_execz .LBB2_6916
.LBB2_6915:
	v_and_b32_e32 v12, 7, v6
	v_ffbh_u32_e32 v14, v12
	v_min_u32_e32 v14, 32, v14
	v_lshrrev_b16_e32 v13, 3, v6
	v_subrev_u32_e32 v15, 28, v14
	v_and_b32_e32 v13, 15, v13
	v_lshlrev_b32_e32 v15, v15, v6
	v_sub_u32_e32 v14, 29, v14
	v_and_b32_e32 v15, 7, v15
	v_cmp_eq_u16_e32 vcc, 0, v13
	v_cndmask_b32_e32 v12, v12, v15, vcc
	v_cndmask_b32_e32 v13, v13, v14, vcc
	v_lshlrev_b32_e32 v14, 24, v6
	v_mov_b32_e32 v15, 0x3b800000
	v_lshlrev_b32_e32 v12, 20, v12
	v_and_b32_e32 v14, 0x80000000, v14
	v_lshl_add_u32 v13, v13, 23, v15
	v_or3_b32 v12, v14, v13, v12
.LBB2_6916:
	s_or_b64 exec, exec, s[6:7]
	s_movk_i32 s4, 0x7f
	v_cmp_gt_i16_sdwa s[6:7], v2, s4 src0_sel:BYTE_0 src1_sel:DWORD
	s_mov_b64 s[4:5], 0
                                        ; implicit-def: $sgpr10
	s_and_saveexec_b64 s[8:9], s[6:7]
	s_xor_b64 s[6:7], exec, s[8:9]
	s_cbranch_execz .LBB2_6917
; %bb.42757:
	s_getpc_b64 s[14:15]
.Lpost_getpc24962:
	s_add_u32 s14, s14, (.LBB2_21253-.Lpost_getpc24962)&4294967295
	s_addc_u32 s15, s15, (.LBB2_21253-.Lpost_getpc24962)>>32
	s_setpc_b64 s[14:15]
.LBB2_6917:
	s_or_saveexec_b64 s[6:7], s[6:7]
	v_mov_b32_e32 v13, s10
	s_xor_b64 exec, exec, s[6:7]
	s_cbranch_execz .LBB2_6918
; %bb.42759:
	s_getpc_b64 s[14:15]
.Lpost_getpc24963:
	s_add_u32 s14, s14, (.LBB2_21256-.Lpost_getpc24963)&4294967295
	s_addc_u32 s15, s15, (.LBB2_21256-.Lpost_getpc24963)>>32
	s_setpc_b64 s[14:15]
.LBB2_6918:
	s_or_b64 exec, exec, s[6:7]
	s_and_saveexec_b64 s[6:7], s[4:5]
	s_cbranch_execz .LBB2_6920
.LBB2_6919:
	v_and_b32_e32 v13, 7, v2
	v_ffbh_u32_e32 v15, v13
	v_min_u32_e32 v15, 32, v15
	v_lshrrev_b16_e32 v14, 3, v2
	v_subrev_u32_e32 v16, 28, v15
	v_and_b32_e32 v14, 15, v14
	v_lshlrev_b32_e32 v16, v16, v2
	v_sub_u32_e32 v15, 29, v15
	v_and_b32_e32 v16, 7, v16
	v_cmp_eq_u16_e32 vcc, 0, v14
	v_cndmask_b32_e32 v13, v13, v16, vcc
	v_cndmask_b32_e32 v14, v14, v15, vcc
	v_lshlrev_b32_e32 v15, 24, v2
	v_mov_b32_e32 v16, 0x3b800000
	v_lshlrev_b32_e32 v13, 20, v13
	v_and_b32_e32 v15, 0x80000000, v15
	v_lshl_add_u32 v14, v14, 23, v16
	v_or3_b32 v13, v15, v14, v13
.LBB2_6920:
	s_or_b64 exec, exec, s[6:7]
	flat_load_dwordx4 a[0:3], v[10:11] offset:864
	s_movk_i32 s4, 0x7f
                                        ; implicit-def: $sgpr10
	s_waitcnt vmcnt(0) lgkmcnt(0)
	v_mfma_f32_16x16x4f32 a[0:3], v12, v13, a[0:3]
	v_lshrrev_b32_e32 v13, 8, v6
	v_cmp_gt_i16_sdwa s[6:7], v13, s4 src0_sel:BYTE_0 src1_sel:DWORD
	s_mov_b64 s[4:5], 0
	s_and_saveexec_b64 s[8:9], s[6:7]
	s_xor_b64 s[6:7], exec, s[8:9]
	s_cbranch_execz .LBB2_6921
; %bb.42761:
	s_getpc_b64 s[14:15]
.Lpost_getpc24964:
	s_add_u32 s14, s14, (.LBB2_21257-.Lpost_getpc24964)&4294967295
	s_addc_u32 s15, s15, (.LBB2_21257-.Lpost_getpc24964)>>32
	s_setpc_b64 s[14:15]
.LBB2_6921:
	s_or_saveexec_b64 s[6:7], s[6:7]
	v_mov_b32_e32 v12, s10
	s_xor_b64 exec, exec, s[6:7]
	s_cbranch_execz .LBB2_6922
; %bb.42763:
	s_getpc_b64 s[14:15]
.Lpost_getpc24965:
	s_add_u32 s14, s14, (.LBB2_21260-.Lpost_getpc24965)&4294967295
	s_addc_u32 s15, s15, (.LBB2_21260-.Lpost_getpc24965)>>32
	s_setpc_b64 s[14:15]
.LBB2_6922:
	s_or_b64 exec, exec, s[6:7]
	s_and_saveexec_b64 s[6:7], s[4:5]
	s_cbranch_execz .LBB2_6924
.LBB2_6923:
	v_bfe_u32 v12, v6, 8, 3
	v_ffbh_u32_e32 v15, v12
	v_min_u32_e32 v15, 32, v15
	v_lshrrev_b16_e32 v14, 3, v13
	v_subrev_u32_e32 v16, 28, v15
	v_and_b32_e32 v14, 15, v14
	v_lshlrev_b32_e32 v13, v16, v13
	v_sub_u32_e32 v15, 29, v15
	v_and_b32_e32 v13, 7, v13
	v_cmp_eq_u16_e32 vcc, 0, v14
	v_cndmask_b32_e32 v12, v12, v13, vcc
	v_cndmask_b32_e32 v13, v14, v15, vcc
	v_lshlrev_b32_e32 v14, 16, v6
	v_mov_b32_e32 v15, 0x3b800000
	v_lshlrev_b32_e32 v12, 20, v12
	v_and_b32_e32 v14, 0x80000000, v14
	v_lshl_add_u32 v13, v13, 23, v15
	v_or3_b32 v12, v14, v13, v12
.LBB2_6924:
	s_or_b64 exec, exec, s[6:7]
	v_lshrrev_b32_e32 v13, 8, v2
	s_movk_i32 s4, 0x7f
	v_cmp_gt_i16_sdwa s[6:7], v13, s4 src0_sel:BYTE_0 src1_sel:DWORD
	s_mov_b64 s[4:5], 0
                                        ; implicit-def: $sgpr10
	s_and_saveexec_b64 s[8:9], s[6:7]
	s_xor_b64 s[6:7], exec, s[8:9]
	s_cbranch_execz .LBB2_6925
; %bb.42765:
	s_getpc_b64 s[14:15]
.Lpost_getpc24966:
	s_add_u32 s14, s14, (.LBB2_21261-.Lpost_getpc24966)&4294967295
	s_addc_u32 s15, s15, (.LBB2_21261-.Lpost_getpc24966)>>32
	s_setpc_b64 s[14:15]
.LBB2_6925:
	s_or_saveexec_b64 s[6:7], s[6:7]
	v_mov_b32_e32 v14, s10
	s_xor_b64 exec, exec, s[6:7]
	s_cbranch_execz .LBB2_6926
; %bb.42767:
	s_getpc_b64 s[14:15]
.Lpost_getpc24967:
	s_add_u32 s14, s14, (.LBB2_21264-.Lpost_getpc24967)&4294967295
	s_addc_u32 s15, s15, (.LBB2_21264-.Lpost_getpc24967)>>32
	s_setpc_b64 s[14:15]
.LBB2_6926:
	s_or_b64 exec, exec, s[6:7]
	s_and_saveexec_b64 s[6:7], s[4:5]
	s_cbranch_execz .LBB2_6928
.LBB2_6927:
	v_bfe_u32 v14, v2, 8, 3
	v_ffbh_u32_e32 v16, v14
	v_min_u32_e32 v16, 32, v16
	v_lshrrev_b16_e32 v15, 3, v13
	v_subrev_u32_e32 v17, 28, v16
	v_and_b32_e32 v15, 15, v15
	v_lshlrev_b32_e32 v13, v17, v13
	v_sub_u32_e32 v16, 29, v16
	v_and_b32_e32 v13, 7, v13
	v_cmp_eq_u16_e32 vcc, 0, v15
	v_cndmask_b32_e32 v13, v14, v13, vcc
	v_cndmask_b32_e32 v14, v15, v16, vcc
	v_lshlrev_b32_e32 v15, 16, v2
	v_mov_b32_e32 v16, 0x3b800000
	v_lshlrev_b32_e32 v13, 20, v13
	v_and_b32_e32 v15, 0x80000000, v15
	v_lshl_add_u32 v14, v14, 23, v16
	v_or3_b32 v14, v15, v14, v13
.LBB2_6928:
	s_or_b64 exec, exec, s[6:7]
	s_nop 0
	v_mfma_f32_16x16x4f32 a[0:3], v12, v14, a[0:3]
	s_movk_i32 s4, 0xff
	v_and_b32_sdwa v13, v6, s4 dst_sel:DWORD dst_unused:UNUSED_PAD src0_sel:WORD_1 src1_sel:DWORD
	s_movk_i32 s4, 0x7f
	v_cmp_lt_i16_e32 vcc, s4, v13
	s_mov_b64 s[4:5], 0
                                        ; implicit-def: $sgpr10
	s_and_saveexec_b64 s[6:7], vcc
	s_xor_b64 s[6:7], exec, s[6:7]
	s_cbranch_execz .LBB2_6929
; %bb.42769:
	s_getpc_b64 s[14:15]
.Lpost_getpc24968:
	s_add_u32 s14, s14, (.LBB2_21265-.Lpost_getpc24968)&4294967295
	s_addc_u32 s15, s15, (.LBB2_21265-.Lpost_getpc24968)>>32
	s_setpc_b64 s[14:15]
.LBB2_6929:
	s_or_saveexec_b64 s[6:7], s[6:7]
	v_mov_b32_e32 v12, s10
	s_xor_b64 exec, exec, s[6:7]
	s_cbranch_execz .LBB2_6930
; %bb.42771:
	s_getpc_b64 s[14:15]
.Lpost_getpc24969:
	s_add_u32 s14, s14, (.LBB2_21268-.Lpost_getpc24969)&4294967295
	s_addc_u32 s15, s15, (.LBB2_21268-.Lpost_getpc24969)>>32
	s_setpc_b64 s[14:15]
.LBB2_6930:
	s_or_b64 exec, exec, s[6:7]
	s_and_saveexec_b64 s[6:7], s[4:5]
	s_cbranch_execz .LBB2_6932
.LBB2_6931:
	v_bfe_u32 v12, v6, 16, 3
	v_ffbh_u32_e32 v15, v12
	v_min_u32_e32 v15, 32, v15
	v_lshrrev_b32_e32 v13, 19, v6
	v_subrev_u32_e32 v16, 28, v15
	v_and_b32_e32 v13, 15, v13
	v_lshlrev_b32_sdwa v16, v16, v6 dst_sel:DWORD dst_unused:UNUSED_PAD src0_sel:DWORD src1_sel:WORD_1
	v_bfe_u32 v14, v6, 19, 4
	v_sub_u32_e32 v15, 29, v15
	v_and_b32_e32 v16, 7, v16
	v_cmp_eq_u16_e32 vcc, 0, v13
	v_cndmask_b32_e32 v12, v12, v16, vcc
	v_cndmask_b32_e32 v13, v14, v15, vcc
	v_lshlrev_b32_e32 v14, 8, v6
	v_mov_b32_e32 v15, 0x3b800000
	v_lshlrev_b32_e32 v12, 20, v12
	v_and_b32_e32 v14, 0x80000000, v14
	v_lshl_add_u32 v13, v13, 23, v15
	v_or3_b32 v12, v14, v13, v12
.LBB2_6932:
	s_or_b64 exec, exec, s[6:7]
	s_movk_i32 s4, 0xff
	v_and_b32_sdwa v13, v2, s4 dst_sel:DWORD dst_unused:UNUSED_PAD src0_sel:WORD_1 src1_sel:DWORD
	s_movk_i32 s4, 0x7f
	v_cmp_lt_i16_e32 vcc, s4, v13
	s_mov_b64 s[4:5], 0
                                        ; implicit-def: $sgpr10
	s_and_saveexec_b64 s[6:7], vcc
	s_xor_b64 s[6:7], exec, s[6:7]
	s_cbranch_execz .LBB2_6933
; %bb.42773:
	s_getpc_b64 s[14:15]
.Lpost_getpc24970:
	s_add_u32 s14, s14, (.LBB2_21269-.Lpost_getpc24970)&4294967295
	s_addc_u32 s15, s15, (.LBB2_21269-.Lpost_getpc24970)>>32
	s_setpc_b64 s[14:15]
.LBB2_6933:
	s_or_saveexec_b64 s[6:7], s[6:7]
	v_mov_b32_e32 v14, s10
	s_xor_b64 exec, exec, s[6:7]
	s_cbranch_execz .LBB2_6934
; %bb.42775:
	s_getpc_b64 s[14:15]
.Lpost_getpc24971:
	s_add_u32 s14, s14, (.LBB2_21272-.Lpost_getpc24971)&4294967295
	s_addc_u32 s15, s15, (.LBB2_21272-.Lpost_getpc24971)>>32
	s_setpc_b64 s[14:15]
.LBB2_6934:
	s_or_b64 exec, exec, s[6:7]
	s_and_saveexec_b64 s[6:7], s[4:5]
	s_cbranch_execz .LBB2_6936
.LBB2_6935:
	v_bfe_u32 v13, v2, 16, 3
	v_ffbh_u32_e32 v16, v13
	v_min_u32_e32 v16, 32, v16
	v_lshrrev_b32_e32 v14, 19, v2
	v_subrev_u32_e32 v17, 28, v16
	v_and_b32_e32 v14, 15, v14
	v_lshlrev_b32_sdwa v17, v17, v2 dst_sel:DWORD dst_unused:UNUSED_PAD src0_sel:DWORD src1_sel:WORD_1
	v_bfe_u32 v15, v2, 19, 4
	v_sub_u32_e32 v16, 29, v16
	v_and_b32_e32 v17, 7, v17
	v_cmp_eq_u16_e32 vcc, 0, v14
	v_cndmask_b32_e32 v13, v13, v17, vcc
	v_cndmask_b32_e32 v14, v15, v16, vcc
	v_lshlrev_b32_e32 v15, 8, v2
	v_mov_b32_e32 v16, 0x3b800000
	v_lshlrev_b32_e32 v13, 20, v13
	v_and_b32_e32 v15, 0x80000000, v15
	v_lshl_add_u32 v14, v14, 23, v16
	v_or3_b32 v14, v15, v14, v13
.LBB2_6936:
	s_or_b64 exec, exec, s[6:7]
	s_nop 0
	v_mfma_f32_16x16x4f32 a[0:3], v12, v14, a[0:3]
	s_movk_i32 s4, 0x7f
	v_cmp_gt_i16_sdwa s[6:7], v6, s4 src0_sel:BYTE_3 src1_sel:DWORD
	s_mov_b64 s[4:5], 0
                                        ; implicit-def: $sgpr10
	s_and_saveexec_b64 s[8:9], s[6:7]
	s_xor_b64 s[6:7], exec, s[8:9]
	s_cbranch_execz .LBB2_6937
; %bb.42777:
	s_getpc_b64 s[14:15]
.Lpost_getpc24972:
	s_add_u32 s14, s14, (.LBB2_21273-.Lpost_getpc24972)&4294967295
	s_addc_u32 s15, s15, (.LBB2_21273-.Lpost_getpc24972)>>32
	s_setpc_b64 s[14:15]
.LBB2_6937:
	s_or_saveexec_b64 s[6:7], s[6:7]
	v_mov_b32_e32 v12, s10
	s_xor_b64 exec, exec, s[6:7]
	s_cbranch_execz .LBB2_6938
; %bb.42779:
	s_getpc_b64 s[14:15]
.Lpost_getpc24973:
	s_add_u32 s14, s14, (.LBB2_21276-.Lpost_getpc24973)&4294967295
	s_addc_u32 s15, s15, (.LBB2_21276-.Lpost_getpc24973)>>32
	s_setpc_b64 s[14:15]
.LBB2_6938:
	s_or_b64 exec, exec, s[6:7]
	s_and_saveexec_b64 s[6:7], s[4:5]
	s_cbranch_execz .LBB2_6940
.LBB2_6939:
	v_bfe_u32 v12, v6, 24, 3
	v_ffbh_u32_e32 v16, v12
	v_min_u32_e32 v16, 32, v16
	v_lshrrev_b32_e32 v14, 27, v6
	v_subrev_u32_e32 v17, 28, v16
	v_and_b32_e32 v13, 0x80000000, v6
	v_and_b32_e32 v14, 15, v14
	v_bfe_u32 v15, v6, 27, 4
	v_lshlrev_b32_sdwa v6, v17, v6 dst_sel:DWORD dst_unused:UNUSED_PAD src0_sel:DWORD src1_sel:BYTE_3
	v_sub_u32_e32 v16, 29, v16
	v_and_b32_e32 v6, 7, v6
	v_cmp_eq_u16_e32 vcc, 0, v14
	v_cndmask_b32_e32 v6, v12, v6, vcc
	v_cndmask_b32_e32 v12, v15, v16, vcc
	v_mov_b32_e32 v14, 0x3b800000
	v_lshlrev_b32_e32 v6, 20, v6
	v_lshl_add_u32 v12, v12, 23, v14
	v_or3_b32 v12, v13, v12, v6
.LBB2_6940:
	s_or_b64 exec, exec, s[6:7]
	s_movk_i32 s4, 0x7f
	v_cmp_gt_i16_sdwa s[6:7], v2, s4 src0_sel:BYTE_3 src1_sel:DWORD
	s_mov_b64 s[4:5], 0
                                        ; implicit-def: $sgpr10
	s_and_saveexec_b64 s[8:9], s[6:7]
	s_xor_b64 s[6:7], exec, s[8:9]
	s_cbranch_execz .LBB2_6941
; %bb.42781:
	s_getpc_b64 s[14:15]
.Lpost_getpc24974:
	s_add_u32 s14, s14, (.LBB2_21277-.Lpost_getpc24974)&4294967295
	s_addc_u32 s15, s15, (.LBB2_21277-.Lpost_getpc24974)>>32
	s_setpc_b64 s[14:15]
.LBB2_6941:
	s_or_saveexec_b64 s[6:7], s[6:7]
	v_mov_b32_e32 v6, s10
	s_xor_b64 exec, exec, s[6:7]
	s_cbranch_execz .LBB2_6942
; %bb.42783:
	s_getpc_b64 s[14:15]
.Lpost_getpc24975:
	s_add_u32 s14, s14, (.LBB2_21280-.Lpost_getpc24975)&4294967295
	s_addc_u32 s15, s15, (.LBB2_21280-.Lpost_getpc24975)>>32
	s_setpc_b64 s[14:15]
.LBB2_6942:
	s_or_b64 exec, exec, s[6:7]
	s_and_saveexec_b64 s[6:7], s[4:5]
	s_cbranch_execz .LBB2_6944
.LBB2_6943:
	v_bfe_u32 v6, v2, 24, 3
	v_ffbh_u32_e32 v16, v6
	v_min_u32_e32 v16, 32, v16
	v_lshrrev_b32_e32 v14, 27, v2
	v_subrev_u32_e32 v17, 28, v16
	v_and_b32_e32 v13, 0x80000000, v2
	v_and_b32_e32 v14, 15, v14
	v_bfe_u32 v15, v2, 27, 4
	v_lshlrev_b32_sdwa v2, v17, v2 dst_sel:DWORD dst_unused:UNUSED_PAD src0_sel:DWORD src1_sel:BYTE_3
	v_sub_u32_e32 v16, 29, v16
	v_and_b32_e32 v2, 7, v2
	v_cmp_eq_u16_e32 vcc, 0, v14
	v_cndmask_b32_e32 v2, v6, v2, vcc
	v_cndmask_b32_e32 v6, v15, v16, vcc
	v_mov_b32_e32 v14, 0x3b800000
	v_lshlrev_b32_e32 v2, 20, v2
	v_lshl_add_u32 v6, v6, 23, v14
	v_or3_b32 v6, v13, v6, v2
.LBB2_6944:
	s_or_b64 exec, exec, s[6:7]
	s_nop 0
	v_mfma_f32_16x16x4f32 a[0:3], v12, v6, a[0:3]
	s_movk_i32 s4, 0x7f
	v_cmp_gt_i16_sdwa s[6:7], v7, s4 src0_sel:BYTE_0 src1_sel:DWORD
	s_mov_b64 s[4:5], 0
                                        ; implicit-def: $sgpr10
	s_and_saveexec_b64 s[8:9], s[6:7]
	s_xor_b64 s[6:7], exec, s[8:9]
	s_cbranch_execz .LBB2_6945
; %bb.42785:
	s_getpc_b64 s[14:15]
.Lpost_getpc24976:
	s_add_u32 s14, s14, (.LBB2_21281-.Lpost_getpc24976)&4294967295
	s_addc_u32 s15, s15, (.LBB2_21281-.Lpost_getpc24976)>>32
	s_setpc_b64 s[14:15]
.LBB2_6945:
	s_or_saveexec_b64 s[6:7], s[6:7]
	v_mov_b32_e32 v2, s10
	s_xor_b64 exec, exec, s[6:7]
	s_cbranch_execz .LBB2_6946
; %bb.42787:
	s_getpc_b64 s[14:15]
.Lpost_getpc24977:
	s_add_u32 s14, s14, (.LBB2_21284-.Lpost_getpc24977)&4294967295
	s_addc_u32 s15, s15, (.LBB2_21284-.Lpost_getpc24977)>>32
	s_setpc_b64 s[14:15]
.LBB2_6946:
	s_or_b64 exec, exec, s[6:7]
	s_and_saveexec_b64 s[6:7], s[4:5]
	s_cbranch_execz .LBB2_6948
.LBB2_6947:
	v_and_b32_e32 v2, 7, v7
	v_ffbh_u32_e32 v12, v2
	v_min_u32_e32 v12, 32, v12
	v_lshrrev_b16_e32 v6, 3, v7
	v_subrev_u32_e32 v13, 28, v12
	v_and_b32_e32 v6, 15, v6
	v_lshlrev_b32_e32 v13, v13, v7
	v_sub_u32_e32 v12, 29, v12
	v_and_b32_e32 v13, 7, v13
	v_cmp_eq_u16_e32 vcc, 0, v6
	v_cndmask_b32_e32 v2, v2, v13, vcc
	v_cndmask_b32_e32 v6, v6, v12, vcc
	v_lshlrev_b32_e32 v12, 24, v7
	v_mov_b32_e32 v13, 0x3b800000
	v_lshlrev_b32_e32 v2, 20, v2
	v_and_b32_e32 v12, 0x80000000, v12
	v_lshl_add_u32 v6, v6, 23, v13
	v_or3_b32 v2, v12, v6, v2
.LBB2_6948:
	s_or_b64 exec, exec, s[6:7]
	s_movk_i32 s4, 0x7f
	v_cmp_gt_i16_sdwa s[6:7], v3, s4 src0_sel:BYTE_0 src1_sel:DWORD
	s_mov_b64 s[4:5], 0
                                        ; implicit-def: $sgpr10
	s_and_saveexec_b64 s[8:9], s[6:7]
	s_xor_b64 s[6:7], exec, s[8:9]
	s_cbranch_execz .LBB2_6949
; %bb.42789:
	s_getpc_b64 s[14:15]
.Lpost_getpc24978:
	s_add_u32 s14, s14, (.LBB2_21285-.Lpost_getpc24978)&4294967295
	s_addc_u32 s15, s15, (.LBB2_21285-.Lpost_getpc24978)>>32
	s_setpc_b64 s[14:15]
.LBB2_6949:
	s_or_saveexec_b64 s[6:7], s[6:7]
	v_mov_b32_e32 v6, s10
	s_xor_b64 exec, exec, s[6:7]
	s_cbranch_execz .LBB2_6950
; %bb.42791:
	s_getpc_b64 s[14:15]
.Lpost_getpc24979:
	s_add_u32 s14, s14, (.LBB2_21288-.Lpost_getpc24979)&4294967295
	s_addc_u32 s15, s15, (.LBB2_21288-.Lpost_getpc24979)>>32
	s_setpc_b64 s[14:15]
.LBB2_6950:
	s_or_b64 exec, exec, s[6:7]
	s_and_saveexec_b64 s[6:7], s[4:5]
	s_cbranch_execz .LBB2_6952
.LBB2_6951:
	v_and_b32_e32 v6, 7, v3
	v_ffbh_u32_e32 v13, v6
	v_min_u32_e32 v13, 32, v13
	v_lshrrev_b16_e32 v12, 3, v3
	v_subrev_u32_e32 v14, 28, v13
	v_and_b32_e32 v12, 15, v12
	v_lshlrev_b32_e32 v14, v14, v3
	v_sub_u32_e32 v13, 29, v13
	v_and_b32_e32 v14, 7, v14
	v_cmp_eq_u16_e32 vcc, 0, v12
	v_cndmask_b32_e32 v6, v6, v14, vcc
	v_cndmask_b32_e32 v12, v12, v13, vcc
	v_lshlrev_b32_e32 v13, 24, v3
	v_mov_b32_e32 v14, 0x3b800000
	v_lshlrev_b32_e32 v6, 20, v6
	v_and_b32_e32 v13, 0x80000000, v13
	v_lshl_add_u32 v12, v12, 23, v14
	v_or3_b32 v6, v13, v12, v6
.LBB2_6952:
	s_or_b64 exec, exec, s[6:7]
	s_nop 0
	v_mfma_f32_16x16x4f32 a[0:3], v2, v6, a[0:3]
	v_lshrrev_b32_e32 v6, 8, v7
	s_movk_i32 s4, 0x7f
	v_cmp_gt_i16_sdwa s[6:7], v6, s4 src0_sel:BYTE_0 src1_sel:DWORD
	s_mov_b64 s[4:5], 0
                                        ; implicit-def: $sgpr10
	s_and_saveexec_b64 s[8:9], s[6:7]
	s_xor_b64 s[6:7], exec, s[8:9]
	s_cbranch_execz .LBB2_6953
; %bb.42793:
	s_getpc_b64 s[14:15]
.Lpost_getpc24980:
	s_add_u32 s14, s14, (.LBB2_21289-.Lpost_getpc24980)&4294967295
	s_addc_u32 s15, s15, (.LBB2_21289-.Lpost_getpc24980)>>32
	s_setpc_b64 s[14:15]
.LBB2_6953:
	s_or_saveexec_b64 s[6:7], s[6:7]
	v_mov_b32_e32 v2, s10
	s_xor_b64 exec, exec, s[6:7]
	s_cbranch_execz .LBB2_6954
; %bb.42795:
	s_getpc_b64 s[14:15]
.Lpost_getpc24981:
	s_add_u32 s14, s14, (.LBB2_21292-.Lpost_getpc24981)&4294967295
	s_addc_u32 s15, s15, (.LBB2_21292-.Lpost_getpc24981)>>32
	s_setpc_b64 s[14:15]
.LBB2_6954:
	s_or_b64 exec, exec, s[6:7]
	s_and_saveexec_b64 s[6:7], s[4:5]
	s_cbranch_execz .LBB2_6956
.LBB2_6955:
	v_bfe_u32 v2, v7, 8, 3
	v_ffbh_u32_e32 v13, v2
	v_min_u32_e32 v13, 32, v13
	v_lshrrev_b16_e32 v12, 3, v6
	v_subrev_u32_e32 v14, 28, v13
	v_and_b32_e32 v12, 15, v12
	v_lshlrev_b32_e32 v6, v14, v6
	v_sub_u32_e32 v13, 29, v13
	v_and_b32_e32 v6, 7, v6
	v_cmp_eq_u16_e32 vcc, 0, v12
	v_cndmask_b32_e32 v2, v2, v6, vcc
	v_cndmask_b32_e32 v6, v12, v13, vcc
	v_lshlrev_b32_e32 v12, 16, v7
	v_mov_b32_e32 v13, 0x3b800000
	v_lshlrev_b32_e32 v2, 20, v2
	v_and_b32_e32 v12, 0x80000000, v12
	v_lshl_add_u32 v6, v6, 23, v13
	v_or3_b32 v2, v12, v6, v2
.LBB2_6956:
	s_or_b64 exec, exec, s[6:7]
	v_lshrrev_b32_e32 v6, 8, v3
	s_movk_i32 s4, 0x7f
	v_cmp_gt_i16_sdwa s[6:7], v6, s4 src0_sel:BYTE_0 src1_sel:DWORD
	s_mov_b64 s[4:5], 0
                                        ; implicit-def: $sgpr10
	s_and_saveexec_b64 s[8:9], s[6:7]
	s_xor_b64 s[6:7], exec, s[8:9]
	s_cbranch_execz .LBB2_6957
; %bb.42797:
	s_getpc_b64 s[14:15]
.Lpost_getpc24982:
	s_add_u32 s14, s14, (.LBB2_21293-.Lpost_getpc24982)&4294967295
	s_addc_u32 s15, s15, (.LBB2_21293-.Lpost_getpc24982)>>32
	s_setpc_b64 s[14:15]
.LBB2_6957:
	s_or_saveexec_b64 s[6:7], s[6:7]
	v_mov_b32_e32 v12, s10
	s_xor_b64 exec, exec, s[6:7]
	s_cbranch_execz .LBB2_6958
; %bb.42799:
	s_getpc_b64 s[14:15]
.Lpost_getpc24983:
	s_add_u32 s14, s14, (.LBB2_21296-.Lpost_getpc24983)&4294967295
	s_addc_u32 s15, s15, (.LBB2_21296-.Lpost_getpc24983)>>32
	s_setpc_b64 s[14:15]
.LBB2_6958:
	s_or_b64 exec, exec, s[6:7]
	s_and_saveexec_b64 s[6:7], s[4:5]
	s_cbranch_execz .LBB2_6960
.LBB2_6959:
	v_bfe_u32 v12, v3, 8, 3
	v_ffbh_u32_e32 v14, v12
	v_min_u32_e32 v14, 32, v14
	v_lshrrev_b16_e32 v13, 3, v6
	v_subrev_u32_e32 v15, 28, v14
	v_and_b32_e32 v13, 15, v13
	v_lshlrev_b32_e32 v6, v15, v6
	v_sub_u32_e32 v14, 29, v14
	v_and_b32_e32 v6, 7, v6
	v_cmp_eq_u16_e32 vcc, 0, v13
	v_cndmask_b32_e32 v6, v12, v6, vcc
	v_cndmask_b32_e32 v12, v13, v14, vcc
	v_lshlrev_b32_e32 v13, 16, v3
	v_mov_b32_e32 v14, 0x3b800000
	v_lshlrev_b32_e32 v6, 20, v6
	v_and_b32_e32 v13, 0x80000000, v13
	v_lshl_add_u32 v12, v12, 23, v14
	v_or3_b32 v12, v13, v12, v6
.LBB2_6960:
	s_or_b64 exec, exec, s[6:7]
	s_nop 0
	v_mfma_f32_16x16x4f32 a[0:3], v2, v12, a[0:3]
	s_movk_i32 s4, 0xff
	v_and_b32_sdwa v6, v7, s4 dst_sel:DWORD dst_unused:UNUSED_PAD src0_sel:WORD_1 src1_sel:DWORD
	s_movk_i32 s4, 0x7f
	v_cmp_lt_i16_e32 vcc, s4, v6
	s_mov_b64 s[4:5], 0
                                        ; implicit-def: $sgpr10
	s_and_saveexec_b64 s[6:7], vcc
	s_xor_b64 s[6:7], exec, s[6:7]
	s_cbranch_execz .LBB2_6961
; %bb.42801:
	s_getpc_b64 s[14:15]
.Lpost_getpc24984:
	s_add_u32 s14, s14, (.LBB2_21297-.Lpost_getpc24984)&4294967295
	s_addc_u32 s15, s15, (.LBB2_21297-.Lpost_getpc24984)>>32
	s_setpc_b64 s[14:15]
.LBB2_6961:
	s_or_saveexec_b64 s[6:7], s[6:7]
	v_mov_b32_e32 v2, s10
	s_xor_b64 exec, exec, s[6:7]
	s_cbranch_execz .LBB2_6962
; %bb.42803:
	s_getpc_b64 s[14:15]
.Lpost_getpc24985:
	s_add_u32 s14, s14, (.LBB2_21300-.Lpost_getpc24985)&4294967295
	s_addc_u32 s15, s15, (.LBB2_21300-.Lpost_getpc24985)>>32
	s_setpc_b64 s[14:15]
.LBB2_6962:
	s_or_b64 exec, exec, s[6:7]
	s_and_saveexec_b64 s[6:7], s[4:5]
	s_cbranch_execz .LBB2_6964
.LBB2_6963:
	v_bfe_u32 v2, v7, 16, 3
	v_ffbh_u32_e32 v13, v2
	v_min_u32_e32 v13, 32, v13
	v_lshrrev_b32_e32 v6, 19, v7
	v_subrev_u32_e32 v14, 28, v13
	v_and_b32_e32 v6, 15, v6
	v_lshlrev_b32_sdwa v14, v14, v7 dst_sel:DWORD dst_unused:UNUSED_PAD src0_sel:DWORD src1_sel:WORD_1
	v_bfe_u32 v12, v7, 19, 4
	v_sub_u32_e32 v13, 29, v13
	v_and_b32_e32 v14, 7, v14
	v_cmp_eq_u16_e32 vcc, 0, v6
	v_cndmask_b32_e32 v2, v2, v14, vcc
	v_cndmask_b32_e32 v6, v12, v13, vcc
	v_lshlrev_b32_e32 v12, 8, v7
	v_mov_b32_e32 v13, 0x3b800000
	v_lshlrev_b32_e32 v2, 20, v2
	v_and_b32_e32 v12, 0x80000000, v12
	v_lshl_add_u32 v6, v6, 23, v13
	v_or3_b32 v2, v12, v6, v2
.LBB2_6964:
	s_or_b64 exec, exec, s[6:7]
	s_movk_i32 s4, 0xff
	v_and_b32_sdwa v6, v3, s4 dst_sel:DWORD dst_unused:UNUSED_PAD src0_sel:WORD_1 src1_sel:DWORD
	s_movk_i32 s4, 0x7f
	v_cmp_lt_i16_e32 vcc, s4, v6
	s_mov_b64 s[4:5], 0
                                        ; implicit-def: $sgpr10
	s_and_saveexec_b64 s[6:7], vcc
	s_xor_b64 s[6:7], exec, s[6:7]
	s_cbranch_execz .LBB2_6965
; %bb.42805:
	s_getpc_b64 s[14:15]
.Lpost_getpc24986:
	s_add_u32 s14, s14, (.LBB2_21301-.Lpost_getpc24986)&4294967295
	s_addc_u32 s15, s15, (.LBB2_21301-.Lpost_getpc24986)>>32
	s_setpc_b64 s[14:15]
.LBB2_6965:
	s_or_saveexec_b64 s[6:7], s[6:7]
	v_mov_b32_e32 v12, s10
	s_xor_b64 exec, exec, s[6:7]
	s_cbranch_execz .LBB2_6966
; %bb.42807:
	s_getpc_b64 s[14:15]
.Lpost_getpc24987:
	s_add_u32 s14, s14, (.LBB2_21304-.Lpost_getpc24987)&4294967295
	s_addc_u32 s15, s15, (.LBB2_21304-.Lpost_getpc24987)>>32
	s_setpc_b64 s[14:15]
.LBB2_6966:
	s_or_b64 exec, exec, s[6:7]
	s_and_saveexec_b64 s[6:7], s[4:5]
	s_cbranch_execz .LBB2_6968
.LBB2_6967:
	v_bfe_u32 v6, v3, 16, 3
	v_ffbh_u32_e32 v14, v6
	v_min_u32_e32 v14, 32, v14
	v_lshrrev_b32_e32 v12, 19, v3
	v_subrev_u32_e32 v15, 28, v14
	v_and_b32_e32 v12, 15, v12
	v_lshlrev_b32_sdwa v15, v15, v3 dst_sel:DWORD dst_unused:UNUSED_PAD src0_sel:DWORD src1_sel:WORD_1
	v_bfe_u32 v13, v3, 19, 4
	v_sub_u32_e32 v14, 29, v14
	v_and_b32_e32 v15, 7, v15
	v_cmp_eq_u16_e32 vcc, 0, v12
	v_cndmask_b32_e32 v6, v6, v15, vcc
	v_cndmask_b32_e32 v12, v13, v14, vcc
	v_lshlrev_b32_e32 v13, 8, v3
	v_mov_b32_e32 v14, 0x3b800000
	v_lshlrev_b32_e32 v6, 20, v6
	v_and_b32_e32 v13, 0x80000000, v13
	v_lshl_add_u32 v12, v12, 23, v14
	v_or3_b32 v12, v13, v12, v6
.LBB2_6968:
	s_or_b64 exec, exec, s[6:7]
	s_nop 0
	v_mfma_f32_16x16x4f32 a[0:3], v2, v12, a[0:3]
	s_movk_i32 s4, 0x7f
	v_cmp_gt_i16_sdwa s[6:7], v7, s4 src0_sel:BYTE_3 src1_sel:DWORD
	s_mov_b64 s[4:5], 0
                                        ; implicit-def: $sgpr10
	s_and_saveexec_b64 s[8:9], s[6:7]
	s_xor_b64 s[6:7], exec, s[8:9]
	s_cbranch_execz .LBB2_6969
; %bb.42809:
	s_getpc_b64 s[14:15]
.Lpost_getpc24988:
	s_add_u32 s14, s14, (.LBB2_21305-.Lpost_getpc24988)&4294967295
	s_addc_u32 s15, s15, (.LBB2_21305-.Lpost_getpc24988)>>32
	s_setpc_b64 s[14:15]
.LBB2_6969:
	s_or_saveexec_b64 s[6:7], s[6:7]
	v_mov_b32_e32 v2, s10
	s_xor_b64 exec, exec, s[6:7]
	s_cbranch_execz .LBB2_6970
; %bb.42811:
	s_getpc_b64 s[14:15]
.Lpost_getpc24989:
	s_add_u32 s14, s14, (.LBB2_21308-.Lpost_getpc24989)&4294967295
	s_addc_u32 s15, s15, (.LBB2_21308-.Lpost_getpc24989)>>32
	s_setpc_b64 s[14:15]
.LBB2_6970:
	s_or_b64 exec, exec, s[6:7]
	s_and_saveexec_b64 s[6:7], s[4:5]
	s_cbranch_execz .LBB2_6972
.LBB2_6971:
	v_bfe_u32 v2, v7, 24, 3
	v_ffbh_u32_e32 v14, v2
	v_min_u32_e32 v14, 32, v14
	v_lshrrev_b32_e32 v12, 27, v7
	v_subrev_u32_e32 v15, 28, v14
	v_and_b32_e32 v6, 0x80000000, v7
	v_and_b32_e32 v12, 15, v12
	v_bfe_u32 v13, v7, 27, 4
	v_lshlrev_b32_sdwa v7, v15, v7 dst_sel:DWORD dst_unused:UNUSED_PAD src0_sel:DWORD src1_sel:BYTE_3
	v_sub_u32_e32 v14, 29, v14
	v_and_b32_e32 v7, 7, v7
	v_cmp_eq_u16_e32 vcc, 0, v12
	v_cndmask_b32_e32 v2, v2, v7, vcc
	v_cndmask_b32_e32 v7, v13, v14, vcc
	v_mov_b32_e32 v12, 0x3b800000
	v_lshlrev_b32_e32 v2, 20, v2
	v_lshl_add_u32 v7, v7, 23, v12
	v_or3_b32 v2, v6, v7, v2
.LBB2_6972:
	s_or_b64 exec, exec, s[6:7]
	s_movk_i32 s4, 0x7f
	v_cmp_gt_i16_sdwa s[6:7], v3, s4 src0_sel:BYTE_3 src1_sel:DWORD
	s_mov_b64 s[4:5], 0
                                        ; implicit-def: $sgpr10
	s_and_saveexec_b64 s[8:9], s[6:7]
	s_xor_b64 s[6:7], exec, s[8:9]
	s_cbranch_execz .LBB2_6973
; %bb.42813:
	s_getpc_b64 s[14:15]
.Lpost_getpc24990:
	s_add_u32 s14, s14, (.LBB2_21309-.Lpost_getpc24990)&4294967295
	s_addc_u32 s15, s15, (.LBB2_21309-.Lpost_getpc24990)>>32
	s_setpc_b64 s[14:15]
.LBB2_6973:
	s_or_saveexec_b64 s[6:7], s[6:7]
	v_mov_b32_e32 v6, s10
	s_xor_b64 exec, exec, s[6:7]
	s_cbranch_execz .LBB2_6974
; %bb.42815:
	s_getpc_b64 s[14:15]
.Lpost_getpc24991:
	s_add_u32 s14, s14, (.LBB2_21312-.Lpost_getpc24991)&4294967295
	s_addc_u32 s15, s15, (.LBB2_21312-.Lpost_getpc24991)>>32
	s_setpc_b64 s[14:15]
.LBB2_6974:
	s_or_b64 exec, exec, s[6:7]
	s_and_saveexec_b64 s[6:7], s[4:5]
	s_cbranch_execz .LBB2_6976
.LBB2_6975:
	v_bfe_u32 v6, v3, 24, 3
	v_ffbh_u32_e32 v14, v6
	v_min_u32_e32 v14, 32, v14
	v_lshrrev_b32_e32 v12, 27, v3
	v_subrev_u32_e32 v15, 28, v14
	v_and_b32_e32 v7, 0x80000000, v3
	v_and_b32_e32 v12, 15, v12
	v_bfe_u32 v13, v3, 27, 4
	v_lshlrev_b32_sdwa v3, v15, v3 dst_sel:DWORD dst_unused:UNUSED_PAD src0_sel:DWORD src1_sel:BYTE_3
	v_sub_u32_e32 v14, 29, v14
	v_and_b32_e32 v3, 7, v3
	v_cmp_eq_u16_e32 vcc, 0, v12
	v_cndmask_b32_e32 v3, v6, v3, vcc
	v_cndmask_b32_e32 v6, v13, v14, vcc
	v_mov_b32_e32 v12, 0x3b800000
	v_lshlrev_b32_e32 v3, 20, v3
	v_lshl_add_u32 v6, v6, 23, v12
	v_or3_b32 v6, v7, v6, v3
.LBB2_6976:
	s_or_b64 exec, exec, s[6:7]
	s_nop 0
	v_mfma_f32_16x16x4f32 a[0:3], v2, v6, a[0:3]
	s_movk_i32 s4, 0x7f
	v_cmp_gt_i16_sdwa s[6:7], v8, s4 src0_sel:BYTE_0 src1_sel:DWORD
	s_mov_b64 s[4:5], 0
                                        ; implicit-def: $sgpr10
	s_and_saveexec_b64 s[8:9], s[6:7]
	s_xor_b64 s[6:7], exec, s[8:9]
	s_cbranch_execz .LBB2_6977
; %bb.42817:
	s_getpc_b64 s[14:15]
.Lpost_getpc24992:
	s_add_u32 s14, s14, (.LBB2_21313-.Lpost_getpc24992)&4294967295
	s_addc_u32 s15, s15, (.LBB2_21313-.Lpost_getpc24992)>>32
	s_setpc_b64 s[14:15]
.LBB2_6977:
	s_or_saveexec_b64 s[6:7], s[6:7]
	v_mov_b32_e32 v2, s10
	s_xor_b64 exec, exec, s[6:7]
	s_cbranch_execz .LBB2_6978
; %bb.42819:
	s_getpc_b64 s[14:15]
.Lpost_getpc24993:
	s_add_u32 s14, s14, (.LBB2_21316-.Lpost_getpc24993)&4294967295
	s_addc_u32 s15, s15, (.LBB2_21316-.Lpost_getpc24993)>>32
	s_setpc_b64 s[14:15]
.LBB2_6978:
	s_or_b64 exec, exec, s[6:7]
	s_and_saveexec_b64 s[6:7], s[4:5]
	s_cbranch_execz .LBB2_6980
.LBB2_6979:
	v_and_b32_e32 v2, 7, v8
	v_ffbh_u32_e32 v6, v2
	v_min_u32_e32 v6, 32, v6
	v_lshrrev_b16_e32 v3, 3, v8
	v_subrev_u32_e32 v7, 28, v6
	v_and_b32_e32 v3, 15, v3
	v_lshlrev_b32_e32 v7, v7, v8
	v_sub_u32_e32 v6, 29, v6
	v_and_b32_e32 v7, 7, v7
	v_cmp_eq_u16_e32 vcc, 0, v3
	v_cndmask_b32_e32 v2, v2, v7, vcc
	v_cndmask_b32_e32 v3, v3, v6, vcc
	v_lshlrev_b32_e32 v6, 24, v8
	v_mov_b32_e32 v7, 0x3b800000
	v_lshlrev_b32_e32 v2, 20, v2
	v_and_b32_e32 v6, 0x80000000, v6
	v_lshl_add_u32 v3, v3, 23, v7
	v_or3_b32 v2, v6, v3, v2
.LBB2_6980:
	s_or_b64 exec, exec, s[6:7]
	s_movk_i32 s4, 0x7f
	v_cmp_gt_i16_sdwa s[6:7], v4, s4 src0_sel:BYTE_0 src1_sel:DWORD
	s_mov_b64 s[4:5], 0
                                        ; implicit-def: $sgpr10
	s_and_saveexec_b64 s[8:9], s[6:7]
	s_xor_b64 s[6:7], exec, s[8:9]
	s_cbranch_execz .LBB2_6981
; %bb.42821:
	s_getpc_b64 s[14:15]
.Lpost_getpc24994:
	s_add_u32 s14, s14, (.LBB2_21317-.Lpost_getpc24994)&4294967295
	s_addc_u32 s15, s15, (.LBB2_21317-.Lpost_getpc24994)>>32
	s_setpc_b64 s[14:15]
.LBB2_6981:
	s_or_saveexec_b64 s[6:7], s[6:7]
	v_mov_b32_e32 v3, s10
	s_xor_b64 exec, exec, s[6:7]
	s_cbranch_execz .LBB2_6982
; %bb.42823:
	s_getpc_b64 s[14:15]
.Lpost_getpc24995:
	s_add_u32 s14, s14, (.LBB2_21320-.Lpost_getpc24995)&4294967295
	s_addc_u32 s15, s15, (.LBB2_21320-.Lpost_getpc24995)>>32
	s_setpc_b64 s[14:15]
.LBB2_6982:
	s_or_b64 exec, exec, s[6:7]
	s_and_saveexec_b64 s[6:7], s[4:5]
	s_cbranch_execz .LBB2_6984
.LBB2_6983:
	v_and_b32_e32 v3, 7, v4
	v_ffbh_u32_e32 v7, v3
	v_min_u32_e32 v7, 32, v7
	v_lshrrev_b16_e32 v6, 3, v4
	v_subrev_u32_e32 v12, 28, v7
	v_and_b32_e32 v6, 15, v6
	v_lshlrev_b32_e32 v12, v12, v4
	v_sub_u32_e32 v7, 29, v7
	v_and_b32_e32 v12, 7, v12
	v_cmp_eq_u16_e32 vcc, 0, v6
	v_cndmask_b32_e32 v3, v3, v12, vcc
	v_cndmask_b32_e32 v6, v6, v7, vcc
	v_lshlrev_b32_e32 v7, 24, v4
	v_mov_b32_e32 v12, 0x3b800000
	v_lshlrev_b32_e32 v3, 20, v3
	v_and_b32_e32 v7, 0x80000000, v7
	v_lshl_add_u32 v6, v6, 23, v12
	v_or3_b32 v3, v7, v6, v3
.LBB2_6984:
	s_or_b64 exec, exec, s[6:7]
	s_nop 0
	v_mfma_f32_16x16x4f32 a[0:3], v2, v3, a[0:3]
	v_lshrrev_b32_e32 v3, 8, v8
	s_movk_i32 s4, 0x7f
	v_cmp_gt_i16_sdwa s[6:7], v3, s4 src0_sel:BYTE_0 src1_sel:DWORD
	s_mov_b64 s[4:5], 0
                                        ; implicit-def: $sgpr10
	s_and_saveexec_b64 s[8:9], s[6:7]
	s_xor_b64 s[6:7], exec, s[8:9]
	s_cbranch_execz .LBB2_6985
; %bb.42825:
	s_getpc_b64 s[14:15]
.Lpost_getpc24996:
	s_add_u32 s14, s14, (.LBB2_21321-.Lpost_getpc24996)&4294967295
	s_addc_u32 s15, s15, (.LBB2_21321-.Lpost_getpc24996)>>32
	s_setpc_b64 s[14:15]
.LBB2_6985:
	s_or_saveexec_b64 s[6:7], s[6:7]
	v_mov_b32_e32 v2, s10
	s_xor_b64 exec, exec, s[6:7]
	s_cbranch_execz .LBB2_6986
; %bb.42827:
	s_getpc_b64 s[14:15]
.Lpost_getpc24997:
	s_add_u32 s14, s14, (.LBB2_21324-.Lpost_getpc24997)&4294967295
	s_addc_u32 s15, s15, (.LBB2_21324-.Lpost_getpc24997)>>32
	s_setpc_b64 s[14:15]
.LBB2_6986:
	s_or_b64 exec, exec, s[6:7]
	s_and_saveexec_b64 s[6:7], s[4:5]
	s_cbranch_execz .LBB2_6988
.LBB2_6987:
	v_bfe_u32 v2, v8, 8, 3
	v_ffbh_u32_e32 v7, v2
	v_min_u32_e32 v7, 32, v7
	v_lshrrev_b16_e32 v6, 3, v3
	v_subrev_u32_e32 v12, 28, v7
	v_and_b32_e32 v6, 15, v6
	v_lshlrev_b32_e32 v3, v12, v3
	v_sub_u32_e32 v7, 29, v7
	v_and_b32_e32 v3, 7, v3
	v_cmp_eq_u16_e32 vcc, 0, v6
	v_cndmask_b32_e32 v2, v2, v3, vcc
	v_cndmask_b32_e32 v3, v6, v7, vcc
	v_lshlrev_b32_e32 v6, 16, v8
	v_mov_b32_e32 v7, 0x3b800000
	v_lshlrev_b32_e32 v2, 20, v2
	v_and_b32_e32 v6, 0x80000000, v6
	v_lshl_add_u32 v3, v3, 23, v7
	v_or3_b32 v2, v6, v3, v2
.LBB2_6988:
	s_or_b64 exec, exec, s[6:7]
	v_lshrrev_b32_e32 v3, 8, v4
	s_movk_i32 s4, 0x7f
	v_cmp_gt_i16_sdwa s[6:7], v3, s4 src0_sel:BYTE_0 src1_sel:DWORD
	s_mov_b64 s[4:5], 0
                                        ; implicit-def: $sgpr10
	s_and_saveexec_b64 s[8:9], s[6:7]
	s_xor_b64 s[6:7], exec, s[8:9]
	s_cbranch_execz .LBB2_6989
; %bb.42829:
	s_getpc_b64 s[14:15]
.Lpost_getpc24998:
	s_add_u32 s14, s14, (.LBB2_21325-.Lpost_getpc24998)&4294967295
	s_addc_u32 s15, s15, (.LBB2_21325-.Lpost_getpc24998)>>32
	s_setpc_b64 s[14:15]
.LBB2_6989:
	s_or_saveexec_b64 s[6:7], s[6:7]
	v_mov_b32_e32 v6, s10
	s_xor_b64 exec, exec, s[6:7]
	s_cbranch_execz .LBB2_6990
; %bb.42831:
	s_getpc_b64 s[14:15]
.Lpost_getpc24999:
	s_add_u32 s14, s14, (.LBB2_21328-.Lpost_getpc24999)&4294967295
	s_addc_u32 s15, s15, (.LBB2_21328-.Lpost_getpc24999)>>32
	s_setpc_b64 s[14:15]
.LBB2_6990:
	s_or_b64 exec, exec, s[6:7]
	s_and_saveexec_b64 s[6:7], s[4:5]
	s_cbranch_execz .LBB2_6992
.LBB2_6991:
	v_bfe_u32 v6, v4, 8, 3
	v_ffbh_u32_e32 v12, v6
	v_min_u32_e32 v12, 32, v12
	v_lshrrev_b16_e32 v7, 3, v3
	v_subrev_u32_e32 v13, 28, v12
	v_and_b32_e32 v7, 15, v7
	v_lshlrev_b32_e32 v3, v13, v3
	v_sub_u32_e32 v12, 29, v12
	v_and_b32_e32 v3, 7, v3
	v_cmp_eq_u16_e32 vcc, 0, v7
	v_cndmask_b32_e32 v3, v6, v3, vcc
	v_cndmask_b32_e32 v6, v7, v12, vcc
	v_lshlrev_b32_e32 v7, 16, v4
	v_mov_b32_e32 v12, 0x3b800000
	v_lshlrev_b32_e32 v3, 20, v3
	v_and_b32_e32 v7, 0x80000000, v7
	v_lshl_add_u32 v6, v6, 23, v12
	v_or3_b32 v6, v7, v6, v3
.LBB2_6992:
	s_or_b64 exec, exec, s[6:7]
	s_nop 0
	v_mfma_f32_16x16x4f32 a[0:3], v2, v6, a[0:3]
	s_movk_i32 s4, 0xff
	v_and_b32_sdwa v3, v8, s4 dst_sel:DWORD dst_unused:UNUSED_PAD src0_sel:WORD_1 src1_sel:DWORD
	s_movk_i32 s4, 0x7f
	v_cmp_lt_i16_e32 vcc, s4, v3
	s_mov_b64 s[4:5], 0
                                        ; implicit-def: $sgpr10
	s_and_saveexec_b64 s[6:7], vcc
	s_xor_b64 s[6:7], exec, s[6:7]
	s_cbranch_execz .LBB2_6993
; %bb.42833:
	s_getpc_b64 s[14:15]
.Lpost_getpc25000:
	s_add_u32 s14, s14, (.LBB2_21329-.Lpost_getpc25000)&4294967295
	s_addc_u32 s15, s15, (.LBB2_21329-.Lpost_getpc25000)>>32
	s_setpc_b64 s[14:15]
.LBB2_6993:
	s_or_saveexec_b64 s[6:7], s[6:7]
	v_mov_b32_e32 v2, s10
	s_xor_b64 exec, exec, s[6:7]
	s_cbranch_execz .LBB2_6994
; %bb.42835:
	s_getpc_b64 s[14:15]
.Lpost_getpc25001:
	s_add_u32 s14, s14, (.LBB2_21332-.Lpost_getpc25001)&4294967295
	s_addc_u32 s15, s15, (.LBB2_21332-.Lpost_getpc25001)>>32
	s_setpc_b64 s[14:15]
.LBB2_6994:
	s_or_b64 exec, exec, s[6:7]
	s_and_saveexec_b64 s[6:7], s[4:5]
	s_cbranch_execz .LBB2_6996
.LBB2_6995:
	v_bfe_u32 v2, v8, 16, 3
	v_ffbh_u32_e32 v7, v2
	v_min_u32_e32 v7, 32, v7
	v_lshrrev_b32_e32 v3, 19, v8
	v_subrev_u32_e32 v12, 28, v7
	v_and_b32_e32 v3, 15, v3
	v_lshlrev_b32_sdwa v12, v12, v8 dst_sel:DWORD dst_unused:UNUSED_PAD src0_sel:DWORD src1_sel:WORD_1
	v_bfe_u32 v6, v8, 19, 4
	v_sub_u32_e32 v7, 29, v7
	v_and_b32_e32 v12, 7, v12
	v_cmp_eq_u16_e32 vcc, 0, v3
	v_cndmask_b32_e32 v2, v2, v12, vcc
	v_cndmask_b32_e32 v3, v6, v7, vcc
	v_lshlrev_b32_e32 v6, 8, v8
	v_mov_b32_e32 v7, 0x3b800000
	v_lshlrev_b32_e32 v2, 20, v2
	v_and_b32_e32 v6, 0x80000000, v6
	v_lshl_add_u32 v3, v3, 23, v7
	v_or3_b32 v2, v6, v3, v2
.LBB2_6996:
	s_or_b64 exec, exec, s[6:7]
	s_movk_i32 s4, 0xff
	v_and_b32_sdwa v3, v4, s4 dst_sel:DWORD dst_unused:UNUSED_PAD src0_sel:WORD_1 src1_sel:DWORD
	s_movk_i32 s4, 0x7f
	v_cmp_lt_i16_e32 vcc, s4, v3
	s_mov_b64 s[4:5], 0
                                        ; implicit-def: $sgpr10
	s_and_saveexec_b64 s[6:7], vcc
	s_xor_b64 s[6:7], exec, s[6:7]
	s_cbranch_execz .LBB2_6997
; %bb.42837:
	s_getpc_b64 s[14:15]
.Lpost_getpc25002:
	s_add_u32 s14, s14, (.LBB2_21333-.Lpost_getpc25002)&4294967295
	s_addc_u32 s15, s15, (.LBB2_21333-.Lpost_getpc25002)>>32
	s_setpc_b64 s[14:15]
.LBB2_6997:
	s_or_saveexec_b64 s[6:7], s[6:7]
	v_mov_b32_e32 v6, s10
	s_xor_b64 exec, exec, s[6:7]
	s_cbranch_execz .LBB2_6998
; %bb.42839:
	s_getpc_b64 s[14:15]
.Lpost_getpc25003:
	s_add_u32 s14, s14, (.LBB2_21336-.Lpost_getpc25003)&4294967295
	s_addc_u32 s15, s15, (.LBB2_21336-.Lpost_getpc25003)>>32
	s_setpc_b64 s[14:15]
.LBB2_6998:
	s_or_b64 exec, exec, s[6:7]
	s_and_saveexec_b64 s[6:7], s[4:5]
	s_cbranch_execz .LBB2_7000
.LBB2_6999:
	v_bfe_u32 v3, v4, 16, 3
	v_ffbh_u32_e32 v12, v3
	v_min_u32_e32 v12, 32, v12
	v_lshrrev_b32_e32 v6, 19, v4
	v_subrev_u32_e32 v13, 28, v12
	v_and_b32_e32 v6, 15, v6
	v_lshlrev_b32_sdwa v13, v13, v4 dst_sel:DWORD dst_unused:UNUSED_PAD src0_sel:DWORD src1_sel:WORD_1
	v_bfe_u32 v7, v4, 19, 4
	v_sub_u32_e32 v12, 29, v12
	v_and_b32_e32 v13, 7, v13
	v_cmp_eq_u16_e32 vcc, 0, v6
	v_cndmask_b32_e32 v3, v3, v13, vcc
	v_cndmask_b32_e32 v6, v7, v12, vcc
	v_lshlrev_b32_e32 v7, 8, v4
	v_mov_b32_e32 v12, 0x3b800000
	v_lshlrev_b32_e32 v3, 20, v3
	v_and_b32_e32 v7, 0x80000000, v7
	v_lshl_add_u32 v6, v6, 23, v12
	v_or3_b32 v6, v7, v6, v3
.LBB2_7000:
	s_or_b64 exec, exec, s[6:7]
	s_nop 0
	v_mfma_f32_16x16x4f32 a[0:3], v2, v6, a[0:3]
	s_movk_i32 s4, 0x7f
	v_cmp_gt_i16_sdwa s[6:7], v8, s4 src0_sel:BYTE_3 src1_sel:DWORD
	s_mov_b64 s[4:5], 0
                                        ; implicit-def: $sgpr10
	s_and_saveexec_b64 s[8:9], s[6:7]
	s_xor_b64 s[6:7], exec, s[8:9]
	s_cbranch_execz .LBB2_7001
; %bb.42841:
	s_getpc_b64 s[14:15]
.Lpost_getpc25004:
	s_add_u32 s14, s14, (.LBB2_21337-.Lpost_getpc25004)&4294967295
	s_addc_u32 s15, s15, (.LBB2_21337-.Lpost_getpc25004)>>32
	s_setpc_b64 s[14:15]
.LBB2_7001:
	s_or_saveexec_b64 s[6:7], s[6:7]
	v_mov_b32_e32 v2, s10
	s_xor_b64 exec, exec, s[6:7]
	s_cbranch_execz .LBB2_7002
; %bb.42843:
	s_getpc_b64 s[14:15]
.Lpost_getpc25005:
	s_add_u32 s14, s14, (.LBB2_21340-.Lpost_getpc25005)&4294967295
	s_addc_u32 s15, s15, (.LBB2_21340-.Lpost_getpc25005)>>32
	s_setpc_b64 s[14:15]
.LBB2_7002:
	s_or_b64 exec, exec, s[6:7]
	s_and_saveexec_b64 s[6:7], s[4:5]
	s_cbranch_execz .LBB2_7004
.LBB2_7003:
	v_bfe_u32 v2, v8, 24, 3
	v_ffbh_u32_e32 v12, v2
	v_min_u32_e32 v12, 32, v12
	v_lshrrev_b32_e32 v6, 27, v8
	v_subrev_u32_e32 v13, 28, v12
	v_and_b32_e32 v3, 0x80000000, v8
	v_and_b32_e32 v6, 15, v6
	v_bfe_u32 v7, v8, 27, 4
	v_lshlrev_b32_sdwa v8, v13, v8 dst_sel:DWORD dst_unused:UNUSED_PAD src0_sel:DWORD src1_sel:BYTE_3
	v_sub_u32_e32 v12, 29, v12
	v_and_b32_e32 v8, 7, v8
	v_cmp_eq_u16_e32 vcc, 0, v6
	v_cndmask_b32_e32 v2, v2, v8, vcc
	v_cndmask_b32_e32 v6, v7, v12, vcc
	v_mov_b32_e32 v7, 0x3b800000
	v_lshlrev_b32_e32 v2, 20, v2
	v_lshl_add_u32 v6, v6, 23, v7
	v_or3_b32 v2, v3, v6, v2
.LBB2_7004:
	s_or_b64 exec, exec, s[6:7]
	s_movk_i32 s4, 0x7f
	v_cmp_gt_i16_sdwa s[6:7], v4, s4 src0_sel:BYTE_3 src1_sel:DWORD
	s_mov_b64 s[4:5], 0
                                        ; implicit-def: $sgpr10
	s_and_saveexec_b64 s[8:9], s[6:7]
	s_xor_b64 s[6:7], exec, s[8:9]
	s_cbranch_execz .LBB2_7005
; %bb.42845:
	s_getpc_b64 s[14:15]
.Lpost_getpc25006:
	s_add_u32 s14, s14, (.LBB2_21341-.Lpost_getpc25006)&4294967295
	s_addc_u32 s15, s15, (.LBB2_21341-.Lpost_getpc25006)>>32
	s_setpc_b64 s[14:15]
.LBB2_7005:
	s_or_saveexec_b64 s[6:7], s[6:7]
	v_mov_b32_e32 v3, s10
	s_xor_b64 exec, exec, s[6:7]
	s_cbranch_execz .LBB2_7006
; %bb.42847:
	s_getpc_b64 s[14:15]
.Lpost_getpc25007:
	s_add_u32 s14, s14, (.LBB2_21344-.Lpost_getpc25007)&4294967295
	s_addc_u32 s15, s15, (.LBB2_21344-.Lpost_getpc25007)>>32
	s_setpc_b64 s[14:15]
.LBB2_7006:
	s_or_b64 exec, exec, s[6:7]
	s_and_saveexec_b64 s[6:7], s[4:5]
	s_cbranch_execz .LBB2_7008
.LBB2_7007:
	v_bfe_u32 v3, v4, 24, 3
	v_ffbh_u32_e32 v12, v3
	v_min_u32_e32 v12, 32, v12
	v_lshrrev_b32_e32 v7, 27, v4
	v_subrev_u32_e32 v13, 28, v12
	v_and_b32_e32 v6, 0x80000000, v4
	v_and_b32_e32 v7, 15, v7
	v_bfe_u32 v8, v4, 27, 4
	v_lshlrev_b32_sdwa v4, v13, v4 dst_sel:DWORD dst_unused:UNUSED_PAD src0_sel:DWORD src1_sel:BYTE_3
	v_sub_u32_e32 v12, 29, v12
	v_and_b32_e32 v4, 7, v4
	v_cmp_eq_u16_e32 vcc, 0, v7
	v_cndmask_b32_e32 v3, v3, v4, vcc
	v_cndmask_b32_e32 v4, v8, v12, vcc
	v_mov_b32_e32 v7, 0x3b800000
	v_lshlrev_b32_e32 v3, 20, v3
	v_lshl_add_u32 v4, v4, 23, v7
	v_or3_b32 v3, v6, v4, v3
.LBB2_7008:
	s_or_b64 exec, exec, s[6:7]
	s_nop 0
	v_mfma_f32_16x16x4f32 a[0:3], v2, v3, a[0:3]
	s_movk_i32 s4, 0x7f
	v_cmp_gt_i16_sdwa s[6:7], v9, s4 src0_sel:BYTE_0 src1_sel:DWORD
	s_mov_b64 s[4:5], 0
                                        ; implicit-def: $sgpr10
	s_and_saveexec_b64 s[8:9], s[6:7]
	s_xor_b64 s[6:7], exec, s[8:9]
	s_cbranch_execz .LBB2_7009
; %bb.42849:
	s_getpc_b64 s[14:15]
.Lpost_getpc25008:
	s_add_u32 s14, s14, (.LBB2_21345-.Lpost_getpc25008)&4294967295
	s_addc_u32 s15, s15, (.LBB2_21345-.Lpost_getpc25008)>>32
	s_setpc_b64 s[14:15]
.LBB2_7009:
	s_or_saveexec_b64 s[6:7], s[6:7]
	v_mov_b32_e32 v2, s10
	s_xor_b64 exec, exec, s[6:7]
	s_cbranch_execz .LBB2_7010
; %bb.42851:
	s_getpc_b64 s[14:15]
.Lpost_getpc25009:
	s_add_u32 s14, s14, (.LBB2_21348-.Lpost_getpc25009)&4294967295
	s_addc_u32 s15, s15, (.LBB2_21348-.Lpost_getpc25009)>>32
	s_setpc_b64 s[14:15]
.LBB2_7010:
	s_or_b64 exec, exec, s[6:7]
	s_and_saveexec_b64 s[6:7], s[4:5]
	s_cbranch_execz .LBB2_7012
.LBB2_7011:
	v_mov_b32_e32 v2, 8
	v_and_b32_e32 v3, 7, v9
	v_lshrrev_b32_sdwa v2, v2, v9 dst_sel:BYTE_1 dst_unused:UNUSED_PAD src0_sel:DWORD src1_sel:DWORD
	v_ffbh_u32_e32 v4, v3
	v_or_b32_sdwa v2, v9, v2 dst_sel:DWORD dst_unused:UNUSED_PAD src0_sel:BYTE_0 src1_sel:DWORD
	v_min_u32_e32 v4, 32, v4
	v_lshrrev_b16_e32 v2, 3, v2
	v_subrev_u32_e32 v6, 28, v4
	v_and_b32_e32 v2, 15, v2
	v_lshlrev_b32_e32 v6, v6, v9
	v_sub_u32_e32 v4, 29, v4
	v_and_b32_e32 v6, 7, v6
	v_cmp_eq_u16_e32 vcc, 0, v2
	v_cndmask_b32_e32 v3, v3, v6, vcc
	v_cndmask_b32_e32 v2, v2, v4, vcc
	v_lshlrev_b32_e32 v4, 24, v9
	v_mov_b32_e32 v6, 0x3b800000
	v_lshlrev_b32_e32 v3, 20, v3
	v_and_b32_e32 v4, 0x80000000, v4
	v_lshl_add_u32 v2, v2, 23, v6
	v_or3_b32 v2, v4, v2, v3
.LBB2_7012:
	s_or_b64 exec, exec, s[6:7]
	s_movk_i32 s4, 0x7f
	v_cmp_gt_i16_sdwa s[6:7], v5, s4 src0_sel:BYTE_0 src1_sel:DWORD
	s_mov_b64 s[4:5], 0
                                        ; implicit-def: $sgpr10
	s_and_saveexec_b64 s[8:9], s[6:7]
	s_xor_b64 s[6:7], exec, s[8:9]
	s_cbranch_execz .LBB2_7013
; %bb.42853:
	s_getpc_b64 s[14:15]
.Lpost_getpc25010:
	s_add_u32 s14, s14, (.LBB2_21349-.Lpost_getpc25010)&4294967295
	s_addc_u32 s15, s15, (.LBB2_21349-.Lpost_getpc25010)>>32
	s_setpc_b64 s[14:15]
.LBB2_7013:
	s_or_saveexec_b64 s[6:7], s[6:7]
	v_mov_b32_e32 v3, s10
	s_xor_b64 exec, exec, s[6:7]
	s_cbranch_execz .LBB2_7014
; %bb.42855:
	s_getpc_b64 s[14:15]
.Lpost_getpc25011:
	s_add_u32 s14, s14, (.LBB2_21352-.Lpost_getpc25011)&4294967295
	s_addc_u32 s15, s15, (.LBB2_21352-.Lpost_getpc25011)>>32
	s_setpc_b64 s[14:15]
.LBB2_7014:
	s_or_b64 exec, exec, s[6:7]
	s_and_saveexec_b64 s[6:7], s[4:5]
	s_cbranch_execz .LBB2_7016
.LBB2_7015:
	v_mov_b32_e32 v3, 8
	v_and_b32_e32 v4, 7, v5
	v_lshrrev_b32_sdwa v3, v3, v5 dst_sel:BYTE_1 dst_unused:UNUSED_PAD src0_sel:DWORD src1_sel:DWORD
	v_ffbh_u32_e32 v6, v4
	v_or_b32_sdwa v3, v5, v3 dst_sel:DWORD dst_unused:UNUSED_PAD src0_sel:BYTE_0 src1_sel:DWORD
	v_min_u32_e32 v6, 32, v6
	v_lshrrev_b16_e32 v3, 3, v3
	v_subrev_u32_e32 v7, 28, v6
	v_and_b32_e32 v3, 15, v3
	v_lshlrev_b32_e32 v7, v7, v5
	v_sub_u32_e32 v6, 29, v6
	v_and_b32_e32 v7, 7, v7
	v_cmp_eq_u16_e32 vcc, 0, v3
	v_cndmask_b32_e32 v4, v4, v7, vcc
	v_cndmask_b32_e32 v3, v3, v6, vcc
	v_lshlrev_b32_e32 v6, 24, v5
	v_mov_b32_e32 v7, 0x3b800000
	v_lshlrev_b32_e32 v4, 20, v4
	v_and_b32_e32 v6, 0x80000000, v6
	v_lshl_add_u32 v3, v3, 23, v7
	v_or3_b32 v3, v6, v3, v4
.LBB2_7016:
	s_or_b64 exec, exec, s[6:7]
	s_nop 0
	v_mfma_f32_16x16x4f32 a[0:3], v2, v3, a[0:3]
	v_lshrrev_b32_e32 v3, 8, v9
	s_movk_i32 s4, 0x7f
	v_cmp_gt_i16_sdwa s[6:7], v3, s4 src0_sel:BYTE_0 src1_sel:DWORD
	s_mov_b64 s[4:5], 0
                                        ; implicit-def: $sgpr10
	s_and_saveexec_b64 s[8:9], s[6:7]
	s_xor_b64 s[6:7], exec, s[8:9]
	s_cbranch_execz .LBB2_7017
; %bb.42857:
	s_getpc_b64 s[14:15]
.Lpost_getpc25012:
	s_add_u32 s14, s14, (.LBB2_21353-.Lpost_getpc25012)&4294967295
	s_addc_u32 s15, s15, (.LBB2_21353-.Lpost_getpc25012)>>32
	s_setpc_b64 s[14:15]
.LBB2_7017:
	s_or_saveexec_b64 s[6:7], s[6:7]
	v_mov_b32_e32 v2, s10
	s_xor_b64 exec, exec, s[6:7]
	s_cbranch_execz .LBB2_7018
; %bb.42859:
	s_getpc_b64 s[14:15]
.Lpost_getpc25013:
	s_add_u32 s14, s14, (.LBB2_21356-.Lpost_getpc25013)&4294967295
	s_addc_u32 s15, s15, (.LBB2_21356-.Lpost_getpc25013)>>32
	s_setpc_b64 s[14:15]
.LBB2_7018:
	s_or_b64 exec, exec, s[6:7]
	s_and_saveexec_b64 s[6:7], s[4:5]
	s_cbranch_execz .LBB2_7020
.LBB2_7019:
	v_bfe_u32 v2, v9, 8, 3
	v_ffbh_u32_e32 v6, v2
	v_min_u32_e32 v6, 32, v6
	v_lshrrev_b16_e32 v4, 3, v3
	v_subrev_u32_e32 v7, 28, v6
	v_and_b32_e32 v4, 15, v4
	v_lshlrev_b32_e32 v3, v7, v3
	v_sub_u32_e32 v6, 29, v6
	v_and_b32_e32 v3, 7, v3
	v_cmp_eq_u16_e32 vcc, 0, v4
	v_cndmask_b32_e32 v2, v2, v3, vcc
	v_cndmask_b32_e32 v3, v4, v6, vcc
	v_lshlrev_b32_e32 v4, 16, v9
	v_mov_b32_e32 v6, 0x3b800000
	v_lshlrev_b32_e32 v2, 20, v2
	v_and_b32_e32 v4, 0x80000000, v4
	v_lshl_add_u32 v3, v3, 23, v6
	v_or3_b32 v2, v4, v3, v2
.LBB2_7020:
	s_or_b64 exec, exec, s[6:7]
	v_lshrrev_b32_e32 v3, 8, v5
	s_movk_i32 s4, 0x7f
	v_cmp_gt_i16_sdwa s[6:7], v3, s4 src0_sel:BYTE_0 src1_sel:DWORD
	s_mov_b64 s[4:5], 0
                                        ; implicit-def: $sgpr10
	s_and_saveexec_b64 s[8:9], s[6:7]
	s_xor_b64 s[6:7], exec, s[8:9]
	s_cbranch_execz .LBB2_7021
; %bb.42861:
	s_getpc_b64 s[14:15]
.Lpost_getpc25014:
	s_add_u32 s14, s14, (.LBB2_21357-.Lpost_getpc25014)&4294967295
	s_addc_u32 s15, s15, (.LBB2_21357-.Lpost_getpc25014)>>32
	s_setpc_b64 s[14:15]
.LBB2_7021:
	s_or_saveexec_b64 s[6:7], s[6:7]
	v_mov_b32_e32 v4, s10
	s_xor_b64 exec, exec, s[6:7]
	s_cbranch_execz .LBB2_7022
; %bb.42863:
	s_getpc_b64 s[14:15]
.Lpost_getpc25015:
	s_add_u32 s14, s14, (.LBB2_21360-.Lpost_getpc25015)&4294967295
	s_addc_u32 s15, s15, (.LBB2_21360-.Lpost_getpc25015)>>32
	s_setpc_b64 s[14:15]
.LBB2_7022:
	s_or_b64 exec, exec, s[6:7]
	s_and_saveexec_b64 s[6:7], s[4:5]
	s_cbranch_execz .LBB2_7024
.LBB2_7023:
	v_bfe_u32 v4, v5, 8, 3
	v_ffbh_u32_e32 v7, v4
	v_min_u32_e32 v7, 32, v7
	v_lshrrev_b16_e32 v6, 3, v3
	v_subrev_u32_e32 v8, 28, v7
	v_and_b32_e32 v6, 15, v6
	v_lshlrev_b32_e32 v3, v8, v3
	v_sub_u32_e32 v7, 29, v7
	v_and_b32_e32 v3, 7, v3
	v_cmp_eq_u16_e32 vcc, 0, v6
	v_cndmask_b32_e32 v3, v4, v3, vcc
	v_cndmask_b32_e32 v4, v6, v7, vcc
	v_lshlrev_b32_e32 v6, 16, v5
	v_mov_b32_e32 v7, 0x3b800000
	v_lshlrev_b32_e32 v3, 20, v3
	v_and_b32_e32 v6, 0x80000000, v6
	v_lshl_add_u32 v4, v4, 23, v7
	v_or3_b32 v4, v6, v4, v3
.LBB2_7024:
	s_or_b64 exec, exec, s[6:7]
	s_nop 0
	v_mfma_f32_16x16x4f32 a[0:3], v2, v4, a[0:3]
	s_movk_i32 s4, 0xff
	v_and_b32_sdwa v3, v9, s4 dst_sel:DWORD dst_unused:UNUSED_PAD src0_sel:WORD_1 src1_sel:DWORD
	s_movk_i32 s4, 0x7f
	v_cmp_lt_i16_e32 vcc, s4, v3
	s_mov_b64 s[4:5], 0
                                        ; implicit-def: $sgpr10
	s_and_saveexec_b64 s[6:7], vcc
	s_xor_b64 s[6:7], exec, s[6:7]
	s_cbranch_execz .LBB2_7025
; %bb.42865:
	s_getpc_b64 s[14:15]
.Lpost_getpc25016:
	s_add_u32 s14, s14, (.LBB2_21361-.Lpost_getpc25016)&4294967295
	s_addc_u32 s15, s15, (.LBB2_21361-.Lpost_getpc25016)>>32
	s_setpc_b64 s[14:15]
.LBB2_7025:
	s_or_saveexec_b64 s[6:7], s[6:7]
	v_mov_b32_e32 v2, s10
	s_xor_b64 exec, exec, s[6:7]
	s_cbranch_execz .LBB2_7026
; %bb.42867:
	s_getpc_b64 s[14:15]
.Lpost_getpc25017:
	s_add_u32 s14, s14, (.LBB2_21364-.Lpost_getpc25017)&4294967295
	s_addc_u32 s15, s15, (.LBB2_21364-.Lpost_getpc25017)>>32
	s_setpc_b64 s[14:15]
.LBB2_7026:
	s_or_b64 exec, exec, s[6:7]
	s_and_saveexec_b64 s[6:7], s[4:5]
	s_cbranch_execz .LBB2_7028
.LBB2_7027:
	v_bfe_u32 v2, v9, 16, 3
	v_ffbh_u32_e32 v6, v2
	v_min_u32_e32 v6, 32, v6
	v_lshrrev_b32_e32 v3, 19, v9
	v_subrev_u32_e32 v7, 28, v6
	v_and_b32_e32 v3, 15, v3
	v_lshlrev_b32_sdwa v7, v7, v9 dst_sel:DWORD dst_unused:UNUSED_PAD src0_sel:DWORD src1_sel:WORD_1
	v_bfe_u32 v4, v9, 19, 4
	v_sub_u32_e32 v6, 29, v6
	v_and_b32_e32 v7, 7, v7
	v_cmp_eq_u16_e32 vcc, 0, v3
	v_cndmask_b32_e32 v2, v2, v7, vcc
	v_cndmask_b32_e32 v3, v4, v6, vcc
	v_lshlrev_b32_e32 v4, 8, v9
	v_mov_b32_e32 v6, 0x3b800000
	v_lshlrev_b32_e32 v2, 20, v2
	v_and_b32_e32 v4, 0x80000000, v4
	v_lshl_add_u32 v3, v3, 23, v6
	v_or3_b32 v2, v4, v3, v2
.LBB2_7028:
	s_or_b64 exec, exec, s[6:7]
	s_movk_i32 s4, 0xff
	v_and_b32_sdwa v3, v5, s4 dst_sel:DWORD dst_unused:UNUSED_PAD src0_sel:WORD_1 src1_sel:DWORD
	s_movk_i32 s4, 0x7f
	v_cmp_lt_i16_e32 vcc, s4, v3
	s_mov_b64 s[4:5], 0
                                        ; implicit-def: $sgpr10
	s_and_saveexec_b64 s[6:7], vcc
	s_xor_b64 s[6:7], exec, s[6:7]
	s_cbranch_execz .LBB2_7029
; %bb.42869:
	s_getpc_b64 s[14:15]
.Lpost_getpc25018:
	s_add_u32 s14, s14, (.LBB2_21365-.Lpost_getpc25018)&4294967295
	s_addc_u32 s15, s15, (.LBB2_21365-.Lpost_getpc25018)>>32
	s_setpc_b64 s[14:15]
.LBB2_7029:
	s_or_saveexec_b64 s[6:7], s[6:7]
	v_mov_b32_e32 v4, s10
	s_xor_b64 exec, exec, s[6:7]
	s_cbranch_execz .LBB2_7030
; %bb.42871:
	s_getpc_b64 s[14:15]
.Lpost_getpc25019:
	s_add_u32 s14, s14, (.LBB2_21368-.Lpost_getpc25019)&4294967295
	s_addc_u32 s15, s15, (.LBB2_21368-.Lpost_getpc25019)>>32
	s_setpc_b64 s[14:15]
.LBB2_7030:
	s_or_b64 exec, exec, s[6:7]
	s_and_saveexec_b64 s[6:7], s[4:5]
	s_cbranch_execz .LBB2_7032
.LBB2_7031:
	v_bfe_u32 v3, v5, 16, 3
	v_ffbh_u32_e32 v7, v3
	v_min_u32_e32 v7, 32, v7
	v_lshrrev_b32_e32 v4, 19, v5
	v_subrev_u32_e32 v8, 28, v7
	v_and_b32_e32 v4, 15, v4
	v_lshlrev_b32_sdwa v8, v8, v5 dst_sel:DWORD dst_unused:UNUSED_PAD src0_sel:DWORD src1_sel:WORD_1
	v_bfe_u32 v6, v5, 19, 4
	v_sub_u32_e32 v7, 29, v7
	v_and_b32_e32 v8, 7, v8
	v_cmp_eq_u16_e32 vcc, 0, v4
	v_cndmask_b32_e32 v3, v3, v8, vcc
	v_cndmask_b32_e32 v4, v6, v7, vcc
	v_lshlrev_b32_e32 v6, 8, v5
	v_mov_b32_e32 v7, 0x3b800000
	v_lshlrev_b32_e32 v3, 20, v3
	v_and_b32_e32 v6, 0x80000000, v6
	v_lshl_add_u32 v4, v4, 23, v7
	v_or3_b32 v4, v6, v4, v3
.LBB2_7032:
	s_or_b64 exec, exec, s[6:7]
	s_nop 0
	v_mfma_f32_16x16x4f32 a[0:3], v2, v4, a[0:3]
	s_movk_i32 s4, 0x7f
	v_cmp_gt_i16_sdwa s[6:7], v9, s4 src0_sel:BYTE_3 src1_sel:DWORD
	s_mov_b64 s[4:5], 0
                                        ; implicit-def: $sgpr10
	s_and_saveexec_b64 s[8:9], s[6:7]
	s_xor_b64 s[6:7], exec, s[8:9]
	s_cbranch_execz .LBB2_7033
; %bb.42873:
	s_getpc_b64 s[14:15]
.Lpost_getpc25020:
	s_add_u32 s14, s14, (.LBB2_21369-.Lpost_getpc25020)&4294967295
	s_addc_u32 s15, s15, (.LBB2_21369-.Lpost_getpc25020)>>32
	s_setpc_b64 s[14:15]
.LBB2_7033:
	s_or_saveexec_b64 s[6:7], s[6:7]
	v_mov_b32_e32 v2, s10
	s_xor_b64 exec, exec, s[6:7]
	s_cbranch_execz .LBB2_7034
; %bb.42875:
	s_getpc_b64 s[14:15]
.Lpost_getpc25021:
	s_add_u32 s14, s14, (.LBB2_21372-.Lpost_getpc25021)&4294967295
	s_addc_u32 s15, s15, (.LBB2_21372-.Lpost_getpc25021)>>32
	s_setpc_b64 s[14:15]
.LBB2_7034:
	s_or_b64 exec, exec, s[6:7]
	s_and_saveexec_b64 s[6:7], s[4:5]
	s_cbranch_execz .LBB2_7036
.LBB2_7035:
	v_bfe_u32 v2, v9, 24, 3
	v_ffbh_u32_e32 v7, v2
	v_min_u32_e32 v7, 32, v7
	v_lshrrev_b32_e32 v4, 27, v9
	v_subrev_u32_e32 v8, 28, v7
	v_and_b32_e32 v4, 15, v4
	v_lshlrev_b32_sdwa v8, v8, v9 dst_sel:DWORD dst_unused:UNUSED_PAD src0_sel:DWORD src1_sel:BYTE_3
	v_bfe_u32 v6, v9, 27, 4
	v_sub_u32_e32 v7, 29, v7
	v_and_b32_e32 v8, 7, v8
	v_cmp_eq_u16_e32 vcc, 0, v4
	v_cndmask_b32_e32 v2, v2, v8, vcc
	v_cndmask_b32_e32 v4, v6, v7, vcc
	v_mov_b32_e32 v6, 0x3b800000
	v_and_b32_e32 v3, 0x80000000, v9
	v_lshlrev_b32_e32 v2, 20, v2
	v_lshl_add_u32 v4, v4, 23, v6
	v_or3_b32 v2, v3, v4, v2
.LBB2_7036:
	s_or_b64 exec, exec, s[6:7]
	s_movk_i32 s4, 0x7f
	v_cmp_gt_i16_sdwa s[6:7], v5, s4 src0_sel:BYTE_3 src1_sel:DWORD
	s_mov_b64 s[4:5], 0
                                        ; implicit-def: $sgpr10
	s_and_saveexec_b64 s[8:9], s[6:7]
	s_xor_b64 s[6:7], exec, s[8:9]
	s_cbranch_execz .LBB2_7037
; %bb.42877:
	s_getpc_b64 s[14:15]
.Lpost_getpc25022:
	s_add_u32 s14, s14, (.LBB2_21373-.Lpost_getpc25022)&4294967295
	s_addc_u32 s15, s15, (.LBB2_21373-.Lpost_getpc25022)>>32
	s_setpc_b64 s[14:15]
.LBB2_7037:
	s_or_saveexec_b64 s[6:7], s[6:7]
	v_mov_b32_e32 v3, s10
	s_xor_b64 exec, exec, s[6:7]
	s_cbranch_execz .LBB2_7038
; %bb.42879:
	s_getpc_b64 s[14:15]
.Lpost_getpc25023:
	s_add_u32 s14, s14, (.LBB2_21376-.Lpost_getpc25023)&4294967295
	s_addc_u32 s15, s15, (.LBB2_21376-.Lpost_getpc25023)>>32
	s_setpc_b64 s[14:15]
.LBB2_7038:
	s_or_b64 exec, exec, s[6:7]
	s_and_saveexec_b64 s[6:7], s[4:5]
	s_cbranch_execz .LBB2_7040
.LBB2_7039:
	v_bfe_u32 v3, v5, 24, 3
	v_ffbh_u32_e32 v8, v3
	v_min_u32_e32 v8, 32, v8
	v_lshrrev_b32_e32 v6, 27, v5
	v_subrev_u32_e32 v9, 28, v8
	v_and_b32_e32 v4, 0x80000000, v5
	v_and_b32_e32 v6, 15, v6
	v_bfe_u32 v7, v5, 27, 4
	v_lshlrev_b32_sdwa v5, v9, v5 dst_sel:DWORD dst_unused:UNUSED_PAD src0_sel:DWORD src1_sel:BYTE_3
	v_sub_u32_e32 v8, 29, v8
	v_and_b32_e32 v5, 7, v5
	v_cmp_eq_u16_e32 vcc, 0, v6
	v_cndmask_b32_e32 v3, v3, v5, vcc
	v_cndmask_b32_e32 v5, v7, v8, vcc
	v_mov_b32_e32 v6, 0x3b800000
	v_lshlrev_b32_e32 v3, 20, v3
	v_lshl_add_u32 v5, v5, 23, v6
	v_or3_b32 v3, v4, v5, v3
.LBB2_7040:
	s_or_b64 exec, exec, s[6:7]
	s_nop 0
	v_mfma_f32_16x16x4f32 a[0:3], v2, v3, a[0:3]
	s_movk_i32 s4, 0x7f
                                        ; implicit-def: $sgpr10
	s_nop 7
	s_nop 1
	flat_store_dwordx4 v[10:11], a[0:3] offset:864
	flat_load_dwordx4 v[12:15], v[0:1]
	s_nop 0
	flat_load_dwordx2 v[10:11], v[0:1] offset:16
	s_waitcnt vmcnt(0) lgkmcnt(0)
	flat_load_dwordx4 v[6:9], v[12:13] offset:96
	flat_load_dwordx4 v[2:5], v[14:15] offset:112
	s_waitcnt vmcnt(0) lgkmcnt(0)
	v_cmp_gt_i16_sdwa s[6:7], v6, s4 src0_sel:BYTE_0 src1_sel:DWORD
	s_mov_b64 s[4:5], 0
	s_and_saveexec_b64 s[8:9], s[6:7]
	s_xor_b64 s[6:7], exec, s[8:9]
	s_cbranch_execz .LBB2_7041
; %bb.42881:
	s_getpc_b64 s[14:15]
.Lpost_getpc25024:
	s_add_u32 s14, s14, (.LBB2_21377-.Lpost_getpc25024)&4294967295
	s_addc_u32 s15, s15, (.LBB2_21377-.Lpost_getpc25024)>>32
	s_setpc_b64 s[14:15]
.LBB2_7041:
	s_or_saveexec_b64 s[6:7], s[6:7]
	v_mov_b32_e32 v12, s10
	s_xor_b64 exec, exec, s[6:7]
	s_cbranch_execz .LBB2_7042
; %bb.42883:
	s_getpc_b64 s[14:15]
.Lpost_getpc25025:
	s_add_u32 s14, s14, (.LBB2_21380-.Lpost_getpc25025)&4294967295
	s_addc_u32 s15, s15, (.LBB2_21380-.Lpost_getpc25025)>>32
	s_setpc_b64 s[14:15]
.LBB2_7042:
	s_or_b64 exec, exec, s[6:7]
	s_and_saveexec_b64 s[6:7], s[4:5]
	s_cbranch_execz .LBB2_7044
.LBB2_7043:
	v_and_b32_e32 v12, 7, v6
	v_ffbh_u32_e32 v14, v12
	v_min_u32_e32 v14, 32, v14
	v_lshrrev_b16_e32 v13, 3, v6
	v_subrev_u32_e32 v15, 28, v14
	v_and_b32_e32 v13, 15, v13
	v_lshlrev_b32_e32 v15, v15, v6
	v_sub_u32_e32 v14, 29, v14
	v_and_b32_e32 v15, 7, v15
	v_cmp_eq_u16_e32 vcc, 0, v13
	v_cndmask_b32_e32 v12, v12, v15, vcc
	v_cndmask_b32_e32 v13, v13, v14, vcc
	v_lshlrev_b32_e32 v14, 24, v6
	v_mov_b32_e32 v15, 0x3b800000
	v_lshlrev_b32_e32 v12, 20, v12
	v_and_b32_e32 v14, 0x80000000, v14
	v_lshl_add_u32 v13, v13, 23, v15
	v_or3_b32 v12, v14, v13, v12
.LBB2_7044:
	s_or_b64 exec, exec, s[6:7]
	s_movk_i32 s4, 0x7f
	v_cmp_gt_i16_sdwa s[6:7], v2, s4 src0_sel:BYTE_0 src1_sel:DWORD
	s_mov_b64 s[4:5], 0
                                        ; implicit-def: $sgpr10
	s_and_saveexec_b64 s[8:9], s[6:7]
	s_xor_b64 s[6:7], exec, s[8:9]
	s_cbranch_execz .LBB2_7045
; %bb.42885:
	s_getpc_b64 s[14:15]
.Lpost_getpc25026:
	s_add_u32 s14, s14, (.LBB2_21381-.Lpost_getpc25026)&4294967295
	s_addc_u32 s15, s15, (.LBB2_21381-.Lpost_getpc25026)>>32
	s_setpc_b64 s[14:15]
.LBB2_7045:
	s_or_saveexec_b64 s[6:7], s[6:7]
	v_mov_b32_e32 v13, s10
	s_xor_b64 exec, exec, s[6:7]
	s_cbranch_execz .LBB2_7046
; %bb.42887:
	s_getpc_b64 s[14:15]
.Lpost_getpc25027:
	s_add_u32 s14, s14, (.LBB2_21384-.Lpost_getpc25027)&4294967295
	s_addc_u32 s15, s15, (.LBB2_21384-.Lpost_getpc25027)>>32
	s_setpc_b64 s[14:15]
.LBB2_7046:
	s_or_b64 exec, exec, s[6:7]
	s_and_saveexec_b64 s[6:7], s[4:5]
	s_cbranch_execz .LBB2_7048
.LBB2_7047:
	v_and_b32_e32 v13, 7, v2
	v_ffbh_u32_e32 v15, v13
	v_min_u32_e32 v15, 32, v15
	v_lshrrev_b16_e32 v14, 3, v2
	v_subrev_u32_e32 v16, 28, v15
	v_and_b32_e32 v14, 15, v14
	v_lshlrev_b32_e32 v16, v16, v2
	v_sub_u32_e32 v15, 29, v15
	v_and_b32_e32 v16, 7, v16
	v_cmp_eq_u16_e32 vcc, 0, v14
	v_cndmask_b32_e32 v13, v13, v16, vcc
	v_cndmask_b32_e32 v14, v14, v15, vcc
	v_lshlrev_b32_e32 v15, 24, v2
	v_mov_b32_e32 v16, 0x3b800000
	v_lshlrev_b32_e32 v13, 20, v13
	v_and_b32_e32 v15, 0x80000000, v15
	v_lshl_add_u32 v14, v14, 23, v16
	v_or3_b32 v13, v15, v14, v13
.LBB2_7048:
	s_or_b64 exec, exec, s[6:7]
	flat_load_dwordx4 a[0:3], v[10:11] offset:880
	s_movk_i32 s4, 0x7f
                                        ; implicit-def: $sgpr10
	s_waitcnt vmcnt(0) lgkmcnt(0)
	v_mfma_f32_16x16x4f32 a[0:3], v12, v13, a[0:3]
	v_lshrrev_b32_e32 v13, 8, v6
	v_cmp_gt_i16_sdwa s[6:7], v13, s4 src0_sel:BYTE_0 src1_sel:DWORD
	s_mov_b64 s[4:5], 0
	s_and_saveexec_b64 s[8:9], s[6:7]
	s_xor_b64 s[6:7], exec, s[8:9]
	s_cbranch_execz .LBB2_7049
; %bb.42889:
	s_getpc_b64 s[14:15]
.Lpost_getpc25028:
	s_add_u32 s14, s14, (.LBB2_21385-.Lpost_getpc25028)&4294967295
	s_addc_u32 s15, s15, (.LBB2_21385-.Lpost_getpc25028)>>32
	s_setpc_b64 s[14:15]
.LBB2_7049:
	s_or_saveexec_b64 s[6:7], s[6:7]
	v_mov_b32_e32 v12, s10
	s_xor_b64 exec, exec, s[6:7]
	s_cbranch_execz .LBB2_7050
; %bb.42891:
	s_getpc_b64 s[14:15]
.Lpost_getpc25029:
	s_add_u32 s14, s14, (.LBB2_21388-.Lpost_getpc25029)&4294967295
	s_addc_u32 s15, s15, (.LBB2_21388-.Lpost_getpc25029)>>32
	s_setpc_b64 s[14:15]
.LBB2_7050:
	s_or_b64 exec, exec, s[6:7]
	s_and_saveexec_b64 s[6:7], s[4:5]
	s_cbranch_execz .LBB2_7052
.LBB2_7051:
	v_bfe_u32 v12, v6, 8, 3
	v_ffbh_u32_e32 v15, v12
	v_min_u32_e32 v15, 32, v15
	v_lshrrev_b16_e32 v14, 3, v13
	v_subrev_u32_e32 v16, 28, v15
	v_and_b32_e32 v14, 15, v14
	v_lshlrev_b32_e32 v13, v16, v13
	v_sub_u32_e32 v15, 29, v15
	v_and_b32_e32 v13, 7, v13
	v_cmp_eq_u16_e32 vcc, 0, v14
	v_cndmask_b32_e32 v12, v12, v13, vcc
	v_cndmask_b32_e32 v13, v14, v15, vcc
	v_lshlrev_b32_e32 v14, 16, v6
	v_mov_b32_e32 v15, 0x3b800000
	v_lshlrev_b32_e32 v12, 20, v12
	v_and_b32_e32 v14, 0x80000000, v14
	v_lshl_add_u32 v13, v13, 23, v15
	v_or3_b32 v12, v14, v13, v12
.LBB2_7052:
	s_or_b64 exec, exec, s[6:7]
	v_lshrrev_b32_e32 v13, 8, v2
	s_movk_i32 s4, 0x7f
	v_cmp_gt_i16_sdwa s[6:7], v13, s4 src0_sel:BYTE_0 src1_sel:DWORD
	s_mov_b64 s[4:5], 0
                                        ; implicit-def: $sgpr10
	s_and_saveexec_b64 s[8:9], s[6:7]
	s_xor_b64 s[6:7], exec, s[8:9]
	s_cbranch_execz .LBB2_7053
; %bb.42893:
	s_getpc_b64 s[14:15]
.Lpost_getpc25030:
	s_add_u32 s14, s14, (.LBB2_21389-.Lpost_getpc25030)&4294967295
	s_addc_u32 s15, s15, (.LBB2_21389-.Lpost_getpc25030)>>32
	s_setpc_b64 s[14:15]
.LBB2_7053:
	s_or_saveexec_b64 s[6:7], s[6:7]
	v_mov_b32_e32 v14, s10
	s_xor_b64 exec, exec, s[6:7]
	s_cbranch_execz .LBB2_7054
; %bb.42895:
	s_getpc_b64 s[14:15]
.Lpost_getpc25031:
	s_add_u32 s14, s14, (.LBB2_21392-.Lpost_getpc25031)&4294967295
	s_addc_u32 s15, s15, (.LBB2_21392-.Lpost_getpc25031)>>32
	s_setpc_b64 s[14:15]
.LBB2_7054:
	s_or_b64 exec, exec, s[6:7]
	s_and_saveexec_b64 s[6:7], s[4:5]
	s_cbranch_execz .LBB2_7056
.LBB2_7055:
	v_bfe_u32 v14, v2, 8, 3
	v_ffbh_u32_e32 v16, v14
	v_min_u32_e32 v16, 32, v16
	v_lshrrev_b16_e32 v15, 3, v13
	v_subrev_u32_e32 v17, 28, v16
	v_and_b32_e32 v15, 15, v15
	v_lshlrev_b32_e32 v13, v17, v13
	v_sub_u32_e32 v16, 29, v16
	v_and_b32_e32 v13, 7, v13
	v_cmp_eq_u16_e32 vcc, 0, v15
	v_cndmask_b32_e32 v13, v14, v13, vcc
	v_cndmask_b32_e32 v14, v15, v16, vcc
	v_lshlrev_b32_e32 v15, 16, v2
	v_mov_b32_e32 v16, 0x3b800000
	v_lshlrev_b32_e32 v13, 20, v13
	v_and_b32_e32 v15, 0x80000000, v15
	v_lshl_add_u32 v14, v14, 23, v16
	v_or3_b32 v14, v15, v14, v13
.LBB2_7056:
	s_or_b64 exec, exec, s[6:7]
	s_nop 0
	v_mfma_f32_16x16x4f32 a[0:3], v12, v14, a[0:3]
	s_movk_i32 s4, 0xff
	v_and_b32_sdwa v13, v6, s4 dst_sel:DWORD dst_unused:UNUSED_PAD src0_sel:WORD_1 src1_sel:DWORD
	s_movk_i32 s4, 0x7f
	v_cmp_lt_i16_e32 vcc, s4, v13
	s_mov_b64 s[4:5], 0
                                        ; implicit-def: $sgpr10
	s_and_saveexec_b64 s[6:7], vcc
	s_xor_b64 s[6:7], exec, s[6:7]
	s_cbranch_execz .LBB2_7057
; %bb.42897:
	s_getpc_b64 s[14:15]
.Lpost_getpc25032:
	s_add_u32 s14, s14, (.LBB2_21393-.Lpost_getpc25032)&4294967295
	s_addc_u32 s15, s15, (.LBB2_21393-.Lpost_getpc25032)>>32
	s_setpc_b64 s[14:15]
.LBB2_7057:
	s_or_saveexec_b64 s[6:7], s[6:7]
	v_mov_b32_e32 v12, s10
	s_xor_b64 exec, exec, s[6:7]
	s_cbranch_execz .LBB2_7058
; %bb.42899:
	s_getpc_b64 s[14:15]
.Lpost_getpc25033:
	s_add_u32 s14, s14, (.LBB2_21396-.Lpost_getpc25033)&4294967295
	s_addc_u32 s15, s15, (.LBB2_21396-.Lpost_getpc25033)>>32
	s_setpc_b64 s[14:15]
.LBB2_7058:
	s_or_b64 exec, exec, s[6:7]
	s_and_saveexec_b64 s[6:7], s[4:5]
	s_cbranch_execz .LBB2_7060
.LBB2_7059:
	v_bfe_u32 v12, v6, 16, 3
	v_ffbh_u32_e32 v15, v12
	v_min_u32_e32 v15, 32, v15
	v_lshrrev_b32_e32 v13, 19, v6
	v_subrev_u32_e32 v16, 28, v15
	v_and_b32_e32 v13, 15, v13
	v_lshlrev_b32_sdwa v16, v16, v6 dst_sel:DWORD dst_unused:UNUSED_PAD src0_sel:DWORD src1_sel:WORD_1
	v_bfe_u32 v14, v6, 19, 4
	v_sub_u32_e32 v15, 29, v15
	v_and_b32_e32 v16, 7, v16
	v_cmp_eq_u16_e32 vcc, 0, v13
	v_cndmask_b32_e32 v12, v12, v16, vcc
	v_cndmask_b32_e32 v13, v14, v15, vcc
	v_lshlrev_b32_e32 v14, 8, v6
	v_mov_b32_e32 v15, 0x3b800000
	v_lshlrev_b32_e32 v12, 20, v12
	v_and_b32_e32 v14, 0x80000000, v14
	v_lshl_add_u32 v13, v13, 23, v15
	v_or3_b32 v12, v14, v13, v12
.LBB2_7060:
	s_or_b64 exec, exec, s[6:7]
	s_movk_i32 s4, 0xff
	v_and_b32_sdwa v13, v2, s4 dst_sel:DWORD dst_unused:UNUSED_PAD src0_sel:WORD_1 src1_sel:DWORD
	s_movk_i32 s4, 0x7f
	v_cmp_lt_i16_e32 vcc, s4, v13
	s_mov_b64 s[4:5], 0
                                        ; implicit-def: $sgpr10
	s_and_saveexec_b64 s[6:7], vcc
	s_xor_b64 s[6:7], exec, s[6:7]
	s_cbranch_execz .LBB2_7061
; %bb.42901:
	s_getpc_b64 s[14:15]
.Lpost_getpc25034:
	s_add_u32 s14, s14, (.LBB2_21397-.Lpost_getpc25034)&4294967295
	s_addc_u32 s15, s15, (.LBB2_21397-.Lpost_getpc25034)>>32
	s_setpc_b64 s[14:15]
.LBB2_7061:
	s_or_saveexec_b64 s[6:7], s[6:7]
	v_mov_b32_e32 v14, s10
	s_xor_b64 exec, exec, s[6:7]
	s_cbranch_execz .LBB2_7062
; %bb.42903:
	s_getpc_b64 s[14:15]
.Lpost_getpc25035:
	s_add_u32 s14, s14, (.LBB2_21400-.Lpost_getpc25035)&4294967295
	s_addc_u32 s15, s15, (.LBB2_21400-.Lpost_getpc25035)>>32
	s_setpc_b64 s[14:15]
.LBB2_7062:
	s_or_b64 exec, exec, s[6:7]
	s_and_saveexec_b64 s[6:7], s[4:5]
	s_cbranch_execz .LBB2_7064
.LBB2_7063:
	v_bfe_u32 v13, v2, 16, 3
	v_ffbh_u32_e32 v16, v13
	v_min_u32_e32 v16, 32, v16
	v_lshrrev_b32_e32 v14, 19, v2
	v_subrev_u32_e32 v17, 28, v16
	v_and_b32_e32 v14, 15, v14
	v_lshlrev_b32_sdwa v17, v17, v2 dst_sel:DWORD dst_unused:UNUSED_PAD src0_sel:DWORD src1_sel:WORD_1
	v_bfe_u32 v15, v2, 19, 4
	v_sub_u32_e32 v16, 29, v16
	v_and_b32_e32 v17, 7, v17
	v_cmp_eq_u16_e32 vcc, 0, v14
	v_cndmask_b32_e32 v13, v13, v17, vcc
	v_cndmask_b32_e32 v14, v15, v16, vcc
	v_lshlrev_b32_e32 v15, 8, v2
	v_mov_b32_e32 v16, 0x3b800000
	v_lshlrev_b32_e32 v13, 20, v13
	v_and_b32_e32 v15, 0x80000000, v15
	v_lshl_add_u32 v14, v14, 23, v16
	v_or3_b32 v14, v15, v14, v13
.LBB2_7064:
	s_or_b64 exec, exec, s[6:7]
	s_nop 0
	v_mfma_f32_16x16x4f32 a[0:3], v12, v14, a[0:3]
	s_movk_i32 s4, 0x7f
	v_cmp_gt_i16_sdwa s[6:7], v6, s4 src0_sel:BYTE_3 src1_sel:DWORD
	s_mov_b64 s[4:5], 0
                                        ; implicit-def: $sgpr10
	s_and_saveexec_b64 s[8:9], s[6:7]
	s_xor_b64 s[6:7], exec, s[8:9]
	s_cbranch_execz .LBB2_7065
; %bb.42905:
	s_getpc_b64 s[14:15]
.Lpost_getpc25036:
	s_add_u32 s14, s14, (.LBB2_21401-.Lpost_getpc25036)&4294967295
	s_addc_u32 s15, s15, (.LBB2_21401-.Lpost_getpc25036)>>32
	s_setpc_b64 s[14:15]
.LBB2_7065:
	s_or_saveexec_b64 s[6:7], s[6:7]
	v_mov_b32_e32 v12, s10
	s_xor_b64 exec, exec, s[6:7]
	s_cbranch_execz .LBB2_7066
; %bb.42907:
	s_getpc_b64 s[14:15]
.Lpost_getpc25037:
	s_add_u32 s14, s14, (.LBB2_21404-.Lpost_getpc25037)&4294967295
	s_addc_u32 s15, s15, (.LBB2_21404-.Lpost_getpc25037)>>32
	s_setpc_b64 s[14:15]
.LBB2_7066:
	s_or_b64 exec, exec, s[6:7]
	s_and_saveexec_b64 s[6:7], s[4:5]
	s_cbranch_execz .LBB2_7068
.LBB2_7067:
	v_bfe_u32 v12, v6, 24, 3
	v_ffbh_u32_e32 v16, v12
	v_min_u32_e32 v16, 32, v16
	v_lshrrev_b32_e32 v14, 27, v6
	v_subrev_u32_e32 v17, 28, v16
	v_and_b32_e32 v13, 0x80000000, v6
	v_and_b32_e32 v14, 15, v14
	v_bfe_u32 v15, v6, 27, 4
	v_lshlrev_b32_sdwa v6, v17, v6 dst_sel:DWORD dst_unused:UNUSED_PAD src0_sel:DWORD src1_sel:BYTE_3
	v_sub_u32_e32 v16, 29, v16
	v_and_b32_e32 v6, 7, v6
	v_cmp_eq_u16_e32 vcc, 0, v14
	v_cndmask_b32_e32 v6, v12, v6, vcc
	v_cndmask_b32_e32 v12, v15, v16, vcc
	v_mov_b32_e32 v14, 0x3b800000
	v_lshlrev_b32_e32 v6, 20, v6
	v_lshl_add_u32 v12, v12, 23, v14
	v_or3_b32 v12, v13, v12, v6
.LBB2_7068:
	s_or_b64 exec, exec, s[6:7]
	s_movk_i32 s4, 0x7f
	v_cmp_gt_i16_sdwa s[6:7], v2, s4 src0_sel:BYTE_3 src1_sel:DWORD
	s_mov_b64 s[4:5], 0
                                        ; implicit-def: $sgpr10
	s_and_saveexec_b64 s[8:9], s[6:7]
	s_xor_b64 s[6:7], exec, s[8:9]
	s_cbranch_execz .LBB2_7069
; %bb.42909:
	s_getpc_b64 s[14:15]
.Lpost_getpc25038:
	s_add_u32 s14, s14, (.LBB2_21405-.Lpost_getpc25038)&4294967295
	s_addc_u32 s15, s15, (.LBB2_21405-.Lpost_getpc25038)>>32
	s_setpc_b64 s[14:15]
.LBB2_7069:
	s_or_saveexec_b64 s[6:7], s[6:7]
	v_mov_b32_e32 v6, s10
	s_xor_b64 exec, exec, s[6:7]
	s_cbranch_execz .LBB2_7070
; %bb.42911:
	s_getpc_b64 s[14:15]
.Lpost_getpc25039:
	s_add_u32 s14, s14, (.LBB2_21408-.Lpost_getpc25039)&4294967295
	s_addc_u32 s15, s15, (.LBB2_21408-.Lpost_getpc25039)>>32
	s_setpc_b64 s[14:15]
.LBB2_7070:
	s_or_b64 exec, exec, s[6:7]
	s_and_saveexec_b64 s[6:7], s[4:5]
	s_cbranch_execz .LBB2_7072
.LBB2_7071:
	v_bfe_u32 v6, v2, 24, 3
	v_ffbh_u32_e32 v16, v6
	v_min_u32_e32 v16, 32, v16
	v_lshrrev_b32_e32 v14, 27, v2
	v_subrev_u32_e32 v17, 28, v16
	v_and_b32_e32 v13, 0x80000000, v2
	v_and_b32_e32 v14, 15, v14
	v_bfe_u32 v15, v2, 27, 4
	v_lshlrev_b32_sdwa v2, v17, v2 dst_sel:DWORD dst_unused:UNUSED_PAD src0_sel:DWORD src1_sel:BYTE_3
	v_sub_u32_e32 v16, 29, v16
	v_and_b32_e32 v2, 7, v2
	v_cmp_eq_u16_e32 vcc, 0, v14
	v_cndmask_b32_e32 v2, v6, v2, vcc
	v_cndmask_b32_e32 v6, v15, v16, vcc
	v_mov_b32_e32 v14, 0x3b800000
	v_lshlrev_b32_e32 v2, 20, v2
	v_lshl_add_u32 v6, v6, 23, v14
	v_or3_b32 v6, v13, v6, v2
.LBB2_7072:
	s_or_b64 exec, exec, s[6:7]
	s_nop 0
	v_mfma_f32_16x16x4f32 a[0:3], v12, v6, a[0:3]
	s_movk_i32 s4, 0x7f
	v_cmp_gt_i16_sdwa s[6:7], v7, s4 src0_sel:BYTE_0 src1_sel:DWORD
	s_mov_b64 s[4:5], 0
                                        ; implicit-def: $sgpr10
	s_and_saveexec_b64 s[8:9], s[6:7]
	s_xor_b64 s[6:7], exec, s[8:9]
	s_cbranch_execz .LBB2_7073
; %bb.42913:
	s_getpc_b64 s[14:15]
.Lpost_getpc25040:
	s_add_u32 s14, s14, (.LBB2_21409-.Lpost_getpc25040)&4294967295
	s_addc_u32 s15, s15, (.LBB2_21409-.Lpost_getpc25040)>>32
	s_setpc_b64 s[14:15]
.LBB2_7073:
	s_or_saveexec_b64 s[6:7], s[6:7]
	v_mov_b32_e32 v2, s10
	s_xor_b64 exec, exec, s[6:7]
	s_cbranch_execz .LBB2_7074
; %bb.42915:
	s_getpc_b64 s[14:15]
.Lpost_getpc25041:
	s_add_u32 s14, s14, (.LBB2_21412-.Lpost_getpc25041)&4294967295
	s_addc_u32 s15, s15, (.LBB2_21412-.Lpost_getpc25041)>>32
	s_setpc_b64 s[14:15]
.LBB2_7074:
	s_or_b64 exec, exec, s[6:7]
	s_and_saveexec_b64 s[6:7], s[4:5]
	s_cbranch_execz .LBB2_7076
.LBB2_7075:
	v_and_b32_e32 v2, 7, v7
	v_ffbh_u32_e32 v12, v2
	v_min_u32_e32 v12, 32, v12
	v_lshrrev_b16_e32 v6, 3, v7
	v_subrev_u32_e32 v13, 28, v12
	v_and_b32_e32 v6, 15, v6
	v_lshlrev_b32_e32 v13, v13, v7
	v_sub_u32_e32 v12, 29, v12
	v_and_b32_e32 v13, 7, v13
	v_cmp_eq_u16_e32 vcc, 0, v6
	v_cndmask_b32_e32 v2, v2, v13, vcc
	v_cndmask_b32_e32 v6, v6, v12, vcc
	v_lshlrev_b32_e32 v12, 24, v7
	v_mov_b32_e32 v13, 0x3b800000
	v_lshlrev_b32_e32 v2, 20, v2
	v_and_b32_e32 v12, 0x80000000, v12
	v_lshl_add_u32 v6, v6, 23, v13
	v_or3_b32 v2, v12, v6, v2
.LBB2_7076:
	s_or_b64 exec, exec, s[6:7]
	s_movk_i32 s4, 0x7f
	v_cmp_gt_i16_sdwa s[6:7], v3, s4 src0_sel:BYTE_0 src1_sel:DWORD
	s_mov_b64 s[4:5], 0
                                        ; implicit-def: $sgpr10
	s_and_saveexec_b64 s[8:9], s[6:7]
	s_xor_b64 s[6:7], exec, s[8:9]
	s_cbranch_execz .LBB2_7077
; %bb.42917:
	s_getpc_b64 s[14:15]
.Lpost_getpc25042:
	s_add_u32 s14, s14, (.LBB2_21413-.Lpost_getpc25042)&4294967295
	s_addc_u32 s15, s15, (.LBB2_21413-.Lpost_getpc25042)>>32
	s_setpc_b64 s[14:15]
.LBB2_7077:
	s_or_saveexec_b64 s[6:7], s[6:7]
	v_mov_b32_e32 v6, s10
	s_xor_b64 exec, exec, s[6:7]
	s_cbranch_execz .LBB2_7078
; %bb.42919:
	s_getpc_b64 s[14:15]
.Lpost_getpc25043:
	s_add_u32 s14, s14, (.LBB2_21416-.Lpost_getpc25043)&4294967295
	s_addc_u32 s15, s15, (.LBB2_21416-.Lpost_getpc25043)>>32
	s_setpc_b64 s[14:15]
.LBB2_7078:
	s_or_b64 exec, exec, s[6:7]
	s_and_saveexec_b64 s[6:7], s[4:5]
	s_cbranch_execz .LBB2_7080
.LBB2_7079:
	v_and_b32_e32 v6, 7, v3
	v_ffbh_u32_e32 v13, v6
	v_min_u32_e32 v13, 32, v13
	v_lshrrev_b16_e32 v12, 3, v3
	v_subrev_u32_e32 v14, 28, v13
	v_and_b32_e32 v12, 15, v12
	v_lshlrev_b32_e32 v14, v14, v3
	v_sub_u32_e32 v13, 29, v13
	v_and_b32_e32 v14, 7, v14
	v_cmp_eq_u16_e32 vcc, 0, v12
	v_cndmask_b32_e32 v6, v6, v14, vcc
	v_cndmask_b32_e32 v12, v12, v13, vcc
	v_lshlrev_b32_e32 v13, 24, v3
	v_mov_b32_e32 v14, 0x3b800000
	v_lshlrev_b32_e32 v6, 20, v6
	v_and_b32_e32 v13, 0x80000000, v13
	v_lshl_add_u32 v12, v12, 23, v14
	v_or3_b32 v6, v13, v12, v6
.LBB2_7080:
	s_or_b64 exec, exec, s[6:7]
	s_nop 0
	v_mfma_f32_16x16x4f32 a[0:3], v2, v6, a[0:3]
	v_lshrrev_b32_e32 v6, 8, v7
	s_movk_i32 s4, 0x7f
	v_cmp_gt_i16_sdwa s[6:7], v6, s4 src0_sel:BYTE_0 src1_sel:DWORD
	s_mov_b64 s[4:5], 0
                                        ; implicit-def: $sgpr10
	s_and_saveexec_b64 s[8:9], s[6:7]
	s_xor_b64 s[6:7], exec, s[8:9]
	s_cbranch_execz .LBB2_7081
; %bb.42921:
	s_getpc_b64 s[14:15]
.Lpost_getpc25044:
	s_add_u32 s14, s14, (.LBB2_21417-.Lpost_getpc25044)&4294967295
	s_addc_u32 s15, s15, (.LBB2_21417-.Lpost_getpc25044)>>32
	s_setpc_b64 s[14:15]
.LBB2_7081:
	s_or_saveexec_b64 s[6:7], s[6:7]
	v_mov_b32_e32 v2, s10
	s_xor_b64 exec, exec, s[6:7]
	s_cbranch_execz .LBB2_7082
; %bb.42923:
	s_getpc_b64 s[14:15]
.Lpost_getpc25045:
	s_add_u32 s14, s14, (.LBB2_21420-.Lpost_getpc25045)&4294967295
	s_addc_u32 s15, s15, (.LBB2_21420-.Lpost_getpc25045)>>32
	s_setpc_b64 s[14:15]
.LBB2_7082:
	s_or_b64 exec, exec, s[6:7]
	s_and_saveexec_b64 s[6:7], s[4:5]
	s_cbranch_execz .LBB2_7084
.LBB2_7083:
	v_bfe_u32 v2, v7, 8, 3
	v_ffbh_u32_e32 v13, v2
	v_min_u32_e32 v13, 32, v13
	v_lshrrev_b16_e32 v12, 3, v6
	v_subrev_u32_e32 v14, 28, v13
	v_and_b32_e32 v12, 15, v12
	v_lshlrev_b32_e32 v6, v14, v6
	v_sub_u32_e32 v13, 29, v13
	v_and_b32_e32 v6, 7, v6
	v_cmp_eq_u16_e32 vcc, 0, v12
	v_cndmask_b32_e32 v2, v2, v6, vcc
	v_cndmask_b32_e32 v6, v12, v13, vcc
	v_lshlrev_b32_e32 v12, 16, v7
	v_mov_b32_e32 v13, 0x3b800000
	v_lshlrev_b32_e32 v2, 20, v2
	v_and_b32_e32 v12, 0x80000000, v12
	v_lshl_add_u32 v6, v6, 23, v13
	v_or3_b32 v2, v12, v6, v2
.LBB2_7084:
	s_or_b64 exec, exec, s[6:7]
	v_lshrrev_b32_e32 v6, 8, v3
	s_movk_i32 s4, 0x7f
	v_cmp_gt_i16_sdwa s[6:7], v6, s4 src0_sel:BYTE_0 src1_sel:DWORD
	s_mov_b64 s[4:5], 0
                                        ; implicit-def: $sgpr10
	s_and_saveexec_b64 s[8:9], s[6:7]
	s_xor_b64 s[6:7], exec, s[8:9]
	s_cbranch_execz .LBB2_7085
; %bb.42925:
	s_getpc_b64 s[14:15]
.Lpost_getpc25046:
	s_add_u32 s14, s14, (.LBB2_21421-.Lpost_getpc25046)&4294967295
	s_addc_u32 s15, s15, (.LBB2_21421-.Lpost_getpc25046)>>32
	s_setpc_b64 s[14:15]
.LBB2_7085:
	s_or_saveexec_b64 s[6:7], s[6:7]
	v_mov_b32_e32 v12, s10
	s_xor_b64 exec, exec, s[6:7]
	s_cbranch_execz .LBB2_7086
; %bb.42927:
	s_getpc_b64 s[14:15]
.Lpost_getpc25047:
	s_add_u32 s14, s14, (.LBB2_21424-.Lpost_getpc25047)&4294967295
	s_addc_u32 s15, s15, (.LBB2_21424-.Lpost_getpc25047)>>32
	s_setpc_b64 s[14:15]
.LBB2_7086:
	s_or_b64 exec, exec, s[6:7]
	s_and_saveexec_b64 s[6:7], s[4:5]
	s_cbranch_execz .LBB2_7088
.LBB2_7087:
	v_bfe_u32 v12, v3, 8, 3
	v_ffbh_u32_e32 v14, v12
	v_min_u32_e32 v14, 32, v14
	v_lshrrev_b16_e32 v13, 3, v6
	v_subrev_u32_e32 v15, 28, v14
	v_and_b32_e32 v13, 15, v13
	v_lshlrev_b32_e32 v6, v15, v6
	v_sub_u32_e32 v14, 29, v14
	v_and_b32_e32 v6, 7, v6
	v_cmp_eq_u16_e32 vcc, 0, v13
	v_cndmask_b32_e32 v6, v12, v6, vcc
	v_cndmask_b32_e32 v12, v13, v14, vcc
	v_lshlrev_b32_e32 v13, 16, v3
	v_mov_b32_e32 v14, 0x3b800000
	v_lshlrev_b32_e32 v6, 20, v6
	v_and_b32_e32 v13, 0x80000000, v13
	v_lshl_add_u32 v12, v12, 23, v14
	v_or3_b32 v12, v13, v12, v6
.LBB2_7088:
	s_or_b64 exec, exec, s[6:7]
	s_nop 0
	v_mfma_f32_16x16x4f32 a[0:3], v2, v12, a[0:3]
	s_movk_i32 s4, 0xff
	v_and_b32_sdwa v6, v7, s4 dst_sel:DWORD dst_unused:UNUSED_PAD src0_sel:WORD_1 src1_sel:DWORD
	s_movk_i32 s4, 0x7f
	v_cmp_lt_i16_e32 vcc, s4, v6
	s_mov_b64 s[4:5], 0
                                        ; implicit-def: $sgpr10
	s_and_saveexec_b64 s[6:7], vcc
	s_xor_b64 s[6:7], exec, s[6:7]
	s_cbranch_execz .LBB2_7089
; %bb.42929:
	s_getpc_b64 s[14:15]
.Lpost_getpc25048:
	s_add_u32 s14, s14, (.LBB2_21425-.Lpost_getpc25048)&4294967295
	s_addc_u32 s15, s15, (.LBB2_21425-.Lpost_getpc25048)>>32
	s_setpc_b64 s[14:15]
.LBB2_7089:
	s_or_saveexec_b64 s[6:7], s[6:7]
	v_mov_b32_e32 v2, s10
	s_xor_b64 exec, exec, s[6:7]
	s_cbranch_execz .LBB2_7090
; %bb.42931:
	s_getpc_b64 s[14:15]
.Lpost_getpc25049:
	s_add_u32 s14, s14, (.LBB2_21428-.Lpost_getpc25049)&4294967295
	s_addc_u32 s15, s15, (.LBB2_21428-.Lpost_getpc25049)>>32
	s_setpc_b64 s[14:15]
.LBB2_7090:
	s_or_b64 exec, exec, s[6:7]
	s_and_saveexec_b64 s[6:7], s[4:5]
	s_cbranch_execz .LBB2_7092
.LBB2_7091:
	v_bfe_u32 v2, v7, 16, 3
	v_ffbh_u32_e32 v13, v2
	v_min_u32_e32 v13, 32, v13
	v_lshrrev_b32_e32 v6, 19, v7
	v_subrev_u32_e32 v14, 28, v13
	v_and_b32_e32 v6, 15, v6
	v_lshlrev_b32_sdwa v14, v14, v7 dst_sel:DWORD dst_unused:UNUSED_PAD src0_sel:DWORD src1_sel:WORD_1
	v_bfe_u32 v12, v7, 19, 4
	v_sub_u32_e32 v13, 29, v13
	v_and_b32_e32 v14, 7, v14
	v_cmp_eq_u16_e32 vcc, 0, v6
	v_cndmask_b32_e32 v2, v2, v14, vcc
	v_cndmask_b32_e32 v6, v12, v13, vcc
	v_lshlrev_b32_e32 v12, 8, v7
	v_mov_b32_e32 v13, 0x3b800000
	v_lshlrev_b32_e32 v2, 20, v2
	v_and_b32_e32 v12, 0x80000000, v12
	v_lshl_add_u32 v6, v6, 23, v13
	v_or3_b32 v2, v12, v6, v2
.LBB2_7092:
	s_or_b64 exec, exec, s[6:7]
	s_movk_i32 s4, 0xff
	v_and_b32_sdwa v6, v3, s4 dst_sel:DWORD dst_unused:UNUSED_PAD src0_sel:WORD_1 src1_sel:DWORD
	s_movk_i32 s4, 0x7f
	v_cmp_lt_i16_e32 vcc, s4, v6
	s_mov_b64 s[4:5], 0
                                        ; implicit-def: $sgpr10
	s_and_saveexec_b64 s[6:7], vcc
	s_xor_b64 s[6:7], exec, s[6:7]
	s_cbranch_execz .LBB2_7093
; %bb.42933:
	s_getpc_b64 s[14:15]
.Lpost_getpc25050:
	s_add_u32 s14, s14, (.LBB2_21429-.Lpost_getpc25050)&4294967295
	s_addc_u32 s15, s15, (.LBB2_21429-.Lpost_getpc25050)>>32
	s_setpc_b64 s[14:15]
.LBB2_7093:
	s_or_saveexec_b64 s[6:7], s[6:7]
	v_mov_b32_e32 v12, s10
	s_xor_b64 exec, exec, s[6:7]
	s_cbranch_execz .LBB2_7094
; %bb.42935:
	s_getpc_b64 s[14:15]
.Lpost_getpc25051:
	s_add_u32 s14, s14, (.LBB2_21432-.Lpost_getpc25051)&4294967295
	s_addc_u32 s15, s15, (.LBB2_21432-.Lpost_getpc25051)>>32
	s_setpc_b64 s[14:15]
.LBB2_7094:
	s_or_b64 exec, exec, s[6:7]
	s_and_saveexec_b64 s[6:7], s[4:5]
	s_cbranch_execz .LBB2_7096
.LBB2_7095:
	v_bfe_u32 v6, v3, 16, 3
	v_ffbh_u32_e32 v14, v6
	v_min_u32_e32 v14, 32, v14
	v_lshrrev_b32_e32 v12, 19, v3
	v_subrev_u32_e32 v15, 28, v14
	v_and_b32_e32 v12, 15, v12
	v_lshlrev_b32_sdwa v15, v15, v3 dst_sel:DWORD dst_unused:UNUSED_PAD src0_sel:DWORD src1_sel:WORD_1
	v_bfe_u32 v13, v3, 19, 4
	v_sub_u32_e32 v14, 29, v14
	v_and_b32_e32 v15, 7, v15
	v_cmp_eq_u16_e32 vcc, 0, v12
	v_cndmask_b32_e32 v6, v6, v15, vcc
	v_cndmask_b32_e32 v12, v13, v14, vcc
	v_lshlrev_b32_e32 v13, 8, v3
	v_mov_b32_e32 v14, 0x3b800000
	v_lshlrev_b32_e32 v6, 20, v6
	v_and_b32_e32 v13, 0x80000000, v13
	v_lshl_add_u32 v12, v12, 23, v14
	v_or3_b32 v12, v13, v12, v6
.LBB2_7096:
	s_or_b64 exec, exec, s[6:7]
	s_nop 0
	v_mfma_f32_16x16x4f32 a[0:3], v2, v12, a[0:3]
	s_movk_i32 s4, 0x7f
	v_cmp_gt_i16_sdwa s[6:7], v7, s4 src0_sel:BYTE_3 src1_sel:DWORD
	s_mov_b64 s[4:5], 0
                                        ; implicit-def: $sgpr10
	s_and_saveexec_b64 s[8:9], s[6:7]
	s_xor_b64 s[6:7], exec, s[8:9]
	s_cbranch_execz .LBB2_7097
; %bb.42937:
	s_getpc_b64 s[14:15]
.Lpost_getpc25052:
	s_add_u32 s14, s14, (.LBB2_21433-.Lpost_getpc25052)&4294967295
	s_addc_u32 s15, s15, (.LBB2_21433-.Lpost_getpc25052)>>32
	s_setpc_b64 s[14:15]
.LBB2_7097:
	s_or_saveexec_b64 s[6:7], s[6:7]
	v_mov_b32_e32 v2, s10
	s_xor_b64 exec, exec, s[6:7]
	s_cbranch_execz .LBB2_7098
; %bb.42939:
	s_getpc_b64 s[14:15]
.Lpost_getpc25053:
	s_add_u32 s14, s14, (.LBB2_21436-.Lpost_getpc25053)&4294967295
	s_addc_u32 s15, s15, (.LBB2_21436-.Lpost_getpc25053)>>32
	s_setpc_b64 s[14:15]
.LBB2_7098:
	s_or_b64 exec, exec, s[6:7]
	s_and_saveexec_b64 s[6:7], s[4:5]
	s_cbranch_execz .LBB2_7100
.LBB2_7099:
	v_bfe_u32 v2, v7, 24, 3
	v_ffbh_u32_e32 v14, v2
	v_min_u32_e32 v14, 32, v14
	v_lshrrev_b32_e32 v12, 27, v7
	v_subrev_u32_e32 v15, 28, v14
	v_and_b32_e32 v6, 0x80000000, v7
	v_and_b32_e32 v12, 15, v12
	v_bfe_u32 v13, v7, 27, 4
	v_lshlrev_b32_sdwa v7, v15, v7 dst_sel:DWORD dst_unused:UNUSED_PAD src0_sel:DWORD src1_sel:BYTE_3
	v_sub_u32_e32 v14, 29, v14
	v_and_b32_e32 v7, 7, v7
	v_cmp_eq_u16_e32 vcc, 0, v12
	v_cndmask_b32_e32 v2, v2, v7, vcc
	v_cndmask_b32_e32 v7, v13, v14, vcc
	v_mov_b32_e32 v12, 0x3b800000
	v_lshlrev_b32_e32 v2, 20, v2
	v_lshl_add_u32 v7, v7, 23, v12
	v_or3_b32 v2, v6, v7, v2
.LBB2_7100:
	s_or_b64 exec, exec, s[6:7]
	s_movk_i32 s4, 0x7f
	v_cmp_gt_i16_sdwa s[6:7], v3, s4 src0_sel:BYTE_3 src1_sel:DWORD
	s_mov_b64 s[4:5], 0
                                        ; implicit-def: $sgpr10
	s_and_saveexec_b64 s[8:9], s[6:7]
	s_xor_b64 s[6:7], exec, s[8:9]
	s_cbranch_execz .LBB2_7101
; %bb.42941:
	s_getpc_b64 s[14:15]
.Lpost_getpc25054:
	s_add_u32 s14, s14, (.LBB2_21437-.Lpost_getpc25054)&4294967295
	s_addc_u32 s15, s15, (.LBB2_21437-.Lpost_getpc25054)>>32
	s_setpc_b64 s[14:15]
.LBB2_7101:
	s_or_saveexec_b64 s[6:7], s[6:7]
	v_mov_b32_e32 v6, s10
	s_xor_b64 exec, exec, s[6:7]
	s_cbranch_execz .LBB2_7102
; %bb.42943:
	s_getpc_b64 s[14:15]
.Lpost_getpc25055:
	s_add_u32 s14, s14, (.LBB2_21440-.Lpost_getpc25055)&4294967295
	s_addc_u32 s15, s15, (.LBB2_21440-.Lpost_getpc25055)>>32
	s_setpc_b64 s[14:15]
.LBB2_7102:
	s_or_b64 exec, exec, s[6:7]
	s_and_saveexec_b64 s[6:7], s[4:5]
	s_cbranch_execz .LBB2_7104
.LBB2_7103:
	v_bfe_u32 v6, v3, 24, 3
	v_ffbh_u32_e32 v14, v6
	v_min_u32_e32 v14, 32, v14
	v_lshrrev_b32_e32 v12, 27, v3
	v_subrev_u32_e32 v15, 28, v14
	v_and_b32_e32 v7, 0x80000000, v3
	v_and_b32_e32 v12, 15, v12
	v_bfe_u32 v13, v3, 27, 4
	v_lshlrev_b32_sdwa v3, v15, v3 dst_sel:DWORD dst_unused:UNUSED_PAD src0_sel:DWORD src1_sel:BYTE_3
	v_sub_u32_e32 v14, 29, v14
	v_and_b32_e32 v3, 7, v3
	v_cmp_eq_u16_e32 vcc, 0, v12
	v_cndmask_b32_e32 v3, v6, v3, vcc
	v_cndmask_b32_e32 v6, v13, v14, vcc
	v_mov_b32_e32 v12, 0x3b800000
	v_lshlrev_b32_e32 v3, 20, v3
	v_lshl_add_u32 v6, v6, 23, v12
	v_or3_b32 v6, v7, v6, v3
.LBB2_7104:
	s_or_b64 exec, exec, s[6:7]
	s_nop 0
	v_mfma_f32_16x16x4f32 a[0:3], v2, v6, a[0:3]
	s_movk_i32 s4, 0x7f
	v_cmp_gt_i16_sdwa s[6:7], v8, s4 src0_sel:BYTE_0 src1_sel:DWORD
	s_mov_b64 s[4:5], 0
                                        ; implicit-def: $sgpr10
	s_and_saveexec_b64 s[8:9], s[6:7]
	s_xor_b64 s[6:7], exec, s[8:9]
	s_cbranch_execz .LBB2_7105
; %bb.42945:
	s_getpc_b64 s[14:15]
.Lpost_getpc25056:
	s_add_u32 s14, s14, (.LBB2_21441-.Lpost_getpc25056)&4294967295
	s_addc_u32 s15, s15, (.LBB2_21441-.Lpost_getpc25056)>>32
	s_setpc_b64 s[14:15]
.LBB2_7105:
	s_or_saveexec_b64 s[6:7], s[6:7]
	v_mov_b32_e32 v2, s10
	s_xor_b64 exec, exec, s[6:7]
	s_cbranch_execz .LBB2_7106
; %bb.42947:
	s_getpc_b64 s[14:15]
.Lpost_getpc25057:
	s_add_u32 s14, s14, (.LBB2_21444-.Lpost_getpc25057)&4294967295
	s_addc_u32 s15, s15, (.LBB2_21444-.Lpost_getpc25057)>>32
	s_setpc_b64 s[14:15]
.LBB2_7106:
	s_or_b64 exec, exec, s[6:7]
	s_and_saveexec_b64 s[6:7], s[4:5]
	s_cbranch_execz .LBB2_7108
.LBB2_7107:
	v_and_b32_e32 v2, 7, v8
	v_ffbh_u32_e32 v6, v2
	v_min_u32_e32 v6, 32, v6
	v_lshrrev_b16_e32 v3, 3, v8
	v_subrev_u32_e32 v7, 28, v6
	v_and_b32_e32 v3, 15, v3
	v_lshlrev_b32_e32 v7, v7, v8
	v_sub_u32_e32 v6, 29, v6
	v_and_b32_e32 v7, 7, v7
	v_cmp_eq_u16_e32 vcc, 0, v3
	v_cndmask_b32_e32 v2, v2, v7, vcc
	v_cndmask_b32_e32 v3, v3, v6, vcc
	v_lshlrev_b32_e32 v6, 24, v8
	v_mov_b32_e32 v7, 0x3b800000
	v_lshlrev_b32_e32 v2, 20, v2
	v_and_b32_e32 v6, 0x80000000, v6
	v_lshl_add_u32 v3, v3, 23, v7
	v_or3_b32 v2, v6, v3, v2
.LBB2_7108:
	s_or_b64 exec, exec, s[6:7]
	s_movk_i32 s4, 0x7f
	v_cmp_gt_i16_sdwa s[6:7], v4, s4 src0_sel:BYTE_0 src1_sel:DWORD
	s_mov_b64 s[4:5], 0
                                        ; implicit-def: $sgpr10
	s_and_saveexec_b64 s[8:9], s[6:7]
	s_xor_b64 s[6:7], exec, s[8:9]
	s_cbranch_execz .LBB2_7109
; %bb.42949:
	s_getpc_b64 s[14:15]
.Lpost_getpc25058:
	s_add_u32 s14, s14, (.LBB2_21445-.Lpost_getpc25058)&4294967295
	s_addc_u32 s15, s15, (.LBB2_21445-.Lpost_getpc25058)>>32
	s_setpc_b64 s[14:15]
.LBB2_7109:
	s_or_saveexec_b64 s[6:7], s[6:7]
	v_mov_b32_e32 v3, s10
	s_xor_b64 exec, exec, s[6:7]
	s_cbranch_execz .LBB2_7110
; %bb.42951:
	s_getpc_b64 s[14:15]
.Lpost_getpc25059:
	s_add_u32 s14, s14, (.LBB2_21448-.Lpost_getpc25059)&4294967295
	s_addc_u32 s15, s15, (.LBB2_21448-.Lpost_getpc25059)>>32
	s_setpc_b64 s[14:15]
.LBB2_7110:
	s_or_b64 exec, exec, s[6:7]
	s_and_saveexec_b64 s[6:7], s[4:5]
	s_cbranch_execz .LBB2_7112
.LBB2_7111:
	v_and_b32_e32 v3, 7, v4
	v_ffbh_u32_e32 v7, v3
	v_min_u32_e32 v7, 32, v7
	v_lshrrev_b16_e32 v6, 3, v4
	v_subrev_u32_e32 v12, 28, v7
	v_and_b32_e32 v6, 15, v6
	v_lshlrev_b32_e32 v12, v12, v4
	v_sub_u32_e32 v7, 29, v7
	v_and_b32_e32 v12, 7, v12
	v_cmp_eq_u16_e32 vcc, 0, v6
	v_cndmask_b32_e32 v3, v3, v12, vcc
	v_cndmask_b32_e32 v6, v6, v7, vcc
	v_lshlrev_b32_e32 v7, 24, v4
	v_mov_b32_e32 v12, 0x3b800000
	v_lshlrev_b32_e32 v3, 20, v3
	v_and_b32_e32 v7, 0x80000000, v7
	v_lshl_add_u32 v6, v6, 23, v12
	v_or3_b32 v3, v7, v6, v3
.LBB2_7112:
	s_or_b64 exec, exec, s[6:7]
	s_nop 0
	v_mfma_f32_16x16x4f32 a[0:3], v2, v3, a[0:3]
	v_lshrrev_b32_e32 v3, 8, v8
	s_movk_i32 s4, 0x7f
	v_cmp_gt_i16_sdwa s[6:7], v3, s4 src0_sel:BYTE_0 src1_sel:DWORD
	s_mov_b64 s[4:5], 0
                                        ; implicit-def: $sgpr10
	s_and_saveexec_b64 s[8:9], s[6:7]
	s_xor_b64 s[6:7], exec, s[8:9]
	s_cbranch_execz .LBB2_7113
; %bb.42953:
	s_getpc_b64 s[14:15]
.Lpost_getpc25060:
	s_add_u32 s14, s14, (.LBB2_21449-.Lpost_getpc25060)&4294967295
	s_addc_u32 s15, s15, (.LBB2_21449-.Lpost_getpc25060)>>32
	s_setpc_b64 s[14:15]
.LBB2_7113:
	s_or_saveexec_b64 s[6:7], s[6:7]
	v_mov_b32_e32 v2, s10
	s_xor_b64 exec, exec, s[6:7]
	s_cbranch_execz .LBB2_7114
; %bb.42955:
	s_getpc_b64 s[14:15]
.Lpost_getpc25061:
	s_add_u32 s14, s14, (.LBB2_21452-.Lpost_getpc25061)&4294967295
	s_addc_u32 s15, s15, (.LBB2_21452-.Lpost_getpc25061)>>32
	s_setpc_b64 s[14:15]
.LBB2_7114:
	s_or_b64 exec, exec, s[6:7]
	s_and_saveexec_b64 s[6:7], s[4:5]
	s_cbranch_execz .LBB2_7116
.LBB2_7115:
	v_bfe_u32 v2, v8, 8, 3
	v_ffbh_u32_e32 v7, v2
	v_min_u32_e32 v7, 32, v7
	v_lshrrev_b16_e32 v6, 3, v3
	v_subrev_u32_e32 v12, 28, v7
	v_and_b32_e32 v6, 15, v6
	v_lshlrev_b32_e32 v3, v12, v3
	v_sub_u32_e32 v7, 29, v7
	v_and_b32_e32 v3, 7, v3
	v_cmp_eq_u16_e32 vcc, 0, v6
	v_cndmask_b32_e32 v2, v2, v3, vcc
	v_cndmask_b32_e32 v3, v6, v7, vcc
	v_lshlrev_b32_e32 v6, 16, v8
	v_mov_b32_e32 v7, 0x3b800000
	v_lshlrev_b32_e32 v2, 20, v2
	v_and_b32_e32 v6, 0x80000000, v6
	v_lshl_add_u32 v3, v3, 23, v7
	v_or3_b32 v2, v6, v3, v2
.LBB2_7116:
	s_or_b64 exec, exec, s[6:7]
	v_lshrrev_b32_e32 v3, 8, v4
	s_movk_i32 s4, 0x7f
	v_cmp_gt_i16_sdwa s[6:7], v3, s4 src0_sel:BYTE_0 src1_sel:DWORD
	s_mov_b64 s[4:5], 0
                                        ; implicit-def: $sgpr10
	s_and_saveexec_b64 s[8:9], s[6:7]
	s_xor_b64 s[6:7], exec, s[8:9]
	s_cbranch_execz .LBB2_7117
; %bb.42957:
	s_getpc_b64 s[14:15]
.Lpost_getpc25062:
	s_add_u32 s14, s14, (.LBB2_21453-.Lpost_getpc25062)&4294967295
	s_addc_u32 s15, s15, (.LBB2_21453-.Lpost_getpc25062)>>32
	s_setpc_b64 s[14:15]
.LBB2_7117:
	s_or_saveexec_b64 s[6:7], s[6:7]
	v_mov_b32_e32 v6, s10
	s_xor_b64 exec, exec, s[6:7]
	s_cbranch_execz .LBB2_7118
; %bb.42959:
	s_getpc_b64 s[14:15]
.Lpost_getpc25063:
	s_add_u32 s14, s14, (.LBB2_21456-.Lpost_getpc25063)&4294967295
	s_addc_u32 s15, s15, (.LBB2_21456-.Lpost_getpc25063)>>32
	s_setpc_b64 s[14:15]
.LBB2_7118:
	s_or_b64 exec, exec, s[6:7]
	s_and_saveexec_b64 s[6:7], s[4:5]
	s_cbranch_execz .LBB2_7120
.LBB2_7119:
	v_bfe_u32 v6, v4, 8, 3
	v_ffbh_u32_e32 v12, v6
	v_min_u32_e32 v12, 32, v12
	v_lshrrev_b16_e32 v7, 3, v3
	v_subrev_u32_e32 v13, 28, v12
	v_and_b32_e32 v7, 15, v7
	v_lshlrev_b32_e32 v3, v13, v3
	v_sub_u32_e32 v12, 29, v12
	v_and_b32_e32 v3, 7, v3
	v_cmp_eq_u16_e32 vcc, 0, v7
	v_cndmask_b32_e32 v3, v6, v3, vcc
	v_cndmask_b32_e32 v6, v7, v12, vcc
	v_lshlrev_b32_e32 v7, 16, v4
	v_mov_b32_e32 v12, 0x3b800000
	v_lshlrev_b32_e32 v3, 20, v3
	v_and_b32_e32 v7, 0x80000000, v7
	v_lshl_add_u32 v6, v6, 23, v12
	v_or3_b32 v6, v7, v6, v3
.LBB2_7120:
	s_or_b64 exec, exec, s[6:7]
	s_nop 0
	v_mfma_f32_16x16x4f32 a[0:3], v2, v6, a[0:3]
	s_movk_i32 s4, 0xff
	v_and_b32_sdwa v3, v8, s4 dst_sel:DWORD dst_unused:UNUSED_PAD src0_sel:WORD_1 src1_sel:DWORD
	s_movk_i32 s4, 0x7f
	v_cmp_lt_i16_e32 vcc, s4, v3
	s_mov_b64 s[4:5], 0
                                        ; implicit-def: $sgpr10
	s_and_saveexec_b64 s[6:7], vcc
	s_xor_b64 s[6:7], exec, s[6:7]
	s_cbranch_execz .LBB2_7121
; %bb.42961:
	s_getpc_b64 s[14:15]
.Lpost_getpc25064:
	s_add_u32 s14, s14, (.LBB2_21457-.Lpost_getpc25064)&4294967295
	s_addc_u32 s15, s15, (.LBB2_21457-.Lpost_getpc25064)>>32
	s_setpc_b64 s[14:15]
.LBB2_7121:
	s_or_saveexec_b64 s[6:7], s[6:7]
	v_mov_b32_e32 v2, s10
	s_xor_b64 exec, exec, s[6:7]
	s_cbranch_execz .LBB2_7122
; %bb.42963:
	s_getpc_b64 s[14:15]
.Lpost_getpc25065:
	s_add_u32 s14, s14, (.LBB2_21460-.Lpost_getpc25065)&4294967295
	s_addc_u32 s15, s15, (.LBB2_21460-.Lpost_getpc25065)>>32
	s_setpc_b64 s[14:15]
.LBB2_7122:
	s_or_b64 exec, exec, s[6:7]
	s_and_saveexec_b64 s[6:7], s[4:5]
	s_cbranch_execz .LBB2_7124
.LBB2_7123:
	v_bfe_u32 v2, v8, 16, 3
	v_ffbh_u32_e32 v7, v2
	v_min_u32_e32 v7, 32, v7
	v_lshrrev_b32_e32 v3, 19, v8
	v_subrev_u32_e32 v12, 28, v7
	v_and_b32_e32 v3, 15, v3
	v_lshlrev_b32_sdwa v12, v12, v8 dst_sel:DWORD dst_unused:UNUSED_PAD src0_sel:DWORD src1_sel:WORD_1
	v_bfe_u32 v6, v8, 19, 4
	v_sub_u32_e32 v7, 29, v7
	v_and_b32_e32 v12, 7, v12
	v_cmp_eq_u16_e32 vcc, 0, v3
	v_cndmask_b32_e32 v2, v2, v12, vcc
	v_cndmask_b32_e32 v3, v6, v7, vcc
	v_lshlrev_b32_e32 v6, 8, v8
	v_mov_b32_e32 v7, 0x3b800000
	v_lshlrev_b32_e32 v2, 20, v2
	v_and_b32_e32 v6, 0x80000000, v6
	v_lshl_add_u32 v3, v3, 23, v7
	v_or3_b32 v2, v6, v3, v2
.LBB2_7124:
	s_or_b64 exec, exec, s[6:7]
	s_movk_i32 s4, 0xff
	v_and_b32_sdwa v3, v4, s4 dst_sel:DWORD dst_unused:UNUSED_PAD src0_sel:WORD_1 src1_sel:DWORD
	s_movk_i32 s4, 0x7f
	v_cmp_lt_i16_e32 vcc, s4, v3
	s_mov_b64 s[4:5], 0
                                        ; implicit-def: $sgpr10
	s_and_saveexec_b64 s[6:7], vcc
	s_xor_b64 s[6:7], exec, s[6:7]
	s_cbranch_execz .LBB2_7125
; %bb.42965:
	s_getpc_b64 s[14:15]
.Lpost_getpc25066:
	s_add_u32 s14, s14, (.LBB2_21461-.Lpost_getpc25066)&4294967295
	s_addc_u32 s15, s15, (.LBB2_21461-.Lpost_getpc25066)>>32
	s_setpc_b64 s[14:15]
.LBB2_7125:
	s_or_saveexec_b64 s[6:7], s[6:7]
	v_mov_b32_e32 v6, s10
	s_xor_b64 exec, exec, s[6:7]
	s_cbranch_execz .LBB2_7126
; %bb.42967:
	s_getpc_b64 s[14:15]
.Lpost_getpc25067:
	s_add_u32 s14, s14, (.LBB2_21464-.Lpost_getpc25067)&4294967295
	s_addc_u32 s15, s15, (.LBB2_21464-.Lpost_getpc25067)>>32
	s_setpc_b64 s[14:15]
.LBB2_7126:
	s_or_b64 exec, exec, s[6:7]
	s_and_saveexec_b64 s[6:7], s[4:5]
	s_cbranch_execz .LBB2_7128
.LBB2_7127:
	v_bfe_u32 v3, v4, 16, 3
	v_ffbh_u32_e32 v12, v3
	v_min_u32_e32 v12, 32, v12
	v_lshrrev_b32_e32 v6, 19, v4
	v_subrev_u32_e32 v13, 28, v12
	v_and_b32_e32 v6, 15, v6
	v_lshlrev_b32_sdwa v13, v13, v4 dst_sel:DWORD dst_unused:UNUSED_PAD src0_sel:DWORD src1_sel:WORD_1
	v_bfe_u32 v7, v4, 19, 4
	v_sub_u32_e32 v12, 29, v12
	v_and_b32_e32 v13, 7, v13
	v_cmp_eq_u16_e32 vcc, 0, v6
	v_cndmask_b32_e32 v3, v3, v13, vcc
	v_cndmask_b32_e32 v6, v7, v12, vcc
	v_lshlrev_b32_e32 v7, 8, v4
	v_mov_b32_e32 v12, 0x3b800000
	v_lshlrev_b32_e32 v3, 20, v3
	v_and_b32_e32 v7, 0x80000000, v7
	v_lshl_add_u32 v6, v6, 23, v12
	v_or3_b32 v6, v7, v6, v3
.LBB2_7128:
	s_or_b64 exec, exec, s[6:7]
	s_nop 0
	v_mfma_f32_16x16x4f32 a[0:3], v2, v6, a[0:3]
	s_movk_i32 s4, 0x7f
	v_cmp_gt_i16_sdwa s[6:7], v8, s4 src0_sel:BYTE_3 src1_sel:DWORD
	s_mov_b64 s[4:5], 0
                                        ; implicit-def: $sgpr10
	s_and_saveexec_b64 s[8:9], s[6:7]
	s_xor_b64 s[6:7], exec, s[8:9]
	s_cbranch_execz .LBB2_7129
; %bb.42969:
	s_getpc_b64 s[14:15]
.Lpost_getpc25068:
	s_add_u32 s14, s14, (.LBB2_21465-.Lpost_getpc25068)&4294967295
	s_addc_u32 s15, s15, (.LBB2_21465-.Lpost_getpc25068)>>32
	s_setpc_b64 s[14:15]
.LBB2_7129:
	s_or_saveexec_b64 s[6:7], s[6:7]
	v_mov_b32_e32 v2, s10
	s_xor_b64 exec, exec, s[6:7]
	s_cbranch_execz .LBB2_7130
; %bb.42971:
	s_getpc_b64 s[14:15]
.Lpost_getpc25069:
	s_add_u32 s14, s14, (.LBB2_21468-.Lpost_getpc25069)&4294967295
	s_addc_u32 s15, s15, (.LBB2_21468-.Lpost_getpc25069)>>32
	s_setpc_b64 s[14:15]
.LBB2_7130:
	s_or_b64 exec, exec, s[6:7]
	s_and_saveexec_b64 s[6:7], s[4:5]
	s_cbranch_execz .LBB2_7132
.LBB2_7131:
	v_bfe_u32 v2, v8, 24, 3
	v_ffbh_u32_e32 v12, v2
	v_min_u32_e32 v12, 32, v12
	v_lshrrev_b32_e32 v6, 27, v8
	v_subrev_u32_e32 v13, 28, v12
	v_and_b32_e32 v3, 0x80000000, v8
	v_and_b32_e32 v6, 15, v6
	v_bfe_u32 v7, v8, 27, 4
	v_lshlrev_b32_sdwa v8, v13, v8 dst_sel:DWORD dst_unused:UNUSED_PAD src0_sel:DWORD src1_sel:BYTE_3
	v_sub_u32_e32 v12, 29, v12
	v_and_b32_e32 v8, 7, v8
	v_cmp_eq_u16_e32 vcc, 0, v6
	v_cndmask_b32_e32 v2, v2, v8, vcc
	v_cndmask_b32_e32 v6, v7, v12, vcc
	v_mov_b32_e32 v7, 0x3b800000
	v_lshlrev_b32_e32 v2, 20, v2
	v_lshl_add_u32 v6, v6, 23, v7
	v_or3_b32 v2, v3, v6, v2
.LBB2_7132:
	s_or_b64 exec, exec, s[6:7]
	s_movk_i32 s4, 0x7f
	v_cmp_gt_i16_sdwa s[6:7], v4, s4 src0_sel:BYTE_3 src1_sel:DWORD
	s_mov_b64 s[4:5], 0
                                        ; implicit-def: $sgpr10
	s_and_saveexec_b64 s[8:9], s[6:7]
	s_xor_b64 s[6:7], exec, s[8:9]
	s_cbranch_execz .LBB2_7133
; %bb.42973:
	s_getpc_b64 s[14:15]
.Lpost_getpc25070:
	s_add_u32 s14, s14, (.LBB2_21469-.Lpost_getpc25070)&4294967295
	s_addc_u32 s15, s15, (.LBB2_21469-.Lpost_getpc25070)>>32
	s_setpc_b64 s[14:15]
.LBB2_7133:
	s_or_saveexec_b64 s[6:7], s[6:7]
	v_mov_b32_e32 v3, s10
	s_xor_b64 exec, exec, s[6:7]
	s_cbranch_execz .LBB2_7134
; %bb.42975:
	s_getpc_b64 s[14:15]
.Lpost_getpc25071:
	s_add_u32 s14, s14, (.LBB2_21472-.Lpost_getpc25071)&4294967295
	s_addc_u32 s15, s15, (.LBB2_21472-.Lpost_getpc25071)>>32
	s_setpc_b64 s[14:15]
.LBB2_7134:
	s_or_b64 exec, exec, s[6:7]
	s_and_saveexec_b64 s[6:7], s[4:5]
	s_cbranch_execz .LBB2_7136
.LBB2_7135:
	v_bfe_u32 v3, v4, 24, 3
	v_ffbh_u32_e32 v12, v3
	v_min_u32_e32 v12, 32, v12
	v_lshrrev_b32_e32 v7, 27, v4
	v_subrev_u32_e32 v13, 28, v12
	v_and_b32_e32 v6, 0x80000000, v4
	v_and_b32_e32 v7, 15, v7
	v_bfe_u32 v8, v4, 27, 4
	v_lshlrev_b32_sdwa v4, v13, v4 dst_sel:DWORD dst_unused:UNUSED_PAD src0_sel:DWORD src1_sel:BYTE_3
	v_sub_u32_e32 v12, 29, v12
	v_and_b32_e32 v4, 7, v4
	v_cmp_eq_u16_e32 vcc, 0, v7
	v_cndmask_b32_e32 v3, v3, v4, vcc
	v_cndmask_b32_e32 v4, v8, v12, vcc
	v_mov_b32_e32 v7, 0x3b800000
	v_lshlrev_b32_e32 v3, 20, v3
	v_lshl_add_u32 v4, v4, 23, v7
	v_or3_b32 v3, v6, v4, v3
.LBB2_7136:
	s_or_b64 exec, exec, s[6:7]
	s_nop 0
	v_mfma_f32_16x16x4f32 a[0:3], v2, v3, a[0:3]
	s_movk_i32 s4, 0x7f
	v_cmp_gt_i16_sdwa s[6:7], v9, s4 src0_sel:BYTE_0 src1_sel:DWORD
	s_mov_b64 s[4:5], 0
                                        ; implicit-def: $sgpr10
	s_and_saveexec_b64 s[8:9], s[6:7]
	s_xor_b64 s[6:7], exec, s[8:9]
	s_cbranch_execz .LBB2_7137
; %bb.42977:
	s_getpc_b64 s[14:15]
.Lpost_getpc25072:
	s_add_u32 s14, s14, (.LBB2_21473-.Lpost_getpc25072)&4294967295
	s_addc_u32 s15, s15, (.LBB2_21473-.Lpost_getpc25072)>>32
	s_setpc_b64 s[14:15]
.LBB2_7137:
	s_or_saveexec_b64 s[6:7], s[6:7]
	v_mov_b32_e32 v2, s10
	s_xor_b64 exec, exec, s[6:7]
	s_cbranch_execz .LBB2_7138
; %bb.42979:
	s_getpc_b64 s[14:15]
.Lpost_getpc25073:
	s_add_u32 s14, s14, (.LBB2_21476-.Lpost_getpc25073)&4294967295
	s_addc_u32 s15, s15, (.LBB2_21476-.Lpost_getpc25073)>>32
	s_setpc_b64 s[14:15]
.LBB2_7138:
	s_or_b64 exec, exec, s[6:7]
	s_and_saveexec_b64 s[6:7], s[4:5]
	s_cbranch_execz .LBB2_7140
.LBB2_7139:
	v_mov_b32_e32 v2, 8
	v_and_b32_e32 v3, 7, v9
	v_lshrrev_b32_sdwa v2, v2, v9 dst_sel:BYTE_1 dst_unused:UNUSED_PAD src0_sel:DWORD src1_sel:DWORD
	v_ffbh_u32_e32 v4, v3
	v_or_b32_sdwa v2, v9, v2 dst_sel:DWORD dst_unused:UNUSED_PAD src0_sel:BYTE_0 src1_sel:DWORD
	v_min_u32_e32 v4, 32, v4
	v_lshrrev_b16_e32 v2, 3, v2
	v_subrev_u32_e32 v6, 28, v4
	v_and_b32_e32 v2, 15, v2
	v_lshlrev_b32_e32 v6, v6, v9
	v_sub_u32_e32 v4, 29, v4
	v_and_b32_e32 v6, 7, v6
	v_cmp_eq_u16_e32 vcc, 0, v2
	v_cndmask_b32_e32 v3, v3, v6, vcc
	v_cndmask_b32_e32 v2, v2, v4, vcc
	v_lshlrev_b32_e32 v4, 24, v9
	v_mov_b32_e32 v6, 0x3b800000
	v_lshlrev_b32_e32 v3, 20, v3
	v_and_b32_e32 v4, 0x80000000, v4
	v_lshl_add_u32 v2, v2, 23, v6
	v_or3_b32 v2, v4, v2, v3
.LBB2_7140:
	s_or_b64 exec, exec, s[6:7]
	s_movk_i32 s4, 0x7f
	v_cmp_gt_i16_sdwa s[6:7], v5, s4 src0_sel:BYTE_0 src1_sel:DWORD
	s_mov_b64 s[4:5], 0
                                        ; implicit-def: $sgpr10
	s_and_saveexec_b64 s[8:9], s[6:7]
	s_xor_b64 s[6:7], exec, s[8:9]
	s_cbranch_execz .LBB2_7141
; %bb.42981:
	s_getpc_b64 s[14:15]
.Lpost_getpc25074:
	s_add_u32 s14, s14, (.LBB2_21477-.Lpost_getpc25074)&4294967295
	s_addc_u32 s15, s15, (.LBB2_21477-.Lpost_getpc25074)>>32
	s_setpc_b64 s[14:15]
.LBB2_7141:
	s_or_saveexec_b64 s[6:7], s[6:7]
	v_mov_b32_e32 v3, s10
	s_xor_b64 exec, exec, s[6:7]
	s_cbranch_execz .LBB2_7142
; %bb.42983:
	s_getpc_b64 s[14:15]
.Lpost_getpc25075:
	s_add_u32 s14, s14, (.LBB2_21480-.Lpost_getpc25075)&4294967295
	s_addc_u32 s15, s15, (.LBB2_21480-.Lpost_getpc25075)>>32
	s_setpc_b64 s[14:15]
.LBB2_7142:
	s_or_b64 exec, exec, s[6:7]
	s_and_saveexec_b64 s[6:7], s[4:5]
	s_cbranch_execz .LBB2_7144
.LBB2_7143:
	v_mov_b32_e32 v3, 8
	v_and_b32_e32 v4, 7, v5
	v_lshrrev_b32_sdwa v3, v3, v5 dst_sel:BYTE_1 dst_unused:UNUSED_PAD src0_sel:DWORD src1_sel:DWORD
	v_ffbh_u32_e32 v6, v4
	v_or_b32_sdwa v3, v5, v3 dst_sel:DWORD dst_unused:UNUSED_PAD src0_sel:BYTE_0 src1_sel:DWORD
	v_min_u32_e32 v6, 32, v6
	v_lshrrev_b16_e32 v3, 3, v3
	v_subrev_u32_e32 v7, 28, v6
	v_and_b32_e32 v3, 15, v3
	v_lshlrev_b32_e32 v7, v7, v5
	v_sub_u32_e32 v6, 29, v6
	v_and_b32_e32 v7, 7, v7
	v_cmp_eq_u16_e32 vcc, 0, v3
	v_cndmask_b32_e32 v4, v4, v7, vcc
	v_cndmask_b32_e32 v3, v3, v6, vcc
	v_lshlrev_b32_e32 v6, 24, v5
	v_mov_b32_e32 v7, 0x3b800000
	v_lshlrev_b32_e32 v4, 20, v4
	v_and_b32_e32 v6, 0x80000000, v6
	v_lshl_add_u32 v3, v3, 23, v7
	v_or3_b32 v3, v6, v3, v4
.LBB2_7144:
	s_or_b64 exec, exec, s[6:7]
	s_nop 0
	v_mfma_f32_16x16x4f32 a[0:3], v2, v3, a[0:3]
	v_lshrrev_b32_e32 v3, 8, v9
	s_movk_i32 s4, 0x7f
	v_cmp_gt_i16_sdwa s[6:7], v3, s4 src0_sel:BYTE_0 src1_sel:DWORD
	s_mov_b64 s[4:5], 0
                                        ; implicit-def: $sgpr10
	s_and_saveexec_b64 s[8:9], s[6:7]
	s_xor_b64 s[6:7], exec, s[8:9]
	s_cbranch_execz .LBB2_7145
; %bb.42985:
	s_getpc_b64 s[14:15]
.Lpost_getpc25076:
	s_add_u32 s14, s14, (.LBB2_21481-.Lpost_getpc25076)&4294967295
	s_addc_u32 s15, s15, (.LBB2_21481-.Lpost_getpc25076)>>32
	s_setpc_b64 s[14:15]
.LBB2_7145:
	s_or_saveexec_b64 s[6:7], s[6:7]
	v_mov_b32_e32 v2, s10
	s_xor_b64 exec, exec, s[6:7]
	s_cbranch_execz .LBB2_7146
; %bb.42987:
	s_getpc_b64 s[14:15]
.Lpost_getpc25077:
	s_add_u32 s14, s14, (.LBB2_21484-.Lpost_getpc25077)&4294967295
	s_addc_u32 s15, s15, (.LBB2_21484-.Lpost_getpc25077)>>32
	s_setpc_b64 s[14:15]
.LBB2_7146:
	s_or_b64 exec, exec, s[6:7]
	s_and_saveexec_b64 s[6:7], s[4:5]
	s_cbranch_execz .LBB2_7148
.LBB2_7147:
	v_bfe_u32 v2, v9, 8, 3
	v_ffbh_u32_e32 v6, v2
	v_min_u32_e32 v6, 32, v6
	v_lshrrev_b16_e32 v4, 3, v3
	v_subrev_u32_e32 v7, 28, v6
	v_and_b32_e32 v4, 15, v4
	v_lshlrev_b32_e32 v3, v7, v3
	v_sub_u32_e32 v6, 29, v6
	v_and_b32_e32 v3, 7, v3
	v_cmp_eq_u16_e32 vcc, 0, v4
	v_cndmask_b32_e32 v2, v2, v3, vcc
	v_cndmask_b32_e32 v3, v4, v6, vcc
	v_lshlrev_b32_e32 v4, 16, v9
	v_mov_b32_e32 v6, 0x3b800000
	v_lshlrev_b32_e32 v2, 20, v2
	v_and_b32_e32 v4, 0x80000000, v4
	v_lshl_add_u32 v3, v3, 23, v6
	v_or3_b32 v2, v4, v3, v2
.LBB2_7148:
	s_or_b64 exec, exec, s[6:7]
	v_lshrrev_b32_e32 v3, 8, v5
	s_movk_i32 s4, 0x7f
	v_cmp_gt_i16_sdwa s[6:7], v3, s4 src0_sel:BYTE_0 src1_sel:DWORD
	s_mov_b64 s[4:5], 0
                                        ; implicit-def: $sgpr10
	s_and_saveexec_b64 s[8:9], s[6:7]
	s_xor_b64 s[6:7], exec, s[8:9]
	s_cbranch_execz .LBB2_7149
; %bb.42989:
	s_getpc_b64 s[14:15]
.Lpost_getpc25078:
	s_add_u32 s14, s14, (.LBB2_21485-.Lpost_getpc25078)&4294967295
	s_addc_u32 s15, s15, (.LBB2_21485-.Lpost_getpc25078)>>32
	s_setpc_b64 s[14:15]
.LBB2_7149:
	s_or_saveexec_b64 s[6:7], s[6:7]
	v_mov_b32_e32 v4, s10
	s_xor_b64 exec, exec, s[6:7]
	s_cbranch_execz .LBB2_7150
; %bb.42991:
	s_getpc_b64 s[14:15]
.Lpost_getpc25079:
	s_add_u32 s14, s14, (.LBB2_21488-.Lpost_getpc25079)&4294967295
	s_addc_u32 s15, s15, (.LBB2_21488-.Lpost_getpc25079)>>32
	s_setpc_b64 s[14:15]
.LBB2_7150:
	s_or_b64 exec, exec, s[6:7]
	s_and_saveexec_b64 s[6:7], s[4:5]
	s_cbranch_execz .LBB2_7152
.LBB2_7151:
	v_bfe_u32 v4, v5, 8, 3
	v_ffbh_u32_e32 v7, v4
	v_min_u32_e32 v7, 32, v7
	v_lshrrev_b16_e32 v6, 3, v3
	v_subrev_u32_e32 v8, 28, v7
	v_and_b32_e32 v6, 15, v6
	v_lshlrev_b32_e32 v3, v8, v3
	v_sub_u32_e32 v7, 29, v7
	v_and_b32_e32 v3, 7, v3
	v_cmp_eq_u16_e32 vcc, 0, v6
	v_cndmask_b32_e32 v3, v4, v3, vcc
	v_cndmask_b32_e32 v4, v6, v7, vcc
	v_lshlrev_b32_e32 v6, 16, v5
	v_mov_b32_e32 v7, 0x3b800000
	v_lshlrev_b32_e32 v3, 20, v3
	v_and_b32_e32 v6, 0x80000000, v6
	v_lshl_add_u32 v4, v4, 23, v7
	v_or3_b32 v4, v6, v4, v3
.LBB2_7152:
	s_or_b64 exec, exec, s[6:7]
	s_nop 0
	v_mfma_f32_16x16x4f32 a[0:3], v2, v4, a[0:3]
	s_movk_i32 s4, 0xff
	v_and_b32_sdwa v3, v9, s4 dst_sel:DWORD dst_unused:UNUSED_PAD src0_sel:WORD_1 src1_sel:DWORD
	s_movk_i32 s4, 0x7f
	v_cmp_lt_i16_e32 vcc, s4, v3
	s_mov_b64 s[4:5], 0
                                        ; implicit-def: $sgpr10
	s_and_saveexec_b64 s[6:7], vcc
	s_xor_b64 s[6:7], exec, s[6:7]
	s_cbranch_execz .LBB2_7153
; %bb.42993:
	s_getpc_b64 s[14:15]
.Lpost_getpc25080:
	s_add_u32 s14, s14, (.LBB2_21489-.Lpost_getpc25080)&4294967295
	s_addc_u32 s15, s15, (.LBB2_21489-.Lpost_getpc25080)>>32
	s_setpc_b64 s[14:15]
.LBB2_7153:
	s_or_saveexec_b64 s[6:7], s[6:7]
	v_mov_b32_e32 v2, s10
	s_xor_b64 exec, exec, s[6:7]
	s_cbranch_execz .LBB2_7154
; %bb.42995:
	s_getpc_b64 s[14:15]
.Lpost_getpc25081:
	s_add_u32 s14, s14, (.LBB2_21492-.Lpost_getpc25081)&4294967295
	s_addc_u32 s15, s15, (.LBB2_21492-.Lpost_getpc25081)>>32
	s_setpc_b64 s[14:15]
.LBB2_7154:
	s_or_b64 exec, exec, s[6:7]
	s_and_saveexec_b64 s[6:7], s[4:5]
	s_cbranch_execz .LBB2_7156
.LBB2_7155:
	v_bfe_u32 v2, v9, 16, 3
	v_ffbh_u32_e32 v6, v2
	v_min_u32_e32 v6, 32, v6
	v_lshrrev_b32_e32 v3, 19, v9
	v_subrev_u32_e32 v7, 28, v6
	v_and_b32_e32 v3, 15, v3
	v_lshlrev_b32_sdwa v7, v7, v9 dst_sel:DWORD dst_unused:UNUSED_PAD src0_sel:DWORD src1_sel:WORD_1
	v_bfe_u32 v4, v9, 19, 4
	v_sub_u32_e32 v6, 29, v6
	v_and_b32_e32 v7, 7, v7
	v_cmp_eq_u16_e32 vcc, 0, v3
	v_cndmask_b32_e32 v2, v2, v7, vcc
	v_cndmask_b32_e32 v3, v4, v6, vcc
	v_lshlrev_b32_e32 v4, 8, v9
	v_mov_b32_e32 v6, 0x3b800000
	v_lshlrev_b32_e32 v2, 20, v2
	v_and_b32_e32 v4, 0x80000000, v4
	v_lshl_add_u32 v3, v3, 23, v6
	v_or3_b32 v2, v4, v3, v2
.LBB2_7156:
	s_or_b64 exec, exec, s[6:7]
	s_movk_i32 s4, 0xff
	v_and_b32_sdwa v3, v5, s4 dst_sel:DWORD dst_unused:UNUSED_PAD src0_sel:WORD_1 src1_sel:DWORD
	s_movk_i32 s4, 0x7f
	v_cmp_lt_i16_e32 vcc, s4, v3
	s_mov_b64 s[4:5], 0
                                        ; implicit-def: $sgpr10
	s_and_saveexec_b64 s[6:7], vcc
	s_xor_b64 s[6:7], exec, s[6:7]
	s_cbranch_execz .LBB2_7157
; %bb.42997:
	s_getpc_b64 s[14:15]
.Lpost_getpc25082:
	s_add_u32 s14, s14, (.LBB2_21493-.Lpost_getpc25082)&4294967295
	s_addc_u32 s15, s15, (.LBB2_21493-.Lpost_getpc25082)>>32
	s_setpc_b64 s[14:15]
.LBB2_7157:
	s_or_saveexec_b64 s[6:7], s[6:7]
	v_mov_b32_e32 v4, s10
	s_xor_b64 exec, exec, s[6:7]
	s_cbranch_execz .LBB2_7158
; %bb.42999:
	s_getpc_b64 s[14:15]
.Lpost_getpc25083:
	s_add_u32 s14, s14, (.LBB2_21496-.Lpost_getpc25083)&4294967295
	s_addc_u32 s15, s15, (.LBB2_21496-.Lpost_getpc25083)>>32
	s_setpc_b64 s[14:15]
.LBB2_7158:
	s_or_b64 exec, exec, s[6:7]
	s_and_saveexec_b64 s[6:7], s[4:5]
	s_cbranch_execz .LBB2_7160
.LBB2_7159:
	v_bfe_u32 v3, v5, 16, 3
	v_ffbh_u32_e32 v7, v3
	v_min_u32_e32 v7, 32, v7
	v_lshrrev_b32_e32 v4, 19, v5
	v_subrev_u32_e32 v8, 28, v7
	v_and_b32_e32 v4, 15, v4
	v_lshlrev_b32_sdwa v8, v8, v5 dst_sel:DWORD dst_unused:UNUSED_PAD src0_sel:DWORD src1_sel:WORD_1
	v_bfe_u32 v6, v5, 19, 4
	v_sub_u32_e32 v7, 29, v7
	v_and_b32_e32 v8, 7, v8
	v_cmp_eq_u16_e32 vcc, 0, v4
	v_cndmask_b32_e32 v3, v3, v8, vcc
	v_cndmask_b32_e32 v4, v6, v7, vcc
	v_lshlrev_b32_e32 v6, 8, v5
	v_mov_b32_e32 v7, 0x3b800000
	v_lshlrev_b32_e32 v3, 20, v3
	v_and_b32_e32 v6, 0x80000000, v6
	v_lshl_add_u32 v4, v4, 23, v7
	v_or3_b32 v4, v6, v4, v3
.LBB2_7160:
	s_or_b64 exec, exec, s[6:7]
	s_nop 0
	v_mfma_f32_16x16x4f32 a[0:3], v2, v4, a[0:3]
	s_movk_i32 s4, 0x7f
	v_cmp_gt_i16_sdwa s[6:7], v9, s4 src0_sel:BYTE_3 src1_sel:DWORD
	s_mov_b64 s[4:5], 0
                                        ; implicit-def: $sgpr10
	s_and_saveexec_b64 s[8:9], s[6:7]
	s_xor_b64 s[6:7], exec, s[8:9]
	s_cbranch_execz .LBB2_7161
; %bb.43001:
	s_getpc_b64 s[14:15]
.Lpost_getpc25084:
	s_add_u32 s14, s14, (.LBB2_21497-.Lpost_getpc25084)&4294967295
	s_addc_u32 s15, s15, (.LBB2_21497-.Lpost_getpc25084)>>32
	s_setpc_b64 s[14:15]
.LBB2_7161:
	s_or_saveexec_b64 s[6:7], s[6:7]
	v_mov_b32_e32 v2, s10
	s_xor_b64 exec, exec, s[6:7]
	s_cbranch_execz .LBB2_7162
; %bb.43003:
	s_getpc_b64 s[14:15]
.Lpost_getpc25085:
	s_add_u32 s14, s14, (.LBB2_21500-.Lpost_getpc25085)&4294967295
	s_addc_u32 s15, s15, (.LBB2_21500-.Lpost_getpc25085)>>32
	s_setpc_b64 s[14:15]
.LBB2_7162:
	s_or_b64 exec, exec, s[6:7]
	s_and_saveexec_b64 s[6:7], s[4:5]
	s_cbranch_execz .LBB2_7164
.LBB2_7163:
	v_bfe_u32 v2, v9, 24, 3
	v_ffbh_u32_e32 v7, v2
	v_min_u32_e32 v7, 32, v7
	v_lshrrev_b32_e32 v4, 27, v9
	v_subrev_u32_e32 v8, 28, v7
	v_and_b32_e32 v4, 15, v4
	v_lshlrev_b32_sdwa v8, v8, v9 dst_sel:DWORD dst_unused:UNUSED_PAD src0_sel:DWORD src1_sel:BYTE_3
	v_bfe_u32 v6, v9, 27, 4
	v_sub_u32_e32 v7, 29, v7
	v_and_b32_e32 v8, 7, v8
	v_cmp_eq_u16_e32 vcc, 0, v4
	v_cndmask_b32_e32 v2, v2, v8, vcc
	v_cndmask_b32_e32 v4, v6, v7, vcc
	v_mov_b32_e32 v6, 0x3b800000
	v_and_b32_e32 v3, 0x80000000, v9
	v_lshlrev_b32_e32 v2, 20, v2
	v_lshl_add_u32 v4, v4, 23, v6
	v_or3_b32 v2, v3, v4, v2
.LBB2_7164:
	s_or_b64 exec, exec, s[6:7]
	s_movk_i32 s4, 0x7f
	v_cmp_gt_i16_sdwa s[6:7], v5, s4 src0_sel:BYTE_3 src1_sel:DWORD
	s_mov_b64 s[4:5], 0
                                        ; implicit-def: $sgpr10
	s_and_saveexec_b64 s[8:9], s[6:7]
	s_xor_b64 s[6:7], exec, s[8:9]
	s_cbranch_execz .LBB2_7165
; %bb.43005:
	s_getpc_b64 s[14:15]
.Lpost_getpc25086:
	s_add_u32 s14, s14, (.LBB2_21501-.Lpost_getpc25086)&4294967295
	s_addc_u32 s15, s15, (.LBB2_21501-.Lpost_getpc25086)>>32
	s_setpc_b64 s[14:15]
.LBB2_7165:
	s_or_saveexec_b64 s[6:7], s[6:7]
	v_mov_b32_e32 v3, s10
	s_xor_b64 exec, exec, s[6:7]
	s_cbranch_execz .LBB2_7166
; %bb.43007:
	s_getpc_b64 s[14:15]
.Lpost_getpc25087:
	s_add_u32 s14, s14, (.LBB2_21504-.Lpost_getpc25087)&4294967295
	s_addc_u32 s15, s15, (.LBB2_21504-.Lpost_getpc25087)>>32
	s_setpc_b64 s[14:15]
.LBB2_7166:
	s_or_b64 exec, exec, s[6:7]
	s_and_saveexec_b64 s[6:7], s[4:5]
	s_cbranch_execz .LBB2_7168
.LBB2_7167:
	v_bfe_u32 v3, v5, 24, 3
	v_ffbh_u32_e32 v8, v3
	v_min_u32_e32 v8, 32, v8
	v_lshrrev_b32_e32 v6, 27, v5
	v_subrev_u32_e32 v9, 28, v8
	v_and_b32_e32 v4, 0x80000000, v5
	v_and_b32_e32 v6, 15, v6
	v_bfe_u32 v7, v5, 27, 4
	v_lshlrev_b32_sdwa v5, v9, v5 dst_sel:DWORD dst_unused:UNUSED_PAD src0_sel:DWORD src1_sel:BYTE_3
	v_sub_u32_e32 v8, 29, v8
	v_and_b32_e32 v5, 7, v5
	v_cmp_eq_u16_e32 vcc, 0, v6
	v_cndmask_b32_e32 v3, v3, v5, vcc
	v_cndmask_b32_e32 v5, v7, v8, vcc
	v_mov_b32_e32 v6, 0x3b800000
	v_lshlrev_b32_e32 v3, 20, v3
	v_lshl_add_u32 v5, v5, 23, v6
	v_or3_b32 v3, v4, v5, v3
.LBB2_7168:
	s_or_b64 exec, exec, s[6:7]
	s_nop 0
	v_mfma_f32_16x16x4f32 a[0:3], v2, v3, a[0:3]
	s_movk_i32 s4, 0x7f
                                        ; implicit-def: $sgpr10
	s_nop 7
	s_nop 1
	flat_store_dwordx4 v[10:11], a[0:3] offset:880
	flat_load_dwordx4 v[12:15], v[0:1]
	s_nop 0
	flat_load_dwordx2 v[10:11], v[0:1] offset:16
	s_waitcnt vmcnt(0) lgkmcnt(0)
	flat_load_dwordx4 v[6:9], v[12:13] offset:112
	flat_load_dwordx4 v[2:5], v[14:15] offset:128
	s_waitcnt vmcnt(0) lgkmcnt(0)
	v_cmp_gt_i16_sdwa s[6:7], v6, s4 src0_sel:BYTE_0 src1_sel:DWORD
	s_mov_b64 s[4:5], 0
	s_and_saveexec_b64 s[8:9], s[6:7]
	s_xor_b64 s[6:7], exec, s[8:9]
	s_cbranch_execz .LBB2_7169
; %bb.43009:
	s_getpc_b64 s[14:15]
.Lpost_getpc25088:
	s_add_u32 s14, s14, (.LBB2_21505-.Lpost_getpc25088)&4294967295
	s_addc_u32 s15, s15, (.LBB2_21505-.Lpost_getpc25088)>>32
	s_setpc_b64 s[14:15]
.LBB2_7169:
	s_or_saveexec_b64 s[6:7], s[6:7]
	v_mov_b32_e32 v12, s10
	s_xor_b64 exec, exec, s[6:7]
	s_cbranch_execz .LBB2_7170
; %bb.43011:
	s_getpc_b64 s[14:15]
.Lpost_getpc25089:
	s_add_u32 s14, s14, (.LBB2_21508-.Lpost_getpc25089)&4294967295
	s_addc_u32 s15, s15, (.LBB2_21508-.Lpost_getpc25089)>>32
	s_setpc_b64 s[14:15]
.LBB2_7170:
	s_or_b64 exec, exec, s[6:7]
	s_and_saveexec_b64 s[6:7], s[4:5]
	s_cbranch_execz .LBB2_7172
.LBB2_7171:
	v_and_b32_e32 v12, 7, v6
	v_ffbh_u32_e32 v14, v12
	v_min_u32_e32 v14, 32, v14
	v_lshrrev_b16_e32 v13, 3, v6
	v_subrev_u32_e32 v15, 28, v14
	v_and_b32_e32 v13, 15, v13
	v_lshlrev_b32_e32 v15, v15, v6
	v_sub_u32_e32 v14, 29, v14
	v_and_b32_e32 v15, 7, v15
	v_cmp_eq_u16_e32 vcc, 0, v13
	v_cndmask_b32_e32 v12, v12, v15, vcc
	v_cndmask_b32_e32 v13, v13, v14, vcc
	v_lshlrev_b32_e32 v14, 24, v6
	v_mov_b32_e32 v15, 0x3b800000
	v_lshlrev_b32_e32 v12, 20, v12
	v_and_b32_e32 v14, 0x80000000, v14
	v_lshl_add_u32 v13, v13, 23, v15
	v_or3_b32 v12, v14, v13, v12
.LBB2_7172:
	s_or_b64 exec, exec, s[6:7]
	s_movk_i32 s4, 0x7f
	v_cmp_gt_i16_sdwa s[6:7], v2, s4 src0_sel:BYTE_0 src1_sel:DWORD
	s_mov_b64 s[4:5], 0
                                        ; implicit-def: $sgpr10
	s_and_saveexec_b64 s[8:9], s[6:7]
	s_xor_b64 s[6:7], exec, s[8:9]
	s_cbranch_execz .LBB2_7173
; %bb.43013:
	s_getpc_b64 s[14:15]
.Lpost_getpc25090:
	s_add_u32 s14, s14, (.LBB2_21509-.Lpost_getpc25090)&4294967295
	s_addc_u32 s15, s15, (.LBB2_21509-.Lpost_getpc25090)>>32
	s_setpc_b64 s[14:15]
.LBB2_7173:
	s_or_saveexec_b64 s[6:7], s[6:7]
	v_mov_b32_e32 v13, s10
	s_xor_b64 exec, exec, s[6:7]
	s_cbranch_execz .LBB2_7174
; %bb.43015:
	s_getpc_b64 s[14:15]
.Lpost_getpc25091:
	s_add_u32 s14, s14, (.LBB2_21512-.Lpost_getpc25091)&4294967295
	s_addc_u32 s15, s15, (.LBB2_21512-.Lpost_getpc25091)>>32
	s_setpc_b64 s[14:15]
.LBB2_7174:
	s_or_b64 exec, exec, s[6:7]
	s_and_saveexec_b64 s[6:7], s[4:5]
	s_cbranch_execz .LBB2_7176
.LBB2_7175:
	v_and_b32_e32 v13, 7, v2
	v_ffbh_u32_e32 v15, v13
	v_min_u32_e32 v15, 32, v15
	v_lshrrev_b16_e32 v14, 3, v2
	v_subrev_u32_e32 v16, 28, v15
	v_and_b32_e32 v14, 15, v14
	v_lshlrev_b32_e32 v16, v16, v2
	v_sub_u32_e32 v15, 29, v15
	v_and_b32_e32 v16, 7, v16
	v_cmp_eq_u16_e32 vcc, 0, v14
	v_cndmask_b32_e32 v13, v13, v16, vcc
	v_cndmask_b32_e32 v14, v14, v15, vcc
	v_lshlrev_b32_e32 v15, 24, v2
	v_mov_b32_e32 v16, 0x3b800000
	v_lshlrev_b32_e32 v13, 20, v13
	v_and_b32_e32 v15, 0x80000000, v15
	v_lshl_add_u32 v14, v14, 23, v16
	v_or3_b32 v13, v15, v14, v13
.LBB2_7176:
	s_or_b64 exec, exec, s[6:7]
	flat_load_dwordx4 a[0:3], v[10:11]
	s_movk_i32 s4, 0x7f
                                        ; implicit-def: $sgpr10
	s_waitcnt vmcnt(0) lgkmcnt(0)
	v_mfma_f32_16x16x4f32 a[0:3], v12, v13, a[0:3]
	v_lshrrev_b32_e32 v13, 8, v6
	v_cmp_gt_i16_sdwa s[6:7], v13, s4 src0_sel:BYTE_0 src1_sel:DWORD
	s_mov_b64 s[4:5], 0
	s_and_saveexec_b64 s[8:9], s[6:7]
	s_xor_b64 s[6:7], exec, s[8:9]
	s_cbranch_execz .LBB2_7177
; %bb.43017:
	s_getpc_b64 s[14:15]
.Lpost_getpc25092:
	s_add_u32 s14, s14, (.LBB2_21513-.Lpost_getpc25092)&4294967295
	s_addc_u32 s15, s15, (.LBB2_21513-.Lpost_getpc25092)>>32
	s_setpc_b64 s[14:15]
.LBB2_7177:
	s_or_saveexec_b64 s[6:7], s[6:7]
	v_mov_b32_e32 v12, s10
	s_xor_b64 exec, exec, s[6:7]
	s_cbranch_execz .LBB2_7178
; %bb.43019:
	s_getpc_b64 s[14:15]
.Lpost_getpc25093:
	s_add_u32 s14, s14, (.LBB2_21516-.Lpost_getpc25093)&4294967295
	s_addc_u32 s15, s15, (.LBB2_21516-.Lpost_getpc25093)>>32
	s_setpc_b64 s[14:15]
.LBB2_7178:
	s_or_b64 exec, exec, s[6:7]
	s_and_saveexec_b64 s[6:7], s[4:5]
	s_cbranch_execz .LBB2_7180
.LBB2_7179:
	v_bfe_u32 v12, v6, 8, 3
	v_ffbh_u32_e32 v15, v12
	v_min_u32_e32 v15, 32, v15
	v_lshrrev_b16_e32 v14, 3, v13
	v_subrev_u32_e32 v16, 28, v15
	v_and_b32_e32 v14, 15, v14
	v_lshlrev_b32_e32 v13, v16, v13
	v_sub_u32_e32 v15, 29, v15
	v_and_b32_e32 v13, 7, v13
	v_cmp_eq_u16_e32 vcc, 0, v14
	v_cndmask_b32_e32 v12, v12, v13, vcc
	v_cndmask_b32_e32 v13, v14, v15, vcc
	v_lshlrev_b32_e32 v14, 16, v6
	v_mov_b32_e32 v15, 0x3b800000
	v_lshlrev_b32_e32 v12, 20, v12
	v_and_b32_e32 v14, 0x80000000, v14
	v_lshl_add_u32 v13, v13, 23, v15
	v_or3_b32 v12, v14, v13, v12
.LBB2_7180:
	s_or_b64 exec, exec, s[6:7]
	v_lshrrev_b32_e32 v13, 8, v2
	s_movk_i32 s4, 0x7f
	v_cmp_gt_i16_sdwa s[6:7], v13, s4 src0_sel:BYTE_0 src1_sel:DWORD
	s_mov_b64 s[4:5], 0
                                        ; implicit-def: $sgpr10
	s_and_saveexec_b64 s[8:9], s[6:7]
	s_xor_b64 s[6:7], exec, s[8:9]
	s_cbranch_execz .LBB2_7181
; %bb.43021:
	s_getpc_b64 s[14:15]
.Lpost_getpc25094:
	s_add_u32 s14, s14, (.LBB2_21517-.Lpost_getpc25094)&4294967295
	s_addc_u32 s15, s15, (.LBB2_21517-.Lpost_getpc25094)>>32
	s_setpc_b64 s[14:15]
.LBB2_7181:
	s_or_saveexec_b64 s[6:7], s[6:7]
	v_mov_b32_e32 v14, s10
	s_xor_b64 exec, exec, s[6:7]
	s_cbranch_execz .LBB2_7182
; %bb.43023:
	s_getpc_b64 s[14:15]
.Lpost_getpc25095:
	s_add_u32 s14, s14, (.LBB2_21520-.Lpost_getpc25095)&4294967295
	s_addc_u32 s15, s15, (.LBB2_21520-.Lpost_getpc25095)>>32
	s_setpc_b64 s[14:15]
.LBB2_7182:
	s_or_b64 exec, exec, s[6:7]
	s_and_saveexec_b64 s[6:7], s[4:5]
	s_cbranch_execz .LBB2_7184
.LBB2_7183:
	v_bfe_u32 v14, v2, 8, 3
	v_ffbh_u32_e32 v16, v14
	v_min_u32_e32 v16, 32, v16
	v_lshrrev_b16_e32 v15, 3, v13
	v_subrev_u32_e32 v17, 28, v16
	v_and_b32_e32 v15, 15, v15
	v_lshlrev_b32_e32 v13, v17, v13
	v_sub_u32_e32 v16, 29, v16
	v_and_b32_e32 v13, 7, v13
	v_cmp_eq_u16_e32 vcc, 0, v15
	v_cndmask_b32_e32 v13, v14, v13, vcc
	v_cndmask_b32_e32 v14, v15, v16, vcc
	v_lshlrev_b32_e32 v15, 16, v2
	v_mov_b32_e32 v16, 0x3b800000
	v_lshlrev_b32_e32 v13, 20, v13
	v_and_b32_e32 v15, 0x80000000, v15
	v_lshl_add_u32 v14, v14, 23, v16
	v_or3_b32 v14, v15, v14, v13
.LBB2_7184:
	s_or_b64 exec, exec, s[6:7]
	s_nop 0
	v_mfma_f32_16x16x4f32 a[0:3], v12, v14, a[0:3]
	s_movk_i32 s4, 0xff
	v_and_b32_sdwa v13, v6, s4 dst_sel:DWORD dst_unused:UNUSED_PAD src0_sel:WORD_1 src1_sel:DWORD
	s_movk_i32 s4, 0x7f
	v_cmp_lt_i16_e32 vcc, s4, v13
	s_mov_b64 s[4:5], 0
                                        ; implicit-def: $sgpr10
	s_and_saveexec_b64 s[6:7], vcc
	s_xor_b64 s[6:7], exec, s[6:7]
	s_cbranch_execz .LBB2_7185
; %bb.43025:
	s_getpc_b64 s[14:15]
.Lpost_getpc25096:
	s_add_u32 s14, s14, (.LBB2_21521-.Lpost_getpc25096)&4294967295
	s_addc_u32 s15, s15, (.LBB2_21521-.Lpost_getpc25096)>>32
	s_setpc_b64 s[14:15]
.LBB2_7185:
	s_or_saveexec_b64 s[6:7], s[6:7]
	v_mov_b32_e32 v12, s10
	s_xor_b64 exec, exec, s[6:7]
	s_cbranch_execz .LBB2_7186
; %bb.43027:
	s_getpc_b64 s[14:15]
.Lpost_getpc25097:
	s_add_u32 s14, s14, (.LBB2_21524-.Lpost_getpc25097)&4294967295
	s_addc_u32 s15, s15, (.LBB2_21524-.Lpost_getpc25097)>>32
	s_setpc_b64 s[14:15]
.LBB2_7186:
	s_or_b64 exec, exec, s[6:7]
	s_and_saveexec_b64 s[6:7], s[4:5]
	s_cbranch_execz .LBB2_7188
.LBB2_7187:
	v_bfe_u32 v12, v6, 16, 3
	v_ffbh_u32_e32 v15, v12
	v_min_u32_e32 v15, 32, v15
	v_lshrrev_b32_e32 v13, 19, v6
	v_subrev_u32_e32 v16, 28, v15
	v_and_b32_e32 v13, 15, v13
	v_lshlrev_b32_sdwa v16, v16, v6 dst_sel:DWORD dst_unused:UNUSED_PAD src0_sel:DWORD src1_sel:WORD_1
	v_bfe_u32 v14, v6, 19, 4
	v_sub_u32_e32 v15, 29, v15
	v_and_b32_e32 v16, 7, v16
	v_cmp_eq_u16_e32 vcc, 0, v13
	v_cndmask_b32_e32 v12, v12, v16, vcc
	v_cndmask_b32_e32 v13, v14, v15, vcc
	v_lshlrev_b32_e32 v14, 8, v6
	v_mov_b32_e32 v15, 0x3b800000
	v_lshlrev_b32_e32 v12, 20, v12
	v_and_b32_e32 v14, 0x80000000, v14
	v_lshl_add_u32 v13, v13, 23, v15
	v_or3_b32 v12, v14, v13, v12
.LBB2_7188:
	s_or_b64 exec, exec, s[6:7]
	s_movk_i32 s4, 0xff
	v_and_b32_sdwa v13, v2, s4 dst_sel:DWORD dst_unused:UNUSED_PAD src0_sel:WORD_1 src1_sel:DWORD
	s_movk_i32 s4, 0x7f
	v_cmp_lt_i16_e32 vcc, s4, v13
	s_mov_b64 s[4:5], 0
                                        ; implicit-def: $sgpr10
	s_and_saveexec_b64 s[6:7], vcc
	s_xor_b64 s[6:7], exec, s[6:7]
	s_cbranch_execz .LBB2_7189
; %bb.43029:
	s_getpc_b64 s[14:15]
.Lpost_getpc25098:
	s_add_u32 s14, s14, (.LBB2_21525-.Lpost_getpc25098)&4294967295
	s_addc_u32 s15, s15, (.LBB2_21525-.Lpost_getpc25098)>>32
	s_setpc_b64 s[14:15]
.LBB2_7189:
	s_or_saveexec_b64 s[6:7], s[6:7]
	v_mov_b32_e32 v14, s10
	s_xor_b64 exec, exec, s[6:7]
	s_cbranch_execz .LBB2_7190
; %bb.43031:
	s_getpc_b64 s[14:15]
.Lpost_getpc25099:
	s_add_u32 s14, s14, (.LBB2_21528-.Lpost_getpc25099)&4294967295
	s_addc_u32 s15, s15, (.LBB2_21528-.Lpost_getpc25099)>>32
	s_setpc_b64 s[14:15]
.LBB2_7190:
	s_or_b64 exec, exec, s[6:7]
	s_and_saveexec_b64 s[6:7], s[4:5]
	s_cbranch_execz .LBB2_7192
.LBB2_7191:
	v_bfe_u32 v13, v2, 16, 3
	v_ffbh_u32_e32 v16, v13
	v_min_u32_e32 v16, 32, v16
	v_lshrrev_b32_e32 v14, 19, v2
	v_subrev_u32_e32 v17, 28, v16
	v_and_b32_e32 v14, 15, v14
	v_lshlrev_b32_sdwa v17, v17, v2 dst_sel:DWORD dst_unused:UNUSED_PAD src0_sel:DWORD src1_sel:WORD_1
	v_bfe_u32 v15, v2, 19, 4
	v_sub_u32_e32 v16, 29, v16
	v_and_b32_e32 v17, 7, v17
	v_cmp_eq_u16_e32 vcc, 0, v14
	v_cndmask_b32_e32 v13, v13, v17, vcc
	v_cndmask_b32_e32 v14, v15, v16, vcc
	v_lshlrev_b32_e32 v15, 8, v2
	v_mov_b32_e32 v16, 0x3b800000
	v_lshlrev_b32_e32 v13, 20, v13
	v_and_b32_e32 v15, 0x80000000, v15
	v_lshl_add_u32 v14, v14, 23, v16
	v_or3_b32 v14, v15, v14, v13
.LBB2_7192:
	s_or_b64 exec, exec, s[6:7]
	s_nop 0
	v_mfma_f32_16x16x4f32 a[0:3], v12, v14, a[0:3]
	s_movk_i32 s4, 0x7f
	v_cmp_gt_i16_sdwa s[6:7], v6, s4 src0_sel:BYTE_3 src1_sel:DWORD
	s_mov_b64 s[4:5], 0
                                        ; implicit-def: $sgpr10
	s_and_saveexec_b64 s[8:9], s[6:7]
	s_xor_b64 s[6:7], exec, s[8:9]
	s_cbranch_execz .LBB2_7193
; %bb.43033:
	s_getpc_b64 s[14:15]
.Lpost_getpc25100:
	s_add_u32 s14, s14, (.LBB2_21529-.Lpost_getpc25100)&4294967295
	s_addc_u32 s15, s15, (.LBB2_21529-.Lpost_getpc25100)>>32
	s_setpc_b64 s[14:15]
.LBB2_7193:
	s_or_saveexec_b64 s[6:7], s[6:7]
	v_mov_b32_e32 v12, s10
	s_xor_b64 exec, exec, s[6:7]
	s_cbranch_execz .LBB2_7194
; %bb.43035:
	s_getpc_b64 s[14:15]
.Lpost_getpc25101:
	s_add_u32 s14, s14, (.LBB2_21532-.Lpost_getpc25101)&4294967295
	s_addc_u32 s15, s15, (.LBB2_21532-.Lpost_getpc25101)>>32
	s_setpc_b64 s[14:15]
.LBB2_7194:
	s_or_b64 exec, exec, s[6:7]
	s_and_saveexec_b64 s[6:7], s[4:5]
	s_cbranch_execz .LBB2_7196
.LBB2_7195:
	v_bfe_u32 v12, v6, 24, 3
	v_ffbh_u32_e32 v16, v12
	v_min_u32_e32 v16, 32, v16
	v_lshrrev_b32_e32 v14, 27, v6
	v_subrev_u32_e32 v17, 28, v16
	v_and_b32_e32 v13, 0x80000000, v6
	v_and_b32_e32 v14, 15, v14
	v_bfe_u32 v15, v6, 27, 4
	v_lshlrev_b32_sdwa v6, v17, v6 dst_sel:DWORD dst_unused:UNUSED_PAD src0_sel:DWORD src1_sel:BYTE_3
	v_sub_u32_e32 v16, 29, v16
	v_and_b32_e32 v6, 7, v6
	v_cmp_eq_u16_e32 vcc, 0, v14
	v_cndmask_b32_e32 v6, v12, v6, vcc
	v_cndmask_b32_e32 v12, v15, v16, vcc
	v_mov_b32_e32 v14, 0x3b800000
	v_lshlrev_b32_e32 v6, 20, v6
	v_lshl_add_u32 v12, v12, 23, v14
	v_or3_b32 v12, v13, v12, v6
.LBB2_7196:
	s_or_b64 exec, exec, s[6:7]
	s_movk_i32 s4, 0x7f
	v_cmp_gt_i16_sdwa s[6:7], v2, s4 src0_sel:BYTE_3 src1_sel:DWORD
	s_mov_b64 s[4:5], 0
                                        ; implicit-def: $sgpr10
	s_and_saveexec_b64 s[8:9], s[6:7]
	s_xor_b64 s[6:7], exec, s[8:9]
	s_cbranch_execz .LBB2_7197
; %bb.43037:
	s_getpc_b64 s[14:15]
.Lpost_getpc25102:
	s_add_u32 s14, s14, (.LBB2_21533-.Lpost_getpc25102)&4294967295
	s_addc_u32 s15, s15, (.LBB2_21533-.Lpost_getpc25102)>>32
	s_setpc_b64 s[14:15]
.LBB2_7197:
	s_or_saveexec_b64 s[6:7], s[6:7]
	v_mov_b32_e32 v6, s10
	s_xor_b64 exec, exec, s[6:7]
	s_cbranch_execz .LBB2_7198
; %bb.43039:
	s_getpc_b64 s[14:15]
.Lpost_getpc25103:
	s_add_u32 s14, s14, (.LBB2_21536-.Lpost_getpc25103)&4294967295
	s_addc_u32 s15, s15, (.LBB2_21536-.Lpost_getpc25103)>>32
	s_setpc_b64 s[14:15]
.LBB2_7198:
	s_or_b64 exec, exec, s[6:7]
	s_and_saveexec_b64 s[6:7], s[4:5]
	s_cbranch_execz .LBB2_7200
.LBB2_7199:
	v_bfe_u32 v6, v2, 24, 3
	v_ffbh_u32_e32 v16, v6
	v_min_u32_e32 v16, 32, v16
	v_lshrrev_b32_e32 v14, 27, v2
	v_subrev_u32_e32 v17, 28, v16
	v_and_b32_e32 v13, 0x80000000, v2
	v_and_b32_e32 v14, 15, v14
	v_bfe_u32 v15, v2, 27, 4
	v_lshlrev_b32_sdwa v2, v17, v2 dst_sel:DWORD dst_unused:UNUSED_PAD src0_sel:DWORD src1_sel:BYTE_3
	v_sub_u32_e32 v16, 29, v16
	v_and_b32_e32 v2, 7, v2
	v_cmp_eq_u16_e32 vcc, 0, v14
	v_cndmask_b32_e32 v2, v6, v2, vcc
	v_cndmask_b32_e32 v6, v15, v16, vcc
	v_mov_b32_e32 v14, 0x3b800000
	v_lshlrev_b32_e32 v2, 20, v2
	v_lshl_add_u32 v6, v6, 23, v14
	v_or3_b32 v6, v13, v6, v2
.LBB2_7200:
	s_or_b64 exec, exec, s[6:7]
	s_nop 0
	v_mfma_f32_16x16x4f32 a[0:3], v12, v6, a[0:3]
	s_movk_i32 s4, 0x7f
	v_cmp_gt_i16_sdwa s[6:7], v7, s4 src0_sel:BYTE_0 src1_sel:DWORD
	s_mov_b64 s[4:5], 0
                                        ; implicit-def: $sgpr10
	s_and_saveexec_b64 s[8:9], s[6:7]
	s_xor_b64 s[6:7], exec, s[8:9]
	s_cbranch_execz .LBB2_7201
; %bb.43041:
	s_getpc_b64 s[14:15]
.Lpost_getpc25104:
	s_add_u32 s14, s14, (.LBB2_21537-.Lpost_getpc25104)&4294967295
	s_addc_u32 s15, s15, (.LBB2_21537-.Lpost_getpc25104)>>32
	s_setpc_b64 s[14:15]
.LBB2_7201:
	s_or_saveexec_b64 s[6:7], s[6:7]
	v_mov_b32_e32 v2, s10
	s_xor_b64 exec, exec, s[6:7]
	s_cbranch_execz .LBB2_7202
; %bb.43043:
	s_getpc_b64 s[14:15]
.Lpost_getpc25105:
	s_add_u32 s14, s14, (.LBB2_21540-.Lpost_getpc25105)&4294967295
	s_addc_u32 s15, s15, (.LBB2_21540-.Lpost_getpc25105)>>32
	s_setpc_b64 s[14:15]
.LBB2_7202:
	s_or_b64 exec, exec, s[6:7]
	s_and_saveexec_b64 s[6:7], s[4:5]
	s_cbranch_execz .LBB2_7204
.LBB2_7203:
	v_and_b32_e32 v2, 7, v7
	v_ffbh_u32_e32 v12, v2
	v_min_u32_e32 v12, 32, v12
	v_lshrrev_b16_e32 v6, 3, v7
	v_subrev_u32_e32 v13, 28, v12
	v_and_b32_e32 v6, 15, v6
	v_lshlrev_b32_e32 v13, v13, v7
	v_sub_u32_e32 v12, 29, v12
	v_and_b32_e32 v13, 7, v13
	v_cmp_eq_u16_e32 vcc, 0, v6
	v_cndmask_b32_e32 v2, v2, v13, vcc
	v_cndmask_b32_e32 v6, v6, v12, vcc
	v_lshlrev_b32_e32 v12, 24, v7
	v_mov_b32_e32 v13, 0x3b800000
	v_lshlrev_b32_e32 v2, 20, v2
	v_and_b32_e32 v12, 0x80000000, v12
	v_lshl_add_u32 v6, v6, 23, v13
	v_or3_b32 v2, v12, v6, v2
.LBB2_7204:
	s_or_b64 exec, exec, s[6:7]
	s_movk_i32 s4, 0x7f
	v_cmp_gt_i16_sdwa s[6:7], v3, s4 src0_sel:BYTE_0 src1_sel:DWORD
	s_mov_b64 s[4:5], 0
                                        ; implicit-def: $sgpr10
	s_and_saveexec_b64 s[8:9], s[6:7]
	s_xor_b64 s[6:7], exec, s[8:9]
	s_cbranch_execz .LBB2_7205
; %bb.43045:
	s_getpc_b64 s[14:15]
.Lpost_getpc25106:
	s_add_u32 s14, s14, (.LBB2_21541-.Lpost_getpc25106)&4294967295
	s_addc_u32 s15, s15, (.LBB2_21541-.Lpost_getpc25106)>>32
	s_setpc_b64 s[14:15]
.LBB2_7205:
	s_or_saveexec_b64 s[6:7], s[6:7]
	v_mov_b32_e32 v6, s10
	s_xor_b64 exec, exec, s[6:7]
	s_cbranch_execz .LBB2_7206
; %bb.43047:
	s_getpc_b64 s[14:15]
.Lpost_getpc25107:
	s_add_u32 s14, s14, (.LBB2_21544-.Lpost_getpc25107)&4294967295
	s_addc_u32 s15, s15, (.LBB2_21544-.Lpost_getpc25107)>>32
	s_setpc_b64 s[14:15]
.LBB2_7206:
	s_or_b64 exec, exec, s[6:7]
	s_and_saveexec_b64 s[6:7], s[4:5]
	s_cbranch_execz .LBB2_7208
.LBB2_7207:
	v_and_b32_e32 v6, 7, v3
	v_ffbh_u32_e32 v13, v6
	v_min_u32_e32 v13, 32, v13
	v_lshrrev_b16_e32 v12, 3, v3
	v_subrev_u32_e32 v14, 28, v13
	v_and_b32_e32 v12, 15, v12
	v_lshlrev_b32_e32 v14, v14, v3
	v_sub_u32_e32 v13, 29, v13
	v_and_b32_e32 v14, 7, v14
	v_cmp_eq_u16_e32 vcc, 0, v12
	v_cndmask_b32_e32 v6, v6, v14, vcc
	v_cndmask_b32_e32 v12, v12, v13, vcc
	v_lshlrev_b32_e32 v13, 24, v3
	v_mov_b32_e32 v14, 0x3b800000
	v_lshlrev_b32_e32 v6, 20, v6
	v_and_b32_e32 v13, 0x80000000, v13
	v_lshl_add_u32 v12, v12, 23, v14
	v_or3_b32 v6, v13, v12, v6
.LBB2_7208:
	s_or_b64 exec, exec, s[6:7]
	s_nop 0
	v_mfma_f32_16x16x4f32 a[0:3], v2, v6, a[0:3]
	v_lshrrev_b32_e32 v6, 8, v7
	s_movk_i32 s4, 0x7f
	v_cmp_gt_i16_sdwa s[6:7], v6, s4 src0_sel:BYTE_0 src1_sel:DWORD
	s_mov_b64 s[4:5], 0
                                        ; implicit-def: $sgpr10
	s_and_saveexec_b64 s[8:9], s[6:7]
	s_xor_b64 s[6:7], exec, s[8:9]
	s_cbranch_execz .LBB2_7209
; %bb.43049:
	s_getpc_b64 s[14:15]
.Lpost_getpc25108:
	s_add_u32 s14, s14, (.LBB2_21545-.Lpost_getpc25108)&4294967295
	s_addc_u32 s15, s15, (.LBB2_21545-.Lpost_getpc25108)>>32
	s_setpc_b64 s[14:15]
.LBB2_7209:
	s_or_saveexec_b64 s[6:7], s[6:7]
	v_mov_b32_e32 v2, s10
	s_xor_b64 exec, exec, s[6:7]
	s_cbranch_execz .LBB2_7210
; %bb.43051:
	s_getpc_b64 s[14:15]
.Lpost_getpc25109:
	s_add_u32 s14, s14, (.LBB2_21548-.Lpost_getpc25109)&4294967295
	s_addc_u32 s15, s15, (.LBB2_21548-.Lpost_getpc25109)>>32
	s_setpc_b64 s[14:15]
.LBB2_7210:
	s_or_b64 exec, exec, s[6:7]
	s_and_saveexec_b64 s[6:7], s[4:5]
	s_cbranch_execz .LBB2_7212
.LBB2_7211:
	v_bfe_u32 v2, v7, 8, 3
	v_ffbh_u32_e32 v13, v2
	v_min_u32_e32 v13, 32, v13
	v_lshrrev_b16_e32 v12, 3, v6
	v_subrev_u32_e32 v14, 28, v13
	v_and_b32_e32 v12, 15, v12
	v_lshlrev_b32_e32 v6, v14, v6
	v_sub_u32_e32 v13, 29, v13
	v_and_b32_e32 v6, 7, v6
	v_cmp_eq_u16_e32 vcc, 0, v12
	v_cndmask_b32_e32 v2, v2, v6, vcc
	v_cndmask_b32_e32 v6, v12, v13, vcc
	v_lshlrev_b32_e32 v12, 16, v7
	v_mov_b32_e32 v13, 0x3b800000
	v_lshlrev_b32_e32 v2, 20, v2
	v_and_b32_e32 v12, 0x80000000, v12
	v_lshl_add_u32 v6, v6, 23, v13
	v_or3_b32 v2, v12, v6, v2
.LBB2_7212:
	s_or_b64 exec, exec, s[6:7]
	v_lshrrev_b32_e32 v6, 8, v3
	s_movk_i32 s4, 0x7f
	v_cmp_gt_i16_sdwa s[6:7], v6, s4 src0_sel:BYTE_0 src1_sel:DWORD
	s_mov_b64 s[4:5], 0
                                        ; implicit-def: $sgpr10
	s_and_saveexec_b64 s[8:9], s[6:7]
	s_xor_b64 s[6:7], exec, s[8:9]
	s_cbranch_execz .LBB2_7213
; %bb.43053:
	s_getpc_b64 s[14:15]
.Lpost_getpc25110:
	s_add_u32 s14, s14, (.LBB2_21549-.Lpost_getpc25110)&4294967295
	s_addc_u32 s15, s15, (.LBB2_21549-.Lpost_getpc25110)>>32
	s_setpc_b64 s[14:15]
.LBB2_7213:
	s_or_saveexec_b64 s[6:7], s[6:7]
	v_mov_b32_e32 v12, s10
	s_xor_b64 exec, exec, s[6:7]
	s_cbranch_execz .LBB2_7214
; %bb.43055:
	s_getpc_b64 s[14:15]
.Lpost_getpc25111:
	s_add_u32 s14, s14, (.LBB2_21552-.Lpost_getpc25111)&4294967295
	s_addc_u32 s15, s15, (.LBB2_21552-.Lpost_getpc25111)>>32
	s_setpc_b64 s[14:15]
.LBB2_7214:
	s_or_b64 exec, exec, s[6:7]
	s_and_saveexec_b64 s[6:7], s[4:5]
	s_cbranch_execz .LBB2_7216
.LBB2_7215:
	v_bfe_u32 v12, v3, 8, 3
	v_ffbh_u32_e32 v14, v12
	v_min_u32_e32 v14, 32, v14
	v_lshrrev_b16_e32 v13, 3, v6
	v_subrev_u32_e32 v15, 28, v14
	v_and_b32_e32 v13, 15, v13
	v_lshlrev_b32_e32 v6, v15, v6
	v_sub_u32_e32 v14, 29, v14
	v_and_b32_e32 v6, 7, v6
	v_cmp_eq_u16_e32 vcc, 0, v13
	v_cndmask_b32_e32 v6, v12, v6, vcc
	v_cndmask_b32_e32 v12, v13, v14, vcc
	v_lshlrev_b32_e32 v13, 16, v3
	v_mov_b32_e32 v14, 0x3b800000
	v_lshlrev_b32_e32 v6, 20, v6
	v_and_b32_e32 v13, 0x80000000, v13
	v_lshl_add_u32 v12, v12, 23, v14
	v_or3_b32 v12, v13, v12, v6
.LBB2_7216:
	s_or_b64 exec, exec, s[6:7]
	s_nop 0
	v_mfma_f32_16x16x4f32 a[0:3], v2, v12, a[0:3]
	s_movk_i32 s4, 0xff
	v_and_b32_sdwa v6, v7, s4 dst_sel:DWORD dst_unused:UNUSED_PAD src0_sel:WORD_1 src1_sel:DWORD
	s_movk_i32 s4, 0x7f
	v_cmp_lt_i16_e32 vcc, s4, v6
	s_mov_b64 s[4:5], 0
                                        ; implicit-def: $sgpr10
	s_and_saveexec_b64 s[6:7], vcc
	s_xor_b64 s[6:7], exec, s[6:7]
	s_cbranch_execz .LBB2_7217
; %bb.43057:
	s_getpc_b64 s[14:15]
.Lpost_getpc25112:
	s_add_u32 s14, s14, (.LBB2_21553-.Lpost_getpc25112)&4294967295
	s_addc_u32 s15, s15, (.LBB2_21553-.Lpost_getpc25112)>>32
	s_setpc_b64 s[14:15]
.LBB2_7217:
	s_or_saveexec_b64 s[6:7], s[6:7]
	v_mov_b32_e32 v2, s10
	s_xor_b64 exec, exec, s[6:7]
	s_cbranch_execz .LBB2_7218
; %bb.43059:
	s_getpc_b64 s[14:15]
.Lpost_getpc25113:
	s_add_u32 s14, s14, (.LBB2_21556-.Lpost_getpc25113)&4294967295
	s_addc_u32 s15, s15, (.LBB2_21556-.Lpost_getpc25113)>>32
	s_setpc_b64 s[14:15]
.LBB2_7218:
	s_or_b64 exec, exec, s[6:7]
	s_and_saveexec_b64 s[6:7], s[4:5]
	s_cbranch_execz .LBB2_7220
.LBB2_7219:
	v_bfe_u32 v2, v7, 16, 3
	v_ffbh_u32_e32 v13, v2
	v_min_u32_e32 v13, 32, v13
	v_lshrrev_b32_e32 v6, 19, v7
	v_subrev_u32_e32 v14, 28, v13
	v_and_b32_e32 v6, 15, v6
	v_lshlrev_b32_sdwa v14, v14, v7 dst_sel:DWORD dst_unused:UNUSED_PAD src0_sel:DWORD src1_sel:WORD_1
	v_bfe_u32 v12, v7, 19, 4
	v_sub_u32_e32 v13, 29, v13
	v_and_b32_e32 v14, 7, v14
	v_cmp_eq_u16_e32 vcc, 0, v6
	v_cndmask_b32_e32 v2, v2, v14, vcc
	v_cndmask_b32_e32 v6, v12, v13, vcc
	v_lshlrev_b32_e32 v12, 8, v7
	v_mov_b32_e32 v13, 0x3b800000
	v_lshlrev_b32_e32 v2, 20, v2
	v_and_b32_e32 v12, 0x80000000, v12
	v_lshl_add_u32 v6, v6, 23, v13
	v_or3_b32 v2, v12, v6, v2
.LBB2_7220:
	s_or_b64 exec, exec, s[6:7]
	s_movk_i32 s4, 0xff
	v_and_b32_sdwa v6, v3, s4 dst_sel:DWORD dst_unused:UNUSED_PAD src0_sel:WORD_1 src1_sel:DWORD
	s_movk_i32 s4, 0x7f
	v_cmp_lt_i16_e32 vcc, s4, v6
	s_mov_b64 s[4:5], 0
                                        ; implicit-def: $sgpr10
	s_and_saveexec_b64 s[6:7], vcc
	s_xor_b64 s[6:7], exec, s[6:7]
	s_cbranch_execz .LBB2_7221
; %bb.43061:
	s_getpc_b64 s[14:15]
.Lpost_getpc25114:
	s_add_u32 s14, s14, (.LBB2_21557-.Lpost_getpc25114)&4294967295
	s_addc_u32 s15, s15, (.LBB2_21557-.Lpost_getpc25114)>>32
	s_setpc_b64 s[14:15]
.LBB2_7221:
	s_or_saveexec_b64 s[6:7], s[6:7]
	v_mov_b32_e32 v12, s10
	s_xor_b64 exec, exec, s[6:7]
	s_cbranch_execz .LBB2_7222
; %bb.43063:
	s_getpc_b64 s[14:15]
.Lpost_getpc25115:
	s_add_u32 s14, s14, (.LBB2_21560-.Lpost_getpc25115)&4294967295
	s_addc_u32 s15, s15, (.LBB2_21560-.Lpost_getpc25115)>>32
	s_setpc_b64 s[14:15]
.LBB2_7222:
	s_or_b64 exec, exec, s[6:7]
	s_and_saveexec_b64 s[6:7], s[4:5]
	s_cbranch_execz .LBB2_7224
.LBB2_7223:
	v_bfe_u32 v6, v3, 16, 3
	v_ffbh_u32_e32 v14, v6
	v_min_u32_e32 v14, 32, v14
	v_lshrrev_b32_e32 v12, 19, v3
	v_subrev_u32_e32 v15, 28, v14
	v_and_b32_e32 v12, 15, v12
	v_lshlrev_b32_sdwa v15, v15, v3 dst_sel:DWORD dst_unused:UNUSED_PAD src0_sel:DWORD src1_sel:WORD_1
	v_bfe_u32 v13, v3, 19, 4
	v_sub_u32_e32 v14, 29, v14
	v_and_b32_e32 v15, 7, v15
	v_cmp_eq_u16_e32 vcc, 0, v12
	v_cndmask_b32_e32 v6, v6, v15, vcc
	v_cndmask_b32_e32 v12, v13, v14, vcc
	v_lshlrev_b32_e32 v13, 8, v3
	v_mov_b32_e32 v14, 0x3b800000
	v_lshlrev_b32_e32 v6, 20, v6
	v_and_b32_e32 v13, 0x80000000, v13
	v_lshl_add_u32 v12, v12, 23, v14
	v_or3_b32 v12, v13, v12, v6
.LBB2_7224:
	s_or_b64 exec, exec, s[6:7]
	s_nop 0
	v_mfma_f32_16x16x4f32 a[0:3], v2, v12, a[0:3]
	s_movk_i32 s4, 0x7f
	v_cmp_gt_i16_sdwa s[6:7], v7, s4 src0_sel:BYTE_3 src1_sel:DWORD
	s_mov_b64 s[4:5], 0
                                        ; implicit-def: $sgpr10
	s_and_saveexec_b64 s[8:9], s[6:7]
	s_xor_b64 s[6:7], exec, s[8:9]
	s_cbranch_execz .LBB2_7225
; %bb.43065:
	s_getpc_b64 s[14:15]
.Lpost_getpc25116:
	s_add_u32 s14, s14, (.LBB2_21561-.Lpost_getpc25116)&4294967295
	s_addc_u32 s15, s15, (.LBB2_21561-.Lpost_getpc25116)>>32
	s_setpc_b64 s[14:15]
.LBB2_7225:
	s_or_saveexec_b64 s[6:7], s[6:7]
	v_mov_b32_e32 v2, s10
	s_xor_b64 exec, exec, s[6:7]
	s_cbranch_execz .LBB2_7226
; %bb.43067:
	s_getpc_b64 s[14:15]
.Lpost_getpc25117:
	s_add_u32 s14, s14, (.LBB2_21564-.Lpost_getpc25117)&4294967295
	s_addc_u32 s15, s15, (.LBB2_21564-.Lpost_getpc25117)>>32
	s_setpc_b64 s[14:15]
.LBB2_7226:
	s_or_b64 exec, exec, s[6:7]
	s_and_saveexec_b64 s[6:7], s[4:5]
	s_cbranch_execz .LBB2_7228
.LBB2_7227:
	v_bfe_u32 v2, v7, 24, 3
	v_ffbh_u32_e32 v14, v2
	v_min_u32_e32 v14, 32, v14
	v_lshrrev_b32_e32 v12, 27, v7
	v_subrev_u32_e32 v15, 28, v14
	v_and_b32_e32 v6, 0x80000000, v7
	v_and_b32_e32 v12, 15, v12
	v_bfe_u32 v13, v7, 27, 4
	v_lshlrev_b32_sdwa v7, v15, v7 dst_sel:DWORD dst_unused:UNUSED_PAD src0_sel:DWORD src1_sel:BYTE_3
	v_sub_u32_e32 v14, 29, v14
	v_and_b32_e32 v7, 7, v7
	v_cmp_eq_u16_e32 vcc, 0, v12
	v_cndmask_b32_e32 v2, v2, v7, vcc
	v_cndmask_b32_e32 v7, v13, v14, vcc
	v_mov_b32_e32 v12, 0x3b800000
	v_lshlrev_b32_e32 v2, 20, v2
	v_lshl_add_u32 v7, v7, 23, v12
	v_or3_b32 v2, v6, v7, v2
.LBB2_7228:
	s_or_b64 exec, exec, s[6:7]
	s_movk_i32 s4, 0x7f
	v_cmp_gt_i16_sdwa s[6:7], v3, s4 src0_sel:BYTE_3 src1_sel:DWORD
	s_mov_b64 s[4:5], 0
                                        ; implicit-def: $sgpr10
	s_and_saveexec_b64 s[8:9], s[6:7]
	s_xor_b64 s[6:7], exec, s[8:9]
	s_cbranch_execz .LBB2_7229
; %bb.43069:
	s_getpc_b64 s[14:15]
.Lpost_getpc25118:
	s_add_u32 s14, s14, (.LBB2_21565-.Lpost_getpc25118)&4294967295
	s_addc_u32 s15, s15, (.LBB2_21565-.Lpost_getpc25118)>>32
	s_setpc_b64 s[14:15]
.LBB2_7229:
	s_or_saveexec_b64 s[6:7], s[6:7]
	v_mov_b32_e32 v6, s10
	s_xor_b64 exec, exec, s[6:7]
	s_cbranch_execz .LBB2_7230
; %bb.43071:
	s_getpc_b64 s[14:15]
.Lpost_getpc25119:
	s_add_u32 s14, s14, (.LBB2_21568-.Lpost_getpc25119)&4294967295
	s_addc_u32 s15, s15, (.LBB2_21568-.Lpost_getpc25119)>>32
	s_setpc_b64 s[14:15]
.LBB2_7230:
	s_or_b64 exec, exec, s[6:7]
	s_and_saveexec_b64 s[6:7], s[4:5]
	s_cbranch_execz .LBB2_7232
.LBB2_7231:
	v_bfe_u32 v6, v3, 24, 3
	v_ffbh_u32_e32 v14, v6
	v_min_u32_e32 v14, 32, v14
	v_lshrrev_b32_e32 v12, 27, v3
	v_subrev_u32_e32 v15, 28, v14
	v_and_b32_e32 v7, 0x80000000, v3
	v_and_b32_e32 v12, 15, v12
	v_bfe_u32 v13, v3, 27, 4
	v_lshlrev_b32_sdwa v3, v15, v3 dst_sel:DWORD dst_unused:UNUSED_PAD src0_sel:DWORD src1_sel:BYTE_3
	v_sub_u32_e32 v14, 29, v14
	v_and_b32_e32 v3, 7, v3
	v_cmp_eq_u16_e32 vcc, 0, v12
	v_cndmask_b32_e32 v3, v6, v3, vcc
	v_cndmask_b32_e32 v6, v13, v14, vcc
	v_mov_b32_e32 v12, 0x3b800000
	v_lshlrev_b32_e32 v3, 20, v3
	v_lshl_add_u32 v6, v6, 23, v12
	v_or3_b32 v6, v7, v6, v3
.LBB2_7232:
	s_or_b64 exec, exec, s[6:7]
	s_nop 0
	v_mfma_f32_16x16x4f32 a[0:3], v2, v6, a[0:3]
	s_movk_i32 s4, 0x7f
	v_cmp_gt_i16_sdwa s[6:7], v8, s4 src0_sel:BYTE_0 src1_sel:DWORD
	s_mov_b64 s[4:5], 0
                                        ; implicit-def: $sgpr10
	s_and_saveexec_b64 s[8:9], s[6:7]
	s_xor_b64 s[6:7], exec, s[8:9]
	s_cbranch_execz .LBB2_7233
; %bb.43073:
	s_getpc_b64 s[14:15]
.Lpost_getpc25120:
	s_add_u32 s14, s14, (.LBB2_21569-.Lpost_getpc25120)&4294967295
	s_addc_u32 s15, s15, (.LBB2_21569-.Lpost_getpc25120)>>32
	s_setpc_b64 s[14:15]
.LBB2_7233:
	s_or_saveexec_b64 s[6:7], s[6:7]
	v_mov_b32_e32 v2, s10
	s_xor_b64 exec, exec, s[6:7]
	s_cbranch_execz .LBB2_7234
; %bb.43075:
	s_getpc_b64 s[14:15]
.Lpost_getpc25121:
	s_add_u32 s14, s14, (.LBB2_21572-.Lpost_getpc25121)&4294967295
	s_addc_u32 s15, s15, (.LBB2_21572-.Lpost_getpc25121)>>32
	s_setpc_b64 s[14:15]
.LBB2_7234:
	s_or_b64 exec, exec, s[6:7]
	s_and_saveexec_b64 s[6:7], s[4:5]
	s_cbranch_execz .LBB2_7236
.LBB2_7235:
	v_and_b32_e32 v2, 7, v8
	v_ffbh_u32_e32 v6, v2
	v_min_u32_e32 v6, 32, v6
	v_lshrrev_b16_e32 v3, 3, v8
	v_subrev_u32_e32 v7, 28, v6
	v_and_b32_e32 v3, 15, v3
	v_lshlrev_b32_e32 v7, v7, v8
	v_sub_u32_e32 v6, 29, v6
	v_and_b32_e32 v7, 7, v7
	v_cmp_eq_u16_e32 vcc, 0, v3
	v_cndmask_b32_e32 v2, v2, v7, vcc
	v_cndmask_b32_e32 v3, v3, v6, vcc
	v_lshlrev_b32_e32 v6, 24, v8
	v_mov_b32_e32 v7, 0x3b800000
	v_lshlrev_b32_e32 v2, 20, v2
	v_and_b32_e32 v6, 0x80000000, v6
	v_lshl_add_u32 v3, v3, 23, v7
	v_or3_b32 v2, v6, v3, v2
.LBB2_7236:
	s_or_b64 exec, exec, s[6:7]
	s_movk_i32 s4, 0x7f
	v_cmp_gt_i16_sdwa s[6:7], v4, s4 src0_sel:BYTE_0 src1_sel:DWORD
	s_mov_b64 s[4:5], 0
                                        ; implicit-def: $sgpr10
	s_and_saveexec_b64 s[8:9], s[6:7]
	s_xor_b64 s[6:7], exec, s[8:9]
	s_cbranch_execz .LBB2_7237
; %bb.43077:
	s_getpc_b64 s[14:15]
.Lpost_getpc25122:
	s_add_u32 s14, s14, (.LBB2_21573-.Lpost_getpc25122)&4294967295
	s_addc_u32 s15, s15, (.LBB2_21573-.Lpost_getpc25122)>>32
	s_setpc_b64 s[14:15]
.LBB2_7237:
	s_or_saveexec_b64 s[6:7], s[6:7]
	v_mov_b32_e32 v3, s10
	s_xor_b64 exec, exec, s[6:7]
	s_cbranch_execz .LBB2_7238
; %bb.43079:
	s_getpc_b64 s[14:15]
.Lpost_getpc25123:
	s_add_u32 s14, s14, (.LBB2_21576-.Lpost_getpc25123)&4294967295
	s_addc_u32 s15, s15, (.LBB2_21576-.Lpost_getpc25123)>>32
	s_setpc_b64 s[14:15]
.LBB2_7238:
	s_or_b64 exec, exec, s[6:7]
	s_and_saveexec_b64 s[6:7], s[4:5]
	s_cbranch_execz .LBB2_7240
.LBB2_7239:
	v_and_b32_e32 v3, 7, v4
	v_ffbh_u32_e32 v7, v3
	v_min_u32_e32 v7, 32, v7
	v_lshrrev_b16_e32 v6, 3, v4
	v_subrev_u32_e32 v12, 28, v7
	v_and_b32_e32 v6, 15, v6
	v_lshlrev_b32_e32 v12, v12, v4
	v_sub_u32_e32 v7, 29, v7
	v_and_b32_e32 v12, 7, v12
	v_cmp_eq_u16_e32 vcc, 0, v6
	v_cndmask_b32_e32 v3, v3, v12, vcc
	v_cndmask_b32_e32 v6, v6, v7, vcc
	v_lshlrev_b32_e32 v7, 24, v4
	v_mov_b32_e32 v12, 0x3b800000
	v_lshlrev_b32_e32 v3, 20, v3
	v_and_b32_e32 v7, 0x80000000, v7
	v_lshl_add_u32 v6, v6, 23, v12
	v_or3_b32 v3, v7, v6, v3
.LBB2_7240:
	s_or_b64 exec, exec, s[6:7]
	s_nop 0
	v_mfma_f32_16x16x4f32 a[0:3], v2, v3, a[0:3]
	v_lshrrev_b32_e32 v3, 8, v8
	s_movk_i32 s4, 0x7f
	v_cmp_gt_i16_sdwa s[6:7], v3, s4 src0_sel:BYTE_0 src1_sel:DWORD
	s_mov_b64 s[4:5], 0
                                        ; implicit-def: $sgpr10
	s_and_saveexec_b64 s[8:9], s[6:7]
	s_xor_b64 s[6:7], exec, s[8:9]
	s_cbranch_execz .LBB2_7241
; %bb.43081:
	s_getpc_b64 s[14:15]
.Lpost_getpc25124:
	s_add_u32 s14, s14, (.LBB2_21577-.Lpost_getpc25124)&4294967295
	s_addc_u32 s15, s15, (.LBB2_21577-.Lpost_getpc25124)>>32
	s_setpc_b64 s[14:15]
.LBB2_7241:
	s_or_saveexec_b64 s[6:7], s[6:7]
	v_mov_b32_e32 v2, s10
	s_xor_b64 exec, exec, s[6:7]
	s_cbranch_execz .LBB2_7242
; %bb.43083:
	s_getpc_b64 s[14:15]
.Lpost_getpc25125:
	s_add_u32 s14, s14, (.LBB2_21580-.Lpost_getpc25125)&4294967295
	s_addc_u32 s15, s15, (.LBB2_21580-.Lpost_getpc25125)>>32
	s_setpc_b64 s[14:15]
.LBB2_7242:
	s_or_b64 exec, exec, s[6:7]
	s_and_saveexec_b64 s[6:7], s[4:5]
	s_cbranch_execz .LBB2_7244
.LBB2_7243:
	v_bfe_u32 v2, v8, 8, 3
	v_ffbh_u32_e32 v7, v2
	v_min_u32_e32 v7, 32, v7
	v_lshrrev_b16_e32 v6, 3, v3
	v_subrev_u32_e32 v12, 28, v7
	v_and_b32_e32 v6, 15, v6
	v_lshlrev_b32_e32 v3, v12, v3
	v_sub_u32_e32 v7, 29, v7
	v_and_b32_e32 v3, 7, v3
	v_cmp_eq_u16_e32 vcc, 0, v6
	v_cndmask_b32_e32 v2, v2, v3, vcc
	v_cndmask_b32_e32 v3, v6, v7, vcc
	v_lshlrev_b32_e32 v6, 16, v8
	v_mov_b32_e32 v7, 0x3b800000
	v_lshlrev_b32_e32 v2, 20, v2
	v_and_b32_e32 v6, 0x80000000, v6
	v_lshl_add_u32 v3, v3, 23, v7
	v_or3_b32 v2, v6, v3, v2
.LBB2_7244:
	s_or_b64 exec, exec, s[6:7]
	v_lshrrev_b32_e32 v3, 8, v4
	s_movk_i32 s4, 0x7f
	v_cmp_gt_i16_sdwa s[6:7], v3, s4 src0_sel:BYTE_0 src1_sel:DWORD
	s_mov_b64 s[4:5], 0
                                        ; implicit-def: $sgpr10
	s_and_saveexec_b64 s[8:9], s[6:7]
	s_xor_b64 s[6:7], exec, s[8:9]
	s_cbranch_execz .LBB2_7245
; %bb.43085:
	s_getpc_b64 s[14:15]
.Lpost_getpc25126:
	s_add_u32 s14, s14, (.LBB2_21581-.Lpost_getpc25126)&4294967295
	s_addc_u32 s15, s15, (.LBB2_21581-.Lpost_getpc25126)>>32
	s_setpc_b64 s[14:15]
.LBB2_7245:
	s_or_saveexec_b64 s[6:7], s[6:7]
	v_mov_b32_e32 v6, s10
	s_xor_b64 exec, exec, s[6:7]
	s_cbranch_execz .LBB2_7246
; %bb.43087:
	s_getpc_b64 s[14:15]
.Lpost_getpc25127:
	s_add_u32 s14, s14, (.LBB2_21584-.Lpost_getpc25127)&4294967295
	s_addc_u32 s15, s15, (.LBB2_21584-.Lpost_getpc25127)>>32
	s_setpc_b64 s[14:15]
.LBB2_7246:
	s_or_b64 exec, exec, s[6:7]
	s_and_saveexec_b64 s[6:7], s[4:5]
	s_cbranch_execz .LBB2_7248
.LBB2_7247:
	v_bfe_u32 v6, v4, 8, 3
	v_ffbh_u32_e32 v12, v6
	v_min_u32_e32 v12, 32, v12
	v_lshrrev_b16_e32 v7, 3, v3
	v_subrev_u32_e32 v13, 28, v12
	v_and_b32_e32 v7, 15, v7
	v_lshlrev_b32_e32 v3, v13, v3
	v_sub_u32_e32 v12, 29, v12
	v_and_b32_e32 v3, 7, v3
	v_cmp_eq_u16_e32 vcc, 0, v7
	v_cndmask_b32_e32 v3, v6, v3, vcc
	v_cndmask_b32_e32 v6, v7, v12, vcc
	v_lshlrev_b32_e32 v7, 16, v4
	v_mov_b32_e32 v12, 0x3b800000
	v_lshlrev_b32_e32 v3, 20, v3
	v_and_b32_e32 v7, 0x80000000, v7
	v_lshl_add_u32 v6, v6, 23, v12
	v_or3_b32 v6, v7, v6, v3
.LBB2_7248:
	s_or_b64 exec, exec, s[6:7]
	s_nop 0
	v_mfma_f32_16x16x4f32 a[0:3], v2, v6, a[0:3]
	s_movk_i32 s4, 0xff
	v_and_b32_sdwa v3, v8, s4 dst_sel:DWORD dst_unused:UNUSED_PAD src0_sel:WORD_1 src1_sel:DWORD
	s_movk_i32 s4, 0x7f
	v_cmp_lt_i16_e32 vcc, s4, v3
	s_mov_b64 s[4:5], 0
                                        ; implicit-def: $sgpr10
	s_and_saveexec_b64 s[6:7], vcc
	s_xor_b64 s[6:7], exec, s[6:7]
	s_cbranch_execz .LBB2_7249
; %bb.43089:
	s_getpc_b64 s[14:15]
.Lpost_getpc25128:
	s_add_u32 s14, s14, (.LBB2_21585-.Lpost_getpc25128)&4294967295
	s_addc_u32 s15, s15, (.LBB2_21585-.Lpost_getpc25128)>>32
	s_setpc_b64 s[14:15]
.LBB2_7249:
	s_or_saveexec_b64 s[6:7], s[6:7]
	v_mov_b32_e32 v2, s10
	s_xor_b64 exec, exec, s[6:7]
	s_cbranch_execz .LBB2_7250
; %bb.43091:
	s_getpc_b64 s[14:15]
.Lpost_getpc25129:
	s_add_u32 s14, s14, (.LBB2_21588-.Lpost_getpc25129)&4294967295
	s_addc_u32 s15, s15, (.LBB2_21588-.Lpost_getpc25129)>>32
	s_setpc_b64 s[14:15]
.LBB2_7250:
	s_or_b64 exec, exec, s[6:7]
	s_and_saveexec_b64 s[6:7], s[4:5]
	s_cbranch_execz .LBB2_7252
.LBB2_7251:
	v_bfe_u32 v2, v8, 16, 3
	v_ffbh_u32_e32 v7, v2
	v_min_u32_e32 v7, 32, v7
	v_lshrrev_b32_e32 v3, 19, v8
	v_subrev_u32_e32 v12, 28, v7
	v_and_b32_e32 v3, 15, v3
	v_lshlrev_b32_sdwa v12, v12, v8 dst_sel:DWORD dst_unused:UNUSED_PAD src0_sel:DWORD src1_sel:WORD_1
	v_bfe_u32 v6, v8, 19, 4
	v_sub_u32_e32 v7, 29, v7
	v_and_b32_e32 v12, 7, v12
	v_cmp_eq_u16_e32 vcc, 0, v3
	v_cndmask_b32_e32 v2, v2, v12, vcc
	v_cndmask_b32_e32 v3, v6, v7, vcc
	v_lshlrev_b32_e32 v6, 8, v8
	v_mov_b32_e32 v7, 0x3b800000
	v_lshlrev_b32_e32 v2, 20, v2
	v_and_b32_e32 v6, 0x80000000, v6
	v_lshl_add_u32 v3, v3, 23, v7
	v_or3_b32 v2, v6, v3, v2
.LBB2_7252:
	s_or_b64 exec, exec, s[6:7]
	s_movk_i32 s4, 0xff
	v_and_b32_sdwa v3, v4, s4 dst_sel:DWORD dst_unused:UNUSED_PAD src0_sel:WORD_1 src1_sel:DWORD
	s_movk_i32 s4, 0x7f
	v_cmp_lt_i16_e32 vcc, s4, v3
	s_mov_b64 s[4:5], 0
                                        ; implicit-def: $sgpr10
	s_and_saveexec_b64 s[6:7], vcc
	s_xor_b64 s[6:7], exec, s[6:7]
	s_cbranch_execz .LBB2_7253
; %bb.43093:
	s_getpc_b64 s[14:15]
.Lpost_getpc25130:
	s_add_u32 s14, s14, (.LBB2_21589-.Lpost_getpc25130)&4294967295
	s_addc_u32 s15, s15, (.LBB2_21589-.Lpost_getpc25130)>>32
	s_setpc_b64 s[14:15]
.LBB2_7253:
	s_or_saveexec_b64 s[6:7], s[6:7]
	v_mov_b32_e32 v6, s10
	s_xor_b64 exec, exec, s[6:7]
	s_cbranch_execz .LBB2_7254
; %bb.43095:
	s_getpc_b64 s[14:15]
.Lpost_getpc25131:
	s_add_u32 s14, s14, (.LBB2_21592-.Lpost_getpc25131)&4294967295
	s_addc_u32 s15, s15, (.LBB2_21592-.Lpost_getpc25131)>>32
	s_setpc_b64 s[14:15]
.LBB2_7254:
	s_or_b64 exec, exec, s[6:7]
	s_and_saveexec_b64 s[6:7], s[4:5]
	s_cbranch_execz .LBB2_7256
.LBB2_7255:
	v_bfe_u32 v3, v4, 16, 3
	v_ffbh_u32_e32 v12, v3
	v_min_u32_e32 v12, 32, v12
	v_lshrrev_b32_e32 v6, 19, v4
	v_subrev_u32_e32 v13, 28, v12
	v_and_b32_e32 v6, 15, v6
	v_lshlrev_b32_sdwa v13, v13, v4 dst_sel:DWORD dst_unused:UNUSED_PAD src0_sel:DWORD src1_sel:WORD_1
	v_bfe_u32 v7, v4, 19, 4
	v_sub_u32_e32 v12, 29, v12
	v_and_b32_e32 v13, 7, v13
	v_cmp_eq_u16_e32 vcc, 0, v6
	v_cndmask_b32_e32 v3, v3, v13, vcc
	v_cndmask_b32_e32 v6, v7, v12, vcc
	v_lshlrev_b32_e32 v7, 8, v4
	v_mov_b32_e32 v12, 0x3b800000
	v_lshlrev_b32_e32 v3, 20, v3
	v_and_b32_e32 v7, 0x80000000, v7
	v_lshl_add_u32 v6, v6, 23, v12
	v_or3_b32 v6, v7, v6, v3
.LBB2_7256:
	s_or_b64 exec, exec, s[6:7]
	s_nop 0
	v_mfma_f32_16x16x4f32 a[0:3], v2, v6, a[0:3]
	s_movk_i32 s4, 0x7f
	v_cmp_gt_i16_sdwa s[6:7], v8, s4 src0_sel:BYTE_3 src1_sel:DWORD
	s_mov_b64 s[4:5], 0
                                        ; implicit-def: $sgpr10
	s_and_saveexec_b64 s[8:9], s[6:7]
	s_xor_b64 s[6:7], exec, s[8:9]
	s_cbranch_execz .LBB2_7257
; %bb.43097:
	s_getpc_b64 s[14:15]
.Lpost_getpc25132:
	s_add_u32 s14, s14, (.LBB2_21593-.Lpost_getpc25132)&4294967295
	s_addc_u32 s15, s15, (.LBB2_21593-.Lpost_getpc25132)>>32
	s_setpc_b64 s[14:15]
.LBB2_7257:
	s_or_saveexec_b64 s[6:7], s[6:7]
	v_mov_b32_e32 v2, s10
	s_xor_b64 exec, exec, s[6:7]
	s_cbranch_execz .LBB2_7258
; %bb.43099:
	s_getpc_b64 s[14:15]
.Lpost_getpc25133:
	s_add_u32 s14, s14, (.LBB2_21596-.Lpost_getpc25133)&4294967295
	s_addc_u32 s15, s15, (.LBB2_21596-.Lpost_getpc25133)>>32
	s_setpc_b64 s[14:15]
.LBB2_7258:
	s_or_b64 exec, exec, s[6:7]
	s_and_saveexec_b64 s[6:7], s[4:5]
	s_cbranch_execz .LBB2_7260
.LBB2_7259:
	v_bfe_u32 v2, v8, 24, 3
	v_ffbh_u32_e32 v12, v2
	v_min_u32_e32 v12, 32, v12
	v_lshrrev_b32_e32 v6, 27, v8
	v_subrev_u32_e32 v13, 28, v12
	v_and_b32_e32 v3, 0x80000000, v8
	v_and_b32_e32 v6, 15, v6
	v_bfe_u32 v7, v8, 27, 4
	v_lshlrev_b32_sdwa v8, v13, v8 dst_sel:DWORD dst_unused:UNUSED_PAD src0_sel:DWORD src1_sel:BYTE_3
	v_sub_u32_e32 v12, 29, v12
	v_and_b32_e32 v8, 7, v8
	v_cmp_eq_u16_e32 vcc, 0, v6
	v_cndmask_b32_e32 v2, v2, v8, vcc
	v_cndmask_b32_e32 v6, v7, v12, vcc
	v_mov_b32_e32 v7, 0x3b800000
	v_lshlrev_b32_e32 v2, 20, v2
	v_lshl_add_u32 v6, v6, 23, v7
	v_or3_b32 v2, v3, v6, v2
.LBB2_7260:
	s_or_b64 exec, exec, s[6:7]
	s_movk_i32 s4, 0x7f
	v_cmp_gt_i16_sdwa s[6:7], v4, s4 src0_sel:BYTE_3 src1_sel:DWORD
	s_mov_b64 s[4:5], 0
                                        ; implicit-def: $sgpr10
	s_and_saveexec_b64 s[8:9], s[6:7]
	s_xor_b64 s[6:7], exec, s[8:9]
	s_cbranch_execz .LBB2_7261
; %bb.43101:
	s_getpc_b64 s[14:15]
.Lpost_getpc25134:
	s_add_u32 s14, s14, (.LBB2_21597-.Lpost_getpc25134)&4294967295
	s_addc_u32 s15, s15, (.LBB2_21597-.Lpost_getpc25134)>>32
	s_setpc_b64 s[14:15]
.LBB2_7261:
	s_or_saveexec_b64 s[6:7], s[6:7]
	v_mov_b32_e32 v3, s10
	s_xor_b64 exec, exec, s[6:7]
	s_cbranch_execz .LBB2_7262
; %bb.43103:
	s_getpc_b64 s[14:15]
.Lpost_getpc25135:
	s_add_u32 s14, s14, (.LBB2_21600-.Lpost_getpc25135)&4294967295
	s_addc_u32 s15, s15, (.LBB2_21600-.Lpost_getpc25135)>>32
	s_setpc_b64 s[14:15]
.LBB2_7262:
	s_or_b64 exec, exec, s[6:7]
	s_and_saveexec_b64 s[6:7], s[4:5]
	s_cbranch_execz .LBB2_7264
.LBB2_7263:
	v_bfe_u32 v3, v4, 24, 3
	v_ffbh_u32_e32 v12, v3
	v_min_u32_e32 v12, 32, v12
	v_lshrrev_b32_e32 v7, 27, v4
	v_subrev_u32_e32 v13, 28, v12
	v_and_b32_e32 v6, 0x80000000, v4
	v_and_b32_e32 v7, 15, v7
	v_bfe_u32 v8, v4, 27, 4
	v_lshlrev_b32_sdwa v4, v13, v4 dst_sel:DWORD dst_unused:UNUSED_PAD src0_sel:DWORD src1_sel:BYTE_3
	v_sub_u32_e32 v12, 29, v12
	v_and_b32_e32 v4, 7, v4
	v_cmp_eq_u16_e32 vcc, 0, v7
	v_cndmask_b32_e32 v3, v3, v4, vcc
	v_cndmask_b32_e32 v4, v8, v12, vcc
	v_mov_b32_e32 v7, 0x3b800000
	v_lshlrev_b32_e32 v3, 20, v3
	v_lshl_add_u32 v4, v4, 23, v7
	v_or3_b32 v3, v6, v4, v3
.LBB2_7264:
	s_or_b64 exec, exec, s[6:7]
	s_nop 0
	v_mfma_f32_16x16x4f32 a[0:3], v2, v3, a[0:3]
	s_movk_i32 s4, 0x7f
	v_cmp_gt_i16_sdwa s[6:7], v9, s4 src0_sel:BYTE_0 src1_sel:DWORD
	s_mov_b64 s[4:5], 0
                                        ; implicit-def: $sgpr10
	s_and_saveexec_b64 s[8:9], s[6:7]
	s_xor_b64 s[6:7], exec, s[8:9]
	s_cbranch_execz .LBB2_7265
; %bb.43105:
	s_getpc_b64 s[14:15]
.Lpost_getpc25136:
	s_add_u32 s14, s14, (.LBB2_21601-.Lpost_getpc25136)&4294967295
	s_addc_u32 s15, s15, (.LBB2_21601-.Lpost_getpc25136)>>32
	s_setpc_b64 s[14:15]
.LBB2_7265:
	s_or_saveexec_b64 s[6:7], s[6:7]
	v_mov_b32_e32 v2, s10
	s_xor_b64 exec, exec, s[6:7]
	s_cbranch_execz .LBB2_7266
; %bb.43107:
	s_getpc_b64 s[14:15]
.Lpost_getpc25137:
	s_add_u32 s14, s14, (.LBB2_21604-.Lpost_getpc25137)&4294967295
	s_addc_u32 s15, s15, (.LBB2_21604-.Lpost_getpc25137)>>32
	s_setpc_b64 s[14:15]
.LBB2_7266:
	s_or_b64 exec, exec, s[6:7]
	s_and_saveexec_b64 s[6:7], s[4:5]
	s_cbranch_execz .LBB2_7268
.LBB2_7267:
	v_mov_b32_e32 v2, 8
	v_and_b32_e32 v3, 7, v9
	v_lshrrev_b32_sdwa v2, v2, v9 dst_sel:BYTE_1 dst_unused:UNUSED_PAD src0_sel:DWORD src1_sel:DWORD
	v_ffbh_u32_e32 v4, v3
	v_or_b32_sdwa v2, v9, v2 dst_sel:DWORD dst_unused:UNUSED_PAD src0_sel:BYTE_0 src1_sel:DWORD
	v_min_u32_e32 v4, 32, v4
	v_lshrrev_b16_e32 v2, 3, v2
	v_subrev_u32_e32 v6, 28, v4
	v_and_b32_e32 v2, 15, v2
	v_lshlrev_b32_e32 v6, v6, v9
	v_sub_u32_e32 v4, 29, v4
	v_and_b32_e32 v6, 7, v6
	v_cmp_eq_u16_e32 vcc, 0, v2
	v_cndmask_b32_e32 v3, v3, v6, vcc
	v_cndmask_b32_e32 v2, v2, v4, vcc
	v_lshlrev_b32_e32 v4, 24, v9
	v_mov_b32_e32 v6, 0x3b800000
	v_lshlrev_b32_e32 v3, 20, v3
	v_and_b32_e32 v4, 0x80000000, v4
	v_lshl_add_u32 v2, v2, 23, v6
	v_or3_b32 v2, v4, v2, v3
.LBB2_7268:
	s_or_b64 exec, exec, s[6:7]
	s_movk_i32 s4, 0x7f
	v_cmp_gt_i16_sdwa s[6:7], v5, s4 src0_sel:BYTE_0 src1_sel:DWORD
	s_mov_b64 s[4:5], 0
                                        ; implicit-def: $sgpr10
	s_and_saveexec_b64 s[8:9], s[6:7]
	s_xor_b64 s[6:7], exec, s[8:9]
	s_cbranch_execz .LBB2_7269
; %bb.43109:
	s_getpc_b64 s[14:15]
.Lpost_getpc25138:
	s_add_u32 s14, s14, (.LBB2_21605-.Lpost_getpc25138)&4294967295
	s_addc_u32 s15, s15, (.LBB2_21605-.Lpost_getpc25138)>>32
	s_setpc_b64 s[14:15]
.LBB2_7269:
	s_or_saveexec_b64 s[6:7], s[6:7]
	v_mov_b32_e32 v3, s10
	s_xor_b64 exec, exec, s[6:7]
	s_cbranch_execz .LBB2_7270
; %bb.43111:
	s_getpc_b64 s[14:15]
.Lpost_getpc25139:
	s_add_u32 s14, s14, (.LBB2_21608-.Lpost_getpc25139)&4294967295
	s_addc_u32 s15, s15, (.LBB2_21608-.Lpost_getpc25139)>>32
	s_setpc_b64 s[14:15]
.LBB2_7270:
	s_or_b64 exec, exec, s[6:7]
	s_and_saveexec_b64 s[6:7], s[4:5]
	s_cbranch_execz .LBB2_7272
.LBB2_7271:
	v_mov_b32_e32 v3, 8
	v_and_b32_e32 v4, 7, v5
	v_lshrrev_b32_sdwa v3, v3, v5 dst_sel:BYTE_1 dst_unused:UNUSED_PAD src0_sel:DWORD src1_sel:DWORD
	v_ffbh_u32_e32 v6, v4
	v_or_b32_sdwa v3, v5, v3 dst_sel:DWORD dst_unused:UNUSED_PAD src0_sel:BYTE_0 src1_sel:DWORD
	v_min_u32_e32 v6, 32, v6
	v_lshrrev_b16_e32 v3, 3, v3
	v_subrev_u32_e32 v7, 28, v6
	v_and_b32_e32 v3, 15, v3
	v_lshlrev_b32_e32 v7, v7, v5
	v_sub_u32_e32 v6, 29, v6
	v_and_b32_e32 v7, 7, v7
	v_cmp_eq_u16_e32 vcc, 0, v3
	v_cndmask_b32_e32 v4, v4, v7, vcc
	v_cndmask_b32_e32 v3, v3, v6, vcc
	v_lshlrev_b32_e32 v6, 24, v5
	v_mov_b32_e32 v7, 0x3b800000
	v_lshlrev_b32_e32 v4, 20, v4
	v_and_b32_e32 v6, 0x80000000, v6
	v_lshl_add_u32 v3, v3, 23, v7
	v_or3_b32 v3, v6, v3, v4
.LBB2_7272:
	s_or_b64 exec, exec, s[6:7]
	s_nop 0
	v_mfma_f32_16x16x4f32 a[0:3], v2, v3, a[0:3]
	v_lshrrev_b32_e32 v3, 8, v9
	s_movk_i32 s4, 0x7f
	v_cmp_gt_i16_sdwa s[6:7], v3, s4 src0_sel:BYTE_0 src1_sel:DWORD
	s_mov_b64 s[4:5], 0
                                        ; implicit-def: $sgpr10
	s_and_saveexec_b64 s[8:9], s[6:7]
	s_xor_b64 s[6:7], exec, s[8:9]
	s_cbranch_execz .LBB2_7273
; %bb.43113:
	s_getpc_b64 s[14:15]
.Lpost_getpc25140:
	s_add_u32 s14, s14, (.LBB2_21609-.Lpost_getpc25140)&4294967295
	s_addc_u32 s15, s15, (.LBB2_21609-.Lpost_getpc25140)>>32
	s_setpc_b64 s[14:15]
.LBB2_7273:
	s_or_saveexec_b64 s[6:7], s[6:7]
	v_mov_b32_e32 v2, s10
	s_xor_b64 exec, exec, s[6:7]
	s_cbranch_execz .LBB2_7274
; %bb.43115:
	s_getpc_b64 s[14:15]
.Lpost_getpc25141:
	s_add_u32 s14, s14, (.LBB2_21612-.Lpost_getpc25141)&4294967295
	s_addc_u32 s15, s15, (.LBB2_21612-.Lpost_getpc25141)>>32
	s_setpc_b64 s[14:15]
.LBB2_7274:
	s_or_b64 exec, exec, s[6:7]
	s_and_saveexec_b64 s[6:7], s[4:5]
	s_cbranch_execz .LBB2_7276
.LBB2_7275:
	v_bfe_u32 v2, v9, 8, 3
	v_ffbh_u32_e32 v6, v2
	v_min_u32_e32 v6, 32, v6
	v_lshrrev_b16_e32 v4, 3, v3
	v_subrev_u32_e32 v7, 28, v6
	v_and_b32_e32 v4, 15, v4
	v_lshlrev_b32_e32 v3, v7, v3
	v_sub_u32_e32 v6, 29, v6
	v_and_b32_e32 v3, 7, v3
	v_cmp_eq_u16_e32 vcc, 0, v4
	v_cndmask_b32_e32 v2, v2, v3, vcc
	v_cndmask_b32_e32 v3, v4, v6, vcc
	v_lshlrev_b32_e32 v4, 16, v9
	v_mov_b32_e32 v6, 0x3b800000
	v_lshlrev_b32_e32 v2, 20, v2
	v_and_b32_e32 v4, 0x80000000, v4
	v_lshl_add_u32 v3, v3, 23, v6
	v_or3_b32 v2, v4, v3, v2
.LBB2_7276:
	s_or_b64 exec, exec, s[6:7]
	v_lshrrev_b32_e32 v3, 8, v5
	s_movk_i32 s4, 0x7f
	v_cmp_gt_i16_sdwa s[6:7], v3, s4 src0_sel:BYTE_0 src1_sel:DWORD
	s_mov_b64 s[4:5], 0
                                        ; implicit-def: $sgpr10
	s_and_saveexec_b64 s[8:9], s[6:7]
	s_xor_b64 s[6:7], exec, s[8:9]
	s_cbranch_execz .LBB2_7277
; %bb.43117:
	s_getpc_b64 s[14:15]
.Lpost_getpc25142:
	s_add_u32 s14, s14, (.LBB2_21613-.Lpost_getpc25142)&4294967295
	s_addc_u32 s15, s15, (.LBB2_21613-.Lpost_getpc25142)>>32
	s_setpc_b64 s[14:15]
.LBB2_7277:
	s_or_saveexec_b64 s[6:7], s[6:7]
	v_mov_b32_e32 v4, s10
	s_xor_b64 exec, exec, s[6:7]
	s_cbranch_execz .LBB2_7278
; %bb.43119:
	s_getpc_b64 s[14:15]
.Lpost_getpc25143:
	s_add_u32 s14, s14, (.LBB2_21616-.Lpost_getpc25143)&4294967295
	s_addc_u32 s15, s15, (.LBB2_21616-.Lpost_getpc25143)>>32
	s_setpc_b64 s[14:15]
.LBB2_7278:
	s_or_b64 exec, exec, s[6:7]
	s_and_saveexec_b64 s[6:7], s[4:5]
	s_cbranch_execz .LBB2_7280
.LBB2_7279:
	v_bfe_u32 v4, v5, 8, 3
	v_ffbh_u32_e32 v7, v4
	v_min_u32_e32 v7, 32, v7
	v_lshrrev_b16_e32 v6, 3, v3
	v_subrev_u32_e32 v8, 28, v7
	v_and_b32_e32 v6, 15, v6
	v_lshlrev_b32_e32 v3, v8, v3
	v_sub_u32_e32 v7, 29, v7
	v_and_b32_e32 v3, 7, v3
	v_cmp_eq_u16_e32 vcc, 0, v6
	v_cndmask_b32_e32 v3, v4, v3, vcc
	v_cndmask_b32_e32 v4, v6, v7, vcc
	v_lshlrev_b32_e32 v6, 16, v5
	v_mov_b32_e32 v7, 0x3b800000
	v_lshlrev_b32_e32 v3, 20, v3
	v_and_b32_e32 v6, 0x80000000, v6
	v_lshl_add_u32 v4, v4, 23, v7
	v_or3_b32 v4, v6, v4, v3
.LBB2_7280:
	s_or_b64 exec, exec, s[6:7]
	s_nop 0
	v_mfma_f32_16x16x4f32 a[0:3], v2, v4, a[0:3]
	s_movk_i32 s4, 0xff
	v_and_b32_sdwa v3, v9, s4 dst_sel:DWORD dst_unused:UNUSED_PAD src0_sel:WORD_1 src1_sel:DWORD
	s_movk_i32 s4, 0x7f
	v_cmp_lt_i16_e32 vcc, s4, v3
	s_mov_b64 s[4:5], 0
                                        ; implicit-def: $sgpr10
	s_and_saveexec_b64 s[6:7], vcc
	s_xor_b64 s[6:7], exec, s[6:7]
	s_cbranch_execz .LBB2_7281
; %bb.43121:
	s_getpc_b64 s[14:15]
.Lpost_getpc25144:
	s_add_u32 s14, s14, (.LBB2_21617-.Lpost_getpc25144)&4294967295
	s_addc_u32 s15, s15, (.LBB2_21617-.Lpost_getpc25144)>>32
	s_setpc_b64 s[14:15]
.LBB2_7281:
	s_or_saveexec_b64 s[6:7], s[6:7]
	v_mov_b32_e32 v2, s10
	s_xor_b64 exec, exec, s[6:7]
	s_cbranch_execz .LBB2_7282
; %bb.43123:
	s_getpc_b64 s[14:15]
.Lpost_getpc25145:
	s_add_u32 s14, s14, (.LBB2_21620-.Lpost_getpc25145)&4294967295
	s_addc_u32 s15, s15, (.LBB2_21620-.Lpost_getpc25145)>>32
	s_setpc_b64 s[14:15]
.LBB2_7282:
	s_or_b64 exec, exec, s[6:7]
	s_and_saveexec_b64 s[6:7], s[4:5]
	s_cbranch_execz .LBB2_7284
.LBB2_7283:
	v_bfe_u32 v2, v9, 16, 3
	v_ffbh_u32_e32 v6, v2
	v_min_u32_e32 v6, 32, v6
	v_lshrrev_b32_e32 v3, 19, v9
	v_subrev_u32_e32 v7, 28, v6
	v_and_b32_e32 v3, 15, v3
	v_lshlrev_b32_sdwa v7, v7, v9 dst_sel:DWORD dst_unused:UNUSED_PAD src0_sel:DWORD src1_sel:WORD_1
	v_bfe_u32 v4, v9, 19, 4
	v_sub_u32_e32 v6, 29, v6
	v_and_b32_e32 v7, 7, v7
	v_cmp_eq_u16_e32 vcc, 0, v3
	v_cndmask_b32_e32 v2, v2, v7, vcc
	v_cndmask_b32_e32 v3, v4, v6, vcc
	v_lshlrev_b32_e32 v4, 8, v9
	v_mov_b32_e32 v6, 0x3b800000
	v_lshlrev_b32_e32 v2, 20, v2
	v_and_b32_e32 v4, 0x80000000, v4
	v_lshl_add_u32 v3, v3, 23, v6
	v_or3_b32 v2, v4, v3, v2
.LBB2_7284:
	s_or_b64 exec, exec, s[6:7]
	s_movk_i32 s4, 0xff
	v_and_b32_sdwa v3, v5, s4 dst_sel:DWORD dst_unused:UNUSED_PAD src0_sel:WORD_1 src1_sel:DWORD
	s_movk_i32 s4, 0x7f
	v_cmp_lt_i16_e32 vcc, s4, v3
	s_mov_b64 s[4:5], 0
                                        ; implicit-def: $sgpr10
	s_and_saveexec_b64 s[6:7], vcc
	s_xor_b64 s[6:7], exec, s[6:7]
	s_cbranch_execz .LBB2_7285
; %bb.43125:
	s_getpc_b64 s[14:15]
.Lpost_getpc25146:
	s_add_u32 s14, s14, (.LBB2_21621-.Lpost_getpc25146)&4294967295
	s_addc_u32 s15, s15, (.LBB2_21621-.Lpost_getpc25146)>>32
	s_setpc_b64 s[14:15]
.LBB2_7285:
	s_or_saveexec_b64 s[6:7], s[6:7]
	v_mov_b32_e32 v4, s10
	s_xor_b64 exec, exec, s[6:7]
	s_cbranch_execz .LBB2_7286
; %bb.43127:
	s_getpc_b64 s[14:15]
.Lpost_getpc25147:
	s_add_u32 s14, s14, (.LBB2_21624-.Lpost_getpc25147)&4294967295
	s_addc_u32 s15, s15, (.LBB2_21624-.Lpost_getpc25147)>>32
	s_setpc_b64 s[14:15]
.LBB2_7286:
	s_or_b64 exec, exec, s[6:7]
	s_and_saveexec_b64 s[6:7], s[4:5]
	s_cbranch_execz .LBB2_7288
.LBB2_7287:
	v_bfe_u32 v3, v5, 16, 3
	v_ffbh_u32_e32 v7, v3
	v_min_u32_e32 v7, 32, v7
	v_lshrrev_b32_e32 v4, 19, v5
	v_subrev_u32_e32 v8, 28, v7
	v_and_b32_e32 v4, 15, v4
	v_lshlrev_b32_sdwa v8, v8, v5 dst_sel:DWORD dst_unused:UNUSED_PAD src0_sel:DWORD src1_sel:WORD_1
	v_bfe_u32 v6, v5, 19, 4
	v_sub_u32_e32 v7, 29, v7
	v_and_b32_e32 v8, 7, v8
	v_cmp_eq_u16_e32 vcc, 0, v4
	v_cndmask_b32_e32 v3, v3, v8, vcc
	v_cndmask_b32_e32 v4, v6, v7, vcc
	v_lshlrev_b32_e32 v6, 8, v5
	v_mov_b32_e32 v7, 0x3b800000
	v_lshlrev_b32_e32 v3, 20, v3
	v_and_b32_e32 v6, 0x80000000, v6
	v_lshl_add_u32 v4, v4, 23, v7
	v_or3_b32 v4, v6, v4, v3
.LBB2_7288:
	s_or_b64 exec, exec, s[6:7]
	s_nop 0
	v_mfma_f32_16x16x4f32 a[0:3], v2, v4, a[0:3]
	s_movk_i32 s4, 0x7f
	v_cmp_gt_i16_sdwa s[6:7], v9, s4 src0_sel:BYTE_3 src1_sel:DWORD
	s_mov_b64 s[4:5], 0
                                        ; implicit-def: $sgpr10
	s_and_saveexec_b64 s[8:9], s[6:7]
	s_xor_b64 s[6:7], exec, s[8:9]
	s_cbranch_execz .LBB2_7289
; %bb.43129:
	s_getpc_b64 s[14:15]
.Lpost_getpc25148:
	s_add_u32 s14, s14, (.LBB2_21625-.Lpost_getpc25148)&4294967295
	s_addc_u32 s15, s15, (.LBB2_21625-.Lpost_getpc25148)>>32
	s_setpc_b64 s[14:15]
.LBB2_7289:
	s_or_saveexec_b64 s[6:7], s[6:7]
	v_mov_b32_e32 v2, s10
	s_xor_b64 exec, exec, s[6:7]
	s_cbranch_execz .LBB2_7290
; %bb.43131:
	s_getpc_b64 s[14:15]
.Lpost_getpc25149:
	s_add_u32 s14, s14, (.LBB2_21628-.Lpost_getpc25149)&4294967295
	s_addc_u32 s15, s15, (.LBB2_21628-.Lpost_getpc25149)>>32
	s_setpc_b64 s[14:15]
.LBB2_7290:
	s_or_b64 exec, exec, s[6:7]
	s_and_saveexec_b64 s[6:7], s[4:5]
	s_cbranch_execz .LBB2_7292
.LBB2_7291:
	v_bfe_u32 v2, v9, 24, 3
	v_ffbh_u32_e32 v7, v2
	v_min_u32_e32 v7, 32, v7
	v_lshrrev_b32_e32 v4, 27, v9
	v_subrev_u32_e32 v8, 28, v7
	v_and_b32_e32 v4, 15, v4
	v_lshlrev_b32_sdwa v8, v8, v9 dst_sel:DWORD dst_unused:UNUSED_PAD src0_sel:DWORD src1_sel:BYTE_3
	v_bfe_u32 v6, v9, 27, 4
	v_sub_u32_e32 v7, 29, v7
	v_and_b32_e32 v8, 7, v8
	v_cmp_eq_u16_e32 vcc, 0, v4
	v_cndmask_b32_e32 v2, v2, v8, vcc
	v_cndmask_b32_e32 v4, v6, v7, vcc
	v_mov_b32_e32 v6, 0x3b800000
	v_and_b32_e32 v3, 0x80000000, v9
	v_lshlrev_b32_e32 v2, 20, v2
	v_lshl_add_u32 v4, v4, 23, v6
	v_or3_b32 v2, v3, v4, v2
.LBB2_7292:
	s_or_b64 exec, exec, s[6:7]
	s_movk_i32 s4, 0x7f
	v_cmp_gt_i16_sdwa s[6:7], v5, s4 src0_sel:BYTE_3 src1_sel:DWORD
	s_mov_b64 s[4:5], 0
                                        ; implicit-def: $sgpr10
	s_and_saveexec_b64 s[8:9], s[6:7]
	s_xor_b64 s[6:7], exec, s[8:9]
	s_cbranch_execz .LBB2_7293
; %bb.43133:
	s_getpc_b64 s[14:15]
.Lpost_getpc25150:
	s_add_u32 s14, s14, (.LBB2_21629-.Lpost_getpc25150)&4294967295
	s_addc_u32 s15, s15, (.LBB2_21629-.Lpost_getpc25150)>>32
	s_setpc_b64 s[14:15]
.LBB2_7293:
	s_or_saveexec_b64 s[6:7], s[6:7]
	v_mov_b32_e32 v3, s10
	s_xor_b64 exec, exec, s[6:7]
	s_cbranch_execz .LBB2_7294
; %bb.43135:
	s_getpc_b64 s[14:15]
.Lpost_getpc25151:
	s_add_u32 s14, s14, (.LBB2_21632-.Lpost_getpc25151)&4294967295
	s_addc_u32 s15, s15, (.LBB2_21632-.Lpost_getpc25151)>>32
	s_setpc_b64 s[14:15]
.LBB2_7294:
	s_or_b64 exec, exec, s[6:7]
	s_and_saveexec_b64 s[6:7], s[4:5]
	s_cbranch_execz .LBB2_7296
.LBB2_7295:
	v_bfe_u32 v3, v5, 24, 3
	v_ffbh_u32_e32 v8, v3
	v_min_u32_e32 v8, 32, v8
	v_lshrrev_b32_e32 v6, 27, v5
	v_subrev_u32_e32 v9, 28, v8
	v_and_b32_e32 v4, 0x80000000, v5
	v_and_b32_e32 v6, 15, v6
	v_bfe_u32 v7, v5, 27, 4
	v_lshlrev_b32_sdwa v5, v9, v5 dst_sel:DWORD dst_unused:UNUSED_PAD src0_sel:DWORD src1_sel:BYTE_3
	v_sub_u32_e32 v8, 29, v8
	v_and_b32_e32 v5, 7, v5
	v_cmp_eq_u16_e32 vcc, 0, v6
	v_cndmask_b32_e32 v3, v3, v5, vcc
	v_cndmask_b32_e32 v5, v7, v8, vcc
	v_mov_b32_e32 v6, 0x3b800000
	v_lshlrev_b32_e32 v3, 20, v3
	v_lshl_add_u32 v5, v5, 23, v6
	v_or3_b32 v3, v4, v5, v3
.LBB2_7296:
	s_or_b64 exec, exec, s[6:7]
	s_nop 0
	v_mfma_f32_16x16x4f32 a[0:3], v2, v3, a[0:3]
	s_movk_i32 s4, 0x7f
                                        ; implicit-def: $sgpr10
	s_nop 7
	s_nop 1
	flat_store_dwordx4 v[10:11], a[0:3]
	flat_load_dwordx4 v[12:15], v[0:1]
	s_nop 0
	flat_load_dwordx2 v[10:11], v[0:1] offset:16
	s_waitcnt vmcnt(0) lgkmcnt(0)
	flat_load_dwordx4 v[6:9], v[12:13] offset:112
	flat_load_dwordx4 v[2:5], v[14:15] offset:144
	s_waitcnt vmcnt(0) lgkmcnt(0)
	v_cmp_gt_i16_sdwa s[6:7], v6, s4 src0_sel:BYTE_0 src1_sel:DWORD
	s_mov_b64 s[4:5], 0
	s_and_saveexec_b64 s[8:9], s[6:7]
	s_xor_b64 s[6:7], exec, s[8:9]
	s_cbranch_execz .LBB2_7297
; %bb.43137:
	s_getpc_b64 s[14:15]
.Lpost_getpc25152:
	s_add_u32 s14, s14, (.LBB2_21633-.Lpost_getpc25152)&4294967295
	s_addc_u32 s15, s15, (.LBB2_21633-.Lpost_getpc25152)>>32
	s_setpc_b64 s[14:15]
.LBB2_7297:
	s_or_saveexec_b64 s[6:7], s[6:7]
	v_mov_b32_e32 v12, s10
	s_xor_b64 exec, exec, s[6:7]
	s_cbranch_execz .LBB2_7298
; %bb.43139:
	s_getpc_b64 s[14:15]
.Lpost_getpc25153:
	s_add_u32 s14, s14, (.LBB2_21636-.Lpost_getpc25153)&4294967295
	s_addc_u32 s15, s15, (.LBB2_21636-.Lpost_getpc25153)>>32
	s_setpc_b64 s[14:15]
.LBB2_7298:
	s_or_b64 exec, exec, s[6:7]
	s_and_saveexec_b64 s[6:7], s[4:5]
	s_cbranch_execz .LBB2_7300
.LBB2_7299:
	v_and_b32_e32 v12, 7, v6
	v_ffbh_u32_e32 v14, v12
	v_min_u32_e32 v14, 32, v14
	v_lshrrev_b16_e32 v13, 3, v6
	v_subrev_u32_e32 v15, 28, v14
	v_and_b32_e32 v13, 15, v13
	v_lshlrev_b32_e32 v15, v15, v6
	v_sub_u32_e32 v14, 29, v14
	v_and_b32_e32 v15, 7, v15
	v_cmp_eq_u16_e32 vcc, 0, v13
	v_cndmask_b32_e32 v12, v12, v15, vcc
	v_cndmask_b32_e32 v13, v13, v14, vcc
	v_lshlrev_b32_e32 v14, 24, v6
	v_mov_b32_e32 v15, 0x3b800000
	v_lshlrev_b32_e32 v12, 20, v12
	v_and_b32_e32 v14, 0x80000000, v14
	v_lshl_add_u32 v13, v13, 23, v15
	v_or3_b32 v12, v14, v13, v12
.LBB2_7300:
	s_or_b64 exec, exec, s[6:7]
	s_movk_i32 s4, 0x7f
	v_cmp_gt_i16_sdwa s[6:7], v2, s4 src0_sel:BYTE_0 src1_sel:DWORD
	s_mov_b64 s[4:5], 0
                                        ; implicit-def: $sgpr10
	s_and_saveexec_b64 s[8:9], s[6:7]
	s_xor_b64 s[6:7], exec, s[8:9]
	s_cbranch_execz .LBB2_7301
; %bb.43141:
	s_getpc_b64 s[14:15]
.Lpost_getpc25154:
	s_add_u32 s14, s14, (.LBB2_21637-.Lpost_getpc25154)&4294967295
	s_addc_u32 s15, s15, (.LBB2_21637-.Lpost_getpc25154)>>32
	s_setpc_b64 s[14:15]
.LBB2_7301:
	s_or_saveexec_b64 s[6:7], s[6:7]
	v_mov_b32_e32 v13, s10
	s_xor_b64 exec, exec, s[6:7]
	s_cbranch_execz .LBB2_7302
; %bb.43143:
	s_getpc_b64 s[14:15]
.Lpost_getpc25155:
	s_add_u32 s14, s14, (.LBB2_21640-.Lpost_getpc25155)&4294967295
	s_addc_u32 s15, s15, (.LBB2_21640-.Lpost_getpc25155)>>32
	s_setpc_b64 s[14:15]
.LBB2_7302:
	s_or_b64 exec, exec, s[6:7]
	s_and_saveexec_b64 s[6:7], s[4:5]
	s_cbranch_execz .LBB2_7304
.LBB2_7303:
	v_and_b32_e32 v13, 7, v2
	v_ffbh_u32_e32 v15, v13
	v_min_u32_e32 v15, 32, v15
	v_lshrrev_b16_e32 v14, 3, v2
	v_subrev_u32_e32 v16, 28, v15
	v_and_b32_e32 v14, 15, v14
	v_lshlrev_b32_e32 v16, v16, v2
	v_sub_u32_e32 v15, 29, v15
	v_and_b32_e32 v16, 7, v16
	v_cmp_eq_u16_e32 vcc, 0, v14
	v_cndmask_b32_e32 v13, v13, v16, vcc
	v_cndmask_b32_e32 v14, v14, v15, vcc
	v_lshlrev_b32_e32 v15, 24, v2
	v_mov_b32_e32 v16, 0x3b800000
	v_lshlrev_b32_e32 v13, 20, v13
	v_and_b32_e32 v15, 0x80000000, v15
	v_lshl_add_u32 v14, v14, 23, v16
	v_or3_b32 v13, v15, v14, v13
.LBB2_7304:
	s_or_b64 exec, exec, s[6:7]
	flat_load_dwordx4 a[0:3], v[10:11] offset:16
	s_movk_i32 s4, 0x7f
                                        ; implicit-def: $sgpr10
	s_waitcnt vmcnt(0) lgkmcnt(0)
	v_mfma_f32_16x16x4f32 a[0:3], v12, v13, a[0:3]
	v_lshrrev_b32_e32 v13, 8, v6
	v_cmp_gt_i16_sdwa s[6:7], v13, s4 src0_sel:BYTE_0 src1_sel:DWORD
	s_mov_b64 s[4:5], 0
	s_and_saveexec_b64 s[8:9], s[6:7]
	s_xor_b64 s[6:7], exec, s[8:9]
	s_cbranch_execz .LBB2_7305
; %bb.43145:
	s_getpc_b64 s[14:15]
.Lpost_getpc25156:
	s_add_u32 s14, s14, (.LBB2_21641-.Lpost_getpc25156)&4294967295
	s_addc_u32 s15, s15, (.LBB2_21641-.Lpost_getpc25156)>>32
	s_setpc_b64 s[14:15]
.LBB2_7305:
	s_or_saveexec_b64 s[6:7], s[6:7]
	v_mov_b32_e32 v12, s10
	s_xor_b64 exec, exec, s[6:7]
	s_cbranch_execz .LBB2_7306
; %bb.43147:
	s_getpc_b64 s[14:15]
.Lpost_getpc25157:
	s_add_u32 s14, s14, (.LBB2_21644-.Lpost_getpc25157)&4294967295
	s_addc_u32 s15, s15, (.LBB2_21644-.Lpost_getpc25157)>>32
	s_setpc_b64 s[14:15]
.LBB2_7306:
	s_or_b64 exec, exec, s[6:7]
	s_and_saveexec_b64 s[6:7], s[4:5]
	s_cbranch_execz .LBB2_7308
.LBB2_7307:
	v_bfe_u32 v12, v6, 8, 3
	v_ffbh_u32_e32 v15, v12
	v_min_u32_e32 v15, 32, v15
	v_lshrrev_b16_e32 v14, 3, v13
	v_subrev_u32_e32 v16, 28, v15
	v_and_b32_e32 v14, 15, v14
	v_lshlrev_b32_e32 v13, v16, v13
	v_sub_u32_e32 v15, 29, v15
	v_and_b32_e32 v13, 7, v13
	v_cmp_eq_u16_e32 vcc, 0, v14
	v_cndmask_b32_e32 v12, v12, v13, vcc
	v_cndmask_b32_e32 v13, v14, v15, vcc
	v_lshlrev_b32_e32 v14, 16, v6
	v_mov_b32_e32 v15, 0x3b800000
	v_lshlrev_b32_e32 v12, 20, v12
	v_and_b32_e32 v14, 0x80000000, v14
	v_lshl_add_u32 v13, v13, 23, v15
	v_or3_b32 v12, v14, v13, v12
.LBB2_7308:
	s_or_b64 exec, exec, s[6:7]
	v_lshrrev_b32_e32 v13, 8, v2
	s_movk_i32 s4, 0x7f
	v_cmp_gt_i16_sdwa s[6:7], v13, s4 src0_sel:BYTE_0 src1_sel:DWORD
	s_mov_b64 s[4:5], 0
                                        ; implicit-def: $sgpr10
	s_and_saveexec_b64 s[8:9], s[6:7]
	s_xor_b64 s[6:7], exec, s[8:9]
	s_cbranch_execz .LBB2_7309
; %bb.43149:
	s_getpc_b64 s[14:15]
.Lpost_getpc25158:
	s_add_u32 s14, s14, (.LBB2_21645-.Lpost_getpc25158)&4294967295
	s_addc_u32 s15, s15, (.LBB2_21645-.Lpost_getpc25158)>>32
	s_setpc_b64 s[14:15]
.LBB2_7309:
	s_or_saveexec_b64 s[6:7], s[6:7]
	v_mov_b32_e32 v14, s10
	s_xor_b64 exec, exec, s[6:7]
	s_cbranch_execz .LBB2_7310
; %bb.43151:
	s_getpc_b64 s[14:15]
.Lpost_getpc25159:
	s_add_u32 s14, s14, (.LBB2_21648-.Lpost_getpc25159)&4294967295
	s_addc_u32 s15, s15, (.LBB2_21648-.Lpost_getpc25159)>>32
	s_setpc_b64 s[14:15]
.LBB2_7310:
	s_or_b64 exec, exec, s[6:7]
	s_and_saveexec_b64 s[6:7], s[4:5]
	s_cbranch_execz .LBB2_7312
.LBB2_7311:
	v_bfe_u32 v14, v2, 8, 3
	v_ffbh_u32_e32 v16, v14
	v_min_u32_e32 v16, 32, v16
	v_lshrrev_b16_e32 v15, 3, v13
	v_subrev_u32_e32 v17, 28, v16
	v_and_b32_e32 v15, 15, v15
	v_lshlrev_b32_e32 v13, v17, v13
	v_sub_u32_e32 v16, 29, v16
	v_and_b32_e32 v13, 7, v13
	v_cmp_eq_u16_e32 vcc, 0, v15
	v_cndmask_b32_e32 v13, v14, v13, vcc
	v_cndmask_b32_e32 v14, v15, v16, vcc
	v_lshlrev_b32_e32 v15, 16, v2
	v_mov_b32_e32 v16, 0x3b800000
	v_lshlrev_b32_e32 v13, 20, v13
	v_and_b32_e32 v15, 0x80000000, v15
	v_lshl_add_u32 v14, v14, 23, v16
	v_or3_b32 v14, v15, v14, v13
.LBB2_7312:
	s_or_b64 exec, exec, s[6:7]
	s_nop 0
	v_mfma_f32_16x16x4f32 a[0:3], v12, v14, a[0:3]
	s_movk_i32 s4, 0xff
	v_and_b32_sdwa v13, v6, s4 dst_sel:DWORD dst_unused:UNUSED_PAD src0_sel:WORD_1 src1_sel:DWORD
	s_movk_i32 s4, 0x7f
	v_cmp_lt_i16_e32 vcc, s4, v13
	s_mov_b64 s[4:5], 0
                                        ; implicit-def: $sgpr10
	s_and_saveexec_b64 s[6:7], vcc
	s_xor_b64 s[6:7], exec, s[6:7]
	s_cbranch_execz .LBB2_7313
; %bb.43153:
	s_getpc_b64 s[14:15]
.Lpost_getpc25160:
	s_add_u32 s14, s14, (.LBB2_21649-.Lpost_getpc25160)&4294967295
	s_addc_u32 s15, s15, (.LBB2_21649-.Lpost_getpc25160)>>32
	s_setpc_b64 s[14:15]
.LBB2_7313:
	s_or_saveexec_b64 s[6:7], s[6:7]
	v_mov_b32_e32 v12, s10
	s_xor_b64 exec, exec, s[6:7]
	s_cbranch_execz .LBB2_7314
; %bb.43155:
	s_getpc_b64 s[14:15]
.Lpost_getpc25161:
	s_add_u32 s14, s14, (.LBB2_21652-.Lpost_getpc25161)&4294967295
	s_addc_u32 s15, s15, (.LBB2_21652-.Lpost_getpc25161)>>32
	s_setpc_b64 s[14:15]
.LBB2_7314:
	s_or_b64 exec, exec, s[6:7]
	s_and_saveexec_b64 s[6:7], s[4:5]
	s_cbranch_execz .LBB2_7316
.LBB2_7315:
	v_bfe_u32 v12, v6, 16, 3
	v_ffbh_u32_e32 v15, v12
	v_min_u32_e32 v15, 32, v15
	v_lshrrev_b32_e32 v13, 19, v6
	v_subrev_u32_e32 v16, 28, v15
	v_and_b32_e32 v13, 15, v13
	v_lshlrev_b32_sdwa v16, v16, v6 dst_sel:DWORD dst_unused:UNUSED_PAD src0_sel:DWORD src1_sel:WORD_1
	v_bfe_u32 v14, v6, 19, 4
	v_sub_u32_e32 v15, 29, v15
	v_and_b32_e32 v16, 7, v16
	v_cmp_eq_u16_e32 vcc, 0, v13
	v_cndmask_b32_e32 v12, v12, v16, vcc
	v_cndmask_b32_e32 v13, v14, v15, vcc
	v_lshlrev_b32_e32 v14, 8, v6
	v_mov_b32_e32 v15, 0x3b800000
	v_lshlrev_b32_e32 v12, 20, v12
	v_and_b32_e32 v14, 0x80000000, v14
	v_lshl_add_u32 v13, v13, 23, v15
	v_or3_b32 v12, v14, v13, v12
.LBB2_7316:
	s_or_b64 exec, exec, s[6:7]
	s_movk_i32 s4, 0xff
	v_and_b32_sdwa v13, v2, s4 dst_sel:DWORD dst_unused:UNUSED_PAD src0_sel:WORD_1 src1_sel:DWORD
	s_movk_i32 s4, 0x7f
	v_cmp_lt_i16_e32 vcc, s4, v13
	s_mov_b64 s[4:5], 0
                                        ; implicit-def: $sgpr10
	s_and_saveexec_b64 s[6:7], vcc
	s_xor_b64 s[6:7], exec, s[6:7]
	s_cbranch_execz .LBB2_7317
; %bb.43157:
	s_getpc_b64 s[14:15]
.Lpost_getpc25162:
	s_add_u32 s14, s14, (.LBB2_21653-.Lpost_getpc25162)&4294967295
	s_addc_u32 s15, s15, (.LBB2_21653-.Lpost_getpc25162)>>32
	s_setpc_b64 s[14:15]
.LBB2_7317:
	s_or_saveexec_b64 s[6:7], s[6:7]
	v_mov_b32_e32 v14, s10
	s_xor_b64 exec, exec, s[6:7]
	s_cbranch_execz .LBB2_7318
; %bb.43159:
	s_getpc_b64 s[14:15]
.Lpost_getpc25163:
	s_add_u32 s14, s14, (.LBB2_21656-.Lpost_getpc25163)&4294967295
	s_addc_u32 s15, s15, (.LBB2_21656-.Lpost_getpc25163)>>32
	s_setpc_b64 s[14:15]
.LBB2_7318:
	s_or_b64 exec, exec, s[6:7]
	s_and_saveexec_b64 s[6:7], s[4:5]
	s_cbranch_execz .LBB2_7320
.LBB2_7319:
	v_bfe_u32 v13, v2, 16, 3
	v_ffbh_u32_e32 v16, v13
	v_min_u32_e32 v16, 32, v16
	v_lshrrev_b32_e32 v14, 19, v2
	v_subrev_u32_e32 v17, 28, v16
	v_and_b32_e32 v14, 15, v14
	v_lshlrev_b32_sdwa v17, v17, v2 dst_sel:DWORD dst_unused:UNUSED_PAD src0_sel:DWORD src1_sel:WORD_1
	v_bfe_u32 v15, v2, 19, 4
	v_sub_u32_e32 v16, 29, v16
	v_and_b32_e32 v17, 7, v17
	v_cmp_eq_u16_e32 vcc, 0, v14
	v_cndmask_b32_e32 v13, v13, v17, vcc
	v_cndmask_b32_e32 v14, v15, v16, vcc
	v_lshlrev_b32_e32 v15, 8, v2
	v_mov_b32_e32 v16, 0x3b800000
	v_lshlrev_b32_e32 v13, 20, v13
	v_and_b32_e32 v15, 0x80000000, v15
	v_lshl_add_u32 v14, v14, 23, v16
	v_or3_b32 v14, v15, v14, v13
.LBB2_7320:
	s_or_b64 exec, exec, s[6:7]
	s_nop 0
	v_mfma_f32_16x16x4f32 a[0:3], v12, v14, a[0:3]
	s_movk_i32 s4, 0x7f
	v_cmp_gt_i16_sdwa s[6:7], v6, s4 src0_sel:BYTE_3 src1_sel:DWORD
	s_mov_b64 s[4:5], 0
                                        ; implicit-def: $sgpr10
	s_and_saveexec_b64 s[8:9], s[6:7]
	s_xor_b64 s[6:7], exec, s[8:9]
	s_cbranch_execz .LBB2_7321
; %bb.43161:
	s_getpc_b64 s[14:15]
.Lpost_getpc25164:
	s_add_u32 s14, s14, (.LBB2_21657-.Lpost_getpc25164)&4294967295
	s_addc_u32 s15, s15, (.LBB2_21657-.Lpost_getpc25164)>>32
	s_setpc_b64 s[14:15]
.LBB2_7321:
	s_or_saveexec_b64 s[6:7], s[6:7]
	v_mov_b32_e32 v12, s10
	s_xor_b64 exec, exec, s[6:7]
	s_cbranch_execz .LBB2_7322
; %bb.43163:
	s_getpc_b64 s[14:15]
.Lpost_getpc25165:
	s_add_u32 s14, s14, (.LBB2_21660-.Lpost_getpc25165)&4294967295
	s_addc_u32 s15, s15, (.LBB2_21660-.Lpost_getpc25165)>>32
	s_setpc_b64 s[14:15]
.LBB2_7322:
	s_or_b64 exec, exec, s[6:7]
	s_and_saveexec_b64 s[6:7], s[4:5]
	s_cbranch_execz .LBB2_7324
.LBB2_7323:
	v_bfe_u32 v12, v6, 24, 3
	v_ffbh_u32_e32 v16, v12
	v_min_u32_e32 v16, 32, v16
	v_lshrrev_b32_e32 v14, 27, v6
	v_subrev_u32_e32 v17, 28, v16
	v_and_b32_e32 v13, 0x80000000, v6
	v_and_b32_e32 v14, 15, v14
	v_bfe_u32 v15, v6, 27, 4
	v_lshlrev_b32_sdwa v6, v17, v6 dst_sel:DWORD dst_unused:UNUSED_PAD src0_sel:DWORD src1_sel:BYTE_3
	v_sub_u32_e32 v16, 29, v16
	v_and_b32_e32 v6, 7, v6
	v_cmp_eq_u16_e32 vcc, 0, v14
	v_cndmask_b32_e32 v6, v12, v6, vcc
	v_cndmask_b32_e32 v12, v15, v16, vcc
	v_mov_b32_e32 v14, 0x3b800000
	v_lshlrev_b32_e32 v6, 20, v6
	v_lshl_add_u32 v12, v12, 23, v14
	v_or3_b32 v12, v13, v12, v6
.LBB2_7324:
	s_or_b64 exec, exec, s[6:7]
	s_movk_i32 s4, 0x7f
	v_cmp_gt_i16_sdwa s[6:7], v2, s4 src0_sel:BYTE_3 src1_sel:DWORD
	s_mov_b64 s[4:5], 0
                                        ; implicit-def: $sgpr10
	s_and_saveexec_b64 s[8:9], s[6:7]
	s_xor_b64 s[6:7], exec, s[8:9]
	s_cbranch_execz .LBB2_7325
; %bb.43165:
	s_getpc_b64 s[14:15]
.Lpost_getpc25166:
	s_add_u32 s14, s14, (.LBB2_21661-.Lpost_getpc25166)&4294967295
	s_addc_u32 s15, s15, (.LBB2_21661-.Lpost_getpc25166)>>32
	s_setpc_b64 s[14:15]
.LBB2_7325:
	s_or_saveexec_b64 s[6:7], s[6:7]
	v_mov_b32_e32 v6, s10
	s_xor_b64 exec, exec, s[6:7]
	s_cbranch_execz .LBB2_7326
; %bb.43167:
	s_getpc_b64 s[14:15]
.Lpost_getpc25167:
	s_add_u32 s14, s14, (.LBB2_21664-.Lpost_getpc25167)&4294967295
	s_addc_u32 s15, s15, (.LBB2_21664-.Lpost_getpc25167)>>32
	s_setpc_b64 s[14:15]
.LBB2_7326:
	s_or_b64 exec, exec, s[6:7]
	s_and_saveexec_b64 s[6:7], s[4:5]
	s_cbranch_execz .LBB2_7328
.LBB2_7327:
	v_bfe_u32 v6, v2, 24, 3
	v_ffbh_u32_e32 v16, v6
	v_min_u32_e32 v16, 32, v16
	v_lshrrev_b32_e32 v14, 27, v2
	v_subrev_u32_e32 v17, 28, v16
	v_and_b32_e32 v13, 0x80000000, v2
	v_and_b32_e32 v14, 15, v14
	v_bfe_u32 v15, v2, 27, 4
	v_lshlrev_b32_sdwa v2, v17, v2 dst_sel:DWORD dst_unused:UNUSED_PAD src0_sel:DWORD src1_sel:BYTE_3
	v_sub_u32_e32 v16, 29, v16
	v_and_b32_e32 v2, 7, v2
	v_cmp_eq_u16_e32 vcc, 0, v14
	v_cndmask_b32_e32 v2, v6, v2, vcc
	v_cndmask_b32_e32 v6, v15, v16, vcc
	v_mov_b32_e32 v14, 0x3b800000
	v_lshlrev_b32_e32 v2, 20, v2
	v_lshl_add_u32 v6, v6, 23, v14
	v_or3_b32 v6, v13, v6, v2
.LBB2_7328:
	s_or_b64 exec, exec, s[6:7]
	s_nop 0
	v_mfma_f32_16x16x4f32 a[0:3], v12, v6, a[0:3]
	s_movk_i32 s4, 0x7f
	v_cmp_gt_i16_sdwa s[6:7], v7, s4 src0_sel:BYTE_0 src1_sel:DWORD
	s_mov_b64 s[4:5], 0
                                        ; implicit-def: $sgpr10
	s_and_saveexec_b64 s[8:9], s[6:7]
	s_xor_b64 s[6:7], exec, s[8:9]
	s_cbranch_execz .LBB2_7329
; %bb.43169:
	s_getpc_b64 s[14:15]
.Lpost_getpc25168:
	s_add_u32 s14, s14, (.LBB2_21665-.Lpost_getpc25168)&4294967295
	s_addc_u32 s15, s15, (.LBB2_21665-.Lpost_getpc25168)>>32
	s_setpc_b64 s[14:15]
.LBB2_7329:
	s_or_saveexec_b64 s[6:7], s[6:7]
	v_mov_b32_e32 v2, s10
	s_xor_b64 exec, exec, s[6:7]
	s_cbranch_execz .LBB2_7330
; %bb.43171:
	s_getpc_b64 s[14:15]
.Lpost_getpc25169:
	s_add_u32 s14, s14, (.LBB2_21668-.Lpost_getpc25169)&4294967295
	s_addc_u32 s15, s15, (.LBB2_21668-.Lpost_getpc25169)>>32
	s_setpc_b64 s[14:15]
.LBB2_7330:
	s_or_b64 exec, exec, s[6:7]
	s_and_saveexec_b64 s[6:7], s[4:5]
	s_cbranch_execz .LBB2_7332
.LBB2_7331:
	v_and_b32_e32 v2, 7, v7
	v_ffbh_u32_e32 v12, v2
	v_min_u32_e32 v12, 32, v12
	v_lshrrev_b16_e32 v6, 3, v7
	v_subrev_u32_e32 v13, 28, v12
	v_and_b32_e32 v6, 15, v6
	v_lshlrev_b32_e32 v13, v13, v7
	v_sub_u32_e32 v12, 29, v12
	v_and_b32_e32 v13, 7, v13
	v_cmp_eq_u16_e32 vcc, 0, v6
	v_cndmask_b32_e32 v2, v2, v13, vcc
	v_cndmask_b32_e32 v6, v6, v12, vcc
	v_lshlrev_b32_e32 v12, 24, v7
	v_mov_b32_e32 v13, 0x3b800000
	v_lshlrev_b32_e32 v2, 20, v2
	v_and_b32_e32 v12, 0x80000000, v12
	v_lshl_add_u32 v6, v6, 23, v13
	v_or3_b32 v2, v12, v6, v2
.LBB2_7332:
	s_or_b64 exec, exec, s[6:7]
	s_movk_i32 s4, 0x7f
	v_cmp_gt_i16_sdwa s[6:7], v3, s4 src0_sel:BYTE_0 src1_sel:DWORD
	s_mov_b64 s[4:5], 0
                                        ; implicit-def: $sgpr10
	s_and_saveexec_b64 s[8:9], s[6:7]
	s_xor_b64 s[6:7], exec, s[8:9]
	s_cbranch_execz .LBB2_7333
; %bb.43173:
	s_getpc_b64 s[14:15]
.Lpost_getpc25170:
	s_add_u32 s14, s14, (.LBB2_21669-.Lpost_getpc25170)&4294967295
	s_addc_u32 s15, s15, (.LBB2_21669-.Lpost_getpc25170)>>32
	s_setpc_b64 s[14:15]
.LBB2_7333:
	s_or_saveexec_b64 s[6:7], s[6:7]
	v_mov_b32_e32 v6, s10
	s_xor_b64 exec, exec, s[6:7]
	s_cbranch_execz .LBB2_7334
; %bb.43175:
	s_getpc_b64 s[14:15]
.Lpost_getpc25171:
	s_add_u32 s14, s14, (.LBB2_21672-.Lpost_getpc25171)&4294967295
	s_addc_u32 s15, s15, (.LBB2_21672-.Lpost_getpc25171)>>32
	s_setpc_b64 s[14:15]
.LBB2_7334:
	s_or_b64 exec, exec, s[6:7]
	s_and_saveexec_b64 s[6:7], s[4:5]
	s_cbranch_execz .LBB2_7336
.LBB2_7335:
	v_and_b32_e32 v6, 7, v3
	v_ffbh_u32_e32 v13, v6
	v_min_u32_e32 v13, 32, v13
	v_lshrrev_b16_e32 v12, 3, v3
	v_subrev_u32_e32 v14, 28, v13
	v_and_b32_e32 v12, 15, v12
	v_lshlrev_b32_e32 v14, v14, v3
	v_sub_u32_e32 v13, 29, v13
	v_and_b32_e32 v14, 7, v14
	v_cmp_eq_u16_e32 vcc, 0, v12
	v_cndmask_b32_e32 v6, v6, v14, vcc
	v_cndmask_b32_e32 v12, v12, v13, vcc
	v_lshlrev_b32_e32 v13, 24, v3
	v_mov_b32_e32 v14, 0x3b800000
	v_lshlrev_b32_e32 v6, 20, v6
	v_and_b32_e32 v13, 0x80000000, v13
	v_lshl_add_u32 v12, v12, 23, v14
	v_or3_b32 v6, v13, v12, v6
.LBB2_7336:
	s_or_b64 exec, exec, s[6:7]
	s_nop 0
	v_mfma_f32_16x16x4f32 a[0:3], v2, v6, a[0:3]
	v_lshrrev_b32_e32 v6, 8, v7
	s_movk_i32 s4, 0x7f
	v_cmp_gt_i16_sdwa s[6:7], v6, s4 src0_sel:BYTE_0 src1_sel:DWORD
	s_mov_b64 s[4:5], 0
                                        ; implicit-def: $sgpr10
	s_and_saveexec_b64 s[8:9], s[6:7]
	s_xor_b64 s[6:7], exec, s[8:9]
	s_cbranch_execz .LBB2_7337
; %bb.43177:
	s_getpc_b64 s[14:15]
.Lpost_getpc25172:
	s_add_u32 s14, s14, (.LBB2_21673-.Lpost_getpc25172)&4294967295
	s_addc_u32 s15, s15, (.LBB2_21673-.Lpost_getpc25172)>>32
	s_setpc_b64 s[14:15]
.LBB2_7337:
	s_or_saveexec_b64 s[6:7], s[6:7]
	v_mov_b32_e32 v2, s10
	s_xor_b64 exec, exec, s[6:7]
	s_cbranch_execz .LBB2_7338
; %bb.43179:
	s_getpc_b64 s[14:15]
.Lpost_getpc25173:
	s_add_u32 s14, s14, (.LBB2_21676-.Lpost_getpc25173)&4294967295
	s_addc_u32 s15, s15, (.LBB2_21676-.Lpost_getpc25173)>>32
	s_setpc_b64 s[14:15]
.LBB2_7338:
	s_or_b64 exec, exec, s[6:7]
	s_and_saveexec_b64 s[6:7], s[4:5]
	s_cbranch_execz .LBB2_7340
.LBB2_7339:
	v_bfe_u32 v2, v7, 8, 3
	v_ffbh_u32_e32 v13, v2
	v_min_u32_e32 v13, 32, v13
	v_lshrrev_b16_e32 v12, 3, v6
	v_subrev_u32_e32 v14, 28, v13
	v_and_b32_e32 v12, 15, v12
	v_lshlrev_b32_e32 v6, v14, v6
	v_sub_u32_e32 v13, 29, v13
	v_and_b32_e32 v6, 7, v6
	v_cmp_eq_u16_e32 vcc, 0, v12
	v_cndmask_b32_e32 v2, v2, v6, vcc
	v_cndmask_b32_e32 v6, v12, v13, vcc
	v_lshlrev_b32_e32 v12, 16, v7
	v_mov_b32_e32 v13, 0x3b800000
	v_lshlrev_b32_e32 v2, 20, v2
	v_and_b32_e32 v12, 0x80000000, v12
	v_lshl_add_u32 v6, v6, 23, v13
	v_or3_b32 v2, v12, v6, v2
.LBB2_7340:
	s_or_b64 exec, exec, s[6:7]
	v_lshrrev_b32_e32 v6, 8, v3
	s_movk_i32 s4, 0x7f
	v_cmp_gt_i16_sdwa s[6:7], v6, s4 src0_sel:BYTE_0 src1_sel:DWORD
	s_mov_b64 s[4:5], 0
                                        ; implicit-def: $sgpr10
	s_and_saveexec_b64 s[8:9], s[6:7]
	s_xor_b64 s[6:7], exec, s[8:9]
	s_cbranch_execz .LBB2_7341
; %bb.43181:
	s_getpc_b64 s[14:15]
.Lpost_getpc25174:
	s_add_u32 s14, s14, (.LBB2_21677-.Lpost_getpc25174)&4294967295
	s_addc_u32 s15, s15, (.LBB2_21677-.Lpost_getpc25174)>>32
	s_setpc_b64 s[14:15]
.LBB2_7341:
	s_or_saveexec_b64 s[6:7], s[6:7]
	v_mov_b32_e32 v12, s10
	s_xor_b64 exec, exec, s[6:7]
	s_cbranch_execz .LBB2_7342
; %bb.43183:
	s_getpc_b64 s[14:15]
.Lpost_getpc25175:
	s_add_u32 s14, s14, (.LBB2_21680-.Lpost_getpc25175)&4294967295
	s_addc_u32 s15, s15, (.LBB2_21680-.Lpost_getpc25175)>>32
	s_setpc_b64 s[14:15]
.LBB2_7342:
	s_or_b64 exec, exec, s[6:7]
	s_and_saveexec_b64 s[6:7], s[4:5]
	s_cbranch_execz .LBB2_7344
.LBB2_7343:
	v_bfe_u32 v12, v3, 8, 3
	v_ffbh_u32_e32 v14, v12
	v_min_u32_e32 v14, 32, v14
	v_lshrrev_b16_e32 v13, 3, v6
	v_subrev_u32_e32 v15, 28, v14
	v_and_b32_e32 v13, 15, v13
	v_lshlrev_b32_e32 v6, v15, v6
	v_sub_u32_e32 v14, 29, v14
	v_and_b32_e32 v6, 7, v6
	v_cmp_eq_u16_e32 vcc, 0, v13
	v_cndmask_b32_e32 v6, v12, v6, vcc
	v_cndmask_b32_e32 v12, v13, v14, vcc
	v_lshlrev_b32_e32 v13, 16, v3
	v_mov_b32_e32 v14, 0x3b800000
	v_lshlrev_b32_e32 v6, 20, v6
	v_and_b32_e32 v13, 0x80000000, v13
	v_lshl_add_u32 v12, v12, 23, v14
	v_or3_b32 v12, v13, v12, v6
.LBB2_7344:
	s_or_b64 exec, exec, s[6:7]
	s_nop 0
	v_mfma_f32_16x16x4f32 a[0:3], v2, v12, a[0:3]
	s_movk_i32 s4, 0xff
	v_and_b32_sdwa v6, v7, s4 dst_sel:DWORD dst_unused:UNUSED_PAD src0_sel:WORD_1 src1_sel:DWORD
	s_movk_i32 s4, 0x7f
	v_cmp_lt_i16_e32 vcc, s4, v6
	s_mov_b64 s[4:5], 0
                                        ; implicit-def: $sgpr10
	s_and_saveexec_b64 s[6:7], vcc
	s_xor_b64 s[6:7], exec, s[6:7]
	s_cbranch_execz .LBB2_7345
; %bb.43185:
	s_getpc_b64 s[14:15]
.Lpost_getpc25176:
	s_add_u32 s14, s14, (.LBB2_21681-.Lpost_getpc25176)&4294967295
	s_addc_u32 s15, s15, (.LBB2_21681-.Lpost_getpc25176)>>32
	s_setpc_b64 s[14:15]
.LBB2_7345:
	s_or_saveexec_b64 s[6:7], s[6:7]
	v_mov_b32_e32 v2, s10
	s_xor_b64 exec, exec, s[6:7]
	s_cbranch_execz .LBB2_7346
; %bb.43187:
	s_getpc_b64 s[14:15]
.Lpost_getpc25177:
	s_add_u32 s14, s14, (.LBB2_21684-.Lpost_getpc25177)&4294967295
	s_addc_u32 s15, s15, (.LBB2_21684-.Lpost_getpc25177)>>32
	s_setpc_b64 s[14:15]
.LBB2_7346:
	s_or_b64 exec, exec, s[6:7]
	s_and_saveexec_b64 s[6:7], s[4:5]
	s_cbranch_execz .LBB2_7348
.LBB2_7347:
	v_bfe_u32 v2, v7, 16, 3
	v_ffbh_u32_e32 v13, v2
	v_min_u32_e32 v13, 32, v13
	v_lshrrev_b32_e32 v6, 19, v7
	v_subrev_u32_e32 v14, 28, v13
	v_and_b32_e32 v6, 15, v6
	v_lshlrev_b32_sdwa v14, v14, v7 dst_sel:DWORD dst_unused:UNUSED_PAD src0_sel:DWORD src1_sel:WORD_1
	v_bfe_u32 v12, v7, 19, 4
	v_sub_u32_e32 v13, 29, v13
	v_and_b32_e32 v14, 7, v14
	v_cmp_eq_u16_e32 vcc, 0, v6
	v_cndmask_b32_e32 v2, v2, v14, vcc
	v_cndmask_b32_e32 v6, v12, v13, vcc
	v_lshlrev_b32_e32 v12, 8, v7
	v_mov_b32_e32 v13, 0x3b800000
	v_lshlrev_b32_e32 v2, 20, v2
	v_and_b32_e32 v12, 0x80000000, v12
	v_lshl_add_u32 v6, v6, 23, v13
	v_or3_b32 v2, v12, v6, v2
.LBB2_7348:
	s_or_b64 exec, exec, s[6:7]
	s_movk_i32 s4, 0xff
	v_and_b32_sdwa v6, v3, s4 dst_sel:DWORD dst_unused:UNUSED_PAD src0_sel:WORD_1 src1_sel:DWORD
	s_movk_i32 s4, 0x7f
	v_cmp_lt_i16_e32 vcc, s4, v6
	s_mov_b64 s[4:5], 0
                                        ; implicit-def: $sgpr10
	s_and_saveexec_b64 s[6:7], vcc
	s_xor_b64 s[6:7], exec, s[6:7]
	s_cbranch_execz .LBB2_7349
; %bb.43189:
	s_getpc_b64 s[14:15]
.Lpost_getpc25178:
	s_add_u32 s14, s14, (.LBB2_21685-.Lpost_getpc25178)&4294967295
	s_addc_u32 s15, s15, (.LBB2_21685-.Lpost_getpc25178)>>32
	s_setpc_b64 s[14:15]
.LBB2_7349:
	s_or_saveexec_b64 s[6:7], s[6:7]
	v_mov_b32_e32 v12, s10
	s_xor_b64 exec, exec, s[6:7]
	s_cbranch_execz .LBB2_7350
; %bb.43191:
	s_getpc_b64 s[14:15]
.Lpost_getpc25179:
	s_add_u32 s14, s14, (.LBB2_21688-.Lpost_getpc25179)&4294967295
	s_addc_u32 s15, s15, (.LBB2_21688-.Lpost_getpc25179)>>32
	s_setpc_b64 s[14:15]
.LBB2_7350:
	s_or_b64 exec, exec, s[6:7]
	s_and_saveexec_b64 s[6:7], s[4:5]
	s_cbranch_execz .LBB2_7352
.LBB2_7351:
	v_bfe_u32 v6, v3, 16, 3
	v_ffbh_u32_e32 v14, v6
	v_min_u32_e32 v14, 32, v14
	v_lshrrev_b32_e32 v12, 19, v3
	v_subrev_u32_e32 v15, 28, v14
	v_and_b32_e32 v12, 15, v12
	v_lshlrev_b32_sdwa v15, v15, v3 dst_sel:DWORD dst_unused:UNUSED_PAD src0_sel:DWORD src1_sel:WORD_1
	v_bfe_u32 v13, v3, 19, 4
	v_sub_u32_e32 v14, 29, v14
	v_and_b32_e32 v15, 7, v15
	v_cmp_eq_u16_e32 vcc, 0, v12
	v_cndmask_b32_e32 v6, v6, v15, vcc
	v_cndmask_b32_e32 v12, v13, v14, vcc
	v_lshlrev_b32_e32 v13, 8, v3
	v_mov_b32_e32 v14, 0x3b800000
	v_lshlrev_b32_e32 v6, 20, v6
	v_and_b32_e32 v13, 0x80000000, v13
	v_lshl_add_u32 v12, v12, 23, v14
	v_or3_b32 v12, v13, v12, v6
.LBB2_7352:
	s_or_b64 exec, exec, s[6:7]
	s_nop 0
	v_mfma_f32_16x16x4f32 a[0:3], v2, v12, a[0:3]
	s_movk_i32 s4, 0x7f
	v_cmp_gt_i16_sdwa s[6:7], v7, s4 src0_sel:BYTE_3 src1_sel:DWORD
	s_mov_b64 s[4:5], 0
                                        ; implicit-def: $sgpr10
	s_and_saveexec_b64 s[8:9], s[6:7]
	s_xor_b64 s[6:7], exec, s[8:9]
	s_cbranch_execz .LBB2_7353
; %bb.43193:
	s_getpc_b64 s[14:15]
.Lpost_getpc25180:
	s_add_u32 s14, s14, (.LBB2_21689-.Lpost_getpc25180)&4294967295
	s_addc_u32 s15, s15, (.LBB2_21689-.Lpost_getpc25180)>>32
	s_setpc_b64 s[14:15]
.LBB2_7353:
	s_or_saveexec_b64 s[6:7], s[6:7]
	v_mov_b32_e32 v2, s10
	s_xor_b64 exec, exec, s[6:7]
	s_cbranch_execz .LBB2_7354
; %bb.43195:
	s_getpc_b64 s[14:15]
.Lpost_getpc25181:
	s_add_u32 s14, s14, (.LBB2_21692-.Lpost_getpc25181)&4294967295
	s_addc_u32 s15, s15, (.LBB2_21692-.Lpost_getpc25181)>>32
	s_setpc_b64 s[14:15]
.LBB2_7354:
	s_or_b64 exec, exec, s[6:7]
	s_and_saveexec_b64 s[6:7], s[4:5]
	s_cbranch_execz .LBB2_7356
.LBB2_7355:
	v_bfe_u32 v2, v7, 24, 3
	v_ffbh_u32_e32 v14, v2
	v_min_u32_e32 v14, 32, v14
	v_lshrrev_b32_e32 v12, 27, v7
	v_subrev_u32_e32 v15, 28, v14
	v_and_b32_e32 v6, 0x80000000, v7
	v_and_b32_e32 v12, 15, v12
	v_bfe_u32 v13, v7, 27, 4
	v_lshlrev_b32_sdwa v7, v15, v7 dst_sel:DWORD dst_unused:UNUSED_PAD src0_sel:DWORD src1_sel:BYTE_3
	v_sub_u32_e32 v14, 29, v14
	v_and_b32_e32 v7, 7, v7
	v_cmp_eq_u16_e32 vcc, 0, v12
	v_cndmask_b32_e32 v2, v2, v7, vcc
	v_cndmask_b32_e32 v7, v13, v14, vcc
	v_mov_b32_e32 v12, 0x3b800000
	v_lshlrev_b32_e32 v2, 20, v2
	v_lshl_add_u32 v7, v7, 23, v12
	v_or3_b32 v2, v6, v7, v2
.LBB2_7356:
	s_or_b64 exec, exec, s[6:7]
	s_movk_i32 s4, 0x7f
	v_cmp_gt_i16_sdwa s[6:7], v3, s4 src0_sel:BYTE_3 src1_sel:DWORD
	s_mov_b64 s[4:5], 0
                                        ; implicit-def: $sgpr10
	s_and_saveexec_b64 s[8:9], s[6:7]
	s_xor_b64 s[6:7], exec, s[8:9]
	s_cbranch_execz .LBB2_7357
; %bb.43197:
	s_getpc_b64 s[14:15]
.Lpost_getpc25182:
	s_add_u32 s14, s14, (.LBB2_21693-.Lpost_getpc25182)&4294967295
	s_addc_u32 s15, s15, (.LBB2_21693-.Lpost_getpc25182)>>32
	s_setpc_b64 s[14:15]
.LBB2_7357:
	s_or_saveexec_b64 s[6:7], s[6:7]
	v_mov_b32_e32 v6, s10
	s_xor_b64 exec, exec, s[6:7]
	s_cbranch_execz .LBB2_7358
; %bb.43199:
	s_getpc_b64 s[14:15]
.Lpost_getpc25183:
	s_add_u32 s14, s14, (.LBB2_21696-.Lpost_getpc25183)&4294967295
	s_addc_u32 s15, s15, (.LBB2_21696-.Lpost_getpc25183)>>32
	s_setpc_b64 s[14:15]
.LBB2_7358:
	s_or_b64 exec, exec, s[6:7]
	s_and_saveexec_b64 s[6:7], s[4:5]
	s_cbranch_execz .LBB2_7360
.LBB2_7359:
	v_bfe_u32 v6, v3, 24, 3
	v_ffbh_u32_e32 v14, v6
	v_min_u32_e32 v14, 32, v14
	v_lshrrev_b32_e32 v12, 27, v3
	v_subrev_u32_e32 v15, 28, v14
	v_and_b32_e32 v7, 0x80000000, v3
	v_and_b32_e32 v12, 15, v12
	v_bfe_u32 v13, v3, 27, 4
	v_lshlrev_b32_sdwa v3, v15, v3 dst_sel:DWORD dst_unused:UNUSED_PAD src0_sel:DWORD src1_sel:BYTE_3
	v_sub_u32_e32 v14, 29, v14
	v_and_b32_e32 v3, 7, v3
	v_cmp_eq_u16_e32 vcc, 0, v12
	v_cndmask_b32_e32 v3, v6, v3, vcc
	v_cndmask_b32_e32 v6, v13, v14, vcc
	v_mov_b32_e32 v12, 0x3b800000
	v_lshlrev_b32_e32 v3, 20, v3
	v_lshl_add_u32 v6, v6, 23, v12
	v_or3_b32 v6, v7, v6, v3
.LBB2_7360:
	s_or_b64 exec, exec, s[6:7]
	s_nop 0
	v_mfma_f32_16x16x4f32 a[0:3], v2, v6, a[0:3]
	s_movk_i32 s4, 0x7f
	v_cmp_gt_i16_sdwa s[6:7], v8, s4 src0_sel:BYTE_0 src1_sel:DWORD
	s_mov_b64 s[4:5], 0
                                        ; implicit-def: $sgpr10
	s_and_saveexec_b64 s[8:9], s[6:7]
	s_xor_b64 s[6:7], exec, s[8:9]
	s_cbranch_execz .LBB2_7361
; %bb.43201:
	s_getpc_b64 s[14:15]
.Lpost_getpc25184:
	s_add_u32 s14, s14, (.LBB2_21697-.Lpost_getpc25184)&4294967295
	s_addc_u32 s15, s15, (.LBB2_21697-.Lpost_getpc25184)>>32
	s_setpc_b64 s[14:15]
.LBB2_7361:
	s_or_saveexec_b64 s[6:7], s[6:7]
	v_mov_b32_e32 v2, s10
	s_xor_b64 exec, exec, s[6:7]
	s_cbranch_execz .LBB2_7362
; %bb.43203:
	s_getpc_b64 s[14:15]
.Lpost_getpc25185:
	s_add_u32 s14, s14, (.LBB2_21700-.Lpost_getpc25185)&4294967295
	s_addc_u32 s15, s15, (.LBB2_21700-.Lpost_getpc25185)>>32
	s_setpc_b64 s[14:15]
.LBB2_7362:
	s_or_b64 exec, exec, s[6:7]
	s_and_saveexec_b64 s[6:7], s[4:5]
	s_cbranch_execz .LBB2_7364
.LBB2_7363:
	v_and_b32_e32 v2, 7, v8
	v_ffbh_u32_e32 v6, v2
	v_min_u32_e32 v6, 32, v6
	v_lshrrev_b16_e32 v3, 3, v8
	v_subrev_u32_e32 v7, 28, v6
	v_and_b32_e32 v3, 15, v3
	v_lshlrev_b32_e32 v7, v7, v8
	v_sub_u32_e32 v6, 29, v6
	v_and_b32_e32 v7, 7, v7
	v_cmp_eq_u16_e32 vcc, 0, v3
	v_cndmask_b32_e32 v2, v2, v7, vcc
	v_cndmask_b32_e32 v3, v3, v6, vcc
	v_lshlrev_b32_e32 v6, 24, v8
	v_mov_b32_e32 v7, 0x3b800000
	v_lshlrev_b32_e32 v2, 20, v2
	v_and_b32_e32 v6, 0x80000000, v6
	v_lshl_add_u32 v3, v3, 23, v7
	v_or3_b32 v2, v6, v3, v2
.LBB2_7364:
	s_or_b64 exec, exec, s[6:7]
	s_movk_i32 s4, 0x7f
	v_cmp_gt_i16_sdwa s[6:7], v4, s4 src0_sel:BYTE_0 src1_sel:DWORD
	s_mov_b64 s[4:5], 0
                                        ; implicit-def: $sgpr10
	s_and_saveexec_b64 s[8:9], s[6:7]
	s_xor_b64 s[6:7], exec, s[8:9]
	s_cbranch_execz .LBB2_7365
; %bb.43205:
	s_getpc_b64 s[14:15]
.Lpost_getpc25186:
	s_add_u32 s14, s14, (.LBB2_21701-.Lpost_getpc25186)&4294967295
	s_addc_u32 s15, s15, (.LBB2_21701-.Lpost_getpc25186)>>32
	s_setpc_b64 s[14:15]
.LBB2_7365:
	s_or_saveexec_b64 s[6:7], s[6:7]
	v_mov_b32_e32 v3, s10
	s_xor_b64 exec, exec, s[6:7]
	s_cbranch_execz .LBB2_7366
; %bb.43207:
	s_getpc_b64 s[14:15]
.Lpost_getpc25187:
	s_add_u32 s14, s14, (.LBB2_21704-.Lpost_getpc25187)&4294967295
	s_addc_u32 s15, s15, (.LBB2_21704-.Lpost_getpc25187)>>32
	s_setpc_b64 s[14:15]
.LBB2_7366:
	s_or_b64 exec, exec, s[6:7]
	s_and_saveexec_b64 s[6:7], s[4:5]
	s_cbranch_execz .LBB2_7368
.LBB2_7367:
	v_and_b32_e32 v3, 7, v4
	v_ffbh_u32_e32 v7, v3
	v_min_u32_e32 v7, 32, v7
	v_lshrrev_b16_e32 v6, 3, v4
	v_subrev_u32_e32 v12, 28, v7
	v_and_b32_e32 v6, 15, v6
	v_lshlrev_b32_e32 v12, v12, v4
	v_sub_u32_e32 v7, 29, v7
	v_and_b32_e32 v12, 7, v12
	v_cmp_eq_u16_e32 vcc, 0, v6
	v_cndmask_b32_e32 v3, v3, v12, vcc
	v_cndmask_b32_e32 v6, v6, v7, vcc
	v_lshlrev_b32_e32 v7, 24, v4
	v_mov_b32_e32 v12, 0x3b800000
	v_lshlrev_b32_e32 v3, 20, v3
	v_and_b32_e32 v7, 0x80000000, v7
	v_lshl_add_u32 v6, v6, 23, v12
	v_or3_b32 v3, v7, v6, v3
.LBB2_7368:
	s_or_b64 exec, exec, s[6:7]
	s_nop 0
	v_mfma_f32_16x16x4f32 a[0:3], v2, v3, a[0:3]
	v_lshrrev_b32_e32 v3, 8, v8
	s_movk_i32 s4, 0x7f
	v_cmp_gt_i16_sdwa s[6:7], v3, s4 src0_sel:BYTE_0 src1_sel:DWORD
	s_mov_b64 s[4:5], 0
                                        ; implicit-def: $sgpr10
	s_and_saveexec_b64 s[8:9], s[6:7]
	s_xor_b64 s[6:7], exec, s[8:9]
	s_cbranch_execz .LBB2_7369
; %bb.43209:
	s_getpc_b64 s[14:15]
.Lpost_getpc25188:
	s_add_u32 s14, s14, (.LBB2_21705-.Lpost_getpc25188)&4294967295
	s_addc_u32 s15, s15, (.LBB2_21705-.Lpost_getpc25188)>>32
	s_setpc_b64 s[14:15]
.LBB2_7369:
	s_or_saveexec_b64 s[6:7], s[6:7]
	v_mov_b32_e32 v2, s10
	s_xor_b64 exec, exec, s[6:7]
	s_cbranch_execz .LBB2_7370
; %bb.43211:
	s_getpc_b64 s[14:15]
.Lpost_getpc25189:
	s_add_u32 s14, s14, (.LBB2_21708-.Lpost_getpc25189)&4294967295
	s_addc_u32 s15, s15, (.LBB2_21708-.Lpost_getpc25189)>>32
	s_setpc_b64 s[14:15]
.LBB2_7370:
	s_or_b64 exec, exec, s[6:7]
	s_and_saveexec_b64 s[6:7], s[4:5]
	s_cbranch_execz .LBB2_7372
.LBB2_7371:
	v_bfe_u32 v2, v8, 8, 3
	v_ffbh_u32_e32 v7, v2
	v_min_u32_e32 v7, 32, v7
	v_lshrrev_b16_e32 v6, 3, v3
	v_subrev_u32_e32 v12, 28, v7
	v_and_b32_e32 v6, 15, v6
	v_lshlrev_b32_e32 v3, v12, v3
	v_sub_u32_e32 v7, 29, v7
	v_and_b32_e32 v3, 7, v3
	v_cmp_eq_u16_e32 vcc, 0, v6
	v_cndmask_b32_e32 v2, v2, v3, vcc
	v_cndmask_b32_e32 v3, v6, v7, vcc
	v_lshlrev_b32_e32 v6, 16, v8
	v_mov_b32_e32 v7, 0x3b800000
	v_lshlrev_b32_e32 v2, 20, v2
	v_and_b32_e32 v6, 0x80000000, v6
	v_lshl_add_u32 v3, v3, 23, v7
	v_or3_b32 v2, v6, v3, v2
.LBB2_7372:
	s_or_b64 exec, exec, s[6:7]
	v_lshrrev_b32_e32 v3, 8, v4
	s_movk_i32 s4, 0x7f
	v_cmp_gt_i16_sdwa s[6:7], v3, s4 src0_sel:BYTE_0 src1_sel:DWORD
	s_mov_b64 s[4:5], 0
                                        ; implicit-def: $sgpr10
	s_and_saveexec_b64 s[8:9], s[6:7]
	s_xor_b64 s[6:7], exec, s[8:9]
	s_cbranch_execz .LBB2_7373
; %bb.43213:
	s_getpc_b64 s[14:15]
.Lpost_getpc25190:
	s_add_u32 s14, s14, (.LBB2_21709-.Lpost_getpc25190)&4294967295
	s_addc_u32 s15, s15, (.LBB2_21709-.Lpost_getpc25190)>>32
	s_setpc_b64 s[14:15]
.LBB2_7373:
	s_or_saveexec_b64 s[6:7], s[6:7]
	v_mov_b32_e32 v6, s10
	s_xor_b64 exec, exec, s[6:7]
	s_cbranch_execz .LBB2_7374
; %bb.43215:
	s_getpc_b64 s[14:15]
.Lpost_getpc25191:
	s_add_u32 s14, s14, (.LBB2_21712-.Lpost_getpc25191)&4294967295
	s_addc_u32 s15, s15, (.LBB2_21712-.Lpost_getpc25191)>>32
	s_setpc_b64 s[14:15]
.LBB2_7374:
	s_or_b64 exec, exec, s[6:7]
	s_and_saveexec_b64 s[6:7], s[4:5]
	s_cbranch_execz .LBB2_7376
.LBB2_7375:
	v_bfe_u32 v6, v4, 8, 3
	v_ffbh_u32_e32 v12, v6
	v_min_u32_e32 v12, 32, v12
	v_lshrrev_b16_e32 v7, 3, v3
	v_subrev_u32_e32 v13, 28, v12
	v_and_b32_e32 v7, 15, v7
	v_lshlrev_b32_e32 v3, v13, v3
	v_sub_u32_e32 v12, 29, v12
	v_and_b32_e32 v3, 7, v3
	v_cmp_eq_u16_e32 vcc, 0, v7
	v_cndmask_b32_e32 v3, v6, v3, vcc
	v_cndmask_b32_e32 v6, v7, v12, vcc
	v_lshlrev_b32_e32 v7, 16, v4
	v_mov_b32_e32 v12, 0x3b800000
	v_lshlrev_b32_e32 v3, 20, v3
	v_and_b32_e32 v7, 0x80000000, v7
	v_lshl_add_u32 v6, v6, 23, v12
	v_or3_b32 v6, v7, v6, v3
.LBB2_7376:
	s_or_b64 exec, exec, s[6:7]
	s_nop 0
	v_mfma_f32_16x16x4f32 a[0:3], v2, v6, a[0:3]
	s_movk_i32 s4, 0xff
	v_and_b32_sdwa v3, v8, s4 dst_sel:DWORD dst_unused:UNUSED_PAD src0_sel:WORD_1 src1_sel:DWORD
	s_movk_i32 s4, 0x7f
	v_cmp_lt_i16_e32 vcc, s4, v3
	s_mov_b64 s[4:5], 0
                                        ; implicit-def: $sgpr10
	s_and_saveexec_b64 s[6:7], vcc
	s_xor_b64 s[6:7], exec, s[6:7]
	s_cbranch_execz .LBB2_7377
; %bb.43217:
	s_getpc_b64 s[14:15]
.Lpost_getpc25192:
	s_add_u32 s14, s14, (.LBB2_21713-.Lpost_getpc25192)&4294967295
	s_addc_u32 s15, s15, (.LBB2_21713-.Lpost_getpc25192)>>32
	s_setpc_b64 s[14:15]
.LBB2_7377:
	s_or_saveexec_b64 s[6:7], s[6:7]
	v_mov_b32_e32 v2, s10
	s_xor_b64 exec, exec, s[6:7]
	s_cbranch_execz .LBB2_7378
; %bb.43219:
	s_getpc_b64 s[14:15]
.Lpost_getpc25193:
	s_add_u32 s14, s14, (.LBB2_21716-.Lpost_getpc25193)&4294967295
	s_addc_u32 s15, s15, (.LBB2_21716-.Lpost_getpc25193)>>32
	s_setpc_b64 s[14:15]
.LBB2_7378:
	s_or_b64 exec, exec, s[6:7]
	s_and_saveexec_b64 s[6:7], s[4:5]
	s_cbranch_execz .LBB2_7380
.LBB2_7379:
	v_bfe_u32 v2, v8, 16, 3
	v_ffbh_u32_e32 v7, v2
	v_min_u32_e32 v7, 32, v7
	v_lshrrev_b32_e32 v3, 19, v8
	v_subrev_u32_e32 v12, 28, v7
	v_and_b32_e32 v3, 15, v3
	v_lshlrev_b32_sdwa v12, v12, v8 dst_sel:DWORD dst_unused:UNUSED_PAD src0_sel:DWORD src1_sel:WORD_1
	v_bfe_u32 v6, v8, 19, 4
	v_sub_u32_e32 v7, 29, v7
	v_and_b32_e32 v12, 7, v12
	v_cmp_eq_u16_e32 vcc, 0, v3
	v_cndmask_b32_e32 v2, v2, v12, vcc
	v_cndmask_b32_e32 v3, v6, v7, vcc
	v_lshlrev_b32_e32 v6, 8, v8
	v_mov_b32_e32 v7, 0x3b800000
	v_lshlrev_b32_e32 v2, 20, v2
	v_and_b32_e32 v6, 0x80000000, v6
	v_lshl_add_u32 v3, v3, 23, v7
	v_or3_b32 v2, v6, v3, v2
.LBB2_7380:
	s_or_b64 exec, exec, s[6:7]
	s_movk_i32 s4, 0xff
	v_and_b32_sdwa v3, v4, s4 dst_sel:DWORD dst_unused:UNUSED_PAD src0_sel:WORD_1 src1_sel:DWORD
	s_movk_i32 s4, 0x7f
	v_cmp_lt_i16_e32 vcc, s4, v3
	s_mov_b64 s[4:5], 0
                                        ; implicit-def: $sgpr10
	s_and_saveexec_b64 s[6:7], vcc
	s_xor_b64 s[6:7], exec, s[6:7]
	s_cbranch_execz .LBB2_7381
; %bb.43221:
	s_getpc_b64 s[14:15]
.Lpost_getpc25194:
	s_add_u32 s14, s14, (.LBB2_21717-.Lpost_getpc25194)&4294967295
	s_addc_u32 s15, s15, (.LBB2_21717-.Lpost_getpc25194)>>32
	s_setpc_b64 s[14:15]
.LBB2_7381:
	s_or_saveexec_b64 s[6:7], s[6:7]
	v_mov_b32_e32 v6, s10
	s_xor_b64 exec, exec, s[6:7]
	s_cbranch_execz .LBB2_7382
; %bb.43223:
	s_getpc_b64 s[14:15]
.Lpost_getpc25195:
	s_add_u32 s14, s14, (.LBB2_21720-.Lpost_getpc25195)&4294967295
	s_addc_u32 s15, s15, (.LBB2_21720-.Lpost_getpc25195)>>32
	s_setpc_b64 s[14:15]
.LBB2_7382:
	s_or_b64 exec, exec, s[6:7]
	s_and_saveexec_b64 s[6:7], s[4:5]
	s_cbranch_execz .LBB2_7384
.LBB2_7383:
	v_bfe_u32 v3, v4, 16, 3
	v_ffbh_u32_e32 v12, v3
	v_min_u32_e32 v12, 32, v12
	v_lshrrev_b32_e32 v6, 19, v4
	v_subrev_u32_e32 v13, 28, v12
	v_and_b32_e32 v6, 15, v6
	v_lshlrev_b32_sdwa v13, v13, v4 dst_sel:DWORD dst_unused:UNUSED_PAD src0_sel:DWORD src1_sel:WORD_1
	v_bfe_u32 v7, v4, 19, 4
	v_sub_u32_e32 v12, 29, v12
	v_and_b32_e32 v13, 7, v13
	v_cmp_eq_u16_e32 vcc, 0, v6
	v_cndmask_b32_e32 v3, v3, v13, vcc
	v_cndmask_b32_e32 v6, v7, v12, vcc
	v_lshlrev_b32_e32 v7, 8, v4
	v_mov_b32_e32 v12, 0x3b800000
	v_lshlrev_b32_e32 v3, 20, v3
	v_and_b32_e32 v7, 0x80000000, v7
	v_lshl_add_u32 v6, v6, 23, v12
	v_or3_b32 v6, v7, v6, v3
.LBB2_7384:
	s_or_b64 exec, exec, s[6:7]
	s_nop 0
	v_mfma_f32_16x16x4f32 a[0:3], v2, v6, a[0:3]
	s_movk_i32 s4, 0x7f
	v_cmp_gt_i16_sdwa s[6:7], v8, s4 src0_sel:BYTE_3 src1_sel:DWORD
	s_mov_b64 s[4:5], 0
                                        ; implicit-def: $sgpr10
	s_and_saveexec_b64 s[8:9], s[6:7]
	s_xor_b64 s[6:7], exec, s[8:9]
	s_cbranch_execz .LBB2_7385
; %bb.43225:
	s_getpc_b64 s[14:15]
.Lpost_getpc25196:
	s_add_u32 s14, s14, (.LBB2_21721-.Lpost_getpc25196)&4294967295
	s_addc_u32 s15, s15, (.LBB2_21721-.Lpost_getpc25196)>>32
	s_setpc_b64 s[14:15]
.LBB2_7385:
	s_or_saveexec_b64 s[6:7], s[6:7]
	v_mov_b32_e32 v2, s10
	s_xor_b64 exec, exec, s[6:7]
	s_cbranch_execz .LBB2_7386
; %bb.43227:
	s_getpc_b64 s[14:15]
.Lpost_getpc25197:
	s_add_u32 s14, s14, (.LBB2_21724-.Lpost_getpc25197)&4294967295
	s_addc_u32 s15, s15, (.LBB2_21724-.Lpost_getpc25197)>>32
	s_setpc_b64 s[14:15]
.LBB2_7386:
	s_or_b64 exec, exec, s[6:7]
	s_and_saveexec_b64 s[6:7], s[4:5]
	s_cbranch_execz .LBB2_7388
.LBB2_7387:
	v_bfe_u32 v2, v8, 24, 3
	v_ffbh_u32_e32 v12, v2
	v_min_u32_e32 v12, 32, v12
	v_lshrrev_b32_e32 v6, 27, v8
	v_subrev_u32_e32 v13, 28, v12
	v_and_b32_e32 v3, 0x80000000, v8
	v_and_b32_e32 v6, 15, v6
	v_bfe_u32 v7, v8, 27, 4
	v_lshlrev_b32_sdwa v8, v13, v8 dst_sel:DWORD dst_unused:UNUSED_PAD src0_sel:DWORD src1_sel:BYTE_3
	v_sub_u32_e32 v12, 29, v12
	v_and_b32_e32 v8, 7, v8
	v_cmp_eq_u16_e32 vcc, 0, v6
	v_cndmask_b32_e32 v2, v2, v8, vcc
	v_cndmask_b32_e32 v6, v7, v12, vcc
	v_mov_b32_e32 v7, 0x3b800000
	v_lshlrev_b32_e32 v2, 20, v2
	v_lshl_add_u32 v6, v6, 23, v7
	v_or3_b32 v2, v3, v6, v2
.LBB2_7388:
	s_or_b64 exec, exec, s[6:7]
	s_movk_i32 s4, 0x7f
	v_cmp_gt_i16_sdwa s[6:7], v4, s4 src0_sel:BYTE_3 src1_sel:DWORD
	s_mov_b64 s[4:5], 0
                                        ; implicit-def: $sgpr10
	s_and_saveexec_b64 s[8:9], s[6:7]
	s_xor_b64 s[6:7], exec, s[8:9]
	s_cbranch_execz .LBB2_7389
; %bb.43229:
	s_getpc_b64 s[14:15]
.Lpost_getpc25198:
	s_add_u32 s14, s14, (.LBB2_21725-.Lpost_getpc25198)&4294967295
	s_addc_u32 s15, s15, (.LBB2_21725-.Lpost_getpc25198)>>32
	s_setpc_b64 s[14:15]
.LBB2_7389:
	s_or_saveexec_b64 s[6:7], s[6:7]
	v_mov_b32_e32 v3, s10
	s_xor_b64 exec, exec, s[6:7]
	s_cbranch_execz .LBB2_7390
; %bb.43231:
	s_getpc_b64 s[14:15]
.Lpost_getpc25199:
	s_add_u32 s14, s14, (.LBB2_21728-.Lpost_getpc25199)&4294967295
	s_addc_u32 s15, s15, (.LBB2_21728-.Lpost_getpc25199)>>32
	s_setpc_b64 s[14:15]
.LBB2_7390:
	s_or_b64 exec, exec, s[6:7]
	s_and_saveexec_b64 s[6:7], s[4:5]
	s_cbranch_execz .LBB2_7392
.LBB2_7391:
	v_bfe_u32 v3, v4, 24, 3
	v_ffbh_u32_e32 v12, v3
	v_min_u32_e32 v12, 32, v12
	v_lshrrev_b32_e32 v7, 27, v4
	v_subrev_u32_e32 v13, 28, v12
	v_and_b32_e32 v6, 0x80000000, v4
	v_and_b32_e32 v7, 15, v7
	v_bfe_u32 v8, v4, 27, 4
	v_lshlrev_b32_sdwa v4, v13, v4 dst_sel:DWORD dst_unused:UNUSED_PAD src0_sel:DWORD src1_sel:BYTE_3
	v_sub_u32_e32 v12, 29, v12
	v_and_b32_e32 v4, 7, v4
	v_cmp_eq_u16_e32 vcc, 0, v7
	v_cndmask_b32_e32 v3, v3, v4, vcc
	v_cndmask_b32_e32 v4, v8, v12, vcc
	v_mov_b32_e32 v7, 0x3b800000
	v_lshlrev_b32_e32 v3, 20, v3
	v_lshl_add_u32 v4, v4, 23, v7
	v_or3_b32 v3, v6, v4, v3
.LBB2_7392:
	s_or_b64 exec, exec, s[6:7]
	s_nop 0
	v_mfma_f32_16x16x4f32 a[0:3], v2, v3, a[0:3]
	s_movk_i32 s4, 0x7f
	v_cmp_gt_i16_sdwa s[6:7], v9, s4 src0_sel:BYTE_0 src1_sel:DWORD
	s_mov_b64 s[4:5], 0
                                        ; implicit-def: $sgpr10
	s_and_saveexec_b64 s[8:9], s[6:7]
	s_xor_b64 s[6:7], exec, s[8:9]
	s_cbranch_execz .LBB2_7393
; %bb.43233:
	s_getpc_b64 s[14:15]
.Lpost_getpc25200:
	s_add_u32 s14, s14, (.LBB2_21729-.Lpost_getpc25200)&4294967295
	s_addc_u32 s15, s15, (.LBB2_21729-.Lpost_getpc25200)>>32
	s_setpc_b64 s[14:15]
.LBB2_7393:
	s_or_saveexec_b64 s[6:7], s[6:7]
	v_mov_b32_e32 v2, s10
	s_xor_b64 exec, exec, s[6:7]
	s_cbranch_execz .LBB2_7394
; %bb.43235:
	s_getpc_b64 s[14:15]
.Lpost_getpc25201:
	s_add_u32 s14, s14, (.LBB2_21732-.Lpost_getpc25201)&4294967295
	s_addc_u32 s15, s15, (.LBB2_21732-.Lpost_getpc25201)>>32
	s_setpc_b64 s[14:15]
.LBB2_7394:
	s_or_b64 exec, exec, s[6:7]
	s_and_saveexec_b64 s[6:7], s[4:5]
	s_cbranch_execz .LBB2_7396
.LBB2_7395:
	v_mov_b32_e32 v2, 8
	v_and_b32_e32 v3, 7, v9
	v_lshrrev_b32_sdwa v2, v2, v9 dst_sel:BYTE_1 dst_unused:UNUSED_PAD src0_sel:DWORD src1_sel:DWORD
	v_ffbh_u32_e32 v4, v3
	v_or_b32_sdwa v2, v9, v2 dst_sel:DWORD dst_unused:UNUSED_PAD src0_sel:BYTE_0 src1_sel:DWORD
	v_min_u32_e32 v4, 32, v4
	v_lshrrev_b16_e32 v2, 3, v2
	v_subrev_u32_e32 v6, 28, v4
	v_and_b32_e32 v2, 15, v2
	v_lshlrev_b32_e32 v6, v6, v9
	v_sub_u32_e32 v4, 29, v4
	v_and_b32_e32 v6, 7, v6
	v_cmp_eq_u16_e32 vcc, 0, v2
	v_cndmask_b32_e32 v3, v3, v6, vcc
	v_cndmask_b32_e32 v2, v2, v4, vcc
	v_lshlrev_b32_e32 v4, 24, v9
	v_mov_b32_e32 v6, 0x3b800000
	v_lshlrev_b32_e32 v3, 20, v3
	v_and_b32_e32 v4, 0x80000000, v4
	v_lshl_add_u32 v2, v2, 23, v6
	v_or3_b32 v2, v4, v2, v3
.LBB2_7396:
	s_or_b64 exec, exec, s[6:7]
	s_movk_i32 s4, 0x7f
	v_cmp_gt_i16_sdwa s[6:7], v5, s4 src0_sel:BYTE_0 src1_sel:DWORD
	s_mov_b64 s[4:5], 0
                                        ; implicit-def: $sgpr10
	s_and_saveexec_b64 s[8:9], s[6:7]
	s_xor_b64 s[6:7], exec, s[8:9]
	s_cbranch_execz .LBB2_7397
; %bb.43237:
	s_getpc_b64 s[14:15]
.Lpost_getpc25202:
	s_add_u32 s14, s14, (.LBB2_21733-.Lpost_getpc25202)&4294967295
	s_addc_u32 s15, s15, (.LBB2_21733-.Lpost_getpc25202)>>32
	s_setpc_b64 s[14:15]
.LBB2_7397:
	s_or_saveexec_b64 s[6:7], s[6:7]
	v_mov_b32_e32 v3, s10
	s_xor_b64 exec, exec, s[6:7]
	s_cbranch_execz .LBB2_7398
; %bb.43239:
	s_getpc_b64 s[14:15]
.Lpost_getpc25203:
	s_add_u32 s14, s14, (.LBB2_21736-.Lpost_getpc25203)&4294967295
	s_addc_u32 s15, s15, (.LBB2_21736-.Lpost_getpc25203)>>32
	s_setpc_b64 s[14:15]
.LBB2_7398:
	s_or_b64 exec, exec, s[6:7]
	s_and_saveexec_b64 s[6:7], s[4:5]
	s_cbranch_execz .LBB2_7400
.LBB2_7399:
	v_mov_b32_e32 v3, 8
	v_and_b32_e32 v4, 7, v5
	v_lshrrev_b32_sdwa v3, v3, v5 dst_sel:BYTE_1 dst_unused:UNUSED_PAD src0_sel:DWORD src1_sel:DWORD
	v_ffbh_u32_e32 v6, v4
	v_or_b32_sdwa v3, v5, v3 dst_sel:DWORD dst_unused:UNUSED_PAD src0_sel:BYTE_0 src1_sel:DWORD
	v_min_u32_e32 v6, 32, v6
	v_lshrrev_b16_e32 v3, 3, v3
	v_subrev_u32_e32 v7, 28, v6
	v_and_b32_e32 v3, 15, v3
	v_lshlrev_b32_e32 v7, v7, v5
	v_sub_u32_e32 v6, 29, v6
	v_and_b32_e32 v7, 7, v7
	v_cmp_eq_u16_e32 vcc, 0, v3
	v_cndmask_b32_e32 v4, v4, v7, vcc
	v_cndmask_b32_e32 v3, v3, v6, vcc
	v_lshlrev_b32_e32 v6, 24, v5
	v_mov_b32_e32 v7, 0x3b800000
	v_lshlrev_b32_e32 v4, 20, v4
	v_and_b32_e32 v6, 0x80000000, v6
	v_lshl_add_u32 v3, v3, 23, v7
	v_or3_b32 v3, v6, v3, v4
.LBB2_7400:
	s_or_b64 exec, exec, s[6:7]
	s_nop 0
	v_mfma_f32_16x16x4f32 a[0:3], v2, v3, a[0:3]
	v_lshrrev_b32_e32 v3, 8, v9
	s_movk_i32 s4, 0x7f
	v_cmp_gt_i16_sdwa s[6:7], v3, s4 src0_sel:BYTE_0 src1_sel:DWORD
	s_mov_b64 s[4:5], 0
                                        ; implicit-def: $sgpr10
	s_and_saveexec_b64 s[8:9], s[6:7]
	s_xor_b64 s[6:7], exec, s[8:9]
	s_cbranch_execz .LBB2_7401
; %bb.43241:
	s_getpc_b64 s[14:15]
.Lpost_getpc25204:
	s_add_u32 s14, s14, (.LBB2_21737-.Lpost_getpc25204)&4294967295
	s_addc_u32 s15, s15, (.LBB2_21737-.Lpost_getpc25204)>>32
	s_setpc_b64 s[14:15]
.LBB2_7401:
	s_or_saveexec_b64 s[6:7], s[6:7]
	v_mov_b32_e32 v2, s10
	s_xor_b64 exec, exec, s[6:7]
	s_cbranch_execz .LBB2_7402
; %bb.43243:
	s_getpc_b64 s[14:15]
.Lpost_getpc25205:
	s_add_u32 s14, s14, (.LBB2_21740-.Lpost_getpc25205)&4294967295
	s_addc_u32 s15, s15, (.LBB2_21740-.Lpost_getpc25205)>>32
	s_setpc_b64 s[14:15]
.LBB2_7402:
	s_or_b64 exec, exec, s[6:7]
	s_and_saveexec_b64 s[6:7], s[4:5]
	s_cbranch_execz .LBB2_7404
.LBB2_7403:
	v_bfe_u32 v2, v9, 8, 3
	v_ffbh_u32_e32 v6, v2
	v_min_u32_e32 v6, 32, v6
	v_lshrrev_b16_e32 v4, 3, v3
	v_subrev_u32_e32 v7, 28, v6
	v_and_b32_e32 v4, 15, v4
	v_lshlrev_b32_e32 v3, v7, v3
	v_sub_u32_e32 v6, 29, v6
	v_and_b32_e32 v3, 7, v3
	v_cmp_eq_u16_e32 vcc, 0, v4
	v_cndmask_b32_e32 v2, v2, v3, vcc
	v_cndmask_b32_e32 v3, v4, v6, vcc
	v_lshlrev_b32_e32 v4, 16, v9
	v_mov_b32_e32 v6, 0x3b800000
	v_lshlrev_b32_e32 v2, 20, v2
	v_and_b32_e32 v4, 0x80000000, v4
	v_lshl_add_u32 v3, v3, 23, v6
	v_or3_b32 v2, v4, v3, v2
.LBB2_7404:
	s_or_b64 exec, exec, s[6:7]
	v_lshrrev_b32_e32 v3, 8, v5
	s_movk_i32 s4, 0x7f
	v_cmp_gt_i16_sdwa s[6:7], v3, s4 src0_sel:BYTE_0 src1_sel:DWORD
	s_mov_b64 s[4:5], 0
                                        ; implicit-def: $sgpr10
	s_and_saveexec_b64 s[8:9], s[6:7]
	s_xor_b64 s[6:7], exec, s[8:9]
	s_cbranch_execz .LBB2_7405
; %bb.43245:
	s_getpc_b64 s[14:15]
.Lpost_getpc25206:
	s_add_u32 s14, s14, (.LBB2_21741-.Lpost_getpc25206)&4294967295
	s_addc_u32 s15, s15, (.LBB2_21741-.Lpost_getpc25206)>>32
	s_setpc_b64 s[14:15]
.LBB2_7405:
	s_or_saveexec_b64 s[6:7], s[6:7]
	v_mov_b32_e32 v4, s10
	s_xor_b64 exec, exec, s[6:7]
	s_cbranch_execz .LBB2_7406
; %bb.43247:
	s_getpc_b64 s[14:15]
.Lpost_getpc25207:
	s_add_u32 s14, s14, (.LBB2_21744-.Lpost_getpc25207)&4294967295
	s_addc_u32 s15, s15, (.LBB2_21744-.Lpost_getpc25207)>>32
	s_setpc_b64 s[14:15]
.LBB2_7406:
	s_or_b64 exec, exec, s[6:7]
	s_and_saveexec_b64 s[6:7], s[4:5]
	s_cbranch_execz .LBB2_7408
.LBB2_7407:
	v_bfe_u32 v4, v5, 8, 3
	v_ffbh_u32_e32 v7, v4
	v_min_u32_e32 v7, 32, v7
	v_lshrrev_b16_e32 v6, 3, v3
	v_subrev_u32_e32 v8, 28, v7
	v_and_b32_e32 v6, 15, v6
	v_lshlrev_b32_e32 v3, v8, v3
	v_sub_u32_e32 v7, 29, v7
	v_and_b32_e32 v3, 7, v3
	v_cmp_eq_u16_e32 vcc, 0, v6
	v_cndmask_b32_e32 v3, v4, v3, vcc
	v_cndmask_b32_e32 v4, v6, v7, vcc
	v_lshlrev_b32_e32 v6, 16, v5
	v_mov_b32_e32 v7, 0x3b800000
	v_lshlrev_b32_e32 v3, 20, v3
	v_and_b32_e32 v6, 0x80000000, v6
	v_lshl_add_u32 v4, v4, 23, v7
	v_or3_b32 v4, v6, v4, v3
.LBB2_7408:
	s_or_b64 exec, exec, s[6:7]
	s_nop 0
	v_mfma_f32_16x16x4f32 a[0:3], v2, v4, a[0:3]
	s_movk_i32 s4, 0xff
	v_and_b32_sdwa v3, v9, s4 dst_sel:DWORD dst_unused:UNUSED_PAD src0_sel:WORD_1 src1_sel:DWORD
	s_movk_i32 s4, 0x7f
	v_cmp_lt_i16_e32 vcc, s4, v3
	s_mov_b64 s[4:5], 0
                                        ; implicit-def: $sgpr10
	s_and_saveexec_b64 s[6:7], vcc
	s_xor_b64 s[6:7], exec, s[6:7]
	s_cbranch_execz .LBB2_7409
; %bb.43249:
	s_getpc_b64 s[14:15]
.Lpost_getpc25208:
	s_add_u32 s14, s14, (.LBB2_21745-.Lpost_getpc25208)&4294967295
	s_addc_u32 s15, s15, (.LBB2_21745-.Lpost_getpc25208)>>32
	s_setpc_b64 s[14:15]
.LBB2_7409:
	s_or_saveexec_b64 s[6:7], s[6:7]
	v_mov_b32_e32 v2, s10
	s_xor_b64 exec, exec, s[6:7]
	s_cbranch_execz .LBB2_7410
; %bb.43251:
	s_getpc_b64 s[14:15]
.Lpost_getpc25209:
	s_add_u32 s14, s14, (.LBB2_21748-.Lpost_getpc25209)&4294967295
	s_addc_u32 s15, s15, (.LBB2_21748-.Lpost_getpc25209)>>32
	s_setpc_b64 s[14:15]
.LBB2_7410:
	s_or_b64 exec, exec, s[6:7]
	s_and_saveexec_b64 s[6:7], s[4:5]
	s_cbranch_execz .LBB2_7412
.LBB2_7411:
	v_bfe_u32 v2, v9, 16, 3
	v_ffbh_u32_e32 v6, v2
	v_min_u32_e32 v6, 32, v6
	v_lshrrev_b32_e32 v3, 19, v9
	v_subrev_u32_e32 v7, 28, v6
	v_and_b32_e32 v3, 15, v3
	v_lshlrev_b32_sdwa v7, v7, v9 dst_sel:DWORD dst_unused:UNUSED_PAD src0_sel:DWORD src1_sel:WORD_1
	v_bfe_u32 v4, v9, 19, 4
	v_sub_u32_e32 v6, 29, v6
	v_and_b32_e32 v7, 7, v7
	v_cmp_eq_u16_e32 vcc, 0, v3
	v_cndmask_b32_e32 v2, v2, v7, vcc
	v_cndmask_b32_e32 v3, v4, v6, vcc
	v_lshlrev_b32_e32 v4, 8, v9
	v_mov_b32_e32 v6, 0x3b800000
	v_lshlrev_b32_e32 v2, 20, v2
	v_and_b32_e32 v4, 0x80000000, v4
	v_lshl_add_u32 v3, v3, 23, v6
	v_or3_b32 v2, v4, v3, v2
.LBB2_7412:
	s_or_b64 exec, exec, s[6:7]
	s_movk_i32 s4, 0xff
	v_and_b32_sdwa v3, v5, s4 dst_sel:DWORD dst_unused:UNUSED_PAD src0_sel:WORD_1 src1_sel:DWORD
	s_movk_i32 s4, 0x7f
	v_cmp_lt_i16_e32 vcc, s4, v3
	s_mov_b64 s[4:5], 0
                                        ; implicit-def: $sgpr10
	s_and_saveexec_b64 s[6:7], vcc
	s_xor_b64 s[6:7], exec, s[6:7]
	s_cbranch_execz .LBB2_7413
; %bb.43253:
	s_getpc_b64 s[14:15]
.Lpost_getpc25210:
	s_add_u32 s14, s14, (.LBB2_21749-.Lpost_getpc25210)&4294967295
	s_addc_u32 s15, s15, (.LBB2_21749-.Lpost_getpc25210)>>32
	s_setpc_b64 s[14:15]
.LBB2_7413:
	s_or_saveexec_b64 s[6:7], s[6:7]
	v_mov_b32_e32 v4, s10
	s_xor_b64 exec, exec, s[6:7]
	s_cbranch_execz .LBB2_7414
; %bb.43255:
	s_getpc_b64 s[14:15]
.Lpost_getpc25211:
	s_add_u32 s14, s14, (.LBB2_21752-.Lpost_getpc25211)&4294967295
	s_addc_u32 s15, s15, (.LBB2_21752-.Lpost_getpc25211)>>32
	s_setpc_b64 s[14:15]
.LBB2_7414:
	s_or_b64 exec, exec, s[6:7]
	s_and_saveexec_b64 s[6:7], s[4:5]
	s_cbranch_execz .LBB2_7416
.LBB2_7415:
	v_bfe_u32 v3, v5, 16, 3
	v_ffbh_u32_e32 v7, v3
	v_min_u32_e32 v7, 32, v7
	v_lshrrev_b32_e32 v4, 19, v5
	v_subrev_u32_e32 v8, 28, v7
	v_and_b32_e32 v4, 15, v4
	v_lshlrev_b32_sdwa v8, v8, v5 dst_sel:DWORD dst_unused:UNUSED_PAD src0_sel:DWORD src1_sel:WORD_1
	v_bfe_u32 v6, v5, 19, 4
	v_sub_u32_e32 v7, 29, v7
	v_and_b32_e32 v8, 7, v8
	v_cmp_eq_u16_e32 vcc, 0, v4
	v_cndmask_b32_e32 v3, v3, v8, vcc
	v_cndmask_b32_e32 v4, v6, v7, vcc
	v_lshlrev_b32_e32 v6, 8, v5
	v_mov_b32_e32 v7, 0x3b800000
	v_lshlrev_b32_e32 v3, 20, v3
	v_and_b32_e32 v6, 0x80000000, v6
	v_lshl_add_u32 v4, v4, 23, v7
	v_or3_b32 v4, v6, v4, v3
.LBB2_7416:
	s_or_b64 exec, exec, s[6:7]
	s_nop 0
	v_mfma_f32_16x16x4f32 a[0:3], v2, v4, a[0:3]
	s_movk_i32 s4, 0x7f
	v_cmp_gt_i16_sdwa s[6:7], v9, s4 src0_sel:BYTE_3 src1_sel:DWORD
	s_mov_b64 s[4:5], 0
                                        ; implicit-def: $sgpr10
	s_and_saveexec_b64 s[8:9], s[6:7]
	s_xor_b64 s[6:7], exec, s[8:9]
	s_cbranch_execz .LBB2_7417
; %bb.43257:
	s_getpc_b64 s[14:15]
.Lpost_getpc25212:
	s_add_u32 s14, s14, (.LBB2_21753-.Lpost_getpc25212)&4294967295
	s_addc_u32 s15, s15, (.LBB2_21753-.Lpost_getpc25212)>>32
	s_setpc_b64 s[14:15]
.LBB2_7417:
	s_or_saveexec_b64 s[6:7], s[6:7]
	v_mov_b32_e32 v2, s10
	s_xor_b64 exec, exec, s[6:7]
	s_cbranch_execz .LBB2_7418
; %bb.43259:
	s_getpc_b64 s[14:15]
.Lpost_getpc25213:
	s_add_u32 s14, s14, (.LBB2_21756-.Lpost_getpc25213)&4294967295
	s_addc_u32 s15, s15, (.LBB2_21756-.Lpost_getpc25213)>>32
	s_setpc_b64 s[14:15]
.LBB2_7418:
	s_or_b64 exec, exec, s[6:7]
	s_and_saveexec_b64 s[6:7], s[4:5]
	s_cbranch_execz .LBB2_7420
.LBB2_7419:
	v_bfe_u32 v2, v9, 24, 3
	v_ffbh_u32_e32 v7, v2
	v_min_u32_e32 v7, 32, v7
	v_lshrrev_b32_e32 v4, 27, v9
	v_subrev_u32_e32 v8, 28, v7
	v_and_b32_e32 v4, 15, v4
	v_lshlrev_b32_sdwa v8, v8, v9 dst_sel:DWORD dst_unused:UNUSED_PAD src0_sel:DWORD src1_sel:BYTE_3
	v_bfe_u32 v6, v9, 27, 4
	v_sub_u32_e32 v7, 29, v7
	v_and_b32_e32 v8, 7, v8
	v_cmp_eq_u16_e32 vcc, 0, v4
	v_cndmask_b32_e32 v2, v2, v8, vcc
	v_cndmask_b32_e32 v4, v6, v7, vcc
	v_mov_b32_e32 v6, 0x3b800000
	v_and_b32_e32 v3, 0x80000000, v9
	v_lshlrev_b32_e32 v2, 20, v2
	v_lshl_add_u32 v4, v4, 23, v6
	v_or3_b32 v2, v3, v4, v2
.LBB2_7420:
	s_or_b64 exec, exec, s[6:7]
	s_movk_i32 s4, 0x7f
	v_cmp_gt_i16_sdwa s[6:7], v5, s4 src0_sel:BYTE_3 src1_sel:DWORD
	s_mov_b64 s[4:5], 0
                                        ; implicit-def: $sgpr10
	s_and_saveexec_b64 s[8:9], s[6:7]
	s_xor_b64 s[6:7], exec, s[8:9]
	s_cbranch_execz .LBB2_7421
; %bb.43261:
	s_getpc_b64 s[14:15]
.Lpost_getpc25214:
	s_add_u32 s14, s14, (.LBB2_21757-.Lpost_getpc25214)&4294967295
	s_addc_u32 s15, s15, (.LBB2_21757-.Lpost_getpc25214)>>32
	s_setpc_b64 s[14:15]
.LBB2_7421:
	s_or_saveexec_b64 s[6:7], s[6:7]
	v_mov_b32_e32 v3, s10
	s_xor_b64 exec, exec, s[6:7]
	s_cbranch_execz .LBB2_7422
; %bb.43263:
	s_getpc_b64 s[14:15]
.Lpost_getpc25215:
	s_add_u32 s14, s14, (.LBB2_21760-.Lpost_getpc25215)&4294967295
	s_addc_u32 s15, s15, (.LBB2_21760-.Lpost_getpc25215)>>32
	s_setpc_b64 s[14:15]
.LBB2_7422:
	s_or_b64 exec, exec, s[6:7]
	s_and_saveexec_b64 s[6:7], s[4:5]
	s_cbranch_execz .LBB2_7424
.LBB2_7423:
	v_bfe_u32 v3, v5, 24, 3
	v_ffbh_u32_e32 v8, v3
	v_min_u32_e32 v8, 32, v8
	v_lshrrev_b32_e32 v6, 27, v5
	v_subrev_u32_e32 v9, 28, v8
	v_and_b32_e32 v4, 0x80000000, v5
	v_and_b32_e32 v6, 15, v6
	v_bfe_u32 v7, v5, 27, 4
	v_lshlrev_b32_sdwa v5, v9, v5 dst_sel:DWORD dst_unused:UNUSED_PAD src0_sel:DWORD src1_sel:BYTE_3
	v_sub_u32_e32 v8, 29, v8
	v_and_b32_e32 v5, 7, v5
	v_cmp_eq_u16_e32 vcc, 0, v6
	v_cndmask_b32_e32 v3, v3, v5, vcc
	v_cndmask_b32_e32 v5, v7, v8, vcc
	v_mov_b32_e32 v6, 0x3b800000
	v_lshlrev_b32_e32 v3, 20, v3
	v_lshl_add_u32 v5, v5, 23, v6
	v_or3_b32 v3, v4, v5, v3
.LBB2_7424:
	s_or_b64 exec, exec, s[6:7]
	s_nop 0
	v_mfma_f32_16x16x4f32 a[0:3], v2, v3, a[0:3]
	s_movk_i32 s4, 0x7f
                                        ; implicit-def: $sgpr10
	s_nop 7
	s_nop 1
	flat_store_dwordx4 v[10:11], a[0:3] offset:16
	flat_load_dwordx4 v[12:15], v[0:1]
	s_nop 0
	flat_load_dwordx2 v[10:11], v[0:1] offset:16
	s_waitcnt vmcnt(0) lgkmcnt(0)
	flat_load_dwordx4 v[6:9], v[12:13] offset:112
	flat_load_dwordx4 v[2:5], v[14:15] offset:160
	s_waitcnt vmcnt(0) lgkmcnt(0)
	v_cmp_gt_i16_sdwa s[6:7], v6, s4 src0_sel:BYTE_0 src1_sel:DWORD
	s_mov_b64 s[4:5], 0
	s_and_saveexec_b64 s[8:9], s[6:7]
	s_xor_b64 s[6:7], exec, s[8:9]
	s_cbranch_execz .LBB2_7425
; %bb.43265:
	s_getpc_b64 s[14:15]
.Lpost_getpc25216:
	s_add_u32 s14, s14, (.LBB2_21761-.Lpost_getpc25216)&4294967295
	s_addc_u32 s15, s15, (.LBB2_21761-.Lpost_getpc25216)>>32
	s_setpc_b64 s[14:15]
.LBB2_7425:
	s_or_saveexec_b64 s[6:7], s[6:7]
	v_mov_b32_e32 v12, s10
	s_xor_b64 exec, exec, s[6:7]
	s_cbranch_execz .LBB2_7426
; %bb.43267:
	s_getpc_b64 s[14:15]
.Lpost_getpc25217:
	s_add_u32 s14, s14, (.LBB2_21764-.Lpost_getpc25217)&4294967295
	s_addc_u32 s15, s15, (.LBB2_21764-.Lpost_getpc25217)>>32
	s_setpc_b64 s[14:15]
.LBB2_7426:
	s_or_b64 exec, exec, s[6:7]
	s_and_saveexec_b64 s[6:7], s[4:5]
	s_cbranch_execz .LBB2_7428
.LBB2_7427:
	v_and_b32_e32 v12, 7, v6
	v_ffbh_u32_e32 v14, v12
	v_min_u32_e32 v14, 32, v14
	v_lshrrev_b16_e32 v13, 3, v6
	v_subrev_u32_e32 v15, 28, v14
	v_and_b32_e32 v13, 15, v13
	v_lshlrev_b32_e32 v15, v15, v6
	v_sub_u32_e32 v14, 29, v14
	v_and_b32_e32 v15, 7, v15
	v_cmp_eq_u16_e32 vcc, 0, v13
	v_cndmask_b32_e32 v12, v12, v15, vcc
	v_cndmask_b32_e32 v13, v13, v14, vcc
	v_lshlrev_b32_e32 v14, 24, v6
	v_mov_b32_e32 v15, 0x3b800000
	v_lshlrev_b32_e32 v12, 20, v12
	v_and_b32_e32 v14, 0x80000000, v14
	v_lshl_add_u32 v13, v13, 23, v15
	v_or3_b32 v12, v14, v13, v12
.LBB2_7428:
	s_or_b64 exec, exec, s[6:7]
	s_movk_i32 s4, 0x7f
	v_cmp_gt_i16_sdwa s[6:7], v2, s4 src0_sel:BYTE_0 src1_sel:DWORD
	s_mov_b64 s[4:5], 0
                                        ; implicit-def: $sgpr10
	s_and_saveexec_b64 s[8:9], s[6:7]
	s_xor_b64 s[6:7], exec, s[8:9]
	s_cbranch_execz .LBB2_7429
; %bb.43269:
	s_getpc_b64 s[14:15]
.Lpost_getpc25218:
	s_add_u32 s14, s14, (.LBB2_21765-.Lpost_getpc25218)&4294967295
	s_addc_u32 s15, s15, (.LBB2_21765-.Lpost_getpc25218)>>32
	s_setpc_b64 s[14:15]
.LBB2_7429:
	s_or_saveexec_b64 s[6:7], s[6:7]
	v_mov_b32_e32 v13, s10
	s_xor_b64 exec, exec, s[6:7]
	s_cbranch_execz .LBB2_7430
; %bb.43271:
	s_getpc_b64 s[14:15]
.Lpost_getpc25219:
	s_add_u32 s14, s14, (.LBB2_21768-.Lpost_getpc25219)&4294967295
	s_addc_u32 s15, s15, (.LBB2_21768-.Lpost_getpc25219)>>32
	s_setpc_b64 s[14:15]
.LBB2_7430:
	s_or_b64 exec, exec, s[6:7]
	s_and_saveexec_b64 s[6:7], s[4:5]
	s_cbranch_execz .LBB2_7432
.LBB2_7431:
	v_and_b32_e32 v13, 7, v2
	v_ffbh_u32_e32 v15, v13
	v_min_u32_e32 v15, 32, v15
	v_lshrrev_b16_e32 v14, 3, v2
	v_subrev_u32_e32 v16, 28, v15
	v_and_b32_e32 v14, 15, v14
	v_lshlrev_b32_e32 v16, v16, v2
	v_sub_u32_e32 v15, 29, v15
	v_and_b32_e32 v16, 7, v16
	v_cmp_eq_u16_e32 vcc, 0, v14
	v_cndmask_b32_e32 v13, v13, v16, vcc
	v_cndmask_b32_e32 v14, v14, v15, vcc
	v_lshlrev_b32_e32 v15, 24, v2
	v_mov_b32_e32 v16, 0x3b800000
	v_lshlrev_b32_e32 v13, 20, v13
	v_and_b32_e32 v15, 0x80000000, v15
	v_lshl_add_u32 v14, v14, 23, v16
	v_or3_b32 v13, v15, v14, v13
.LBB2_7432:
	s_or_b64 exec, exec, s[6:7]
	flat_load_dwordx4 a[0:3], v[10:11] offset:32
	s_movk_i32 s4, 0x7f
                                        ; implicit-def: $sgpr10
	s_waitcnt vmcnt(0) lgkmcnt(0)
	v_mfma_f32_16x16x4f32 a[0:3], v12, v13, a[0:3]
	v_lshrrev_b32_e32 v13, 8, v6
	v_cmp_gt_i16_sdwa s[6:7], v13, s4 src0_sel:BYTE_0 src1_sel:DWORD
	s_mov_b64 s[4:5], 0
	s_and_saveexec_b64 s[8:9], s[6:7]
	s_xor_b64 s[6:7], exec, s[8:9]
	s_cbranch_execz .LBB2_7433
; %bb.43273:
	s_getpc_b64 s[14:15]
.Lpost_getpc25220:
	s_add_u32 s14, s14, (.LBB2_21769-.Lpost_getpc25220)&4294967295
	s_addc_u32 s15, s15, (.LBB2_21769-.Lpost_getpc25220)>>32
	s_setpc_b64 s[14:15]
.LBB2_7433:
	s_or_saveexec_b64 s[6:7], s[6:7]
	v_mov_b32_e32 v12, s10
	s_xor_b64 exec, exec, s[6:7]
	s_cbranch_execz .LBB2_7434
; %bb.43275:
	s_getpc_b64 s[14:15]
.Lpost_getpc25221:
	s_add_u32 s14, s14, (.LBB2_21772-.Lpost_getpc25221)&4294967295
	s_addc_u32 s15, s15, (.LBB2_21772-.Lpost_getpc25221)>>32
	s_setpc_b64 s[14:15]
.LBB2_7434:
	s_or_b64 exec, exec, s[6:7]
	s_and_saveexec_b64 s[6:7], s[4:5]
	s_cbranch_execz .LBB2_7436
.LBB2_7435:
	v_bfe_u32 v12, v6, 8, 3
	v_ffbh_u32_e32 v15, v12
	v_min_u32_e32 v15, 32, v15
	v_lshrrev_b16_e32 v14, 3, v13
	v_subrev_u32_e32 v16, 28, v15
	v_and_b32_e32 v14, 15, v14
	v_lshlrev_b32_e32 v13, v16, v13
	v_sub_u32_e32 v15, 29, v15
	v_and_b32_e32 v13, 7, v13
	v_cmp_eq_u16_e32 vcc, 0, v14
	v_cndmask_b32_e32 v12, v12, v13, vcc
	v_cndmask_b32_e32 v13, v14, v15, vcc
	v_lshlrev_b32_e32 v14, 16, v6
	v_mov_b32_e32 v15, 0x3b800000
	v_lshlrev_b32_e32 v12, 20, v12
	v_and_b32_e32 v14, 0x80000000, v14
	v_lshl_add_u32 v13, v13, 23, v15
	v_or3_b32 v12, v14, v13, v12
.LBB2_7436:
	s_or_b64 exec, exec, s[6:7]
	v_lshrrev_b32_e32 v13, 8, v2
	s_movk_i32 s4, 0x7f
	v_cmp_gt_i16_sdwa s[6:7], v13, s4 src0_sel:BYTE_0 src1_sel:DWORD
	s_mov_b64 s[4:5], 0
                                        ; implicit-def: $sgpr10
	s_and_saveexec_b64 s[8:9], s[6:7]
	s_xor_b64 s[6:7], exec, s[8:9]
	s_cbranch_execz .LBB2_7437
; %bb.43277:
	s_getpc_b64 s[14:15]
.Lpost_getpc25222:
	s_add_u32 s14, s14, (.LBB2_21773-.Lpost_getpc25222)&4294967295
	s_addc_u32 s15, s15, (.LBB2_21773-.Lpost_getpc25222)>>32
	s_setpc_b64 s[14:15]
.LBB2_7437:
	s_or_saveexec_b64 s[6:7], s[6:7]
	v_mov_b32_e32 v14, s10
	s_xor_b64 exec, exec, s[6:7]
	s_cbranch_execz .LBB2_7438
; %bb.43279:
	s_getpc_b64 s[14:15]
.Lpost_getpc25223:
	s_add_u32 s14, s14, (.LBB2_21776-.Lpost_getpc25223)&4294967295
	s_addc_u32 s15, s15, (.LBB2_21776-.Lpost_getpc25223)>>32
	s_setpc_b64 s[14:15]
.LBB2_7438:
	s_or_b64 exec, exec, s[6:7]
	s_and_saveexec_b64 s[6:7], s[4:5]
	s_cbranch_execz .LBB2_7440
.LBB2_7439:
	v_bfe_u32 v14, v2, 8, 3
	v_ffbh_u32_e32 v16, v14
	v_min_u32_e32 v16, 32, v16
	v_lshrrev_b16_e32 v15, 3, v13
	v_subrev_u32_e32 v17, 28, v16
	v_and_b32_e32 v15, 15, v15
	v_lshlrev_b32_e32 v13, v17, v13
	v_sub_u32_e32 v16, 29, v16
	v_and_b32_e32 v13, 7, v13
	v_cmp_eq_u16_e32 vcc, 0, v15
	v_cndmask_b32_e32 v13, v14, v13, vcc
	v_cndmask_b32_e32 v14, v15, v16, vcc
	v_lshlrev_b32_e32 v15, 16, v2
	v_mov_b32_e32 v16, 0x3b800000
	v_lshlrev_b32_e32 v13, 20, v13
	v_and_b32_e32 v15, 0x80000000, v15
	v_lshl_add_u32 v14, v14, 23, v16
	v_or3_b32 v14, v15, v14, v13
.LBB2_7440:
	s_or_b64 exec, exec, s[6:7]
	s_nop 0
	v_mfma_f32_16x16x4f32 a[0:3], v12, v14, a[0:3]
	s_movk_i32 s4, 0xff
	v_and_b32_sdwa v13, v6, s4 dst_sel:DWORD dst_unused:UNUSED_PAD src0_sel:WORD_1 src1_sel:DWORD
	s_movk_i32 s4, 0x7f
	v_cmp_lt_i16_e32 vcc, s4, v13
	s_mov_b64 s[4:5], 0
                                        ; implicit-def: $sgpr10
	s_and_saveexec_b64 s[6:7], vcc
	s_xor_b64 s[6:7], exec, s[6:7]
	s_cbranch_execz .LBB2_7441
; %bb.43281:
	s_getpc_b64 s[14:15]
.Lpost_getpc25224:
	s_add_u32 s14, s14, (.LBB2_21777-.Lpost_getpc25224)&4294967295
	s_addc_u32 s15, s15, (.LBB2_21777-.Lpost_getpc25224)>>32
	s_setpc_b64 s[14:15]
.LBB2_7441:
	s_or_saveexec_b64 s[6:7], s[6:7]
	v_mov_b32_e32 v12, s10
	s_xor_b64 exec, exec, s[6:7]
	s_cbranch_execz .LBB2_7442
; %bb.43283:
	s_getpc_b64 s[14:15]
.Lpost_getpc25225:
	s_add_u32 s14, s14, (.LBB2_21780-.Lpost_getpc25225)&4294967295
	s_addc_u32 s15, s15, (.LBB2_21780-.Lpost_getpc25225)>>32
	s_setpc_b64 s[14:15]
.LBB2_7442:
	s_or_b64 exec, exec, s[6:7]
	s_and_saveexec_b64 s[6:7], s[4:5]
	s_cbranch_execz .LBB2_7444
.LBB2_7443:
	v_bfe_u32 v12, v6, 16, 3
	v_ffbh_u32_e32 v15, v12
	v_min_u32_e32 v15, 32, v15
	v_lshrrev_b32_e32 v13, 19, v6
	v_subrev_u32_e32 v16, 28, v15
	v_and_b32_e32 v13, 15, v13
	v_lshlrev_b32_sdwa v16, v16, v6 dst_sel:DWORD dst_unused:UNUSED_PAD src0_sel:DWORD src1_sel:WORD_1
	v_bfe_u32 v14, v6, 19, 4
	v_sub_u32_e32 v15, 29, v15
	v_and_b32_e32 v16, 7, v16
	v_cmp_eq_u16_e32 vcc, 0, v13
	v_cndmask_b32_e32 v12, v12, v16, vcc
	v_cndmask_b32_e32 v13, v14, v15, vcc
	v_lshlrev_b32_e32 v14, 8, v6
	v_mov_b32_e32 v15, 0x3b800000
	v_lshlrev_b32_e32 v12, 20, v12
	v_and_b32_e32 v14, 0x80000000, v14
	v_lshl_add_u32 v13, v13, 23, v15
	v_or3_b32 v12, v14, v13, v12
.LBB2_7444:
	s_or_b64 exec, exec, s[6:7]
	s_movk_i32 s4, 0xff
	v_and_b32_sdwa v13, v2, s4 dst_sel:DWORD dst_unused:UNUSED_PAD src0_sel:WORD_1 src1_sel:DWORD
	s_movk_i32 s4, 0x7f
	v_cmp_lt_i16_e32 vcc, s4, v13
	s_mov_b64 s[4:5], 0
                                        ; implicit-def: $sgpr10
	s_and_saveexec_b64 s[6:7], vcc
	s_xor_b64 s[6:7], exec, s[6:7]
	s_cbranch_execz .LBB2_7445
; %bb.43285:
	s_getpc_b64 s[14:15]
.Lpost_getpc25226:
	s_add_u32 s14, s14, (.LBB2_21781-.Lpost_getpc25226)&4294967295
	s_addc_u32 s15, s15, (.LBB2_21781-.Lpost_getpc25226)>>32
	s_setpc_b64 s[14:15]
.LBB2_7445:
	s_or_saveexec_b64 s[6:7], s[6:7]
	v_mov_b32_e32 v14, s10
	s_xor_b64 exec, exec, s[6:7]
	s_cbranch_execz .LBB2_7446
; %bb.43287:
	s_getpc_b64 s[14:15]
.Lpost_getpc25227:
	s_add_u32 s14, s14, (.LBB2_21784-.Lpost_getpc25227)&4294967295
	s_addc_u32 s15, s15, (.LBB2_21784-.Lpost_getpc25227)>>32
	s_setpc_b64 s[14:15]
.LBB2_7446:
	s_or_b64 exec, exec, s[6:7]
	s_and_saveexec_b64 s[6:7], s[4:5]
	s_cbranch_execz .LBB2_7448
.LBB2_7447:
	v_bfe_u32 v13, v2, 16, 3
	v_ffbh_u32_e32 v16, v13
	v_min_u32_e32 v16, 32, v16
	v_lshrrev_b32_e32 v14, 19, v2
	v_subrev_u32_e32 v17, 28, v16
	v_and_b32_e32 v14, 15, v14
	v_lshlrev_b32_sdwa v17, v17, v2 dst_sel:DWORD dst_unused:UNUSED_PAD src0_sel:DWORD src1_sel:WORD_1
	v_bfe_u32 v15, v2, 19, 4
	v_sub_u32_e32 v16, 29, v16
	v_and_b32_e32 v17, 7, v17
	v_cmp_eq_u16_e32 vcc, 0, v14
	v_cndmask_b32_e32 v13, v13, v17, vcc
	v_cndmask_b32_e32 v14, v15, v16, vcc
	v_lshlrev_b32_e32 v15, 8, v2
	v_mov_b32_e32 v16, 0x3b800000
	v_lshlrev_b32_e32 v13, 20, v13
	v_and_b32_e32 v15, 0x80000000, v15
	v_lshl_add_u32 v14, v14, 23, v16
	v_or3_b32 v14, v15, v14, v13
.LBB2_7448:
	s_or_b64 exec, exec, s[6:7]
	s_nop 0
	v_mfma_f32_16x16x4f32 a[0:3], v12, v14, a[0:3]
	s_movk_i32 s4, 0x7f
	v_cmp_gt_i16_sdwa s[6:7], v6, s4 src0_sel:BYTE_3 src1_sel:DWORD
	s_mov_b64 s[4:5], 0
                                        ; implicit-def: $sgpr10
	s_and_saveexec_b64 s[8:9], s[6:7]
	s_xor_b64 s[6:7], exec, s[8:9]
	s_cbranch_execz .LBB2_7449
; %bb.43289:
	s_getpc_b64 s[14:15]
.Lpost_getpc25228:
	s_add_u32 s14, s14, (.LBB2_21785-.Lpost_getpc25228)&4294967295
	s_addc_u32 s15, s15, (.LBB2_21785-.Lpost_getpc25228)>>32
	s_setpc_b64 s[14:15]
.LBB2_7449:
	s_or_saveexec_b64 s[6:7], s[6:7]
	v_mov_b32_e32 v12, s10
	s_xor_b64 exec, exec, s[6:7]
	s_cbranch_execz .LBB2_7450
; %bb.43291:
	s_getpc_b64 s[14:15]
.Lpost_getpc25229:
	s_add_u32 s14, s14, (.LBB2_21788-.Lpost_getpc25229)&4294967295
	s_addc_u32 s15, s15, (.LBB2_21788-.Lpost_getpc25229)>>32
	s_setpc_b64 s[14:15]
.LBB2_7450:
	s_or_b64 exec, exec, s[6:7]
	s_and_saveexec_b64 s[6:7], s[4:5]
	s_cbranch_execz .LBB2_7452
.LBB2_7451:
	v_bfe_u32 v12, v6, 24, 3
	v_ffbh_u32_e32 v16, v12
	v_min_u32_e32 v16, 32, v16
	v_lshrrev_b32_e32 v14, 27, v6
	v_subrev_u32_e32 v17, 28, v16
	v_and_b32_e32 v13, 0x80000000, v6
	v_and_b32_e32 v14, 15, v14
	v_bfe_u32 v15, v6, 27, 4
	v_lshlrev_b32_sdwa v6, v17, v6 dst_sel:DWORD dst_unused:UNUSED_PAD src0_sel:DWORD src1_sel:BYTE_3
	v_sub_u32_e32 v16, 29, v16
	v_and_b32_e32 v6, 7, v6
	v_cmp_eq_u16_e32 vcc, 0, v14
	v_cndmask_b32_e32 v6, v12, v6, vcc
	v_cndmask_b32_e32 v12, v15, v16, vcc
	v_mov_b32_e32 v14, 0x3b800000
	v_lshlrev_b32_e32 v6, 20, v6
	v_lshl_add_u32 v12, v12, 23, v14
	v_or3_b32 v12, v13, v12, v6
.LBB2_7452:
	s_or_b64 exec, exec, s[6:7]
	s_movk_i32 s4, 0x7f
	v_cmp_gt_i16_sdwa s[6:7], v2, s4 src0_sel:BYTE_3 src1_sel:DWORD
	s_mov_b64 s[4:5], 0
                                        ; implicit-def: $sgpr10
	s_and_saveexec_b64 s[8:9], s[6:7]
	s_xor_b64 s[6:7], exec, s[8:9]
	s_cbranch_execz .LBB2_7453
; %bb.43293:
	s_getpc_b64 s[14:15]
.Lpost_getpc25230:
	s_add_u32 s14, s14, (.LBB2_21789-.Lpost_getpc25230)&4294967295
	s_addc_u32 s15, s15, (.LBB2_21789-.Lpost_getpc25230)>>32
	s_setpc_b64 s[14:15]
.LBB2_7453:
	s_or_saveexec_b64 s[6:7], s[6:7]
	v_mov_b32_e32 v6, s10
	s_xor_b64 exec, exec, s[6:7]
	s_cbranch_execz .LBB2_7454
; %bb.43295:
	s_getpc_b64 s[14:15]
.Lpost_getpc25231:
	s_add_u32 s14, s14, (.LBB2_21792-.Lpost_getpc25231)&4294967295
	s_addc_u32 s15, s15, (.LBB2_21792-.Lpost_getpc25231)>>32
	s_setpc_b64 s[14:15]
.LBB2_7454:
	s_or_b64 exec, exec, s[6:7]
	s_and_saveexec_b64 s[6:7], s[4:5]
	s_cbranch_execz .LBB2_7456
.LBB2_7455:
	v_bfe_u32 v6, v2, 24, 3
	v_ffbh_u32_e32 v16, v6
	v_min_u32_e32 v16, 32, v16
	v_lshrrev_b32_e32 v14, 27, v2
	v_subrev_u32_e32 v17, 28, v16
	v_and_b32_e32 v13, 0x80000000, v2
	v_and_b32_e32 v14, 15, v14
	v_bfe_u32 v15, v2, 27, 4
	v_lshlrev_b32_sdwa v2, v17, v2 dst_sel:DWORD dst_unused:UNUSED_PAD src0_sel:DWORD src1_sel:BYTE_3
	v_sub_u32_e32 v16, 29, v16
	v_and_b32_e32 v2, 7, v2
	v_cmp_eq_u16_e32 vcc, 0, v14
	v_cndmask_b32_e32 v2, v6, v2, vcc
	v_cndmask_b32_e32 v6, v15, v16, vcc
	v_mov_b32_e32 v14, 0x3b800000
	v_lshlrev_b32_e32 v2, 20, v2
	v_lshl_add_u32 v6, v6, 23, v14
	v_or3_b32 v6, v13, v6, v2
.LBB2_7456:
	s_or_b64 exec, exec, s[6:7]
	s_nop 0
	v_mfma_f32_16x16x4f32 a[0:3], v12, v6, a[0:3]
	s_movk_i32 s4, 0x7f
	v_cmp_gt_i16_sdwa s[6:7], v7, s4 src0_sel:BYTE_0 src1_sel:DWORD
	s_mov_b64 s[4:5], 0
                                        ; implicit-def: $sgpr10
	s_and_saveexec_b64 s[8:9], s[6:7]
	s_xor_b64 s[6:7], exec, s[8:9]
	s_cbranch_execz .LBB2_7457
; %bb.43297:
	s_getpc_b64 s[14:15]
.Lpost_getpc25232:
	s_add_u32 s14, s14, (.LBB2_21793-.Lpost_getpc25232)&4294967295
	s_addc_u32 s15, s15, (.LBB2_21793-.Lpost_getpc25232)>>32
	s_setpc_b64 s[14:15]
.LBB2_7457:
	s_or_saveexec_b64 s[6:7], s[6:7]
	v_mov_b32_e32 v2, s10
	s_xor_b64 exec, exec, s[6:7]
	s_cbranch_execz .LBB2_7458
; %bb.43299:
	s_getpc_b64 s[14:15]
.Lpost_getpc25233:
	s_add_u32 s14, s14, (.LBB2_21796-.Lpost_getpc25233)&4294967295
	s_addc_u32 s15, s15, (.LBB2_21796-.Lpost_getpc25233)>>32
	s_setpc_b64 s[14:15]
.LBB2_7458:
	s_or_b64 exec, exec, s[6:7]
	s_and_saveexec_b64 s[6:7], s[4:5]
	s_cbranch_execz .LBB2_7460
.LBB2_7459:
	v_and_b32_e32 v2, 7, v7
	v_ffbh_u32_e32 v12, v2
	v_min_u32_e32 v12, 32, v12
	v_lshrrev_b16_e32 v6, 3, v7
	v_subrev_u32_e32 v13, 28, v12
	v_and_b32_e32 v6, 15, v6
	v_lshlrev_b32_e32 v13, v13, v7
	v_sub_u32_e32 v12, 29, v12
	v_and_b32_e32 v13, 7, v13
	v_cmp_eq_u16_e32 vcc, 0, v6
	v_cndmask_b32_e32 v2, v2, v13, vcc
	v_cndmask_b32_e32 v6, v6, v12, vcc
	v_lshlrev_b32_e32 v12, 24, v7
	v_mov_b32_e32 v13, 0x3b800000
	v_lshlrev_b32_e32 v2, 20, v2
	v_and_b32_e32 v12, 0x80000000, v12
	v_lshl_add_u32 v6, v6, 23, v13
	v_or3_b32 v2, v12, v6, v2
.LBB2_7460:
	s_or_b64 exec, exec, s[6:7]
	s_movk_i32 s4, 0x7f
	v_cmp_gt_i16_sdwa s[6:7], v3, s4 src0_sel:BYTE_0 src1_sel:DWORD
	s_mov_b64 s[4:5], 0
                                        ; implicit-def: $sgpr10
	s_and_saveexec_b64 s[8:9], s[6:7]
	s_xor_b64 s[6:7], exec, s[8:9]
	s_cbranch_execz .LBB2_7461
; %bb.43301:
	s_getpc_b64 s[14:15]
.Lpost_getpc25234:
	s_add_u32 s14, s14, (.LBB2_21797-.Lpost_getpc25234)&4294967295
	s_addc_u32 s15, s15, (.LBB2_21797-.Lpost_getpc25234)>>32
	s_setpc_b64 s[14:15]
.LBB2_7461:
	s_or_saveexec_b64 s[6:7], s[6:7]
	v_mov_b32_e32 v6, s10
	s_xor_b64 exec, exec, s[6:7]
	s_cbranch_execz .LBB2_7462
; %bb.43303:
	s_getpc_b64 s[14:15]
.Lpost_getpc25235:
	s_add_u32 s14, s14, (.LBB2_21800-.Lpost_getpc25235)&4294967295
	s_addc_u32 s15, s15, (.LBB2_21800-.Lpost_getpc25235)>>32
	s_setpc_b64 s[14:15]
.LBB2_7462:
	s_or_b64 exec, exec, s[6:7]
	s_and_saveexec_b64 s[6:7], s[4:5]
	s_cbranch_execz .LBB2_7464
.LBB2_7463:
	v_and_b32_e32 v6, 7, v3
	v_ffbh_u32_e32 v13, v6
	v_min_u32_e32 v13, 32, v13
	v_lshrrev_b16_e32 v12, 3, v3
	v_subrev_u32_e32 v14, 28, v13
	v_and_b32_e32 v12, 15, v12
	v_lshlrev_b32_e32 v14, v14, v3
	v_sub_u32_e32 v13, 29, v13
	v_and_b32_e32 v14, 7, v14
	v_cmp_eq_u16_e32 vcc, 0, v12
	v_cndmask_b32_e32 v6, v6, v14, vcc
	v_cndmask_b32_e32 v12, v12, v13, vcc
	v_lshlrev_b32_e32 v13, 24, v3
	v_mov_b32_e32 v14, 0x3b800000
	v_lshlrev_b32_e32 v6, 20, v6
	v_and_b32_e32 v13, 0x80000000, v13
	v_lshl_add_u32 v12, v12, 23, v14
	v_or3_b32 v6, v13, v12, v6
.LBB2_7464:
	s_or_b64 exec, exec, s[6:7]
	s_nop 0
	v_mfma_f32_16x16x4f32 a[0:3], v2, v6, a[0:3]
	v_lshrrev_b32_e32 v6, 8, v7
	s_movk_i32 s4, 0x7f
	v_cmp_gt_i16_sdwa s[6:7], v6, s4 src0_sel:BYTE_0 src1_sel:DWORD
	s_mov_b64 s[4:5], 0
                                        ; implicit-def: $sgpr10
	s_and_saveexec_b64 s[8:9], s[6:7]
	s_xor_b64 s[6:7], exec, s[8:9]
	s_cbranch_execz .LBB2_7465
; %bb.43305:
	s_getpc_b64 s[14:15]
.Lpost_getpc25236:
	s_add_u32 s14, s14, (.LBB2_21801-.Lpost_getpc25236)&4294967295
	s_addc_u32 s15, s15, (.LBB2_21801-.Lpost_getpc25236)>>32
	s_setpc_b64 s[14:15]
.LBB2_7465:
	s_or_saveexec_b64 s[6:7], s[6:7]
	v_mov_b32_e32 v2, s10
	s_xor_b64 exec, exec, s[6:7]
	s_cbranch_execz .LBB2_7466
; %bb.43307:
	s_getpc_b64 s[14:15]
.Lpost_getpc25237:
	s_add_u32 s14, s14, (.LBB2_21804-.Lpost_getpc25237)&4294967295
	s_addc_u32 s15, s15, (.LBB2_21804-.Lpost_getpc25237)>>32
	s_setpc_b64 s[14:15]
.LBB2_7466:
	s_or_b64 exec, exec, s[6:7]
	s_and_saveexec_b64 s[6:7], s[4:5]
	s_cbranch_execz .LBB2_7468
.LBB2_7467:
	v_bfe_u32 v2, v7, 8, 3
	v_ffbh_u32_e32 v13, v2
	v_min_u32_e32 v13, 32, v13
	v_lshrrev_b16_e32 v12, 3, v6
	v_subrev_u32_e32 v14, 28, v13
	v_and_b32_e32 v12, 15, v12
	v_lshlrev_b32_e32 v6, v14, v6
	v_sub_u32_e32 v13, 29, v13
	v_and_b32_e32 v6, 7, v6
	v_cmp_eq_u16_e32 vcc, 0, v12
	v_cndmask_b32_e32 v2, v2, v6, vcc
	v_cndmask_b32_e32 v6, v12, v13, vcc
	v_lshlrev_b32_e32 v12, 16, v7
	v_mov_b32_e32 v13, 0x3b800000
	v_lshlrev_b32_e32 v2, 20, v2
	v_and_b32_e32 v12, 0x80000000, v12
	v_lshl_add_u32 v6, v6, 23, v13
	v_or3_b32 v2, v12, v6, v2
.LBB2_7468:
	s_or_b64 exec, exec, s[6:7]
	v_lshrrev_b32_e32 v6, 8, v3
	s_movk_i32 s4, 0x7f
	v_cmp_gt_i16_sdwa s[6:7], v6, s4 src0_sel:BYTE_0 src1_sel:DWORD
	s_mov_b64 s[4:5], 0
                                        ; implicit-def: $sgpr10
	s_and_saveexec_b64 s[8:9], s[6:7]
	s_xor_b64 s[6:7], exec, s[8:9]
	s_cbranch_execz .LBB2_7469
; %bb.43309:
	s_getpc_b64 s[14:15]
.Lpost_getpc25238:
	s_add_u32 s14, s14, (.LBB2_21805-.Lpost_getpc25238)&4294967295
	s_addc_u32 s15, s15, (.LBB2_21805-.Lpost_getpc25238)>>32
	s_setpc_b64 s[14:15]
.LBB2_7469:
	s_or_saveexec_b64 s[6:7], s[6:7]
	v_mov_b32_e32 v12, s10
	s_xor_b64 exec, exec, s[6:7]
	s_cbranch_execz .LBB2_7470
; %bb.43311:
	s_getpc_b64 s[14:15]
.Lpost_getpc25239:
	s_add_u32 s14, s14, (.LBB2_21808-.Lpost_getpc25239)&4294967295
	s_addc_u32 s15, s15, (.LBB2_21808-.Lpost_getpc25239)>>32
	s_setpc_b64 s[14:15]
.LBB2_7470:
	s_or_b64 exec, exec, s[6:7]
	s_and_saveexec_b64 s[6:7], s[4:5]
	s_cbranch_execz .LBB2_7472
.LBB2_7471:
	v_bfe_u32 v12, v3, 8, 3
	v_ffbh_u32_e32 v14, v12
	v_min_u32_e32 v14, 32, v14
	v_lshrrev_b16_e32 v13, 3, v6
	v_subrev_u32_e32 v15, 28, v14
	v_and_b32_e32 v13, 15, v13
	v_lshlrev_b32_e32 v6, v15, v6
	v_sub_u32_e32 v14, 29, v14
	v_and_b32_e32 v6, 7, v6
	v_cmp_eq_u16_e32 vcc, 0, v13
	v_cndmask_b32_e32 v6, v12, v6, vcc
	v_cndmask_b32_e32 v12, v13, v14, vcc
	v_lshlrev_b32_e32 v13, 16, v3
	v_mov_b32_e32 v14, 0x3b800000
	v_lshlrev_b32_e32 v6, 20, v6
	v_and_b32_e32 v13, 0x80000000, v13
	v_lshl_add_u32 v12, v12, 23, v14
	v_or3_b32 v12, v13, v12, v6
.LBB2_7472:
	s_or_b64 exec, exec, s[6:7]
	s_nop 0
	v_mfma_f32_16x16x4f32 a[0:3], v2, v12, a[0:3]
	s_movk_i32 s4, 0xff
	v_and_b32_sdwa v6, v7, s4 dst_sel:DWORD dst_unused:UNUSED_PAD src0_sel:WORD_1 src1_sel:DWORD
	s_movk_i32 s4, 0x7f
	v_cmp_lt_i16_e32 vcc, s4, v6
	s_mov_b64 s[4:5], 0
                                        ; implicit-def: $sgpr10
	s_and_saveexec_b64 s[6:7], vcc
	s_xor_b64 s[6:7], exec, s[6:7]
	s_cbranch_execz .LBB2_7473
; %bb.43313:
	s_getpc_b64 s[14:15]
.Lpost_getpc25240:
	s_add_u32 s14, s14, (.LBB2_21809-.Lpost_getpc25240)&4294967295
	s_addc_u32 s15, s15, (.LBB2_21809-.Lpost_getpc25240)>>32
	s_setpc_b64 s[14:15]
.LBB2_7473:
	s_or_saveexec_b64 s[6:7], s[6:7]
	v_mov_b32_e32 v2, s10
	s_xor_b64 exec, exec, s[6:7]
	s_cbranch_execz .LBB2_7474
; %bb.43315:
	s_getpc_b64 s[14:15]
.Lpost_getpc25241:
	s_add_u32 s14, s14, (.LBB2_21812-.Lpost_getpc25241)&4294967295
	s_addc_u32 s15, s15, (.LBB2_21812-.Lpost_getpc25241)>>32
	s_setpc_b64 s[14:15]
.LBB2_7474:
	s_or_b64 exec, exec, s[6:7]
	s_and_saveexec_b64 s[6:7], s[4:5]
	s_cbranch_execz .LBB2_7476
.LBB2_7475:
	v_bfe_u32 v2, v7, 16, 3
	v_ffbh_u32_e32 v13, v2
	v_min_u32_e32 v13, 32, v13
	v_lshrrev_b32_e32 v6, 19, v7
	v_subrev_u32_e32 v14, 28, v13
	v_and_b32_e32 v6, 15, v6
	v_lshlrev_b32_sdwa v14, v14, v7 dst_sel:DWORD dst_unused:UNUSED_PAD src0_sel:DWORD src1_sel:WORD_1
	v_bfe_u32 v12, v7, 19, 4
	v_sub_u32_e32 v13, 29, v13
	v_and_b32_e32 v14, 7, v14
	v_cmp_eq_u16_e32 vcc, 0, v6
	v_cndmask_b32_e32 v2, v2, v14, vcc
	v_cndmask_b32_e32 v6, v12, v13, vcc
	v_lshlrev_b32_e32 v12, 8, v7
	v_mov_b32_e32 v13, 0x3b800000
	v_lshlrev_b32_e32 v2, 20, v2
	v_and_b32_e32 v12, 0x80000000, v12
	v_lshl_add_u32 v6, v6, 23, v13
	v_or3_b32 v2, v12, v6, v2
.LBB2_7476:
	s_or_b64 exec, exec, s[6:7]
	s_movk_i32 s4, 0xff
	v_and_b32_sdwa v6, v3, s4 dst_sel:DWORD dst_unused:UNUSED_PAD src0_sel:WORD_1 src1_sel:DWORD
	s_movk_i32 s4, 0x7f
	v_cmp_lt_i16_e32 vcc, s4, v6
	s_mov_b64 s[4:5], 0
                                        ; implicit-def: $sgpr10
	s_and_saveexec_b64 s[6:7], vcc
	s_xor_b64 s[6:7], exec, s[6:7]
	s_cbranch_execz .LBB2_7477
; %bb.43317:
	s_getpc_b64 s[14:15]
.Lpost_getpc25242:
	s_add_u32 s14, s14, (.LBB2_21813-.Lpost_getpc25242)&4294967295
	s_addc_u32 s15, s15, (.LBB2_21813-.Lpost_getpc25242)>>32
	s_setpc_b64 s[14:15]
.LBB2_7477:
	s_or_saveexec_b64 s[6:7], s[6:7]
	v_mov_b32_e32 v12, s10
	s_xor_b64 exec, exec, s[6:7]
	s_cbranch_execz .LBB2_7478
; %bb.43319:
	s_getpc_b64 s[14:15]
.Lpost_getpc25243:
	s_add_u32 s14, s14, (.LBB2_21816-.Lpost_getpc25243)&4294967295
	s_addc_u32 s15, s15, (.LBB2_21816-.Lpost_getpc25243)>>32
	s_setpc_b64 s[14:15]
.LBB2_7478:
	s_or_b64 exec, exec, s[6:7]
	s_and_saveexec_b64 s[6:7], s[4:5]
	s_cbranch_execz .LBB2_7480
.LBB2_7479:
	v_bfe_u32 v6, v3, 16, 3
	v_ffbh_u32_e32 v14, v6
	v_min_u32_e32 v14, 32, v14
	v_lshrrev_b32_e32 v12, 19, v3
	v_subrev_u32_e32 v15, 28, v14
	v_and_b32_e32 v12, 15, v12
	v_lshlrev_b32_sdwa v15, v15, v3 dst_sel:DWORD dst_unused:UNUSED_PAD src0_sel:DWORD src1_sel:WORD_1
	v_bfe_u32 v13, v3, 19, 4
	v_sub_u32_e32 v14, 29, v14
	v_and_b32_e32 v15, 7, v15
	v_cmp_eq_u16_e32 vcc, 0, v12
	v_cndmask_b32_e32 v6, v6, v15, vcc
	v_cndmask_b32_e32 v12, v13, v14, vcc
	v_lshlrev_b32_e32 v13, 8, v3
	v_mov_b32_e32 v14, 0x3b800000
	v_lshlrev_b32_e32 v6, 20, v6
	v_and_b32_e32 v13, 0x80000000, v13
	v_lshl_add_u32 v12, v12, 23, v14
	v_or3_b32 v12, v13, v12, v6
.LBB2_7480:
	s_or_b64 exec, exec, s[6:7]
	s_nop 0
	v_mfma_f32_16x16x4f32 a[0:3], v2, v12, a[0:3]
	s_movk_i32 s4, 0x7f
	v_cmp_gt_i16_sdwa s[6:7], v7, s4 src0_sel:BYTE_3 src1_sel:DWORD
	s_mov_b64 s[4:5], 0
                                        ; implicit-def: $sgpr10
	s_and_saveexec_b64 s[8:9], s[6:7]
	s_xor_b64 s[6:7], exec, s[8:9]
	s_cbranch_execz .LBB2_7481
; %bb.43321:
	s_getpc_b64 s[14:15]
.Lpost_getpc25244:
	s_add_u32 s14, s14, (.LBB2_21817-.Lpost_getpc25244)&4294967295
	s_addc_u32 s15, s15, (.LBB2_21817-.Lpost_getpc25244)>>32
	s_setpc_b64 s[14:15]
.LBB2_7481:
	s_or_saveexec_b64 s[6:7], s[6:7]
	v_mov_b32_e32 v2, s10
	s_xor_b64 exec, exec, s[6:7]
	s_cbranch_execz .LBB2_7482
; %bb.43323:
	s_getpc_b64 s[14:15]
.Lpost_getpc25245:
	s_add_u32 s14, s14, (.LBB2_21820-.Lpost_getpc25245)&4294967295
	s_addc_u32 s15, s15, (.LBB2_21820-.Lpost_getpc25245)>>32
	s_setpc_b64 s[14:15]
.LBB2_7482:
	s_or_b64 exec, exec, s[6:7]
	s_and_saveexec_b64 s[6:7], s[4:5]
	s_cbranch_execz .LBB2_7484
.LBB2_7483:
	v_bfe_u32 v2, v7, 24, 3
	v_ffbh_u32_e32 v14, v2
	v_min_u32_e32 v14, 32, v14
	v_lshrrev_b32_e32 v12, 27, v7
	v_subrev_u32_e32 v15, 28, v14
	v_and_b32_e32 v6, 0x80000000, v7
	v_and_b32_e32 v12, 15, v12
	v_bfe_u32 v13, v7, 27, 4
	v_lshlrev_b32_sdwa v7, v15, v7 dst_sel:DWORD dst_unused:UNUSED_PAD src0_sel:DWORD src1_sel:BYTE_3
	v_sub_u32_e32 v14, 29, v14
	v_and_b32_e32 v7, 7, v7
	v_cmp_eq_u16_e32 vcc, 0, v12
	v_cndmask_b32_e32 v2, v2, v7, vcc
	v_cndmask_b32_e32 v7, v13, v14, vcc
	v_mov_b32_e32 v12, 0x3b800000
	v_lshlrev_b32_e32 v2, 20, v2
	v_lshl_add_u32 v7, v7, 23, v12
	v_or3_b32 v2, v6, v7, v2
.LBB2_7484:
	s_or_b64 exec, exec, s[6:7]
	s_movk_i32 s4, 0x7f
	v_cmp_gt_i16_sdwa s[6:7], v3, s4 src0_sel:BYTE_3 src1_sel:DWORD
	s_mov_b64 s[4:5], 0
                                        ; implicit-def: $sgpr10
	s_and_saveexec_b64 s[8:9], s[6:7]
	s_xor_b64 s[6:7], exec, s[8:9]
	s_cbranch_execz .LBB2_7485
; %bb.43325:
	s_getpc_b64 s[14:15]
.Lpost_getpc25246:
	s_add_u32 s14, s14, (.LBB2_21821-.Lpost_getpc25246)&4294967295
	s_addc_u32 s15, s15, (.LBB2_21821-.Lpost_getpc25246)>>32
	s_setpc_b64 s[14:15]
.LBB2_7485:
	s_or_saveexec_b64 s[6:7], s[6:7]
	v_mov_b32_e32 v6, s10
	s_xor_b64 exec, exec, s[6:7]
	s_cbranch_execz .LBB2_7486
; %bb.43327:
	s_getpc_b64 s[14:15]
.Lpost_getpc25247:
	s_add_u32 s14, s14, (.LBB2_21824-.Lpost_getpc25247)&4294967295
	s_addc_u32 s15, s15, (.LBB2_21824-.Lpost_getpc25247)>>32
	s_setpc_b64 s[14:15]
.LBB2_7486:
	s_or_b64 exec, exec, s[6:7]
	s_and_saveexec_b64 s[6:7], s[4:5]
	s_cbranch_execz .LBB2_7488
.LBB2_7487:
	v_bfe_u32 v6, v3, 24, 3
	v_ffbh_u32_e32 v14, v6
	v_min_u32_e32 v14, 32, v14
	v_lshrrev_b32_e32 v12, 27, v3
	v_subrev_u32_e32 v15, 28, v14
	v_and_b32_e32 v7, 0x80000000, v3
	v_and_b32_e32 v12, 15, v12
	v_bfe_u32 v13, v3, 27, 4
	v_lshlrev_b32_sdwa v3, v15, v3 dst_sel:DWORD dst_unused:UNUSED_PAD src0_sel:DWORD src1_sel:BYTE_3
	v_sub_u32_e32 v14, 29, v14
	v_and_b32_e32 v3, 7, v3
	v_cmp_eq_u16_e32 vcc, 0, v12
	v_cndmask_b32_e32 v3, v6, v3, vcc
	v_cndmask_b32_e32 v6, v13, v14, vcc
	v_mov_b32_e32 v12, 0x3b800000
	v_lshlrev_b32_e32 v3, 20, v3
	v_lshl_add_u32 v6, v6, 23, v12
	v_or3_b32 v6, v7, v6, v3
.LBB2_7488:
	s_or_b64 exec, exec, s[6:7]
	s_nop 0
	v_mfma_f32_16x16x4f32 a[0:3], v2, v6, a[0:3]
	s_movk_i32 s4, 0x7f
	v_cmp_gt_i16_sdwa s[6:7], v8, s4 src0_sel:BYTE_0 src1_sel:DWORD
	s_mov_b64 s[4:5], 0
                                        ; implicit-def: $sgpr10
	s_and_saveexec_b64 s[8:9], s[6:7]
	s_xor_b64 s[6:7], exec, s[8:9]
	s_cbranch_execz .LBB2_7489
; %bb.43329:
	s_getpc_b64 s[14:15]
.Lpost_getpc25248:
	s_add_u32 s14, s14, (.LBB2_21825-.Lpost_getpc25248)&4294967295
	s_addc_u32 s15, s15, (.LBB2_21825-.Lpost_getpc25248)>>32
	s_setpc_b64 s[14:15]
.LBB2_7489:
	s_or_saveexec_b64 s[6:7], s[6:7]
	v_mov_b32_e32 v2, s10
	s_xor_b64 exec, exec, s[6:7]
	s_cbranch_execz .LBB2_7490
; %bb.43331:
	s_getpc_b64 s[14:15]
.Lpost_getpc25249:
	s_add_u32 s14, s14, (.LBB2_21828-.Lpost_getpc25249)&4294967295
	s_addc_u32 s15, s15, (.LBB2_21828-.Lpost_getpc25249)>>32
	s_setpc_b64 s[14:15]
.LBB2_7490:
	s_or_b64 exec, exec, s[6:7]
	s_and_saveexec_b64 s[6:7], s[4:5]
	s_cbranch_execz .LBB2_7492
.LBB2_7491:
	v_and_b32_e32 v2, 7, v8
	v_ffbh_u32_e32 v6, v2
	v_min_u32_e32 v6, 32, v6
	v_lshrrev_b16_e32 v3, 3, v8
	v_subrev_u32_e32 v7, 28, v6
	v_and_b32_e32 v3, 15, v3
	v_lshlrev_b32_e32 v7, v7, v8
	v_sub_u32_e32 v6, 29, v6
	v_and_b32_e32 v7, 7, v7
	v_cmp_eq_u16_e32 vcc, 0, v3
	v_cndmask_b32_e32 v2, v2, v7, vcc
	v_cndmask_b32_e32 v3, v3, v6, vcc
	v_lshlrev_b32_e32 v6, 24, v8
	v_mov_b32_e32 v7, 0x3b800000
	v_lshlrev_b32_e32 v2, 20, v2
	v_and_b32_e32 v6, 0x80000000, v6
	v_lshl_add_u32 v3, v3, 23, v7
	v_or3_b32 v2, v6, v3, v2
.LBB2_7492:
	s_or_b64 exec, exec, s[6:7]
	s_movk_i32 s4, 0x7f
	v_cmp_gt_i16_sdwa s[6:7], v4, s4 src0_sel:BYTE_0 src1_sel:DWORD
	s_mov_b64 s[4:5], 0
                                        ; implicit-def: $sgpr10
	s_and_saveexec_b64 s[8:9], s[6:7]
	s_xor_b64 s[6:7], exec, s[8:9]
	s_cbranch_execz .LBB2_7493
; %bb.43333:
	s_getpc_b64 s[14:15]
.Lpost_getpc25250:
	s_add_u32 s14, s14, (.LBB2_21829-.Lpost_getpc25250)&4294967295
	s_addc_u32 s15, s15, (.LBB2_21829-.Lpost_getpc25250)>>32
	s_setpc_b64 s[14:15]
.LBB2_7493:
	s_or_saveexec_b64 s[6:7], s[6:7]
	v_mov_b32_e32 v3, s10
	s_xor_b64 exec, exec, s[6:7]
	s_cbranch_execz .LBB2_7494
; %bb.43335:
	s_getpc_b64 s[14:15]
.Lpost_getpc25251:
	s_add_u32 s14, s14, (.LBB2_21832-.Lpost_getpc25251)&4294967295
	s_addc_u32 s15, s15, (.LBB2_21832-.Lpost_getpc25251)>>32
	s_setpc_b64 s[14:15]
.LBB2_7494:
	s_or_b64 exec, exec, s[6:7]
	s_and_saveexec_b64 s[6:7], s[4:5]
	s_cbranch_execz .LBB2_7496
.LBB2_7495:
	v_and_b32_e32 v3, 7, v4
	v_ffbh_u32_e32 v7, v3
	v_min_u32_e32 v7, 32, v7
	v_lshrrev_b16_e32 v6, 3, v4
	v_subrev_u32_e32 v12, 28, v7
	v_and_b32_e32 v6, 15, v6
	v_lshlrev_b32_e32 v12, v12, v4
	v_sub_u32_e32 v7, 29, v7
	v_and_b32_e32 v12, 7, v12
	v_cmp_eq_u16_e32 vcc, 0, v6
	v_cndmask_b32_e32 v3, v3, v12, vcc
	v_cndmask_b32_e32 v6, v6, v7, vcc
	v_lshlrev_b32_e32 v7, 24, v4
	v_mov_b32_e32 v12, 0x3b800000
	v_lshlrev_b32_e32 v3, 20, v3
	v_and_b32_e32 v7, 0x80000000, v7
	v_lshl_add_u32 v6, v6, 23, v12
	v_or3_b32 v3, v7, v6, v3
.LBB2_7496:
	s_or_b64 exec, exec, s[6:7]
	s_nop 0
	v_mfma_f32_16x16x4f32 a[0:3], v2, v3, a[0:3]
	v_lshrrev_b32_e32 v3, 8, v8
	s_movk_i32 s4, 0x7f
	v_cmp_gt_i16_sdwa s[6:7], v3, s4 src0_sel:BYTE_0 src1_sel:DWORD
	s_mov_b64 s[4:5], 0
                                        ; implicit-def: $sgpr10
	s_and_saveexec_b64 s[8:9], s[6:7]
	s_xor_b64 s[6:7], exec, s[8:9]
	s_cbranch_execz .LBB2_7497
; %bb.43337:
	s_getpc_b64 s[14:15]
.Lpost_getpc25252:
	s_add_u32 s14, s14, (.LBB2_21833-.Lpost_getpc25252)&4294967295
	s_addc_u32 s15, s15, (.LBB2_21833-.Lpost_getpc25252)>>32
	s_setpc_b64 s[14:15]
.LBB2_7497:
	s_or_saveexec_b64 s[6:7], s[6:7]
	v_mov_b32_e32 v2, s10
	s_xor_b64 exec, exec, s[6:7]
	s_cbranch_execz .LBB2_7498
; %bb.43339:
	s_getpc_b64 s[14:15]
.Lpost_getpc25253:
	s_add_u32 s14, s14, (.LBB2_21836-.Lpost_getpc25253)&4294967295
	s_addc_u32 s15, s15, (.LBB2_21836-.Lpost_getpc25253)>>32
	s_setpc_b64 s[14:15]
.LBB2_7498:
	s_or_b64 exec, exec, s[6:7]
	s_and_saveexec_b64 s[6:7], s[4:5]
	s_cbranch_execz .LBB2_7500
.LBB2_7499:
	v_bfe_u32 v2, v8, 8, 3
	v_ffbh_u32_e32 v7, v2
	v_min_u32_e32 v7, 32, v7
	v_lshrrev_b16_e32 v6, 3, v3
	v_subrev_u32_e32 v12, 28, v7
	v_and_b32_e32 v6, 15, v6
	v_lshlrev_b32_e32 v3, v12, v3
	v_sub_u32_e32 v7, 29, v7
	v_and_b32_e32 v3, 7, v3
	v_cmp_eq_u16_e32 vcc, 0, v6
	v_cndmask_b32_e32 v2, v2, v3, vcc
	v_cndmask_b32_e32 v3, v6, v7, vcc
	v_lshlrev_b32_e32 v6, 16, v8
	v_mov_b32_e32 v7, 0x3b800000
	v_lshlrev_b32_e32 v2, 20, v2
	v_and_b32_e32 v6, 0x80000000, v6
	v_lshl_add_u32 v3, v3, 23, v7
	v_or3_b32 v2, v6, v3, v2
.LBB2_7500:
	s_or_b64 exec, exec, s[6:7]
	v_lshrrev_b32_e32 v3, 8, v4
	s_movk_i32 s4, 0x7f
	v_cmp_gt_i16_sdwa s[6:7], v3, s4 src0_sel:BYTE_0 src1_sel:DWORD
	s_mov_b64 s[4:5], 0
                                        ; implicit-def: $sgpr10
	s_and_saveexec_b64 s[8:9], s[6:7]
	s_xor_b64 s[6:7], exec, s[8:9]
	s_cbranch_execz .LBB2_7501
; %bb.43341:
	s_getpc_b64 s[14:15]
.Lpost_getpc25254:
	s_add_u32 s14, s14, (.LBB2_21837-.Lpost_getpc25254)&4294967295
	s_addc_u32 s15, s15, (.LBB2_21837-.Lpost_getpc25254)>>32
	s_setpc_b64 s[14:15]
.LBB2_7501:
	s_or_saveexec_b64 s[6:7], s[6:7]
	v_mov_b32_e32 v6, s10
	s_xor_b64 exec, exec, s[6:7]
	s_cbranch_execz .LBB2_7502
; %bb.43343:
	s_getpc_b64 s[14:15]
.Lpost_getpc25255:
	s_add_u32 s14, s14, (.LBB2_21840-.Lpost_getpc25255)&4294967295
	s_addc_u32 s15, s15, (.LBB2_21840-.Lpost_getpc25255)>>32
	s_setpc_b64 s[14:15]
.LBB2_7502:
	s_or_b64 exec, exec, s[6:7]
	s_and_saveexec_b64 s[6:7], s[4:5]
	s_cbranch_execz .LBB2_7504
.LBB2_7503:
	v_bfe_u32 v6, v4, 8, 3
	v_ffbh_u32_e32 v12, v6
	v_min_u32_e32 v12, 32, v12
	v_lshrrev_b16_e32 v7, 3, v3
	v_subrev_u32_e32 v13, 28, v12
	v_and_b32_e32 v7, 15, v7
	v_lshlrev_b32_e32 v3, v13, v3
	v_sub_u32_e32 v12, 29, v12
	v_and_b32_e32 v3, 7, v3
	v_cmp_eq_u16_e32 vcc, 0, v7
	v_cndmask_b32_e32 v3, v6, v3, vcc
	v_cndmask_b32_e32 v6, v7, v12, vcc
	v_lshlrev_b32_e32 v7, 16, v4
	v_mov_b32_e32 v12, 0x3b800000
	v_lshlrev_b32_e32 v3, 20, v3
	v_and_b32_e32 v7, 0x80000000, v7
	v_lshl_add_u32 v6, v6, 23, v12
	v_or3_b32 v6, v7, v6, v3
.LBB2_7504:
	s_or_b64 exec, exec, s[6:7]
	s_nop 0
	v_mfma_f32_16x16x4f32 a[0:3], v2, v6, a[0:3]
	s_movk_i32 s4, 0xff
	v_and_b32_sdwa v3, v8, s4 dst_sel:DWORD dst_unused:UNUSED_PAD src0_sel:WORD_1 src1_sel:DWORD
	s_movk_i32 s4, 0x7f
	v_cmp_lt_i16_e32 vcc, s4, v3
	s_mov_b64 s[4:5], 0
                                        ; implicit-def: $sgpr10
	s_and_saveexec_b64 s[6:7], vcc
	s_xor_b64 s[6:7], exec, s[6:7]
	s_cbranch_execz .LBB2_7505
; %bb.43345:
	s_getpc_b64 s[14:15]
.Lpost_getpc25256:
	s_add_u32 s14, s14, (.LBB2_21841-.Lpost_getpc25256)&4294967295
	s_addc_u32 s15, s15, (.LBB2_21841-.Lpost_getpc25256)>>32
	s_setpc_b64 s[14:15]
.LBB2_7505:
	s_or_saveexec_b64 s[6:7], s[6:7]
	v_mov_b32_e32 v2, s10
	s_xor_b64 exec, exec, s[6:7]
	s_cbranch_execz .LBB2_7506
; %bb.43347:
	s_getpc_b64 s[14:15]
.Lpost_getpc25257:
	s_add_u32 s14, s14, (.LBB2_21844-.Lpost_getpc25257)&4294967295
	s_addc_u32 s15, s15, (.LBB2_21844-.Lpost_getpc25257)>>32
	s_setpc_b64 s[14:15]
.LBB2_7506:
	s_or_b64 exec, exec, s[6:7]
	s_and_saveexec_b64 s[6:7], s[4:5]
	s_cbranch_execz .LBB2_7508
.LBB2_7507:
	v_bfe_u32 v2, v8, 16, 3
	v_ffbh_u32_e32 v7, v2
	v_min_u32_e32 v7, 32, v7
	v_lshrrev_b32_e32 v3, 19, v8
	v_subrev_u32_e32 v12, 28, v7
	v_and_b32_e32 v3, 15, v3
	v_lshlrev_b32_sdwa v12, v12, v8 dst_sel:DWORD dst_unused:UNUSED_PAD src0_sel:DWORD src1_sel:WORD_1
	v_bfe_u32 v6, v8, 19, 4
	v_sub_u32_e32 v7, 29, v7
	v_and_b32_e32 v12, 7, v12
	v_cmp_eq_u16_e32 vcc, 0, v3
	v_cndmask_b32_e32 v2, v2, v12, vcc
	v_cndmask_b32_e32 v3, v6, v7, vcc
	v_lshlrev_b32_e32 v6, 8, v8
	v_mov_b32_e32 v7, 0x3b800000
	v_lshlrev_b32_e32 v2, 20, v2
	v_and_b32_e32 v6, 0x80000000, v6
	v_lshl_add_u32 v3, v3, 23, v7
	v_or3_b32 v2, v6, v3, v2
.LBB2_7508:
	s_or_b64 exec, exec, s[6:7]
	s_movk_i32 s4, 0xff
	v_and_b32_sdwa v3, v4, s4 dst_sel:DWORD dst_unused:UNUSED_PAD src0_sel:WORD_1 src1_sel:DWORD
	s_movk_i32 s4, 0x7f
	v_cmp_lt_i16_e32 vcc, s4, v3
	s_mov_b64 s[4:5], 0
                                        ; implicit-def: $sgpr10
	s_and_saveexec_b64 s[6:7], vcc
	s_xor_b64 s[6:7], exec, s[6:7]
	s_cbranch_execz .LBB2_7509
; %bb.43349:
	s_getpc_b64 s[14:15]
.Lpost_getpc25258:
	s_add_u32 s14, s14, (.LBB2_21845-.Lpost_getpc25258)&4294967295
	s_addc_u32 s15, s15, (.LBB2_21845-.Lpost_getpc25258)>>32
	s_setpc_b64 s[14:15]
.LBB2_7509:
	s_or_saveexec_b64 s[6:7], s[6:7]
	v_mov_b32_e32 v6, s10
	s_xor_b64 exec, exec, s[6:7]
	s_cbranch_execz .LBB2_7510
; %bb.43351:
	s_getpc_b64 s[14:15]
.Lpost_getpc25259:
	s_add_u32 s14, s14, (.LBB2_21848-.Lpost_getpc25259)&4294967295
	s_addc_u32 s15, s15, (.LBB2_21848-.Lpost_getpc25259)>>32
	s_setpc_b64 s[14:15]
.LBB2_7510:
	s_or_b64 exec, exec, s[6:7]
	s_and_saveexec_b64 s[6:7], s[4:5]
	s_cbranch_execz .LBB2_7512
.LBB2_7511:
	v_bfe_u32 v3, v4, 16, 3
	v_ffbh_u32_e32 v12, v3
	v_min_u32_e32 v12, 32, v12
	v_lshrrev_b32_e32 v6, 19, v4
	v_subrev_u32_e32 v13, 28, v12
	v_and_b32_e32 v6, 15, v6
	v_lshlrev_b32_sdwa v13, v13, v4 dst_sel:DWORD dst_unused:UNUSED_PAD src0_sel:DWORD src1_sel:WORD_1
	v_bfe_u32 v7, v4, 19, 4
	v_sub_u32_e32 v12, 29, v12
	v_and_b32_e32 v13, 7, v13
	v_cmp_eq_u16_e32 vcc, 0, v6
	v_cndmask_b32_e32 v3, v3, v13, vcc
	v_cndmask_b32_e32 v6, v7, v12, vcc
	v_lshlrev_b32_e32 v7, 8, v4
	v_mov_b32_e32 v12, 0x3b800000
	v_lshlrev_b32_e32 v3, 20, v3
	v_and_b32_e32 v7, 0x80000000, v7
	v_lshl_add_u32 v6, v6, 23, v12
	v_or3_b32 v6, v7, v6, v3
.LBB2_7512:
	s_or_b64 exec, exec, s[6:7]
	s_nop 0
	v_mfma_f32_16x16x4f32 a[0:3], v2, v6, a[0:3]
	s_movk_i32 s4, 0x7f
	v_cmp_gt_i16_sdwa s[6:7], v8, s4 src0_sel:BYTE_3 src1_sel:DWORD
	s_mov_b64 s[4:5], 0
                                        ; implicit-def: $sgpr10
	s_and_saveexec_b64 s[8:9], s[6:7]
	s_xor_b64 s[6:7], exec, s[8:9]
	s_cbranch_execz .LBB2_7513
; %bb.43353:
	s_getpc_b64 s[14:15]
.Lpost_getpc25260:
	s_add_u32 s14, s14, (.LBB2_21849-.Lpost_getpc25260)&4294967295
	s_addc_u32 s15, s15, (.LBB2_21849-.Lpost_getpc25260)>>32
	s_setpc_b64 s[14:15]
.LBB2_7513:
	s_or_saveexec_b64 s[6:7], s[6:7]
	v_mov_b32_e32 v2, s10
	s_xor_b64 exec, exec, s[6:7]
	s_cbranch_execz .LBB2_7514
; %bb.43355:
	s_getpc_b64 s[14:15]
.Lpost_getpc25261:
	s_add_u32 s14, s14, (.LBB2_21852-.Lpost_getpc25261)&4294967295
	s_addc_u32 s15, s15, (.LBB2_21852-.Lpost_getpc25261)>>32
	s_setpc_b64 s[14:15]
.LBB2_7514:
	s_or_b64 exec, exec, s[6:7]
	s_and_saveexec_b64 s[6:7], s[4:5]
	s_cbranch_execz .LBB2_7516
.LBB2_7515:
	v_bfe_u32 v2, v8, 24, 3
	v_ffbh_u32_e32 v12, v2
	v_min_u32_e32 v12, 32, v12
	v_lshrrev_b32_e32 v6, 27, v8
	v_subrev_u32_e32 v13, 28, v12
	v_and_b32_e32 v3, 0x80000000, v8
	v_and_b32_e32 v6, 15, v6
	v_bfe_u32 v7, v8, 27, 4
	v_lshlrev_b32_sdwa v8, v13, v8 dst_sel:DWORD dst_unused:UNUSED_PAD src0_sel:DWORD src1_sel:BYTE_3
	v_sub_u32_e32 v12, 29, v12
	v_and_b32_e32 v8, 7, v8
	v_cmp_eq_u16_e32 vcc, 0, v6
	v_cndmask_b32_e32 v2, v2, v8, vcc
	v_cndmask_b32_e32 v6, v7, v12, vcc
	v_mov_b32_e32 v7, 0x3b800000
	v_lshlrev_b32_e32 v2, 20, v2
	v_lshl_add_u32 v6, v6, 23, v7
	v_or3_b32 v2, v3, v6, v2
.LBB2_7516:
	s_or_b64 exec, exec, s[6:7]
	s_movk_i32 s4, 0x7f
	v_cmp_gt_i16_sdwa s[6:7], v4, s4 src0_sel:BYTE_3 src1_sel:DWORD
	s_mov_b64 s[4:5], 0
                                        ; implicit-def: $sgpr10
	s_and_saveexec_b64 s[8:9], s[6:7]
	s_xor_b64 s[6:7], exec, s[8:9]
	s_cbranch_execz .LBB2_7517
; %bb.43357:
	s_getpc_b64 s[14:15]
.Lpost_getpc25262:
	s_add_u32 s14, s14, (.LBB2_21853-.Lpost_getpc25262)&4294967295
	s_addc_u32 s15, s15, (.LBB2_21853-.Lpost_getpc25262)>>32
	s_setpc_b64 s[14:15]
.LBB2_7517:
	s_or_saveexec_b64 s[6:7], s[6:7]
	v_mov_b32_e32 v3, s10
	s_xor_b64 exec, exec, s[6:7]
	s_cbranch_execz .LBB2_7518
; %bb.43359:
	s_getpc_b64 s[14:15]
.Lpost_getpc25263:
	s_add_u32 s14, s14, (.LBB2_21856-.Lpost_getpc25263)&4294967295
	s_addc_u32 s15, s15, (.LBB2_21856-.Lpost_getpc25263)>>32
	s_setpc_b64 s[14:15]
.LBB2_7518:
	s_or_b64 exec, exec, s[6:7]
	s_and_saveexec_b64 s[6:7], s[4:5]
	s_cbranch_execz .LBB2_7520
.LBB2_7519:
	v_bfe_u32 v3, v4, 24, 3
	v_ffbh_u32_e32 v12, v3
	v_min_u32_e32 v12, 32, v12
	v_lshrrev_b32_e32 v7, 27, v4
	v_subrev_u32_e32 v13, 28, v12
	v_and_b32_e32 v6, 0x80000000, v4
	v_and_b32_e32 v7, 15, v7
	v_bfe_u32 v8, v4, 27, 4
	v_lshlrev_b32_sdwa v4, v13, v4 dst_sel:DWORD dst_unused:UNUSED_PAD src0_sel:DWORD src1_sel:BYTE_3
	v_sub_u32_e32 v12, 29, v12
	v_and_b32_e32 v4, 7, v4
	v_cmp_eq_u16_e32 vcc, 0, v7
	v_cndmask_b32_e32 v3, v3, v4, vcc
	v_cndmask_b32_e32 v4, v8, v12, vcc
	v_mov_b32_e32 v7, 0x3b800000
	v_lshlrev_b32_e32 v3, 20, v3
	v_lshl_add_u32 v4, v4, 23, v7
	v_or3_b32 v3, v6, v4, v3
.LBB2_7520:
	s_or_b64 exec, exec, s[6:7]
	s_nop 0
	v_mfma_f32_16x16x4f32 a[0:3], v2, v3, a[0:3]
	s_movk_i32 s4, 0x7f
	v_cmp_gt_i16_sdwa s[6:7], v9, s4 src0_sel:BYTE_0 src1_sel:DWORD
	s_mov_b64 s[4:5], 0
                                        ; implicit-def: $sgpr10
	s_and_saveexec_b64 s[8:9], s[6:7]
	s_xor_b64 s[6:7], exec, s[8:9]
	s_cbranch_execz .LBB2_7521
; %bb.43361:
	s_getpc_b64 s[14:15]
.Lpost_getpc25264:
	s_add_u32 s14, s14, (.LBB2_21857-.Lpost_getpc25264)&4294967295
	s_addc_u32 s15, s15, (.LBB2_21857-.Lpost_getpc25264)>>32
	s_setpc_b64 s[14:15]
.LBB2_7521:
	s_or_saveexec_b64 s[6:7], s[6:7]
	v_mov_b32_e32 v2, s10
	s_xor_b64 exec, exec, s[6:7]
	s_cbranch_execz .LBB2_7522
; %bb.43363:
	s_getpc_b64 s[14:15]
.Lpost_getpc25265:
	s_add_u32 s14, s14, (.LBB2_21860-.Lpost_getpc25265)&4294967295
	s_addc_u32 s15, s15, (.LBB2_21860-.Lpost_getpc25265)>>32
	s_setpc_b64 s[14:15]
.LBB2_7522:
	s_or_b64 exec, exec, s[6:7]
	s_and_saveexec_b64 s[6:7], s[4:5]
	s_cbranch_execz .LBB2_7524
.LBB2_7523:
	v_mov_b32_e32 v2, 8
	v_and_b32_e32 v3, 7, v9
	v_lshrrev_b32_sdwa v2, v2, v9 dst_sel:BYTE_1 dst_unused:UNUSED_PAD src0_sel:DWORD src1_sel:DWORD
	v_ffbh_u32_e32 v4, v3
	v_or_b32_sdwa v2, v9, v2 dst_sel:DWORD dst_unused:UNUSED_PAD src0_sel:BYTE_0 src1_sel:DWORD
	v_min_u32_e32 v4, 32, v4
	v_lshrrev_b16_e32 v2, 3, v2
	v_subrev_u32_e32 v6, 28, v4
	v_and_b32_e32 v2, 15, v2
	v_lshlrev_b32_e32 v6, v6, v9
	v_sub_u32_e32 v4, 29, v4
	v_and_b32_e32 v6, 7, v6
	v_cmp_eq_u16_e32 vcc, 0, v2
	v_cndmask_b32_e32 v3, v3, v6, vcc
	v_cndmask_b32_e32 v2, v2, v4, vcc
	v_lshlrev_b32_e32 v4, 24, v9
	v_mov_b32_e32 v6, 0x3b800000
	v_lshlrev_b32_e32 v3, 20, v3
	v_and_b32_e32 v4, 0x80000000, v4
	v_lshl_add_u32 v2, v2, 23, v6
	v_or3_b32 v2, v4, v2, v3
.LBB2_7524:
	s_or_b64 exec, exec, s[6:7]
	s_movk_i32 s4, 0x7f
	v_cmp_gt_i16_sdwa s[6:7], v5, s4 src0_sel:BYTE_0 src1_sel:DWORD
	s_mov_b64 s[4:5], 0
                                        ; implicit-def: $sgpr10
	s_and_saveexec_b64 s[8:9], s[6:7]
	s_xor_b64 s[6:7], exec, s[8:9]
	s_cbranch_execz .LBB2_7525
; %bb.43365:
	s_getpc_b64 s[14:15]
.Lpost_getpc25266:
	s_add_u32 s14, s14, (.LBB2_21861-.Lpost_getpc25266)&4294967295
	s_addc_u32 s15, s15, (.LBB2_21861-.Lpost_getpc25266)>>32
	s_setpc_b64 s[14:15]
.LBB2_7525:
	s_or_saveexec_b64 s[6:7], s[6:7]
	v_mov_b32_e32 v3, s10
	s_xor_b64 exec, exec, s[6:7]
	s_cbranch_execz .LBB2_7526
; %bb.43367:
	s_getpc_b64 s[14:15]
.Lpost_getpc25267:
	s_add_u32 s14, s14, (.LBB2_21864-.Lpost_getpc25267)&4294967295
	s_addc_u32 s15, s15, (.LBB2_21864-.Lpost_getpc25267)>>32
	s_setpc_b64 s[14:15]
.LBB2_7526:
	s_or_b64 exec, exec, s[6:7]
	s_and_saveexec_b64 s[6:7], s[4:5]
	s_cbranch_execz .LBB2_7528
.LBB2_7527:
	v_mov_b32_e32 v3, 8
	v_and_b32_e32 v4, 7, v5
	v_lshrrev_b32_sdwa v3, v3, v5 dst_sel:BYTE_1 dst_unused:UNUSED_PAD src0_sel:DWORD src1_sel:DWORD
	v_ffbh_u32_e32 v6, v4
	v_or_b32_sdwa v3, v5, v3 dst_sel:DWORD dst_unused:UNUSED_PAD src0_sel:BYTE_0 src1_sel:DWORD
	v_min_u32_e32 v6, 32, v6
	v_lshrrev_b16_e32 v3, 3, v3
	v_subrev_u32_e32 v7, 28, v6
	v_and_b32_e32 v3, 15, v3
	v_lshlrev_b32_e32 v7, v7, v5
	v_sub_u32_e32 v6, 29, v6
	v_and_b32_e32 v7, 7, v7
	v_cmp_eq_u16_e32 vcc, 0, v3
	v_cndmask_b32_e32 v4, v4, v7, vcc
	v_cndmask_b32_e32 v3, v3, v6, vcc
	v_lshlrev_b32_e32 v6, 24, v5
	v_mov_b32_e32 v7, 0x3b800000
	v_lshlrev_b32_e32 v4, 20, v4
	v_and_b32_e32 v6, 0x80000000, v6
	v_lshl_add_u32 v3, v3, 23, v7
	v_or3_b32 v3, v6, v3, v4
.LBB2_7528:
	s_or_b64 exec, exec, s[6:7]
	s_nop 0
	v_mfma_f32_16x16x4f32 a[0:3], v2, v3, a[0:3]
	v_lshrrev_b32_e32 v3, 8, v9
	s_movk_i32 s4, 0x7f
	v_cmp_gt_i16_sdwa s[6:7], v3, s4 src0_sel:BYTE_0 src1_sel:DWORD
	s_mov_b64 s[4:5], 0
                                        ; implicit-def: $sgpr10
	s_and_saveexec_b64 s[8:9], s[6:7]
	s_xor_b64 s[6:7], exec, s[8:9]
	s_cbranch_execz .LBB2_7529
; %bb.43369:
	s_getpc_b64 s[14:15]
.Lpost_getpc25268:
	s_add_u32 s14, s14, (.LBB2_21865-.Lpost_getpc25268)&4294967295
	s_addc_u32 s15, s15, (.LBB2_21865-.Lpost_getpc25268)>>32
	s_setpc_b64 s[14:15]
.LBB2_7529:
	s_or_saveexec_b64 s[6:7], s[6:7]
	v_mov_b32_e32 v2, s10
	s_xor_b64 exec, exec, s[6:7]
	s_cbranch_execz .LBB2_7530
; %bb.43371:
	s_getpc_b64 s[14:15]
.Lpost_getpc25269:
	s_add_u32 s14, s14, (.LBB2_21868-.Lpost_getpc25269)&4294967295
	s_addc_u32 s15, s15, (.LBB2_21868-.Lpost_getpc25269)>>32
	s_setpc_b64 s[14:15]
.LBB2_7530:
	s_or_b64 exec, exec, s[6:7]
	s_and_saveexec_b64 s[6:7], s[4:5]
	s_cbranch_execz .LBB2_7532
.LBB2_7531:
	v_bfe_u32 v2, v9, 8, 3
	v_ffbh_u32_e32 v6, v2
	v_min_u32_e32 v6, 32, v6
	v_lshrrev_b16_e32 v4, 3, v3
	v_subrev_u32_e32 v7, 28, v6
	v_and_b32_e32 v4, 15, v4
	v_lshlrev_b32_e32 v3, v7, v3
	v_sub_u32_e32 v6, 29, v6
	v_and_b32_e32 v3, 7, v3
	v_cmp_eq_u16_e32 vcc, 0, v4
	v_cndmask_b32_e32 v2, v2, v3, vcc
	v_cndmask_b32_e32 v3, v4, v6, vcc
	v_lshlrev_b32_e32 v4, 16, v9
	v_mov_b32_e32 v6, 0x3b800000
	v_lshlrev_b32_e32 v2, 20, v2
	v_and_b32_e32 v4, 0x80000000, v4
	v_lshl_add_u32 v3, v3, 23, v6
	v_or3_b32 v2, v4, v3, v2
.LBB2_7532:
	s_or_b64 exec, exec, s[6:7]
	v_lshrrev_b32_e32 v3, 8, v5
	s_movk_i32 s4, 0x7f
	v_cmp_gt_i16_sdwa s[6:7], v3, s4 src0_sel:BYTE_0 src1_sel:DWORD
	s_mov_b64 s[4:5], 0
                                        ; implicit-def: $sgpr10
	s_and_saveexec_b64 s[8:9], s[6:7]
	s_xor_b64 s[6:7], exec, s[8:9]
	s_cbranch_execz .LBB2_7533
; %bb.43373:
	s_getpc_b64 s[14:15]
.Lpost_getpc25270:
	s_add_u32 s14, s14, (.LBB2_21869-.Lpost_getpc25270)&4294967295
	s_addc_u32 s15, s15, (.LBB2_21869-.Lpost_getpc25270)>>32
	s_setpc_b64 s[14:15]
.LBB2_7533:
	s_or_saveexec_b64 s[6:7], s[6:7]
	v_mov_b32_e32 v4, s10
	s_xor_b64 exec, exec, s[6:7]
	s_cbranch_execz .LBB2_7534
; %bb.43375:
	s_getpc_b64 s[14:15]
.Lpost_getpc25271:
	s_add_u32 s14, s14, (.LBB2_21872-.Lpost_getpc25271)&4294967295
	s_addc_u32 s15, s15, (.LBB2_21872-.Lpost_getpc25271)>>32
	s_setpc_b64 s[14:15]
.LBB2_7534:
	s_or_b64 exec, exec, s[6:7]
	s_and_saveexec_b64 s[6:7], s[4:5]
	s_cbranch_execz .LBB2_7536
.LBB2_7535:
	v_bfe_u32 v4, v5, 8, 3
	v_ffbh_u32_e32 v7, v4
	v_min_u32_e32 v7, 32, v7
	v_lshrrev_b16_e32 v6, 3, v3
	v_subrev_u32_e32 v8, 28, v7
	v_and_b32_e32 v6, 15, v6
	v_lshlrev_b32_e32 v3, v8, v3
	v_sub_u32_e32 v7, 29, v7
	v_and_b32_e32 v3, 7, v3
	v_cmp_eq_u16_e32 vcc, 0, v6
	v_cndmask_b32_e32 v3, v4, v3, vcc
	v_cndmask_b32_e32 v4, v6, v7, vcc
	v_lshlrev_b32_e32 v6, 16, v5
	v_mov_b32_e32 v7, 0x3b800000
	v_lshlrev_b32_e32 v3, 20, v3
	v_and_b32_e32 v6, 0x80000000, v6
	v_lshl_add_u32 v4, v4, 23, v7
	v_or3_b32 v4, v6, v4, v3
.LBB2_7536:
	s_or_b64 exec, exec, s[6:7]
	s_nop 0
	v_mfma_f32_16x16x4f32 a[0:3], v2, v4, a[0:3]
	s_movk_i32 s4, 0xff
	v_and_b32_sdwa v3, v9, s4 dst_sel:DWORD dst_unused:UNUSED_PAD src0_sel:WORD_1 src1_sel:DWORD
	s_movk_i32 s4, 0x7f
	v_cmp_lt_i16_e32 vcc, s4, v3
	s_mov_b64 s[4:5], 0
                                        ; implicit-def: $sgpr10
	s_and_saveexec_b64 s[6:7], vcc
	s_xor_b64 s[6:7], exec, s[6:7]
	s_cbranch_execz .LBB2_7537
; %bb.43377:
	s_getpc_b64 s[14:15]
.Lpost_getpc25272:
	s_add_u32 s14, s14, (.LBB2_21873-.Lpost_getpc25272)&4294967295
	s_addc_u32 s15, s15, (.LBB2_21873-.Lpost_getpc25272)>>32
	s_setpc_b64 s[14:15]
.LBB2_7537:
	s_or_saveexec_b64 s[6:7], s[6:7]
	v_mov_b32_e32 v2, s10
	s_xor_b64 exec, exec, s[6:7]
	s_cbranch_execz .LBB2_7538
; %bb.43379:
	s_getpc_b64 s[14:15]
.Lpost_getpc25273:
	s_add_u32 s14, s14, (.LBB2_21876-.Lpost_getpc25273)&4294967295
	s_addc_u32 s15, s15, (.LBB2_21876-.Lpost_getpc25273)>>32
	s_setpc_b64 s[14:15]
.LBB2_7538:
	s_or_b64 exec, exec, s[6:7]
	s_and_saveexec_b64 s[6:7], s[4:5]
	s_cbranch_execz .LBB2_7540
.LBB2_7539:
	v_bfe_u32 v2, v9, 16, 3
	v_ffbh_u32_e32 v6, v2
	v_min_u32_e32 v6, 32, v6
	v_lshrrev_b32_e32 v3, 19, v9
	v_subrev_u32_e32 v7, 28, v6
	v_and_b32_e32 v3, 15, v3
	v_lshlrev_b32_sdwa v7, v7, v9 dst_sel:DWORD dst_unused:UNUSED_PAD src0_sel:DWORD src1_sel:WORD_1
	v_bfe_u32 v4, v9, 19, 4
	v_sub_u32_e32 v6, 29, v6
	v_and_b32_e32 v7, 7, v7
	v_cmp_eq_u16_e32 vcc, 0, v3
	v_cndmask_b32_e32 v2, v2, v7, vcc
	v_cndmask_b32_e32 v3, v4, v6, vcc
	v_lshlrev_b32_e32 v4, 8, v9
	v_mov_b32_e32 v6, 0x3b800000
	v_lshlrev_b32_e32 v2, 20, v2
	v_and_b32_e32 v4, 0x80000000, v4
	v_lshl_add_u32 v3, v3, 23, v6
	v_or3_b32 v2, v4, v3, v2
.LBB2_7540:
	s_or_b64 exec, exec, s[6:7]
	s_movk_i32 s4, 0xff
	v_and_b32_sdwa v3, v5, s4 dst_sel:DWORD dst_unused:UNUSED_PAD src0_sel:WORD_1 src1_sel:DWORD
	s_movk_i32 s4, 0x7f
	v_cmp_lt_i16_e32 vcc, s4, v3
	s_mov_b64 s[4:5], 0
                                        ; implicit-def: $sgpr10
	s_and_saveexec_b64 s[6:7], vcc
	s_xor_b64 s[6:7], exec, s[6:7]
	s_cbranch_execz .LBB2_7541
; %bb.43381:
	s_getpc_b64 s[14:15]
.Lpost_getpc25274:
	s_add_u32 s14, s14, (.LBB2_21877-.Lpost_getpc25274)&4294967295
	s_addc_u32 s15, s15, (.LBB2_21877-.Lpost_getpc25274)>>32
	s_setpc_b64 s[14:15]
.LBB2_7541:
	s_or_saveexec_b64 s[6:7], s[6:7]
	v_mov_b32_e32 v4, s10
	s_xor_b64 exec, exec, s[6:7]
	s_cbranch_execz .LBB2_7542
; %bb.43383:
	s_getpc_b64 s[14:15]
.Lpost_getpc25275:
	s_add_u32 s14, s14, (.LBB2_21880-.Lpost_getpc25275)&4294967295
	s_addc_u32 s15, s15, (.LBB2_21880-.Lpost_getpc25275)>>32
	s_setpc_b64 s[14:15]
.LBB2_7542:
	s_or_b64 exec, exec, s[6:7]
	s_and_saveexec_b64 s[6:7], s[4:5]
	s_cbranch_execz .LBB2_7544
.LBB2_7543:
	v_bfe_u32 v3, v5, 16, 3
	v_ffbh_u32_e32 v7, v3
	v_min_u32_e32 v7, 32, v7
	v_lshrrev_b32_e32 v4, 19, v5
	v_subrev_u32_e32 v8, 28, v7
	v_and_b32_e32 v4, 15, v4
	v_lshlrev_b32_sdwa v8, v8, v5 dst_sel:DWORD dst_unused:UNUSED_PAD src0_sel:DWORD src1_sel:WORD_1
	v_bfe_u32 v6, v5, 19, 4
	v_sub_u32_e32 v7, 29, v7
	v_and_b32_e32 v8, 7, v8
	v_cmp_eq_u16_e32 vcc, 0, v4
	v_cndmask_b32_e32 v3, v3, v8, vcc
	v_cndmask_b32_e32 v4, v6, v7, vcc
	v_lshlrev_b32_e32 v6, 8, v5
	v_mov_b32_e32 v7, 0x3b800000
	v_lshlrev_b32_e32 v3, 20, v3
	v_and_b32_e32 v6, 0x80000000, v6
	v_lshl_add_u32 v4, v4, 23, v7
	v_or3_b32 v4, v6, v4, v3
.LBB2_7544:
	s_or_b64 exec, exec, s[6:7]
	s_nop 0
	v_mfma_f32_16x16x4f32 a[0:3], v2, v4, a[0:3]
	s_movk_i32 s4, 0x7f
	v_cmp_gt_i16_sdwa s[6:7], v9, s4 src0_sel:BYTE_3 src1_sel:DWORD
	s_mov_b64 s[4:5], 0
                                        ; implicit-def: $sgpr10
	s_and_saveexec_b64 s[8:9], s[6:7]
	s_xor_b64 s[6:7], exec, s[8:9]
	s_cbranch_execz .LBB2_7545
; %bb.43385:
	s_getpc_b64 s[14:15]
.Lpost_getpc25276:
	s_add_u32 s14, s14, (.LBB2_21881-.Lpost_getpc25276)&4294967295
	s_addc_u32 s15, s15, (.LBB2_21881-.Lpost_getpc25276)>>32
	s_setpc_b64 s[14:15]
.LBB2_7545:
	s_or_saveexec_b64 s[6:7], s[6:7]
	v_mov_b32_e32 v2, s10
	s_xor_b64 exec, exec, s[6:7]
	s_cbranch_execz .LBB2_7546
; %bb.43387:
	s_getpc_b64 s[14:15]
.Lpost_getpc25277:
	s_add_u32 s14, s14, (.LBB2_21884-.Lpost_getpc25277)&4294967295
	s_addc_u32 s15, s15, (.LBB2_21884-.Lpost_getpc25277)>>32
	s_setpc_b64 s[14:15]
.LBB2_7546:
	s_or_b64 exec, exec, s[6:7]
	s_and_saveexec_b64 s[6:7], s[4:5]
	s_cbranch_execz .LBB2_7548
.LBB2_7547:
	v_bfe_u32 v2, v9, 24, 3
	v_ffbh_u32_e32 v7, v2
	v_min_u32_e32 v7, 32, v7
	v_lshrrev_b32_e32 v4, 27, v9
	v_subrev_u32_e32 v8, 28, v7
	v_and_b32_e32 v4, 15, v4
	v_lshlrev_b32_sdwa v8, v8, v9 dst_sel:DWORD dst_unused:UNUSED_PAD src0_sel:DWORD src1_sel:BYTE_3
	v_bfe_u32 v6, v9, 27, 4
	v_sub_u32_e32 v7, 29, v7
	v_and_b32_e32 v8, 7, v8
	v_cmp_eq_u16_e32 vcc, 0, v4
	v_cndmask_b32_e32 v2, v2, v8, vcc
	v_cndmask_b32_e32 v4, v6, v7, vcc
	v_mov_b32_e32 v6, 0x3b800000
	v_and_b32_e32 v3, 0x80000000, v9
	v_lshlrev_b32_e32 v2, 20, v2
	v_lshl_add_u32 v4, v4, 23, v6
	v_or3_b32 v2, v3, v4, v2
.LBB2_7548:
	s_or_b64 exec, exec, s[6:7]
	s_movk_i32 s4, 0x7f
	v_cmp_gt_i16_sdwa s[6:7], v5, s4 src0_sel:BYTE_3 src1_sel:DWORD
	s_mov_b64 s[4:5], 0
                                        ; implicit-def: $sgpr10
	s_and_saveexec_b64 s[8:9], s[6:7]
	s_xor_b64 s[6:7], exec, s[8:9]
	s_cbranch_execz .LBB2_7549
; %bb.43389:
	s_getpc_b64 s[14:15]
.Lpost_getpc25278:
	s_add_u32 s14, s14, (.LBB2_21885-.Lpost_getpc25278)&4294967295
	s_addc_u32 s15, s15, (.LBB2_21885-.Lpost_getpc25278)>>32
	s_setpc_b64 s[14:15]
.LBB2_7549:
	s_or_saveexec_b64 s[6:7], s[6:7]
	v_mov_b32_e32 v3, s10
	s_xor_b64 exec, exec, s[6:7]
	s_cbranch_execz .LBB2_7550
; %bb.43391:
	s_getpc_b64 s[14:15]
.Lpost_getpc25279:
	s_add_u32 s14, s14, (.LBB2_21888-.Lpost_getpc25279)&4294967295
	s_addc_u32 s15, s15, (.LBB2_21888-.Lpost_getpc25279)>>32
	s_setpc_b64 s[14:15]
.LBB2_7550:
	s_or_b64 exec, exec, s[6:7]
	s_and_saveexec_b64 s[6:7], s[4:5]
	s_cbranch_execz .LBB2_7552
.LBB2_7551:
	v_bfe_u32 v3, v5, 24, 3
	v_ffbh_u32_e32 v8, v3
	v_min_u32_e32 v8, 32, v8
	v_lshrrev_b32_e32 v6, 27, v5
	v_subrev_u32_e32 v9, 28, v8
	v_and_b32_e32 v4, 0x80000000, v5
	v_and_b32_e32 v6, 15, v6
	v_bfe_u32 v7, v5, 27, 4
	v_lshlrev_b32_sdwa v5, v9, v5 dst_sel:DWORD dst_unused:UNUSED_PAD src0_sel:DWORD src1_sel:BYTE_3
	v_sub_u32_e32 v8, 29, v8
	v_and_b32_e32 v5, 7, v5
	v_cmp_eq_u16_e32 vcc, 0, v6
	v_cndmask_b32_e32 v3, v3, v5, vcc
	v_cndmask_b32_e32 v5, v7, v8, vcc
	v_mov_b32_e32 v6, 0x3b800000
	v_lshlrev_b32_e32 v3, 20, v3
	v_lshl_add_u32 v5, v5, 23, v6
	v_or3_b32 v3, v4, v5, v3
.LBB2_7552:
	s_or_b64 exec, exec, s[6:7]
	s_nop 0
	v_mfma_f32_16x16x4f32 a[0:3], v2, v3, a[0:3]
	s_movk_i32 s4, 0x7f
                                        ; implicit-def: $sgpr10
	s_nop 7
	s_nop 1
	flat_store_dwordx4 v[10:11], a[0:3] offset:32
	flat_load_dwordx4 v[12:15], v[0:1]
	s_nop 0
	flat_load_dwordx2 v[10:11], v[0:1] offset:16
	s_waitcnt vmcnt(0) lgkmcnt(0)
	flat_load_dwordx4 v[6:9], v[12:13] offset:112
	flat_load_dwordx4 v[2:5], v[14:15] offset:176
	s_waitcnt vmcnt(0) lgkmcnt(0)
	v_cmp_gt_i16_sdwa s[6:7], v6, s4 src0_sel:BYTE_0 src1_sel:DWORD
	s_mov_b64 s[4:5], 0
	s_and_saveexec_b64 s[8:9], s[6:7]
	s_xor_b64 s[6:7], exec, s[8:9]
	s_cbranch_execz .LBB2_7553
; %bb.43393:
	s_getpc_b64 s[14:15]
.Lpost_getpc25280:
	s_add_u32 s14, s14, (.LBB2_21889-.Lpost_getpc25280)&4294967295
	s_addc_u32 s15, s15, (.LBB2_21889-.Lpost_getpc25280)>>32
	s_setpc_b64 s[14:15]
.LBB2_7553:
	s_or_saveexec_b64 s[6:7], s[6:7]
	v_mov_b32_e32 v12, s10
	s_xor_b64 exec, exec, s[6:7]
	s_cbranch_execz .LBB2_7554
; %bb.43395:
	s_getpc_b64 s[14:15]
.Lpost_getpc25281:
	s_add_u32 s14, s14, (.LBB2_21892-.Lpost_getpc25281)&4294967295
	s_addc_u32 s15, s15, (.LBB2_21892-.Lpost_getpc25281)>>32
	s_setpc_b64 s[14:15]
.LBB2_7554:
	s_or_b64 exec, exec, s[6:7]
	s_and_saveexec_b64 s[6:7], s[4:5]
	s_cbranch_execz .LBB2_7556
.LBB2_7555:
	v_and_b32_e32 v12, 7, v6
	v_ffbh_u32_e32 v14, v12
	v_min_u32_e32 v14, 32, v14
	v_lshrrev_b16_e32 v13, 3, v6
	v_subrev_u32_e32 v15, 28, v14
	v_and_b32_e32 v13, 15, v13
	v_lshlrev_b32_e32 v15, v15, v6
	v_sub_u32_e32 v14, 29, v14
	v_and_b32_e32 v15, 7, v15
	v_cmp_eq_u16_e32 vcc, 0, v13
	v_cndmask_b32_e32 v12, v12, v15, vcc
	v_cndmask_b32_e32 v13, v13, v14, vcc
	v_lshlrev_b32_e32 v14, 24, v6
	v_mov_b32_e32 v15, 0x3b800000
	v_lshlrev_b32_e32 v12, 20, v12
	v_and_b32_e32 v14, 0x80000000, v14
	v_lshl_add_u32 v13, v13, 23, v15
	v_or3_b32 v12, v14, v13, v12
.LBB2_7556:
	s_or_b64 exec, exec, s[6:7]
	s_movk_i32 s4, 0x7f
	v_cmp_gt_i16_sdwa s[6:7], v2, s4 src0_sel:BYTE_0 src1_sel:DWORD
	s_mov_b64 s[4:5], 0
                                        ; implicit-def: $sgpr10
	s_and_saveexec_b64 s[8:9], s[6:7]
	s_xor_b64 s[6:7], exec, s[8:9]
	s_cbranch_execz .LBB2_7557
; %bb.43397:
	s_getpc_b64 s[14:15]
.Lpost_getpc25282:
	s_add_u32 s14, s14, (.LBB2_21893-.Lpost_getpc25282)&4294967295
	s_addc_u32 s15, s15, (.LBB2_21893-.Lpost_getpc25282)>>32
	s_setpc_b64 s[14:15]
.LBB2_7557:
	s_or_saveexec_b64 s[6:7], s[6:7]
	v_mov_b32_e32 v13, s10
	s_xor_b64 exec, exec, s[6:7]
	s_cbranch_execz .LBB2_7558
; %bb.43399:
	s_getpc_b64 s[14:15]
.Lpost_getpc25283:
	s_add_u32 s14, s14, (.LBB2_21896-.Lpost_getpc25283)&4294967295
	s_addc_u32 s15, s15, (.LBB2_21896-.Lpost_getpc25283)>>32
	s_setpc_b64 s[14:15]
.LBB2_7558:
	s_or_b64 exec, exec, s[6:7]
	s_and_saveexec_b64 s[6:7], s[4:5]
	s_cbranch_execz .LBB2_7560
.LBB2_7559:
	v_and_b32_e32 v13, 7, v2
	v_ffbh_u32_e32 v15, v13
	v_min_u32_e32 v15, 32, v15
	v_lshrrev_b16_e32 v14, 3, v2
	v_subrev_u32_e32 v16, 28, v15
	v_and_b32_e32 v14, 15, v14
	v_lshlrev_b32_e32 v16, v16, v2
	v_sub_u32_e32 v15, 29, v15
	v_and_b32_e32 v16, 7, v16
	v_cmp_eq_u16_e32 vcc, 0, v14
	v_cndmask_b32_e32 v13, v13, v16, vcc
	v_cndmask_b32_e32 v14, v14, v15, vcc
	v_lshlrev_b32_e32 v15, 24, v2
	v_mov_b32_e32 v16, 0x3b800000
	v_lshlrev_b32_e32 v13, 20, v13
	v_and_b32_e32 v15, 0x80000000, v15
	v_lshl_add_u32 v14, v14, 23, v16
	v_or3_b32 v13, v15, v14, v13
.LBB2_7560:
	s_or_b64 exec, exec, s[6:7]
	flat_load_dwordx4 a[0:3], v[10:11] offset:48
	s_movk_i32 s4, 0x7f
                                        ; implicit-def: $sgpr10
	s_waitcnt vmcnt(0) lgkmcnt(0)
	v_mfma_f32_16x16x4f32 a[0:3], v12, v13, a[0:3]
	v_lshrrev_b32_e32 v13, 8, v6
	v_cmp_gt_i16_sdwa s[6:7], v13, s4 src0_sel:BYTE_0 src1_sel:DWORD
	s_mov_b64 s[4:5], 0
	s_and_saveexec_b64 s[8:9], s[6:7]
	s_xor_b64 s[6:7], exec, s[8:9]
	s_cbranch_execz .LBB2_7561
; %bb.43401:
	s_getpc_b64 s[14:15]
.Lpost_getpc25284:
	s_add_u32 s14, s14, (.LBB2_21897-.Lpost_getpc25284)&4294967295
	s_addc_u32 s15, s15, (.LBB2_21897-.Lpost_getpc25284)>>32
	s_setpc_b64 s[14:15]
.LBB2_7561:
	s_or_saveexec_b64 s[6:7], s[6:7]
	v_mov_b32_e32 v12, s10
	s_xor_b64 exec, exec, s[6:7]
	s_cbranch_execz .LBB2_7562
; %bb.43403:
	s_getpc_b64 s[14:15]
.Lpost_getpc25285:
	s_add_u32 s14, s14, (.LBB2_21900-.Lpost_getpc25285)&4294967295
	s_addc_u32 s15, s15, (.LBB2_21900-.Lpost_getpc25285)>>32
	s_setpc_b64 s[14:15]
.LBB2_7562:
	s_or_b64 exec, exec, s[6:7]
	s_and_saveexec_b64 s[6:7], s[4:5]
	s_cbranch_execz .LBB2_7564
.LBB2_7563:
	v_bfe_u32 v12, v6, 8, 3
	v_ffbh_u32_e32 v15, v12
	v_min_u32_e32 v15, 32, v15
	v_lshrrev_b16_e32 v14, 3, v13
	v_subrev_u32_e32 v16, 28, v15
	v_and_b32_e32 v14, 15, v14
	v_lshlrev_b32_e32 v13, v16, v13
	v_sub_u32_e32 v15, 29, v15
	v_and_b32_e32 v13, 7, v13
	v_cmp_eq_u16_e32 vcc, 0, v14
	v_cndmask_b32_e32 v12, v12, v13, vcc
	v_cndmask_b32_e32 v13, v14, v15, vcc
	v_lshlrev_b32_e32 v14, 16, v6
	v_mov_b32_e32 v15, 0x3b800000
	v_lshlrev_b32_e32 v12, 20, v12
	v_and_b32_e32 v14, 0x80000000, v14
	v_lshl_add_u32 v13, v13, 23, v15
	v_or3_b32 v12, v14, v13, v12
.LBB2_7564:
	s_or_b64 exec, exec, s[6:7]
	v_lshrrev_b32_e32 v13, 8, v2
	s_movk_i32 s4, 0x7f
	v_cmp_gt_i16_sdwa s[6:7], v13, s4 src0_sel:BYTE_0 src1_sel:DWORD
	s_mov_b64 s[4:5], 0
                                        ; implicit-def: $sgpr10
	s_and_saveexec_b64 s[8:9], s[6:7]
	s_xor_b64 s[6:7], exec, s[8:9]
	s_cbranch_execz .LBB2_7565
; %bb.43405:
	s_getpc_b64 s[14:15]
.Lpost_getpc25286:
	s_add_u32 s14, s14, (.LBB2_21901-.Lpost_getpc25286)&4294967295
	s_addc_u32 s15, s15, (.LBB2_21901-.Lpost_getpc25286)>>32
	s_setpc_b64 s[14:15]
.LBB2_7565:
	s_or_saveexec_b64 s[6:7], s[6:7]
	v_mov_b32_e32 v14, s10
	s_xor_b64 exec, exec, s[6:7]
	s_cbranch_execz .LBB2_7566
; %bb.43407:
	s_getpc_b64 s[14:15]
.Lpost_getpc25287:
	s_add_u32 s14, s14, (.LBB2_21904-.Lpost_getpc25287)&4294967295
	s_addc_u32 s15, s15, (.LBB2_21904-.Lpost_getpc25287)>>32
	s_setpc_b64 s[14:15]
.LBB2_7566:
	s_or_b64 exec, exec, s[6:7]
	s_and_saveexec_b64 s[6:7], s[4:5]
	s_cbranch_execz .LBB2_7568
.LBB2_7567:
	v_bfe_u32 v14, v2, 8, 3
	v_ffbh_u32_e32 v16, v14
	v_min_u32_e32 v16, 32, v16
	v_lshrrev_b16_e32 v15, 3, v13
	v_subrev_u32_e32 v17, 28, v16
	v_and_b32_e32 v15, 15, v15
	v_lshlrev_b32_e32 v13, v17, v13
	v_sub_u32_e32 v16, 29, v16
	v_and_b32_e32 v13, 7, v13
	v_cmp_eq_u16_e32 vcc, 0, v15
	v_cndmask_b32_e32 v13, v14, v13, vcc
	v_cndmask_b32_e32 v14, v15, v16, vcc
	v_lshlrev_b32_e32 v15, 16, v2
	v_mov_b32_e32 v16, 0x3b800000
	v_lshlrev_b32_e32 v13, 20, v13
	v_and_b32_e32 v15, 0x80000000, v15
	v_lshl_add_u32 v14, v14, 23, v16
	v_or3_b32 v14, v15, v14, v13
.LBB2_7568:
	s_or_b64 exec, exec, s[6:7]
	s_nop 0
	v_mfma_f32_16x16x4f32 a[0:3], v12, v14, a[0:3]
	s_movk_i32 s4, 0xff
	v_and_b32_sdwa v13, v6, s4 dst_sel:DWORD dst_unused:UNUSED_PAD src0_sel:WORD_1 src1_sel:DWORD
	s_movk_i32 s4, 0x7f
	v_cmp_lt_i16_e32 vcc, s4, v13
	s_mov_b64 s[4:5], 0
                                        ; implicit-def: $sgpr10
	s_and_saveexec_b64 s[6:7], vcc
	s_xor_b64 s[6:7], exec, s[6:7]
	s_cbranch_execz .LBB2_7569
; %bb.43409:
	s_getpc_b64 s[14:15]
.Lpost_getpc25288:
	s_add_u32 s14, s14, (.LBB2_21905-.Lpost_getpc25288)&4294967295
	s_addc_u32 s15, s15, (.LBB2_21905-.Lpost_getpc25288)>>32
	s_setpc_b64 s[14:15]
.LBB2_7569:
	s_or_saveexec_b64 s[6:7], s[6:7]
	v_mov_b32_e32 v12, s10
	s_xor_b64 exec, exec, s[6:7]
	s_cbranch_execz .LBB2_7570
; %bb.43411:
	s_getpc_b64 s[14:15]
.Lpost_getpc25289:
	s_add_u32 s14, s14, (.LBB2_21908-.Lpost_getpc25289)&4294967295
	s_addc_u32 s15, s15, (.LBB2_21908-.Lpost_getpc25289)>>32
	s_setpc_b64 s[14:15]
.LBB2_7570:
	s_or_b64 exec, exec, s[6:7]
	s_and_saveexec_b64 s[6:7], s[4:5]
	s_cbranch_execz .LBB2_7572
.LBB2_7571:
	v_bfe_u32 v12, v6, 16, 3
	v_ffbh_u32_e32 v15, v12
	v_min_u32_e32 v15, 32, v15
	v_lshrrev_b32_e32 v13, 19, v6
	v_subrev_u32_e32 v16, 28, v15
	v_and_b32_e32 v13, 15, v13
	v_lshlrev_b32_sdwa v16, v16, v6 dst_sel:DWORD dst_unused:UNUSED_PAD src0_sel:DWORD src1_sel:WORD_1
	v_bfe_u32 v14, v6, 19, 4
	v_sub_u32_e32 v15, 29, v15
	v_and_b32_e32 v16, 7, v16
	v_cmp_eq_u16_e32 vcc, 0, v13
	v_cndmask_b32_e32 v12, v12, v16, vcc
	v_cndmask_b32_e32 v13, v14, v15, vcc
	v_lshlrev_b32_e32 v14, 8, v6
	v_mov_b32_e32 v15, 0x3b800000
	v_lshlrev_b32_e32 v12, 20, v12
	v_and_b32_e32 v14, 0x80000000, v14
	v_lshl_add_u32 v13, v13, 23, v15
	v_or3_b32 v12, v14, v13, v12
.LBB2_7572:
	s_or_b64 exec, exec, s[6:7]
	s_movk_i32 s4, 0xff
	v_and_b32_sdwa v13, v2, s4 dst_sel:DWORD dst_unused:UNUSED_PAD src0_sel:WORD_1 src1_sel:DWORD
	s_movk_i32 s4, 0x7f
	v_cmp_lt_i16_e32 vcc, s4, v13
	s_mov_b64 s[4:5], 0
                                        ; implicit-def: $sgpr10
	s_and_saveexec_b64 s[6:7], vcc
	s_xor_b64 s[6:7], exec, s[6:7]
	s_cbranch_execz .LBB2_7573
; %bb.43413:
	s_getpc_b64 s[14:15]
.Lpost_getpc25290:
	s_add_u32 s14, s14, (.LBB2_21909-.Lpost_getpc25290)&4294967295
	s_addc_u32 s15, s15, (.LBB2_21909-.Lpost_getpc25290)>>32
	s_setpc_b64 s[14:15]
.LBB2_7573:
	s_or_saveexec_b64 s[6:7], s[6:7]
	v_mov_b32_e32 v14, s10
	s_xor_b64 exec, exec, s[6:7]
	s_cbranch_execz .LBB2_7574
; %bb.43415:
	s_getpc_b64 s[14:15]
.Lpost_getpc25291:
	s_add_u32 s14, s14, (.LBB2_21912-.Lpost_getpc25291)&4294967295
	s_addc_u32 s15, s15, (.LBB2_21912-.Lpost_getpc25291)>>32
	s_setpc_b64 s[14:15]
.LBB2_7574:
	s_or_b64 exec, exec, s[6:7]
	s_and_saveexec_b64 s[6:7], s[4:5]
	s_cbranch_execz .LBB2_7576
.LBB2_7575:
	v_bfe_u32 v13, v2, 16, 3
	v_ffbh_u32_e32 v16, v13
	v_min_u32_e32 v16, 32, v16
	v_lshrrev_b32_e32 v14, 19, v2
	v_subrev_u32_e32 v17, 28, v16
	v_and_b32_e32 v14, 15, v14
	v_lshlrev_b32_sdwa v17, v17, v2 dst_sel:DWORD dst_unused:UNUSED_PAD src0_sel:DWORD src1_sel:WORD_1
	v_bfe_u32 v15, v2, 19, 4
	v_sub_u32_e32 v16, 29, v16
	v_and_b32_e32 v17, 7, v17
	v_cmp_eq_u16_e32 vcc, 0, v14
	v_cndmask_b32_e32 v13, v13, v17, vcc
	v_cndmask_b32_e32 v14, v15, v16, vcc
	v_lshlrev_b32_e32 v15, 8, v2
	v_mov_b32_e32 v16, 0x3b800000
	v_lshlrev_b32_e32 v13, 20, v13
	v_and_b32_e32 v15, 0x80000000, v15
	v_lshl_add_u32 v14, v14, 23, v16
	v_or3_b32 v14, v15, v14, v13
.LBB2_7576:
	s_or_b64 exec, exec, s[6:7]
	s_nop 0
	v_mfma_f32_16x16x4f32 a[0:3], v12, v14, a[0:3]
	s_movk_i32 s4, 0x7f
	v_cmp_gt_i16_sdwa s[6:7], v6, s4 src0_sel:BYTE_3 src1_sel:DWORD
	s_mov_b64 s[4:5], 0
                                        ; implicit-def: $sgpr10
	s_and_saveexec_b64 s[8:9], s[6:7]
	s_xor_b64 s[6:7], exec, s[8:9]
	s_cbranch_execz .LBB2_7577
; %bb.43417:
	s_getpc_b64 s[14:15]
.Lpost_getpc25292:
	s_add_u32 s14, s14, (.LBB2_21913-.Lpost_getpc25292)&4294967295
	s_addc_u32 s15, s15, (.LBB2_21913-.Lpost_getpc25292)>>32
	s_setpc_b64 s[14:15]
.LBB2_7577:
	s_or_saveexec_b64 s[6:7], s[6:7]
	v_mov_b32_e32 v12, s10
	s_xor_b64 exec, exec, s[6:7]
	s_cbranch_execz .LBB2_7578
; %bb.43419:
	s_getpc_b64 s[14:15]
.Lpost_getpc25293:
	s_add_u32 s14, s14, (.LBB2_21916-.Lpost_getpc25293)&4294967295
	s_addc_u32 s15, s15, (.LBB2_21916-.Lpost_getpc25293)>>32
	s_setpc_b64 s[14:15]
.LBB2_7578:
	s_or_b64 exec, exec, s[6:7]
	s_and_saveexec_b64 s[6:7], s[4:5]
	s_cbranch_execz .LBB2_7580
.LBB2_7579:
	v_bfe_u32 v12, v6, 24, 3
	v_ffbh_u32_e32 v16, v12
	v_min_u32_e32 v16, 32, v16
	v_lshrrev_b32_e32 v14, 27, v6
	v_subrev_u32_e32 v17, 28, v16
	v_and_b32_e32 v13, 0x80000000, v6
	v_and_b32_e32 v14, 15, v14
	v_bfe_u32 v15, v6, 27, 4
	v_lshlrev_b32_sdwa v6, v17, v6 dst_sel:DWORD dst_unused:UNUSED_PAD src0_sel:DWORD src1_sel:BYTE_3
	v_sub_u32_e32 v16, 29, v16
	v_and_b32_e32 v6, 7, v6
	v_cmp_eq_u16_e32 vcc, 0, v14
	v_cndmask_b32_e32 v6, v12, v6, vcc
	v_cndmask_b32_e32 v12, v15, v16, vcc
	v_mov_b32_e32 v14, 0x3b800000
	v_lshlrev_b32_e32 v6, 20, v6
	v_lshl_add_u32 v12, v12, 23, v14
	v_or3_b32 v12, v13, v12, v6
.LBB2_7580:
	s_or_b64 exec, exec, s[6:7]
	s_movk_i32 s4, 0x7f
	v_cmp_gt_i16_sdwa s[6:7], v2, s4 src0_sel:BYTE_3 src1_sel:DWORD
	s_mov_b64 s[4:5], 0
                                        ; implicit-def: $sgpr10
	s_and_saveexec_b64 s[8:9], s[6:7]
	s_xor_b64 s[6:7], exec, s[8:9]
	s_cbranch_execz .LBB2_7581
; %bb.43421:
	s_getpc_b64 s[14:15]
.Lpost_getpc25294:
	s_add_u32 s14, s14, (.LBB2_21917-.Lpost_getpc25294)&4294967295
	s_addc_u32 s15, s15, (.LBB2_21917-.Lpost_getpc25294)>>32
	s_setpc_b64 s[14:15]
.LBB2_7581:
	s_or_saveexec_b64 s[6:7], s[6:7]
	v_mov_b32_e32 v6, s10
	s_xor_b64 exec, exec, s[6:7]
	s_cbranch_execz .LBB2_7582
; %bb.43423:
	s_getpc_b64 s[14:15]
.Lpost_getpc25295:
	s_add_u32 s14, s14, (.LBB2_21920-.Lpost_getpc25295)&4294967295
	s_addc_u32 s15, s15, (.LBB2_21920-.Lpost_getpc25295)>>32
	s_setpc_b64 s[14:15]
.LBB2_7582:
	s_or_b64 exec, exec, s[6:7]
	s_and_saveexec_b64 s[6:7], s[4:5]
	s_cbranch_execz .LBB2_7584
.LBB2_7583:
	v_bfe_u32 v6, v2, 24, 3
	v_ffbh_u32_e32 v16, v6
	v_min_u32_e32 v16, 32, v16
	v_lshrrev_b32_e32 v14, 27, v2
	v_subrev_u32_e32 v17, 28, v16
	v_and_b32_e32 v13, 0x80000000, v2
	v_and_b32_e32 v14, 15, v14
	v_bfe_u32 v15, v2, 27, 4
	v_lshlrev_b32_sdwa v2, v17, v2 dst_sel:DWORD dst_unused:UNUSED_PAD src0_sel:DWORD src1_sel:BYTE_3
	v_sub_u32_e32 v16, 29, v16
	v_and_b32_e32 v2, 7, v2
	v_cmp_eq_u16_e32 vcc, 0, v14
	v_cndmask_b32_e32 v2, v6, v2, vcc
	v_cndmask_b32_e32 v6, v15, v16, vcc
	v_mov_b32_e32 v14, 0x3b800000
	v_lshlrev_b32_e32 v2, 20, v2
	v_lshl_add_u32 v6, v6, 23, v14
	v_or3_b32 v6, v13, v6, v2
.LBB2_7584:
	s_or_b64 exec, exec, s[6:7]
	s_nop 0
	v_mfma_f32_16x16x4f32 a[0:3], v12, v6, a[0:3]
	s_movk_i32 s4, 0x7f
	v_cmp_gt_i16_sdwa s[6:7], v7, s4 src0_sel:BYTE_0 src1_sel:DWORD
	s_mov_b64 s[4:5], 0
                                        ; implicit-def: $sgpr10
	s_and_saveexec_b64 s[8:9], s[6:7]
	s_xor_b64 s[6:7], exec, s[8:9]
	s_cbranch_execz .LBB2_7585
; %bb.43425:
	s_getpc_b64 s[14:15]
.Lpost_getpc25296:
	s_add_u32 s14, s14, (.LBB2_21921-.Lpost_getpc25296)&4294967295
	s_addc_u32 s15, s15, (.LBB2_21921-.Lpost_getpc25296)>>32
	s_setpc_b64 s[14:15]
.LBB2_7585:
	s_or_saveexec_b64 s[6:7], s[6:7]
	v_mov_b32_e32 v2, s10
	s_xor_b64 exec, exec, s[6:7]
	s_cbranch_execz .LBB2_7586
; %bb.43427:
	s_getpc_b64 s[14:15]
.Lpost_getpc25297:
	s_add_u32 s14, s14, (.LBB2_21924-.Lpost_getpc25297)&4294967295
	s_addc_u32 s15, s15, (.LBB2_21924-.Lpost_getpc25297)>>32
	s_setpc_b64 s[14:15]
.LBB2_7586:
	s_or_b64 exec, exec, s[6:7]
	s_and_saveexec_b64 s[6:7], s[4:5]
	s_cbranch_execz .LBB2_7588
.LBB2_7587:
	v_and_b32_e32 v2, 7, v7
	v_ffbh_u32_e32 v12, v2
	v_min_u32_e32 v12, 32, v12
	v_lshrrev_b16_e32 v6, 3, v7
	v_subrev_u32_e32 v13, 28, v12
	v_and_b32_e32 v6, 15, v6
	v_lshlrev_b32_e32 v13, v13, v7
	v_sub_u32_e32 v12, 29, v12
	v_and_b32_e32 v13, 7, v13
	v_cmp_eq_u16_e32 vcc, 0, v6
	v_cndmask_b32_e32 v2, v2, v13, vcc
	v_cndmask_b32_e32 v6, v6, v12, vcc
	v_lshlrev_b32_e32 v12, 24, v7
	v_mov_b32_e32 v13, 0x3b800000
	v_lshlrev_b32_e32 v2, 20, v2
	v_and_b32_e32 v12, 0x80000000, v12
	v_lshl_add_u32 v6, v6, 23, v13
	v_or3_b32 v2, v12, v6, v2
.LBB2_7588:
	s_or_b64 exec, exec, s[6:7]
	s_movk_i32 s4, 0x7f
	v_cmp_gt_i16_sdwa s[6:7], v3, s4 src0_sel:BYTE_0 src1_sel:DWORD
	s_mov_b64 s[4:5], 0
                                        ; implicit-def: $sgpr10
	s_and_saveexec_b64 s[8:9], s[6:7]
	s_xor_b64 s[6:7], exec, s[8:9]
	s_cbranch_execz .LBB2_7589
; %bb.43429:
	s_getpc_b64 s[14:15]
.Lpost_getpc25298:
	s_add_u32 s14, s14, (.LBB2_21925-.Lpost_getpc25298)&4294967295
	s_addc_u32 s15, s15, (.LBB2_21925-.Lpost_getpc25298)>>32
	s_setpc_b64 s[14:15]
.LBB2_7589:
	s_or_saveexec_b64 s[6:7], s[6:7]
	v_mov_b32_e32 v6, s10
	s_xor_b64 exec, exec, s[6:7]
	s_cbranch_execz .LBB2_7590
; %bb.43431:
	s_getpc_b64 s[14:15]
.Lpost_getpc25299:
	s_add_u32 s14, s14, (.LBB2_21928-.Lpost_getpc25299)&4294967295
	s_addc_u32 s15, s15, (.LBB2_21928-.Lpost_getpc25299)>>32
	s_setpc_b64 s[14:15]
.LBB2_7590:
	s_or_b64 exec, exec, s[6:7]
	s_and_saveexec_b64 s[6:7], s[4:5]
	s_cbranch_execz .LBB2_7592
.LBB2_7591:
	v_and_b32_e32 v6, 7, v3
	v_ffbh_u32_e32 v13, v6
	v_min_u32_e32 v13, 32, v13
	v_lshrrev_b16_e32 v12, 3, v3
	v_subrev_u32_e32 v14, 28, v13
	v_and_b32_e32 v12, 15, v12
	v_lshlrev_b32_e32 v14, v14, v3
	v_sub_u32_e32 v13, 29, v13
	v_and_b32_e32 v14, 7, v14
	v_cmp_eq_u16_e32 vcc, 0, v12
	v_cndmask_b32_e32 v6, v6, v14, vcc
	v_cndmask_b32_e32 v12, v12, v13, vcc
	v_lshlrev_b32_e32 v13, 24, v3
	v_mov_b32_e32 v14, 0x3b800000
	v_lshlrev_b32_e32 v6, 20, v6
	v_and_b32_e32 v13, 0x80000000, v13
	v_lshl_add_u32 v12, v12, 23, v14
	v_or3_b32 v6, v13, v12, v6
.LBB2_7592:
	s_or_b64 exec, exec, s[6:7]
	s_nop 0
	v_mfma_f32_16x16x4f32 a[0:3], v2, v6, a[0:3]
	v_lshrrev_b32_e32 v6, 8, v7
	s_movk_i32 s4, 0x7f
	v_cmp_gt_i16_sdwa s[6:7], v6, s4 src0_sel:BYTE_0 src1_sel:DWORD
	s_mov_b64 s[4:5], 0
                                        ; implicit-def: $sgpr10
	s_and_saveexec_b64 s[8:9], s[6:7]
	s_xor_b64 s[6:7], exec, s[8:9]
	s_cbranch_execz .LBB2_7593
; %bb.43433:
	s_getpc_b64 s[14:15]
.Lpost_getpc25300:
	s_add_u32 s14, s14, (.LBB2_21929-.Lpost_getpc25300)&4294967295
	s_addc_u32 s15, s15, (.LBB2_21929-.Lpost_getpc25300)>>32
	s_setpc_b64 s[14:15]
.LBB2_7593:
	s_or_saveexec_b64 s[6:7], s[6:7]
	v_mov_b32_e32 v2, s10
	s_xor_b64 exec, exec, s[6:7]
	s_cbranch_execz .LBB2_7594
; %bb.43435:
	s_getpc_b64 s[14:15]
.Lpost_getpc25301:
	s_add_u32 s14, s14, (.LBB2_21932-.Lpost_getpc25301)&4294967295
	s_addc_u32 s15, s15, (.LBB2_21932-.Lpost_getpc25301)>>32
	s_setpc_b64 s[14:15]
.LBB2_7594:
	s_or_b64 exec, exec, s[6:7]
	s_and_saveexec_b64 s[6:7], s[4:5]
	s_cbranch_execz .LBB2_7596
.LBB2_7595:
	v_bfe_u32 v2, v7, 8, 3
	v_ffbh_u32_e32 v13, v2
	v_min_u32_e32 v13, 32, v13
	v_lshrrev_b16_e32 v12, 3, v6
	v_subrev_u32_e32 v14, 28, v13
	v_and_b32_e32 v12, 15, v12
	v_lshlrev_b32_e32 v6, v14, v6
	v_sub_u32_e32 v13, 29, v13
	v_and_b32_e32 v6, 7, v6
	v_cmp_eq_u16_e32 vcc, 0, v12
	v_cndmask_b32_e32 v2, v2, v6, vcc
	v_cndmask_b32_e32 v6, v12, v13, vcc
	v_lshlrev_b32_e32 v12, 16, v7
	v_mov_b32_e32 v13, 0x3b800000
	v_lshlrev_b32_e32 v2, 20, v2
	v_and_b32_e32 v12, 0x80000000, v12
	v_lshl_add_u32 v6, v6, 23, v13
	v_or3_b32 v2, v12, v6, v2
.LBB2_7596:
	s_or_b64 exec, exec, s[6:7]
	v_lshrrev_b32_e32 v6, 8, v3
	s_movk_i32 s4, 0x7f
	v_cmp_gt_i16_sdwa s[6:7], v6, s4 src0_sel:BYTE_0 src1_sel:DWORD
	s_mov_b64 s[4:5], 0
                                        ; implicit-def: $sgpr10
	s_and_saveexec_b64 s[8:9], s[6:7]
	s_xor_b64 s[6:7], exec, s[8:9]
	s_cbranch_execz .LBB2_7597
; %bb.43437:
	s_getpc_b64 s[14:15]
.Lpost_getpc25302:
	s_add_u32 s14, s14, (.LBB2_21933-.Lpost_getpc25302)&4294967295
	s_addc_u32 s15, s15, (.LBB2_21933-.Lpost_getpc25302)>>32
	s_setpc_b64 s[14:15]
.LBB2_7597:
	s_or_saveexec_b64 s[6:7], s[6:7]
	v_mov_b32_e32 v12, s10
	s_xor_b64 exec, exec, s[6:7]
	s_cbranch_execz .LBB2_7598
; %bb.43439:
	s_getpc_b64 s[14:15]
.Lpost_getpc25303:
	s_add_u32 s14, s14, (.LBB2_21936-.Lpost_getpc25303)&4294967295
	s_addc_u32 s15, s15, (.LBB2_21936-.Lpost_getpc25303)>>32
	s_setpc_b64 s[14:15]
.LBB2_7598:
	s_or_b64 exec, exec, s[6:7]
	s_and_saveexec_b64 s[6:7], s[4:5]
	s_cbranch_execz .LBB2_7600
.LBB2_7599:
	v_bfe_u32 v12, v3, 8, 3
	v_ffbh_u32_e32 v14, v12
	v_min_u32_e32 v14, 32, v14
	v_lshrrev_b16_e32 v13, 3, v6
	v_subrev_u32_e32 v15, 28, v14
	v_and_b32_e32 v13, 15, v13
	v_lshlrev_b32_e32 v6, v15, v6
	v_sub_u32_e32 v14, 29, v14
	v_and_b32_e32 v6, 7, v6
	v_cmp_eq_u16_e32 vcc, 0, v13
	v_cndmask_b32_e32 v6, v12, v6, vcc
	v_cndmask_b32_e32 v12, v13, v14, vcc
	v_lshlrev_b32_e32 v13, 16, v3
	v_mov_b32_e32 v14, 0x3b800000
	v_lshlrev_b32_e32 v6, 20, v6
	v_and_b32_e32 v13, 0x80000000, v13
	v_lshl_add_u32 v12, v12, 23, v14
	v_or3_b32 v12, v13, v12, v6
.LBB2_7600:
	s_or_b64 exec, exec, s[6:7]
	s_nop 0
	v_mfma_f32_16x16x4f32 a[0:3], v2, v12, a[0:3]
	s_movk_i32 s4, 0xff
	v_and_b32_sdwa v6, v7, s4 dst_sel:DWORD dst_unused:UNUSED_PAD src0_sel:WORD_1 src1_sel:DWORD
	s_movk_i32 s4, 0x7f
	v_cmp_lt_i16_e32 vcc, s4, v6
	s_mov_b64 s[4:5], 0
                                        ; implicit-def: $sgpr10
	s_and_saveexec_b64 s[6:7], vcc
	s_xor_b64 s[6:7], exec, s[6:7]
	s_cbranch_execz .LBB2_7601
; %bb.43441:
	s_getpc_b64 s[14:15]
.Lpost_getpc25304:
	s_add_u32 s14, s14, (.LBB2_21937-.Lpost_getpc25304)&4294967295
	s_addc_u32 s15, s15, (.LBB2_21937-.Lpost_getpc25304)>>32
	s_setpc_b64 s[14:15]
.LBB2_7601:
	s_or_saveexec_b64 s[6:7], s[6:7]
	v_mov_b32_e32 v2, s10
	s_xor_b64 exec, exec, s[6:7]
	s_cbranch_execz .LBB2_7602
; %bb.43443:
	s_getpc_b64 s[14:15]
.Lpost_getpc25305:
	s_add_u32 s14, s14, (.LBB2_21940-.Lpost_getpc25305)&4294967295
	s_addc_u32 s15, s15, (.LBB2_21940-.Lpost_getpc25305)>>32
	s_setpc_b64 s[14:15]
.LBB2_7602:
	s_or_b64 exec, exec, s[6:7]
	s_and_saveexec_b64 s[6:7], s[4:5]
	s_cbranch_execz .LBB2_7604
.LBB2_7603:
	v_bfe_u32 v2, v7, 16, 3
	v_ffbh_u32_e32 v13, v2
	v_min_u32_e32 v13, 32, v13
	v_lshrrev_b32_e32 v6, 19, v7
	v_subrev_u32_e32 v14, 28, v13
	v_and_b32_e32 v6, 15, v6
	v_lshlrev_b32_sdwa v14, v14, v7 dst_sel:DWORD dst_unused:UNUSED_PAD src0_sel:DWORD src1_sel:WORD_1
	v_bfe_u32 v12, v7, 19, 4
	v_sub_u32_e32 v13, 29, v13
	v_and_b32_e32 v14, 7, v14
	v_cmp_eq_u16_e32 vcc, 0, v6
	v_cndmask_b32_e32 v2, v2, v14, vcc
	v_cndmask_b32_e32 v6, v12, v13, vcc
	v_lshlrev_b32_e32 v12, 8, v7
	v_mov_b32_e32 v13, 0x3b800000
	v_lshlrev_b32_e32 v2, 20, v2
	v_and_b32_e32 v12, 0x80000000, v12
	v_lshl_add_u32 v6, v6, 23, v13
	v_or3_b32 v2, v12, v6, v2
.LBB2_7604:
	s_or_b64 exec, exec, s[6:7]
	s_movk_i32 s4, 0xff
	v_and_b32_sdwa v6, v3, s4 dst_sel:DWORD dst_unused:UNUSED_PAD src0_sel:WORD_1 src1_sel:DWORD
	s_movk_i32 s4, 0x7f
	v_cmp_lt_i16_e32 vcc, s4, v6
	s_mov_b64 s[4:5], 0
                                        ; implicit-def: $sgpr10
	s_and_saveexec_b64 s[6:7], vcc
	s_xor_b64 s[6:7], exec, s[6:7]
	s_cbranch_execz .LBB2_7605
; %bb.43445:
	s_getpc_b64 s[14:15]
.Lpost_getpc25306:
	s_add_u32 s14, s14, (.LBB2_21941-.Lpost_getpc25306)&4294967295
	s_addc_u32 s15, s15, (.LBB2_21941-.Lpost_getpc25306)>>32
	s_setpc_b64 s[14:15]
.LBB2_7605:
	s_or_saveexec_b64 s[6:7], s[6:7]
	v_mov_b32_e32 v12, s10
	s_xor_b64 exec, exec, s[6:7]
	s_cbranch_execz .LBB2_7606
; %bb.43447:
	s_getpc_b64 s[14:15]
.Lpost_getpc25307:
	s_add_u32 s14, s14, (.LBB2_21944-.Lpost_getpc25307)&4294967295
	s_addc_u32 s15, s15, (.LBB2_21944-.Lpost_getpc25307)>>32
	s_setpc_b64 s[14:15]
.LBB2_7606:
	s_or_b64 exec, exec, s[6:7]
	s_and_saveexec_b64 s[6:7], s[4:5]
	s_cbranch_execz .LBB2_7608
.LBB2_7607:
	v_bfe_u32 v6, v3, 16, 3
	v_ffbh_u32_e32 v14, v6
	v_min_u32_e32 v14, 32, v14
	v_lshrrev_b32_e32 v12, 19, v3
	v_subrev_u32_e32 v15, 28, v14
	v_and_b32_e32 v12, 15, v12
	v_lshlrev_b32_sdwa v15, v15, v3 dst_sel:DWORD dst_unused:UNUSED_PAD src0_sel:DWORD src1_sel:WORD_1
	v_bfe_u32 v13, v3, 19, 4
	v_sub_u32_e32 v14, 29, v14
	v_and_b32_e32 v15, 7, v15
	v_cmp_eq_u16_e32 vcc, 0, v12
	v_cndmask_b32_e32 v6, v6, v15, vcc
	v_cndmask_b32_e32 v12, v13, v14, vcc
	v_lshlrev_b32_e32 v13, 8, v3
	v_mov_b32_e32 v14, 0x3b800000
	v_lshlrev_b32_e32 v6, 20, v6
	v_and_b32_e32 v13, 0x80000000, v13
	v_lshl_add_u32 v12, v12, 23, v14
	v_or3_b32 v12, v13, v12, v6
.LBB2_7608:
	s_or_b64 exec, exec, s[6:7]
	s_nop 0
	v_mfma_f32_16x16x4f32 a[0:3], v2, v12, a[0:3]
	s_movk_i32 s4, 0x7f
	v_cmp_gt_i16_sdwa s[6:7], v7, s4 src0_sel:BYTE_3 src1_sel:DWORD
	s_mov_b64 s[4:5], 0
                                        ; implicit-def: $sgpr10
	s_and_saveexec_b64 s[8:9], s[6:7]
	s_xor_b64 s[6:7], exec, s[8:9]
	s_cbranch_execz .LBB2_7609
; %bb.43449:
	s_getpc_b64 s[14:15]
.Lpost_getpc25308:
	s_add_u32 s14, s14, (.LBB2_21945-.Lpost_getpc25308)&4294967295
	s_addc_u32 s15, s15, (.LBB2_21945-.Lpost_getpc25308)>>32
	s_setpc_b64 s[14:15]
.LBB2_7609:
	s_or_saveexec_b64 s[6:7], s[6:7]
	v_mov_b32_e32 v2, s10
	s_xor_b64 exec, exec, s[6:7]
	s_cbranch_execz .LBB2_7610
; %bb.43451:
	s_getpc_b64 s[14:15]
.Lpost_getpc25309:
	s_add_u32 s14, s14, (.LBB2_21948-.Lpost_getpc25309)&4294967295
	s_addc_u32 s15, s15, (.LBB2_21948-.Lpost_getpc25309)>>32
	s_setpc_b64 s[14:15]
.LBB2_7610:
	s_or_b64 exec, exec, s[6:7]
	s_and_saveexec_b64 s[6:7], s[4:5]
	s_cbranch_execz .LBB2_7612
.LBB2_7611:
	v_bfe_u32 v2, v7, 24, 3
	v_ffbh_u32_e32 v14, v2
	v_min_u32_e32 v14, 32, v14
	v_lshrrev_b32_e32 v12, 27, v7
	v_subrev_u32_e32 v15, 28, v14
	v_and_b32_e32 v6, 0x80000000, v7
	v_and_b32_e32 v12, 15, v12
	v_bfe_u32 v13, v7, 27, 4
	v_lshlrev_b32_sdwa v7, v15, v7 dst_sel:DWORD dst_unused:UNUSED_PAD src0_sel:DWORD src1_sel:BYTE_3
	v_sub_u32_e32 v14, 29, v14
	v_and_b32_e32 v7, 7, v7
	v_cmp_eq_u16_e32 vcc, 0, v12
	v_cndmask_b32_e32 v2, v2, v7, vcc
	v_cndmask_b32_e32 v7, v13, v14, vcc
	v_mov_b32_e32 v12, 0x3b800000
	v_lshlrev_b32_e32 v2, 20, v2
	v_lshl_add_u32 v7, v7, 23, v12
	v_or3_b32 v2, v6, v7, v2
.LBB2_7612:
	s_or_b64 exec, exec, s[6:7]
	s_movk_i32 s4, 0x7f
	v_cmp_gt_i16_sdwa s[6:7], v3, s4 src0_sel:BYTE_3 src1_sel:DWORD
	s_mov_b64 s[4:5], 0
                                        ; implicit-def: $sgpr10
	s_and_saveexec_b64 s[8:9], s[6:7]
	s_xor_b64 s[6:7], exec, s[8:9]
	s_cbranch_execz .LBB2_7613
; %bb.43453:
	s_getpc_b64 s[14:15]
.Lpost_getpc25310:
	s_add_u32 s14, s14, (.LBB2_21949-.Lpost_getpc25310)&4294967295
	s_addc_u32 s15, s15, (.LBB2_21949-.Lpost_getpc25310)>>32
	s_setpc_b64 s[14:15]
.LBB2_7613:
	s_or_saveexec_b64 s[6:7], s[6:7]
	v_mov_b32_e32 v6, s10
	s_xor_b64 exec, exec, s[6:7]
	s_cbranch_execz .LBB2_7614
; %bb.43455:
	s_getpc_b64 s[14:15]
.Lpost_getpc25311:
	s_add_u32 s14, s14, (.LBB2_21952-.Lpost_getpc25311)&4294967295
	s_addc_u32 s15, s15, (.LBB2_21952-.Lpost_getpc25311)>>32
	s_setpc_b64 s[14:15]
.LBB2_7614:
	s_or_b64 exec, exec, s[6:7]
	s_and_saveexec_b64 s[6:7], s[4:5]
	s_cbranch_execz .LBB2_7616
.LBB2_7615:
	v_bfe_u32 v6, v3, 24, 3
	v_ffbh_u32_e32 v14, v6
	v_min_u32_e32 v14, 32, v14
	v_lshrrev_b32_e32 v12, 27, v3
	v_subrev_u32_e32 v15, 28, v14
	v_and_b32_e32 v7, 0x80000000, v3
	v_and_b32_e32 v12, 15, v12
	v_bfe_u32 v13, v3, 27, 4
	v_lshlrev_b32_sdwa v3, v15, v3 dst_sel:DWORD dst_unused:UNUSED_PAD src0_sel:DWORD src1_sel:BYTE_3
	v_sub_u32_e32 v14, 29, v14
	v_and_b32_e32 v3, 7, v3
	v_cmp_eq_u16_e32 vcc, 0, v12
	v_cndmask_b32_e32 v3, v6, v3, vcc
	v_cndmask_b32_e32 v6, v13, v14, vcc
	v_mov_b32_e32 v12, 0x3b800000
	v_lshlrev_b32_e32 v3, 20, v3
	v_lshl_add_u32 v6, v6, 23, v12
	v_or3_b32 v6, v7, v6, v3
.LBB2_7616:
	s_or_b64 exec, exec, s[6:7]
	s_nop 0
	v_mfma_f32_16x16x4f32 a[0:3], v2, v6, a[0:3]
	s_movk_i32 s4, 0x7f
	v_cmp_gt_i16_sdwa s[6:7], v8, s4 src0_sel:BYTE_0 src1_sel:DWORD
	s_mov_b64 s[4:5], 0
                                        ; implicit-def: $sgpr10
	s_and_saveexec_b64 s[8:9], s[6:7]
	s_xor_b64 s[6:7], exec, s[8:9]
	s_cbranch_execz .LBB2_7617
; %bb.43457:
	s_getpc_b64 s[14:15]
.Lpost_getpc25312:
	s_add_u32 s14, s14, (.LBB2_21953-.Lpost_getpc25312)&4294967295
	s_addc_u32 s15, s15, (.LBB2_21953-.Lpost_getpc25312)>>32
	s_setpc_b64 s[14:15]
.LBB2_7617:
	s_or_saveexec_b64 s[6:7], s[6:7]
	v_mov_b32_e32 v2, s10
	s_xor_b64 exec, exec, s[6:7]
	s_cbranch_execz .LBB2_7618
; %bb.43459:
	s_getpc_b64 s[14:15]
.Lpost_getpc25313:
	s_add_u32 s14, s14, (.LBB2_21956-.Lpost_getpc25313)&4294967295
	s_addc_u32 s15, s15, (.LBB2_21956-.Lpost_getpc25313)>>32
	s_setpc_b64 s[14:15]
.LBB2_7618:
	s_or_b64 exec, exec, s[6:7]
	s_and_saveexec_b64 s[6:7], s[4:5]
	s_cbranch_execz .LBB2_7620
.LBB2_7619:
	v_and_b32_e32 v2, 7, v8
	v_ffbh_u32_e32 v6, v2
	v_min_u32_e32 v6, 32, v6
	v_lshrrev_b16_e32 v3, 3, v8
	v_subrev_u32_e32 v7, 28, v6
	v_and_b32_e32 v3, 15, v3
	v_lshlrev_b32_e32 v7, v7, v8
	v_sub_u32_e32 v6, 29, v6
	v_and_b32_e32 v7, 7, v7
	v_cmp_eq_u16_e32 vcc, 0, v3
	v_cndmask_b32_e32 v2, v2, v7, vcc
	v_cndmask_b32_e32 v3, v3, v6, vcc
	v_lshlrev_b32_e32 v6, 24, v8
	v_mov_b32_e32 v7, 0x3b800000
	v_lshlrev_b32_e32 v2, 20, v2
	v_and_b32_e32 v6, 0x80000000, v6
	v_lshl_add_u32 v3, v3, 23, v7
	v_or3_b32 v2, v6, v3, v2
.LBB2_7620:
	s_or_b64 exec, exec, s[6:7]
	s_movk_i32 s4, 0x7f
	v_cmp_gt_i16_sdwa s[6:7], v4, s4 src0_sel:BYTE_0 src1_sel:DWORD
	s_mov_b64 s[4:5], 0
                                        ; implicit-def: $sgpr10
	s_and_saveexec_b64 s[8:9], s[6:7]
	s_xor_b64 s[6:7], exec, s[8:9]
	s_cbranch_execz .LBB2_7621
; %bb.43461:
	s_getpc_b64 s[14:15]
.Lpost_getpc25314:
	s_add_u32 s14, s14, (.LBB2_21957-.Lpost_getpc25314)&4294967295
	s_addc_u32 s15, s15, (.LBB2_21957-.Lpost_getpc25314)>>32
	s_setpc_b64 s[14:15]
.LBB2_7621:
	s_or_saveexec_b64 s[6:7], s[6:7]
	v_mov_b32_e32 v3, s10
	s_xor_b64 exec, exec, s[6:7]
	s_cbranch_execz .LBB2_7622
; %bb.43463:
	s_getpc_b64 s[14:15]
.Lpost_getpc25315:
	s_add_u32 s14, s14, (.LBB2_21960-.Lpost_getpc25315)&4294967295
	s_addc_u32 s15, s15, (.LBB2_21960-.Lpost_getpc25315)>>32
	s_setpc_b64 s[14:15]
.LBB2_7622:
	s_or_b64 exec, exec, s[6:7]
	s_and_saveexec_b64 s[6:7], s[4:5]
	s_cbranch_execz .LBB2_7624
.LBB2_7623:
	v_and_b32_e32 v3, 7, v4
	v_ffbh_u32_e32 v7, v3
	v_min_u32_e32 v7, 32, v7
	v_lshrrev_b16_e32 v6, 3, v4
	v_subrev_u32_e32 v12, 28, v7
	v_and_b32_e32 v6, 15, v6
	v_lshlrev_b32_e32 v12, v12, v4
	v_sub_u32_e32 v7, 29, v7
	v_and_b32_e32 v12, 7, v12
	v_cmp_eq_u16_e32 vcc, 0, v6
	v_cndmask_b32_e32 v3, v3, v12, vcc
	v_cndmask_b32_e32 v6, v6, v7, vcc
	v_lshlrev_b32_e32 v7, 24, v4
	v_mov_b32_e32 v12, 0x3b800000
	v_lshlrev_b32_e32 v3, 20, v3
	v_and_b32_e32 v7, 0x80000000, v7
	v_lshl_add_u32 v6, v6, 23, v12
	v_or3_b32 v3, v7, v6, v3
.LBB2_7624:
	s_or_b64 exec, exec, s[6:7]
	s_nop 0
	v_mfma_f32_16x16x4f32 a[0:3], v2, v3, a[0:3]
	v_lshrrev_b32_e32 v3, 8, v8
	s_movk_i32 s4, 0x7f
	v_cmp_gt_i16_sdwa s[6:7], v3, s4 src0_sel:BYTE_0 src1_sel:DWORD
	s_mov_b64 s[4:5], 0
                                        ; implicit-def: $sgpr10
	s_and_saveexec_b64 s[8:9], s[6:7]
	s_xor_b64 s[6:7], exec, s[8:9]
	s_cbranch_execz .LBB2_7625
; %bb.43465:
	s_getpc_b64 s[14:15]
.Lpost_getpc25316:
	s_add_u32 s14, s14, (.LBB2_21961-.Lpost_getpc25316)&4294967295
	s_addc_u32 s15, s15, (.LBB2_21961-.Lpost_getpc25316)>>32
	s_setpc_b64 s[14:15]
.LBB2_7625:
	s_or_saveexec_b64 s[6:7], s[6:7]
	v_mov_b32_e32 v2, s10
	s_xor_b64 exec, exec, s[6:7]
	s_cbranch_execz .LBB2_7626
; %bb.43467:
	s_getpc_b64 s[14:15]
.Lpost_getpc25317:
	s_add_u32 s14, s14, (.LBB2_21964-.Lpost_getpc25317)&4294967295
	s_addc_u32 s15, s15, (.LBB2_21964-.Lpost_getpc25317)>>32
	s_setpc_b64 s[14:15]
.LBB2_7626:
	s_or_b64 exec, exec, s[6:7]
	s_and_saveexec_b64 s[6:7], s[4:5]
	s_cbranch_execz .LBB2_7628
.LBB2_7627:
	v_bfe_u32 v2, v8, 8, 3
	v_ffbh_u32_e32 v7, v2
	v_min_u32_e32 v7, 32, v7
	v_lshrrev_b16_e32 v6, 3, v3
	v_subrev_u32_e32 v12, 28, v7
	v_and_b32_e32 v6, 15, v6
	v_lshlrev_b32_e32 v3, v12, v3
	v_sub_u32_e32 v7, 29, v7
	v_and_b32_e32 v3, 7, v3
	v_cmp_eq_u16_e32 vcc, 0, v6
	v_cndmask_b32_e32 v2, v2, v3, vcc
	v_cndmask_b32_e32 v3, v6, v7, vcc
	v_lshlrev_b32_e32 v6, 16, v8
	v_mov_b32_e32 v7, 0x3b800000
	v_lshlrev_b32_e32 v2, 20, v2
	v_and_b32_e32 v6, 0x80000000, v6
	v_lshl_add_u32 v3, v3, 23, v7
	v_or3_b32 v2, v6, v3, v2
.LBB2_7628:
	s_or_b64 exec, exec, s[6:7]
	v_lshrrev_b32_e32 v3, 8, v4
	s_movk_i32 s4, 0x7f
	v_cmp_gt_i16_sdwa s[6:7], v3, s4 src0_sel:BYTE_0 src1_sel:DWORD
	s_mov_b64 s[4:5], 0
                                        ; implicit-def: $sgpr10
	s_and_saveexec_b64 s[8:9], s[6:7]
	s_xor_b64 s[6:7], exec, s[8:9]
	s_cbranch_execz .LBB2_7629
; %bb.43469:
	s_getpc_b64 s[14:15]
.Lpost_getpc25318:
	s_add_u32 s14, s14, (.LBB2_21965-.Lpost_getpc25318)&4294967295
	s_addc_u32 s15, s15, (.LBB2_21965-.Lpost_getpc25318)>>32
	s_setpc_b64 s[14:15]
.LBB2_7629:
	s_or_saveexec_b64 s[6:7], s[6:7]
	v_mov_b32_e32 v6, s10
	s_xor_b64 exec, exec, s[6:7]
	s_cbranch_execz .LBB2_7630
; %bb.43471:
	s_getpc_b64 s[14:15]
.Lpost_getpc25319:
	s_add_u32 s14, s14, (.LBB2_21968-.Lpost_getpc25319)&4294967295
	s_addc_u32 s15, s15, (.LBB2_21968-.Lpost_getpc25319)>>32
	s_setpc_b64 s[14:15]
.LBB2_7630:
	s_or_b64 exec, exec, s[6:7]
	s_and_saveexec_b64 s[6:7], s[4:5]
	s_cbranch_execz .LBB2_7632
.LBB2_7631:
	v_bfe_u32 v6, v4, 8, 3
	v_ffbh_u32_e32 v12, v6
	v_min_u32_e32 v12, 32, v12
	v_lshrrev_b16_e32 v7, 3, v3
	v_subrev_u32_e32 v13, 28, v12
	v_and_b32_e32 v7, 15, v7
	v_lshlrev_b32_e32 v3, v13, v3
	v_sub_u32_e32 v12, 29, v12
	v_and_b32_e32 v3, 7, v3
	v_cmp_eq_u16_e32 vcc, 0, v7
	v_cndmask_b32_e32 v3, v6, v3, vcc
	v_cndmask_b32_e32 v6, v7, v12, vcc
	v_lshlrev_b32_e32 v7, 16, v4
	v_mov_b32_e32 v12, 0x3b800000
	v_lshlrev_b32_e32 v3, 20, v3
	v_and_b32_e32 v7, 0x80000000, v7
	v_lshl_add_u32 v6, v6, 23, v12
	v_or3_b32 v6, v7, v6, v3
.LBB2_7632:
	s_or_b64 exec, exec, s[6:7]
	s_nop 0
	v_mfma_f32_16x16x4f32 a[0:3], v2, v6, a[0:3]
	s_movk_i32 s4, 0xff
	v_and_b32_sdwa v3, v8, s4 dst_sel:DWORD dst_unused:UNUSED_PAD src0_sel:WORD_1 src1_sel:DWORD
	s_movk_i32 s4, 0x7f
	v_cmp_lt_i16_e32 vcc, s4, v3
	s_mov_b64 s[4:5], 0
                                        ; implicit-def: $sgpr10
	s_and_saveexec_b64 s[6:7], vcc
	s_xor_b64 s[6:7], exec, s[6:7]
	s_cbranch_execz .LBB2_7633
; %bb.43473:
	s_getpc_b64 s[14:15]
.Lpost_getpc25320:
	s_add_u32 s14, s14, (.LBB2_21969-.Lpost_getpc25320)&4294967295
	s_addc_u32 s15, s15, (.LBB2_21969-.Lpost_getpc25320)>>32
	s_setpc_b64 s[14:15]
.LBB2_7633:
	s_or_saveexec_b64 s[6:7], s[6:7]
	v_mov_b32_e32 v2, s10
	s_xor_b64 exec, exec, s[6:7]
	s_cbranch_execz .LBB2_7634
; %bb.43475:
	s_getpc_b64 s[14:15]
.Lpost_getpc25321:
	s_add_u32 s14, s14, (.LBB2_21972-.Lpost_getpc25321)&4294967295
	s_addc_u32 s15, s15, (.LBB2_21972-.Lpost_getpc25321)>>32
	s_setpc_b64 s[14:15]
.LBB2_7634:
	s_or_b64 exec, exec, s[6:7]
	s_and_saveexec_b64 s[6:7], s[4:5]
	s_cbranch_execz .LBB2_7636
.LBB2_7635:
	v_bfe_u32 v2, v8, 16, 3
	v_ffbh_u32_e32 v7, v2
	v_min_u32_e32 v7, 32, v7
	v_lshrrev_b32_e32 v3, 19, v8
	v_subrev_u32_e32 v12, 28, v7
	v_and_b32_e32 v3, 15, v3
	v_lshlrev_b32_sdwa v12, v12, v8 dst_sel:DWORD dst_unused:UNUSED_PAD src0_sel:DWORD src1_sel:WORD_1
	v_bfe_u32 v6, v8, 19, 4
	v_sub_u32_e32 v7, 29, v7
	v_and_b32_e32 v12, 7, v12
	v_cmp_eq_u16_e32 vcc, 0, v3
	v_cndmask_b32_e32 v2, v2, v12, vcc
	v_cndmask_b32_e32 v3, v6, v7, vcc
	v_lshlrev_b32_e32 v6, 8, v8
	v_mov_b32_e32 v7, 0x3b800000
	v_lshlrev_b32_e32 v2, 20, v2
	v_and_b32_e32 v6, 0x80000000, v6
	v_lshl_add_u32 v3, v3, 23, v7
	v_or3_b32 v2, v6, v3, v2
.LBB2_7636:
	s_or_b64 exec, exec, s[6:7]
	s_movk_i32 s4, 0xff
	v_and_b32_sdwa v3, v4, s4 dst_sel:DWORD dst_unused:UNUSED_PAD src0_sel:WORD_1 src1_sel:DWORD
	s_movk_i32 s4, 0x7f
	v_cmp_lt_i16_e32 vcc, s4, v3
	s_mov_b64 s[4:5], 0
                                        ; implicit-def: $sgpr10
	s_and_saveexec_b64 s[6:7], vcc
	s_xor_b64 s[6:7], exec, s[6:7]
	s_cbranch_execz .LBB2_7637
; %bb.43477:
	s_getpc_b64 s[14:15]
.Lpost_getpc25322:
	s_add_u32 s14, s14, (.LBB2_21973-.Lpost_getpc25322)&4294967295
	s_addc_u32 s15, s15, (.LBB2_21973-.Lpost_getpc25322)>>32
	s_setpc_b64 s[14:15]
.LBB2_7637:
	s_or_saveexec_b64 s[6:7], s[6:7]
	v_mov_b32_e32 v6, s10
	s_xor_b64 exec, exec, s[6:7]
	s_cbranch_execz .LBB2_7638
; %bb.43479:
	s_getpc_b64 s[14:15]
.Lpost_getpc25323:
	s_add_u32 s14, s14, (.LBB2_21976-.Lpost_getpc25323)&4294967295
	s_addc_u32 s15, s15, (.LBB2_21976-.Lpost_getpc25323)>>32
	s_setpc_b64 s[14:15]
.LBB2_7638:
	s_or_b64 exec, exec, s[6:7]
	s_and_saveexec_b64 s[6:7], s[4:5]
	s_cbranch_execz .LBB2_7640
.LBB2_7639:
	v_bfe_u32 v3, v4, 16, 3
	v_ffbh_u32_e32 v12, v3
	v_min_u32_e32 v12, 32, v12
	v_lshrrev_b32_e32 v6, 19, v4
	v_subrev_u32_e32 v13, 28, v12
	v_and_b32_e32 v6, 15, v6
	v_lshlrev_b32_sdwa v13, v13, v4 dst_sel:DWORD dst_unused:UNUSED_PAD src0_sel:DWORD src1_sel:WORD_1
	v_bfe_u32 v7, v4, 19, 4
	v_sub_u32_e32 v12, 29, v12
	v_and_b32_e32 v13, 7, v13
	v_cmp_eq_u16_e32 vcc, 0, v6
	v_cndmask_b32_e32 v3, v3, v13, vcc
	v_cndmask_b32_e32 v6, v7, v12, vcc
	v_lshlrev_b32_e32 v7, 8, v4
	v_mov_b32_e32 v12, 0x3b800000
	v_lshlrev_b32_e32 v3, 20, v3
	v_and_b32_e32 v7, 0x80000000, v7
	v_lshl_add_u32 v6, v6, 23, v12
	v_or3_b32 v6, v7, v6, v3
.LBB2_7640:
	s_or_b64 exec, exec, s[6:7]
	s_nop 0
	v_mfma_f32_16x16x4f32 a[0:3], v2, v6, a[0:3]
	s_movk_i32 s4, 0x7f
	v_cmp_gt_i16_sdwa s[6:7], v8, s4 src0_sel:BYTE_3 src1_sel:DWORD
	s_mov_b64 s[4:5], 0
                                        ; implicit-def: $sgpr10
	s_and_saveexec_b64 s[8:9], s[6:7]
	s_xor_b64 s[6:7], exec, s[8:9]
	s_cbranch_execz .LBB2_7641
; %bb.43481:
	s_getpc_b64 s[14:15]
.Lpost_getpc25324:
	s_add_u32 s14, s14, (.LBB2_21977-.Lpost_getpc25324)&4294967295
	s_addc_u32 s15, s15, (.LBB2_21977-.Lpost_getpc25324)>>32
	s_setpc_b64 s[14:15]
.LBB2_7641:
	s_or_saveexec_b64 s[6:7], s[6:7]
	v_mov_b32_e32 v2, s10
	s_xor_b64 exec, exec, s[6:7]
	s_cbranch_execz .LBB2_7642
; %bb.43483:
	s_getpc_b64 s[14:15]
.Lpost_getpc25325:
	s_add_u32 s14, s14, (.LBB2_21980-.Lpost_getpc25325)&4294967295
	s_addc_u32 s15, s15, (.LBB2_21980-.Lpost_getpc25325)>>32
	s_setpc_b64 s[14:15]
.LBB2_7642:
	s_or_b64 exec, exec, s[6:7]
	s_and_saveexec_b64 s[6:7], s[4:5]
	s_cbranch_execz .LBB2_7644
.LBB2_7643:
	v_bfe_u32 v2, v8, 24, 3
	v_ffbh_u32_e32 v12, v2
	v_min_u32_e32 v12, 32, v12
	v_lshrrev_b32_e32 v6, 27, v8
	v_subrev_u32_e32 v13, 28, v12
	v_and_b32_e32 v3, 0x80000000, v8
	v_and_b32_e32 v6, 15, v6
	v_bfe_u32 v7, v8, 27, 4
	v_lshlrev_b32_sdwa v8, v13, v8 dst_sel:DWORD dst_unused:UNUSED_PAD src0_sel:DWORD src1_sel:BYTE_3
	v_sub_u32_e32 v12, 29, v12
	v_and_b32_e32 v8, 7, v8
	v_cmp_eq_u16_e32 vcc, 0, v6
	v_cndmask_b32_e32 v2, v2, v8, vcc
	v_cndmask_b32_e32 v6, v7, v12, vcc
	v_mov_b32_e32 v7, 0x3b800000
	v_lshlrev_b32_e32 v2, 20, v2
	v_lshl_add_u32 v6, v6, 23, v7
	v_or3_b32 v2, v3, v6, v2
.LBB2_7644:
	s_or_b64 exec, exec, s[6:7]
	s_movk_i32 s4, 0x7f
	v_cmp_gt_i16_sdwa s[6:7], v4, s4 src0_sel:BYTE_3 src1_sel:DWORD
	s_mov_b64 s[4:5], 0
                                        ; implicit-def: $sgpr10
	s_and_saveexec_b64 s[8:9], s[6:7]
	s_xor_b64 s[6:7], exec, s[8:9]
	s_cbranch_execz .LBB2_7645
; %bb.43485:
	s_getpc_b64 s[14:15]
.Lpost_getpc25326:
	s_add_u32 s14, s14, (.LBB2_21981-.Lpost_getpc25326)&4294967295
	s_addc_u32 s15, s15, (.LBB2_21981-.Lpost_getpc25326)>>32
	s_setpc_b64 s[14:15]
.LBB2_7645:
	s_or_saveexec_b64 s[6:7], s[6:7]
	v_mov_b32_e32 v3, s10
	s_xor_b64 exec, exec, s[6:7]
	s_cbranch_execz .LBB2_7646
; %bb.43487:
	s_getpc_b64 s[14:15]
.Lpost_getpc25327:
	s_add_u32 s14, s14, (.LBB2_21984-.Lpost_getpc25327)&4294967295
	s_addc_u32 s15, s15, (.LBB2_21984-.Lpost_getpc25327)>>32
	s_setpc_b64 s[14:15]
.LBB2_7646:
	s_or_b64 exec, exec, s[6:7]
	s_and_saveexec_b64 s[6:7], s[4:5]
	s_cbranch_execz .LBB2_7648
.LBB2_7647:
	v_bfe_u32 v3, v4, 24, 3
	v_ffbh_u32_e32 v12, v3
	v_min_u32_e32 v12, 32, v12
	v_lshrrev_b32_e32 v7, 27, v4
	v_subrev_u32_e32 v13, 28, v12
	v_and_b32_e32 v6, 0x80000000, v4
	v_and_b32_e32 v7, 15, v7
	v_bfe_u32 v8, v4, 27, 4
	v_lshlrev_b32_sdwa v4, v13, v4 dst_sel:DWORD dst_unused:UNUSED_PAD src0_sel:DWORD src1_sel:BYTE_3
	v_sub_u32_e32 v12, 29, v12
	v_and_b32_e32 v4, 7, v4
	v_cmp_eq_u16_e32 vcc, 0, v7
	v_cndmask_b32_e32 v3, v3, v4, vcc
	v_cndmask_b32_e32 v4, v8, v12, vcc
	v_mov_b32_e32 v7, 0x3b800000
	v_lshlrev_b32_e32 v3, 20, v3
	v_lshl_add_u32 v4, v4, 23, v7
	v_or3_b32 v3, v6, v4, v3
.LBB2_7648:
	s_or_b64 exec, exec, s[6:7]
	s_nop 0
	v_mfma_f32_16x16x4f32 a[0:3], v2, v3, a[0:3]
	s_movk_i32 s4, 0x7f
	v_cmp_gt_i16_sdwa s[6:7], v9, s4 src0_sel:BYTE_0 src1_sel:DWORD
	s_mov_b64 s[4:5], 0
                                        ; implicit-def: $sgpr10
	s_and_saveexec_b64 s[8:9], s[6:7]
	s_xor_b64 s[6:7], exec, s[8:9]
	s_cbranch_execz .LBB2_7649
; %bb.43489:
	s_getpc_b64 s[14:15]
.Lpost_getpc25328:
	s_add_u32 s14, s14, (.LBB2_21985-.Lpost_getpc25328)&4294967295
	s_addc_u32 s15, s15, (.LBB2_21985-.Lpost_getpc25328)>>32
	s_setpc_b64 s[14:15]
.LBB2_7649:
	s_or_saveexec_b64 s[6:7], s[6:7]
	v_mov_b32_e32 v2, s10
	s_xor_b64 exec, exec, s[6:7]
	s_cbranch_execz .LBB2_7650
; %bb.43491:
	s_getpc_b64 s[14:15]
.Lpost_getpc25329:
	s_add_u32 s14, s14, (.LBB2_21988-.Lpost_getpc25329)&4294967295
	s_addc_u32 s15, s15, (.LBB2_21988-.Lpost_getpc25329)>>32
	s_setpc_b64 s[14:15]
.LBB2_7650:
	s_or_b64 exec, exec, s[6:7]
	s_and_saveexec_b64 s[6:7], s[4:5]
	s_cbranch_execz .LBB2_7652
.LBB2_7651:
	v_mov_b32_e32 v2, 8
	v_and_b32_e32 v3, 7, v9
	v_lshrrev_b32_sdwa v2, v2, v9 dst_sel:BYTE_1 dst_unused:UNUSED_PAD src0_sel:DWORD src1_sel:DWORD
	v_ffbh_u32_e32 v4, v3
	v_or_b32_sdwa v2, v9, v2 dst_sel:DWORD dst_unused:UNUSED_PAD src0_sel:BYTE_0 src1_sel:DWORD
	v_min_u32_e32 v4, 32, v4
	v_lshrrev_b16_e32 v2, 3, v2
	v_subrev_u32_e32 v6, 28, v4
	v_and_b32_e32 v2, 15, v2
	v_lshlrev_b32_e32 v6, v6, v9
	v_sub_u32_e32 v4, 29, v4
	v_and_b32_e32 v6, 7, v6
	v_cmp_eq_u16_e32 vcc, 0, v2
	v_cndmask_b32_e32 v3, v3, v6, vcc
	v_cndmask_b32_e32 v2, v2, v4, vcc
	v_lshlrev_b32_e32 v4, 24, v9
	v_mov_b32_e32 v6, 0x3b800000
	v_lshlrev_b32_e32 v3, 20, v3
	v_and_b32_e32 v4, 0x80000000, v4
	v_lshl_add_u32 v2, v2, 23, v6
	v_or3_b32 v2, v4, v2, v3
.LBB2_7652:
	s_or_b64 exec, exec, s[6:7]
	s_movk_i32 s4, 0x7f
	v_cmp_gt_i16_sdwa s[6:7], v5, s4 src0_sel:BYTE_0 src1_sel:DWORD
	s_mov_b64 s[4:5], 0
                                        ; implicit-def: $sgpr10
	s_and_saveexec_b64 s[8:9], s[6:7]
	s_xor_b64 s[6:7], exec, s[8:9]
	s_cbranch_execz .LBB2_7653
; %bb.43493:
	s_getpc_b64 s[14:15]
.Lpost_getpc25330:
	s_add_u32 s14, s14, (.LBB2_21989-.Lpost_getpc25330)&4294967295
	s_addc_u32 s15, s15, (.LBB2_21989-.Lpost_getpc25330)>>32
	s_setpc_b64 s[14:15]
.LBB2_7653:
	s_or_saveexec_b64 s[6:7], s[6:7]
	v_mov_b32_e32 v3, s10
	s_xor_b64 exec, exec, s[6:7]
	s_cbranch_execz .LBB2_7654
; %bb.43495:
	s_getpc_b64 s[14:15]
.Lpost_getpc25331:
	s_add_u32 s14, s14, (.LBB2_21992-.Lpost_getpc25331)&4294967295
	s_addc_u32 s15, s15, (.LBB2_21992-.Lpost_getpc25331)>>32
	s_setpc_b64 s[14:15]
.LBB2_7654:
	s_or_b64 exec, exec, s[6:7]
	s_and_saveexec_b64 s[6:7], s[4:5]
	s_cbranch_execz .LBB2_7656
.LBB2_7655:
	v_mov_b32_e32 v3, 8
	v_and_b32_e32 v4, 7, v5
	v_lshrrev_b32_sdwa v3, v3, v5 dst_sel:BYTE_1 dst_unused:UNUSED_PAD src0_sel:DWORD src1_sel:DWORD
	v_ffbh_u32_e32 v6, v4
	v_or_b32_sdwa v3, v5, v3 dst_sel:DWORD dst_unused:UNUSED_PAD src0_sel:BYTE_0 src1_sel:DWORD
	v_min_u32_e32 v6, 32, v6
	v_lshrrev_b16_e32 v3, 3, v3
	v_subrev_u32_e32 v7, 28, v6
	v_and_b32_e32 v3, 15, v3
	v_lshlrev_b32_e32 v7, v7, v5
	v_sub_u32_e32 v6, 29, v6
	v_and_b32_e32 v7, 7, v7
	v_cmp_eq_u16_e32 vcc, 0, v3
	v_cndmask_b32_e32 v4, v4, v7, vcc
	v_cndmask_b32_e32 v3, v3, v6, vcc
	v_lshlrev_b32_e32 v6, 24, v5
	v_mov_b32_e32 v7, 0x3b800000
	v_lshlrev_b32_e32 v4, 20, v4
	v_and_b32_e32 v6, 0x80000000, v6
	v_lshl_add_u32 v3, v3, 23, v7
	v_or3_b32 v3, v6, v3, v4
.LBB2_7656:
	s_or_b64 exec, exec, s[6:7]
	s_nop 0
	v_mfma_f32_16x16x4f32 a[0:3], v2, v3, a[0:3]
	v_lshrrev_b32_e32 v3, 8, v9
	s_movk_i32 s4, 0x7f
	v_cmp_gt_i16_sdwa s[6:7], v3, s4 src0_sel:BYTE_0 src1_sel:DWORD
	s_mov_b64 s[4:5], 0
                                        ; implicit-def: $sgpr10
	s_and_saveexec_b64 s[8:9], s[6:7]
	s_xor_b64 s[6:7], exec, s[8:9]
	s_cbranch_execz .LBB2_7657
; %bb.43497:
	s_getpc_b64 s[14:15]
.Lpost_getpc25332:
	s_add_u32 s14, s14, (.LBB2_21993-.Lpost_getpc25332)&4294967295
	s_addc_u32 s15, s15, (.LBB2_21993-.Lpost_getpc25332)>>32
	s_setpc_b64 s[14:15]
.LBB2_7657:
	s_or_saveexec_b64 s[6:7], s[6:7]
	v_mov_b32_e32 v2, s10
	s_xor_b64 exec, exec, s[6:7]
	s_cbranch_execz .LBB2_7658
; %bb.43499:
	s_getpc_b64 s[14:15]
.Lpost_getpc25333:
	s_add_u32 s14, s14, (.LBB2_21996-.Lpost_getpc25333)&4294967295
	s_addc_u32 s15, s15, (.LBB2_21996-.Lpost_getpc25333)>>32
	s_setpc_b64 s[14:15]
.LBB2_7658:
	s_or_b64 exec, exec, s[6:7]
	s_and_saveexec_b64 s[6:7], s[4:5]
	s_cbranch_execz .LBB2_7660
.LBB2_7659:
	v_bfe_u32 v2, v9, 8, 3
	v_ffbh_u32_e32 v6, v2
	v_min_u32_e32 v6, 32, v6
	v_lshrrev_b16_e32 v4, 3, v3
	v_subrev_u32_e32 v7, 28, v6
	v_and_b32_e32 v4, 15, v4
	v_lshlrev_b32_e32 v3, v7, v3
	v_sub_u32_e32 v6, 29, v6
	v_and_b32_e32 v3, 7, v3
	v_cmp_eq_u16_e32 vcc, 0, v4
	v_cndmask_b32_e32 v2, v2, v3, vcc
	v_cndmask_b32_e32 v3, v4, v6, vcc
	v_lshlrev_b32_e32 v4, 16, v9
	v_mov_b32_e32 v6, 0x3b800000
	v_lshlrev_b32_e32 v2, 20, v2
	v_and_b32_e32 v4, 0x80000000, v4
	v_lshl_add_u32 v3, v3, 23, v6
	v_or3_b32 v2, v4, v3, v2
.LBB2_7660:
	s_or_b64 exec, exec, s[6:7]
	v_lshrrev_b32_e32 v3, 8, v5
	s_movk_i32 s4, 0x7f
	v_cmp_gt_i16_sdwa s[6:7], v3, s4 src0_sel:BYTE_0 src1_sel:DWORD
	s_mov_b64 s[4:5], 0
                                        ; implicit-def: $sgpr10
	s_and_saveexec_b64 s[8:9], s[6:7]
	s_xor_b64 s[6:7], exec, s[8:9]
	s_cbranch_execz .LBB2_7661
; %bb.43501:
	s_getpc_b64 s[14:15]
.Lpost_getpc25334:
	s_add_u32 s14, s14, (.LBB2_21997-.Lpost_getpc25334)&4294967295
	s_addc_u32 s15, s15, (.LBB2_21997-.Lpost_getpc25334)>>32
	s_setpc_b64 s[14:15]
.LBB2_7661:
	s_or_saveexec_b64 s[6:7], s[6:7]
	v_mov_b32_e32 v4, s10
	s_xor_b64 exec, exec, s[6:7]
	s_cbranch_execz .LBB2_7662
; %bb.43503:
	s_getpc_b64 s[14:15]
.Lpost_getpc25335:
	s_add_u32 s14, s14, (.LBB2_22000-.Lpost_getpc25335)&4294967295
	s_addc_u32 s15, s15, (.LBB2_22000-.Lpost_getpc25335)>>32
	s_setpc_b64 s[14:15]
.LBB2_7662:
	s_or_b64 exec, exec, s[6:7]
	s_and_saveexec_b64 s[6:7], s[4:5]
	s_cbranch_execz .LBB2_7664
.LBB2_7663:
	v_bfe_u32 v4, v5, 8, 3
	v_ffbh_u32_e32 v7, v4
	v_min_u32_e32 v7, 32, v7
	v_lshrrev_b16_e32 v6, 3, v3
	v_subrev_u32_e32 v8, 28, v7
	v_and_b32_e32 v6, 15, v6
	v_lshlrev_b32_e32 v3, v8, v3
	v_sub_u32_e32 v7, 29, v7
	v_and_b32_e32 v3, 7, v3
	v_cmp_eq_u16_e32 vcc, 0, v6
	v_cndmask_b32_e32 v3, v4, v3, vcc
	v_cndmask_b32_e32 v4, v6, v7, vcc
	v_lshlrev_b32_e32 v6, 16, v5
	v_mov_b32_e32 v7, 0x3b800000
	v_lshlrev_b32_e32 v3, 20, v3
	v_and_b32_e32 v6, 0x80000000, v6
	v_lshl_add_u32 v4, v4, 23, v7
	v_or3_b32 v4, v6, v4, v3
.LBB2_7664:
	s_or_b64 exec, exec, s[6:7]
	s_nop 0
	v_mfma_f32_16x16x4f32 a[0:3], v2, v4, a[0:3]
	s_movk_i32 s4, 0xff
	v_and_b32_sdwa v3, v9, s4 dst_sel:DWORD dst_unused:UNUSED_PAD src0_sel:WORD_1 src1_sel:DWORD
	s_movk_i32 s4, 0x7f
	v_cmp_lt_i16_e32 vcc, s4, v3
	s_mov_b64 s[4:5], 0
                                        ; implicit-def: $sgpr10
	s_and_saveexec_b64 s[6:7], vcc
	s_xor_b64 s[6:7], exec, s[6:7]
	s_cbranch_execz .LBB2_7665
; %bb.43505:
	s_getpc_b64 s[14:15]
.Lpost_getpc25336:
	s_add_u32 s14, s14, (.LBB2_22001-.Lpost_getpc25336)&4294967295
	s_addc_u32 s15, s15, (.LBB2_22001-.Lpost_getpc25336)>>32
	s_setpc_b64 s[14:15]
.LBB2_7665:
	s_or_saveexec_b64 s[6:7], s[6:7]
	v_mov_b32_e32 v2, s10
	s_xor_b64 exec, exec, s[6:7]
	s_cbranch_execz .LBB2_7666
; %bb.43507:
	s_getpc_b64 s[14:15]
.Lpost_getpc25337:
	s_add_u32 s14, s14, (.LBB2_22004-.Lpost_getpc25337)&4294967295
	s_addc_u32 s15, s15, (.LBB2_22004-.Lpost_getpc25337)>>32
	s_setpc_b64 s[14:15]
.LBB2_7666:
	s_or_b64 exec, exec, s[6:7]
	s_and_saveexec_b64 s[6:7], s[4:5]
	s_cbranch_execz .LBB2_7668
.LBB2_7667:
	v_bfe_u32 v2, v9, 16, 3
	v_ffbh_u32_e32 v6, v2
	v_min_u32_e32 v6, 32, v6
	v_lshrrev_b32_e32 v3, 19, v9
	v_subrev_u32_e32 v7, 28, v6
	v_and_b32_e32 v3, 15, v3
	v_lshlrev_b32_sdwa v7, v7, v9 dst_sel:DWORD dst_unused:UNUSED_PAD src0_sel:DWORD src1_sel:WORD_1
	v_bfe_u32 v4, v9, 19, 4
	v_sub_u32_e32 v6, 29, v6
	v_and_b32_e32 v7, 7, v7
	v_cmp_eq_u16_e32 vcc, 0, v3
	v_cndmask_b32_e32 v2, v2, v7, vcc
	v_cndmask_b32_e32 v3, v4, v6, vcc
	v_lshlrev_b32_e32 v4, 8, v9
	v_mov_b32_e32 v6, 0x3b800000
	v_lshlrev_b32_e32 v2, 20, v2
	v_and_b32_e32 v4, 0x80000000, v4
	v_lshl_add_u32 v3, v3, 23, v6
	v_or3_b32 v2, v4, v3, v2
.LBB2_7668:
	s_or_b64 exec, exec, s[6:7]
	s_movk_i32 s4, 0xff
	v_and_b32_sdwa v3, v5, s4 dst_sel:DWORD dst_unused:UNUSED_PAD src0_sel:WORD_1 src1_sel:DWORD
	s_movk_i32 s4, 0x7f
	v_cmp_lt_i16_e32 vcc, s4, v3
	s_mov_b64 s[4:5], 0
                                        ; implicit-def: $sgpr10
	s_and_saveexec_b64 s[6:7], vcc
	s_xor_b64 s[6:7], exec, s[6:7]
	s_cbranch_execz .LBB2_7669
; %bb.43509:
	s_getpc_b64 s[14:15]
.Lpost_getpc25338:
	s_add_u32 s14, s14, (.LBB2_22005-.Lpost_getpc25338)&4294967295
	s_addc_u32 s15, s15, (.LBB2_22005-.Lpost_getpc25338)>>32
	s_setpc_b64 s[14:15]
.LBB2_7669:
	s_or_saveexec_b64 s[6:7], s[6:7]
	v_mov_b32_e32 v4, s10
	s_xor_b64 exec, exec, s[6:7]
	s_cbranch_execz .LBB2_7670
; %bb.43511:
	s_getpc_b64 s[14:15]
.Lpost_getpc25339:
	s_add_u32 s14, s14, (.LBB2_22008-.Lpost_getpc25339)&4294967295
	s_addc_u32 s15, s15, (.LBB2_22008-.Lpost_getpc25339)>>32
	s_setpc_b64 s[14:15]
.LBB2_7670:
	s_or_b64 exec, exec, s[6:7]
	s_and_saveexec_b64 s[6:7], s[4:5]
	s_cbranch_execz .LBB2_7672
.LBB2_7671:
	v_bfe_u32 v3, v5, 16, 3
	v_ffbh_u32_e32 v7, v3
	v_min_u32_e32 v7, 32, v7
	v_lshrrev_b32_e32 v4, 19, v5
	v_subrev_u32_e32 v8, 28, v7
	v_and_b32_e32 v4, 15, v4
	v_lshlrev_b32_sdwa v8, v8, v5 dst_sel:DWORD dst_unused:UNUSED_PAD src0_sel:DWORD src1_sel:WORD_1
	v_bfe_u32 v6, v5, 19, 4
	v_sub_u32_e32 v7, 29, v7
	v_and_b32_e32 v8, 7, v8
	v_cmp_eq_u16_e32 vcc, 0, v4
	v_cndmask_b32_e32 v3, v3, v8, vcc
	v_cndmask_b32_e32 v4, v6, v7, vcc
	v_lshlrev_b32_e32 v6, 8, v5
	v_mov_b32_e32 v7, 0x3b800000
	v_lshlrev_b32_e32 v3, 20, v3
	v_and_b32_e32 v6, 0x80000000, v6
	v_lshl_add_u32 v4, v4, 23, v7
	v_or3_b32 v4, v6, v4, v3
.LBB2_7672:
	s_or_b64 exec, exec, s[6:7]
	s_nop 0
	v_mfma_f32_16x16x4f32 a[0:3], v2, v4, a[0:3]
	s_movk_i32 s4, 0x7f
	v_cmp_gt_i16_sdwa s[6:7], v9, s4 src0_sel:BYTE_3 src1_sel:DWORD
	s_mov_b64 s[4:5], 0
                                        ; implicit-def: $sgpr10
	s_and_saveexec_b64 s[8:9], s[6:7]
	s_xor_b64 s[6:7], exec, s[8:9]
	s_cbranch_execz .LBB2_7673
; %bb.43513:
	s_getpc_b64 s[14:15]
.Lpost_getpc25340:
	s_add_u32 s14, s14, (.LBB2_22009-.Lpost_getpc25340)&4294967295
	s_addc_u32 s15, s15, (.LBB2_22009-.Lpost_getpc25340)>>32
	s_setpc_b64 s[14:15]
.LBB2_7673:
	s_or_saveexec_b64 s[6:7], s[6:7]
	v_mov_b32_e32 v2, s10
	s_xor_b64 exec, exec, s[6:7]
	s_cbranch_execz .LBB2_7674
; %bb.43515:
	s_getpc_b64 s[14:15]
.Lpost_getpc25341:
	s_add_u32 s14, s14, (.LBB2_22012-.Lpost_getpc25341)&4294967295
	s_addc_u32 s15, s15, (.LBB2_22012-.Lpost_getpc25341)>>32
	s_setpc_b64 s[14:15]
.LBB2_7674:
	s_or_b64 exec, exec, s[6:7]
	s_and_saveexec_b64 s[6:7], s[4:5]
	s_cbranch_execz .LBB2_7676
.LBB2_7675:
	v_bfe_u32 v2, v9, 24, 3
	v_ffbh_u32_e32 v7, v2
	v_min_u32_e32 v7, 32, v7
	v_lshrrev_b32_e32 v4, 27, v9
	v_subrev_u32_e32 v8, 28, v7
	v_and_b32_e32 v4, 15, v4
	v_lshlrev_b32_sdwa v8, v8, v9 dst_sel:DWORD dst_unused:UNUSED_PAD src0_sel:DWORD src1_sel:BYTE_3
	v_bfe_u32 v6, v9, 27, 4
	v_sub_u32_e32 v7, 29, v7
	v_and_b32_e32 v8, 7, v8
	v_cmp_eq_u16_e32 vcc, 0, v4
	v_cndmask_b32_e32 v2, v2, v8, vcc
	v_cndmask_b32_e32 v4, v6, v7, vcc
	v_mov_b32_e32 v6, 0x3b800000
	v_and_b32_e32 v3, 0x80000000, v9
	v_lshlrev_b32_e32 v2, 20, v2
	v_lshl_add_u32 v4, v4, 23, v6
	v_or3_b32 v2, v3, v4, v2
.LBB2_7676:
	s_or_b64 exec, exec, s[6:7]
	s_movk_i32 s4, 0x7f
	v_cmp_gt_i16_sdwa s[6:7], v5, s4 src0_sel:BYTE_3 src1_sel:DWORD
	s_mov_b64 s[4:5], 0
                                        ; implicit-def: $sgpr10
	s_and_saveexec_b64 s[8:9], s[6:7]
	s_xor_b64 s[6:7], exec, s[8:9]
	s_cbranch_execz .LBB2_7677
; %bb.43517:
	s_getpc_b64 s[14:15]
.Lpost_getpc25342:
	s_add_u32 s14, s14, (.LBB2_22013-.Lpost_getpc25342)&4294967295
	s_addc_u32 s15, s15, (.LBB2_22013-.Lpost_getpc25342)>>32
	s_setpc_b64 s[14:15]
.LBB2_7677:
	s_or_saveexec_b64 s[6:7], s[6:7]
	v_mov_b32_e32 v3, s10
	s_xor_b64 exec, exec, s[6:7]
	s_cbranch_execz .LBB2_7678
; %bb.43519:
	s_getpc_b64 s[14:15]
.Lpost_getpc25343:
	s_add_u32 s14, s14, (.LBB2_22016-.Lpost_getpc25343)&4294967295
	s_addc_u32 s15, s15, (.LBB2_22016-.Lpost_getpc25343)>>32
	s_setpc_b64 s[14:15]
.LBB2_7678:
	s_or_b64 exec, exec, s[6:7]
	s_and_saveexec_b64 s[6:7], s[4:5]
	s_cbranch_execz .LBB2_7680
.LBB2_7679:
	v_bfe_u32 v3, v5, 24, 3
	v_ffbh_u32_e32 v8, v3
	v_min_u32_e32 v8, 32, v8
	v_lshrrev_b32_e32 v6, 27, v5
	v_subrev_u32_e32 v9, 28, v8
	v_and_b32_e32 v4, 0x80000000, v5
	v_and_b32_e32 v6, 15, v6
	v_bfe_u32 v7, v5, 27, 4
	v_lshlrev_b32_sdwa v5, v9, v5 dst_sel:DWORD dst_unused:UNUSED_PAD src0_sel:DWORD src1_sel:BYTE_3
	v_sub_u32_e32 v8, 29, v8
	v_and_b32_e32 v5, 7, v5
	v_cmp_eq_u16_e32 vcc, 0, v6
	v_cndmask_b32_e32 v3, v3, v5, vcc
	v_cndmask_b32_e32 v5, v7, v8, vcc
	v_mov_b32_e32 v6, 0x3b800000
	v_lshlrev_b32_e32 v3, 20, v3
	v_lshl_add_u32 v5, v5, 23, v6
	v_or3_b32 v3, v4, v5, v3
.LBB2_7680:
	s_or_b64 exec, exec, s[6:7]
	s_nop 0
	v_mfma_f32_16x16x4f32 a[0:3], v2, v3, a[0:3]
	s_movk_i32 s4, 0x7f
                                        ; implicit-def: $sgpr10
	s_nop 7
	s_nop 1
	flat_store_dwordx4 v[10:11], a[0:3] offset:48
	flat_load_dwordx4 v[12:15], v[0:1]
	s_nop 0
	flat_load_dwordx2 v[10:11], v[0:1] offset:16
	s_waitcnt vmcnt(0) lgkmcnt(0)
	flat_load_dwordx4 v[6:9], v[12:13] offset:112
	flat_load_dwordx4 v[2:5], v[14:15] offset:192
	s_waitcnt vmcnt(0) lgkmcnt(0)
	v_cmp_gt_i16_sdwa s[6:7], v6, s4 src0_sel:BYTE_0 src1_sel:DWORD
	s_mov_b64 s[4:5], 0
	s_and_saveexec_b64 s[8:9], s[6:7]
	s_xor_b64 s[6:7], exec, s[8:9]
	s_cbranch_execz .LBB2_7681
; %bb.43521:
	s_getpc_b64 s[14:15]
.Lpost_getpc25344:
	s_add_u32 s14, s14, (.LBB2_22017-.Lpost_getpc25344)&4294967295
	s_addc_u32 s15, s15, (.LBB2_22017-.Lpost_getpc25344)>>32
	s_setpc_b64 s[14:15]
.LBB2_7681:
	s_or_saveexec_b64 s[6:7], s[6:7]
	v_mov_b32_e32 v12, s10
	s_xor_b64 exec, exec, s[6:7]
	s_cbranch_execz .LBB2_7682
; %bb.43523:
	s_getpc_b64 s[14:15]
.Lpost_getpc25345:
	s_add_u32 s14, s14, (.LBB2_22020-.Lpost_getpc25345)&4294967295
	s_addc_u32 s15, s15, (.LBB2_22020-.Lpost_getpc25345)>>32
	s_setpc_b64 s[14:15]
.LBB2_7682:
	s_or_b64 exec, exec, s[6:7]
	s_and_saveexec_b64 s[6:7], s[4:5]
	s_cbranch_execz .LBB2_7684
.LBB2_7683:
	v_and_b32_e32 v12, 7, v6
	v_ffbh_u32_e32 v14, v12
	v_min_u32_e32 v14, 32, v14
	v_lshrrev_b16_e32 v13, 3, v6
	v_subrev_u32_e32 v15, 28, v14
	v_and_b32_e32 v13, 15, v13
	v_lshlrev_b32_e32 v15, v15, v6
	v_sub_u32_e32 v14, 29, v14
	v_and_b32_e32 v15, 7, v15
	v_cmp_eq_u16_e32 vcc, 0, v13
	v_cndmask_b32_e32 v12, v12, v15, vcc
	v_cndmask_b32_e32 v13, v13, v14, vcc
	v_lshlrev_b32_e32 v14, 24, v6
	v_mov_b32_e32 v15, 0x3b800000
	v_lshlrev_b32_e32 v12, 20, v12
	v_and_b32_e32 v14, 0x80000000, v14
	v_lshl_add_u32 v13, v13, 23, v15
	v_or3_b32 v12, v14, v13, v12
.LBB2_7684:
	s_or_b64 exec, exec, s[6:7]
	s_movk_i32 s4, 0x7f
	v_cmp_gt_i16_sdwa s[6:7], v2, s4 src0_sel:BYTE_0 src1_sel:DWORD
	s_mov_b64 s[4:5], 0
                                        ; implicit-def: $sgpr10
	s_and_saveexec_b64 s[8:9], s[6:7]
	s_xor_b64 s[6:7], exec, s[8:9]
	s_cbranch_execz .LBB2_7685
; %bb.43525:
	s_getpc_b64 s[14:15]
.Lpost_getpc25346:
	s_add_u32 s14, s14, (.LBB2_22021-.Lpost_getpc25346)&4294967295
	s_addc_u32 s15, s15, (.LBB2_22021-.Lpost_getpc25346)>>32
	s_setpc_b64 s[14:15]
.LBB2_7685:
	s_or_saveexec_b64 s[6:7], s[6:7]
	v_mov_b32_e32 v13, s10
	s_xor_b64 exec, exec, s[6:7]
	s_cbranch_execz .LBB2_7686
; %bb.43527:
	s_getpc_b64 s[14:15]
.Lpost_getpc25347:
	s_add_u32 s14, s14, (.LBB2_22024-.Lpost_getpc25347)&4294967295
	s_addc_u32 s15, s15, (.LBB2_22024-.Lpost_getpc25347)>>32
	s_setpc_b64 s[14:15]
.LBB2_7686:
	s_or_b64 exec, exec, s[6:7]
	s_and_saveexec_b64 s[6:7], s[4:5]
	s_cbranch_execz .LBB2_7688
.LBB2_7687:
	v_and_b32_e32 v13, 7, v2
	v_ffbh_u32_e32 v15, v13
	v_min_u32_e32 v15, 32, v15
	v_lshrrev_b16_e32 v14, 3, v2
	v_subrev_u32_e32 v16, 28, v15
	v_and_b32_e32 v14, 15, v14
	v_lshlrev_b32_e32 v16, v16, v2
	v_sub_u32_e32 v15, 29, v15
	v_and_b32_e32 v16, 7, v16
	v_cmp_eq_u16_e32 vcc, 0, v14
	v_cndmask_b32_e32 v13, v13, v16, vcc
	v_cndmask_b32_e32 v14, v14, v15, vcc
	v_lshlrev_b32_e32 v15, 24, v2
	v_mov_b32_e32 v16, 0x3b800000
	v_lshlrev_b32_e32 v13, 20, v13
	v_and_b32_e32 v15, 0x80000000, v15
	v_lshl_add_u32 v14, v14, 23, v16
	v_or3_b32 v13, v15, v14, v13
.LBB2_7688:
	s_or_b64 exec, exec, s[6:7]
	flat_load_dwordx4 a[0:3], v[10:11] offset:64
	s_movk_i32 s4, 0x7f
                                        ; implicit-def: $sgpr10
	s_waitcnt vmcnt(0) lgkmcnt(0)
	v_mfma_f32_16x16x4f32 a[0:3], v12, v13, a[0:3]
	v_lshrrev_b32_e32 v13, 8, v6
	v_cmp_gt_i16_sdwa s[6:7], v13, s4 src0_sel:BYTE_0 src1_sel:DWORD
	s_mov_b64 s[4:5], 0
	s_and_saveexec_b64 s[8:9], s[6:7]
	s_xor_b64 s[6:7], exec, s[8:9]
	s_cbranch_execz .LBB2_7689
; %bb.43529:
	s_getpc_b64 s[14:15]
.Lpost_getpc25348:
	s_add_u32 s14, s14, (.LBB2_22025-.Lpost_getpc25348)&4294967295
	s_addc_u32 s15, s15, (.LBB2_22025-.Lpost_getpc25348)>>32
	s_setpc_b64 s[14:15]
.LBB2_7689:
	s_or_saveexec_b64 s[6:7], s[6:7]
	v_mov_b32_e32 v12, s10
	s_xor_b64 exec, exec, s[6:7]
	s_cbranch_execz .LBB2_7690
; %bb.43531:
	s_getpc_b64 s[14:15]
.Lpost_getpc25349:
	s_add_u32 s14, s14, (.LBB2_22028-.Lpost_getpc25349)&4294967295
	s_addc_u32 s15, s15, (.LBB2_22028-.Lpost_getpc25349)>>32
	s_setpc_b64 s[14:15]
.LBB2_7690:
	s_or_b64 exec, exec, s[6:7]
	s_and_saveexec_b64 s[6:7], s[4:5]
	s_cbranch_execz .LBB2_7692
.LBB2_7691:
	v_bfe_u32 v12, v6, 8, 3
	v_ffbh_u32_e32 v15, v12
	v_min_u32_e32 v15, 32, v15
	v_lshrrev_b16_e32 v14, 3, v13
	v_subrev_u32_e32 v16, 28, v15
	v_and_b32_e32 v14, 15, v14
	v_lshlrev_b32_e32 v13, v16, v13
	v_sub_u32_e32 v15, 29, v15
	v_and_b32_e32 v13, 7, v13
	v_cmp_eq_u16_e32 vcc, 0, v14
	v_cndmask_b32_e32 v12, v12, v13, vcc
	v_cndmask_b32_e32 v13, v14, v15, vcc
	v_lshlrev_b32_e32 v14, 16, v6
	v_mov_b32_e32 v15, 0x3b800000
	v_lshlrev_b32_e32 v12, 20, v12
	v_and_b32_e32 v14, 0x80000000, v14
	v_lshl_add_u32 v13, v13, 23, v15
	v_or3_b32 v12, v14, v13, v12
.LBB2_7692:
	s_or_b64 exec, exec, s[6:7]
	v_lshrrev_b32_e32 v13, 8, v2
	s_movk_i32 s4, 0x7f
	v_cmp_gt_i16_sdwa s[6:7], v13, s4 src0_sel:BYTE_0 src1_sel:DWORD
	s_mov_b64 s[4:5], 0
                                        ; implicit-def: $sgpr10
	s_and_saveexec_b64 s[8:9], s[6:7]
	s_xor_b64 s[6:7], exec, s[8:9]
	s_cbranch_execz .LBB2_7693
; %bb.43533:
	s_getpc_b64 s[14:15]
.Lpost_getpc25350:
	s_add_u32 s14, s14, (.LBB2_22029-.Lpost_getpc25350)&4294967295
	s_addc_u32 s15, s15, (.LBB2_22029-.Lpost_getpc25350)>>32
	s_setpc_b64 s[14:15]
.LBB2_7693:
	s_or_saveexec_b64 s[6:7], s[6:7]
	v_mov_b32_e32 v14, s10
	s_xor_b64 exec, exec, s[6:7]
	s_cbranch_execz .LBB2_7694
; %bb.43535:
	s_getpc_b64 s[14:15]
.Lpost_getpc25351:
	s_add_u32 s14, s14, (.LBB2_22032-.Lpost_getpc25351)&4294967295
	s_addc_u32 s15, s15, (.LBB2_22032-.Lpost_getpc25351)>>32
	s_setpc_b64 s[14:15]
.LBB2_7694:
	s_or_b64 exec, exec, s[6:7]
	s_and_saveexec_b64 s[6:7], s[4:5]
	s_cbranch_execz .LBB2_7696
.LBB2_7695:
	v_bfe_u32 v14, v2, 8, 3
	v_ffbh_u32_e32 v16, v14
	v_min_u32_e32 v16, 32, v16
	v_lshrrev_b16_e32 v15, 3, v13
	v_subrev_u32_e32 v17, 28, v16
	v_and_b32_e32 v15, 15, v15
	v_lshlrev_b32_e32 v13, v17, v13
	v_sub_u32_e32 v16, 29, v16
	v_and_b32_e32 v13, 7, v13
	v_cmp_eq_u16_e32 vcc, 0, v15
	v_cndmask_b32_e32 v13, v14, v13, vcc
	v_cndmask_b32_e32 v14, v15, v16, vcc
	v_lshlrev_b32_e32 v15, 16, v2
	v_mov_b32_e32 v16, 0x3b800000
	v_lshlrev_b32_e32 v13, 20, v13
	v_and_b32_e32 v15, 0x80000000, v15
	v_lshl_add_u32 v14, v14, 23, v16
	v_or3_b32 v14, v15, v14, v13
.LBB2_7696:
	s_or_b64 exec, exec, s[6:7]
	s_nop 0
	v_mfma_f32_16x16x4f32 a[0:3], v12, v14, a[0:3]
	s_movk_i32 s4, 0xff
	v_and_b32_sdwa v13, v6, s4 dst_sel:DWORD dst_unused:UNUSED_PAD src0_sel:WORD_1 src1_sel:DWORD
	s_movk_i32 s4, 0x7f
	v_cmp_lt_i16_e32 vcc, s4, v13
	s_mov_b64 s[4:5], 0
                                        ; implicit-def: $sgpr10
	s_and_saveexec_b64 s[6:7], vcc
	s_xor_b64 s[6:7], exec, s[6:7]
	s_cbranch_execz .LBB2_7697
; %bb.43537:
	s_getpc_b64 s[14:15]
.Lpost_getpc25352:
	s_add_u32 s14, s14, (.LBB2_22033-.Lpost_getpc25352)&4294967295
	s_addc_u32 s15, s15, (.LBB2_22033-.Lpost_getpc25352)>>32
	s_setpc_b64 s[14:15]
.LBB2_7697:
	s_or_saveexec_b64 s[6:7], s[6:7]
	v_mov_b32_e32 v12, s10
	s_xor_b64 exec, exec, s[6:7]
	s_cbranch_execz .LBB2_7698
; %bb.43539:
	s_getpc_b64 s[14:15]
.Lpost_getpc25353:
	s_add_u32 s14, s14, (.LBB2_22036-.Lpost_getpc25353)&4294967295
	s_addc_u32 s15, s15, (.LBB2_22036-.Lpost_getpc25353)>>32
	s_setpc_b64 s[14:15]
.LBB2_7698:
	s_or_b64 exec, exec, s[6:7]
	s_and_saveexec_b64 s[6:7], s[4:5]
	s_cbranch_execz .LBB2_7700
.LBB2_7699:
	v_bfe_u32 v12, v6, 16, 3
	v_ffbh_u32_e32 v15, v12
	v_min_u32_e32 v15, 32, v15
	v_lshrrev_b32_e32 v13, 19, v6
	v_subrev_u32_e32 v16, 28, v15
	v_and_b32_e32 v13, 15, v13
	v_lshlrev_b32_sdwa v16, v16, v6 dst_sel:DWORD dst_unused:UNUSED_PAD src0_sel:DWORD src1_sel:WORD_1
	v_bfe_u32 v14, v6, 19, 4
	v_sub_u32_e32 v15, 29, v15
	v_and_b32_e32 v16, 7, v16
	v_cmp_eq_u16_e32 vcc, 0, v13
	v_cndmask_b32_e32 v12, v12, v16, vcc
	v_cndmask_b32_e32 v13, v14, v15, vcc
	v_lshlrev_b32_e32 v14, 8, v6
	v_mov_b32_e32 v15, 0x3b800000
	v_lshlrev_b32_e32 v12, 20, v12
	v_and_b32_e32 v14, 0x80000000, v14
	v_lshl_add_u32 v13, v13, 23, v15
	v_or3_b32 v12, v14, v13, v12
.LBB2_7700:
	s_or_b64 exec, exec, s[6:7]
	s_movk_i32 s4, 0xff
	v_and_b32_sdwa v13, v2, s4 dst_sel:DWORD dst_unused:UNUSED_PAD src0_sel:WORD_1 src1_sel:DWORD
	s_movk_i32 s4, 0x7f
	v_cmp_lt_i16_e32 vcc, s4, v13
	s_mov_b64 s[4:5], 0
                                        ; implicit-def: $sgpr10
	s_and_saveexec_b64 s[6:7], vcc
	s_xor_b64 s[6:7], exec, s[6:7]
	s_cbranch_execz .LBB2_7701
; %bb.43541:
	s_getpc_b64 s[14:15]
.Lpost_getpc25354:
	s_add_u32 s14, s14, (.LBB2_22037-.Lpost_getpc25354)&4294967295
	s_addc_u32 s15, s15, (.LBB2_22037-.Lpost_getpc25354)>>32
	s_setpc_b64 s[14:15]
.LBB2_7701:
	s_or_saveexec_b64 s[6:7], s[6:7]
	v_mov_b32_e32 v14, s10
	s_xor_b64 exec, exec, s[6:7]
	s_cbranch_execz .LBB2_7702
; %bb.43543:
	s_getpc_b64 s[14:15]
.Lpost_getpc25355:
	s_add_u32 s14, s14, (.LBB2_22040-.Lpost_getpc25355)&4294967295
	s_addc_u32 s15, s15, (.LBB2_22040-.Lpost_getpc25355)>>32
	s_setpc_b64 s[14:15]
.LBB2_7702:
	s_or_b64 exec, exec, s[6:7]
	s_and_saveexec_b64 s[6:7], s[4:5]
	s_cbranch_execz .LBB2_7704
.LBB2_7703:
	v_bfe_u32 v13, v2, 16, 3
	v_ffbh_u32_e32 v16, v13
	v_min_u32_e32 v16, 32, v16
	v_lshrrev_b32_e32 v14, 19, v2
	v_subrev_u32_e32 v17, 28, v16
	v_and_b32_e32 v14, 15, v14
	v_lshlrev_b32_sdwa v17, v17, v2 dst_sel:DWORD dst_unused:UNUSED_PAD src0_sel:DWORD src1_sel:WORD_1
	v_bfe_u32 v15, v2, 19, 4
	v_sub_u32_e32 v16, 29, v16
	v_and_b32_e32 v17, 7, v17
	v_cmp_eq_u16_e32 vcc, 0, v14
	v_cndmask_b32_e32 v13, v13, v17, vcc
	v_cndmask_b32_e32 v14, v15, v16, vcc
	v_lshlrev_b32_e32 v15, 8, v2
	v_mov_b32_e32 v16, 0x3b800000
	v_lshlrev_b32_e32 v13, 20, v13
	v_and_b32_e32 v15, 0x80000000, v15
	v_lshl_add_u32 v14, v14, 23, v16
	v_or3_b32 v14, v15, v14, v13
.LBB2_7704:
	s_or_b64 exec, exec, s[6:7]
	s_nop 0
	v_mfma_f32_16x16x4f32 a[0:3], v12, v14, a[0:3]
	s_movk_i32 s4, 0x7f
	v_cmp_gt_i16_sdwa s[6:7], v6, s4 src0_sel:BYTE_3 src1_sel:DWORD
	s_mov_b64 s[4:5], 0
                                        ; implicit-def: $sgpr10
	s_and_saveexec_b64 s[8:9], s[6:7]
	s_xor_b64 s[6:7], exec, s[8:9]
	s_cbranch_execz .LBB2_7705
; %bb.43545:
	s_getpc_b64 s[14:15]
.Lpost_getpc25356:
	s_add_u32 s14, s14, (.LBB2_22041-.Lpost_getpc25356)&4294967295
	s_addc_u32 s15, s15, (.LBB2_22041-.Lpost_getpc25356)>>32
	s_setpc_b64 s[14:15]
.LBB2_7705:
	s_or_saveexec_b64 s[6:7], s[6:7]
	v_mov_b32_e32 v12, s10
	s_xor_b64 exec, exec, s[6:7]
	s_cbranch_execz .LBB2_7706
; %bb.43547:
	s_getpc_b64 s[14:15]
.Lpost_getpc25357:
	s_add_u32 s14, s14, (.LBB2_22044-.Lpost_getpc25357)&4294967295
	s_addc_u32 s15, s15, (.LBB2_22044-.Lpost_getpc25357)>>32
	s_setpc_b64 s[14:15]
.LBB2_7706:
	s_or_b64 exec, exec, s[6:7]
	s_and_saveexec_b64 s[6:7], s[4:5]
	s_cbranch_execz .LBB2_7708
.LBB2_7707:
	v_bfe_u32 v12, v6, 24, 3
	v_ffbh_u32_e32 v16, v12
	v_min_u32_e32 v16, 32, v16
	v_lshrrev_b32_e32 v14, 27, v6
	v_subrev_u32_e32 v17, 28, v16
	v_and_b32_e32 v13, 0x80000000, v6
	v_and_b32_e32 v14, 15, v14
	v_bfe_u32 v15, v6, 27, 4
	v_lshlrev_b32_sdwa v6, v17, v6 dst_sel:DWORD dst_unused:UNUSED_PAD src0_sel:DWORD src1_sel:BYTE_3
	v_sub_u32_e32 v16, 29, v16
	v_and_b32_e32 v6, 7, v6
	v_cmp_eq_u16_e32 vcc, 0, v14
	v_cndmask_b32_e32 v6, v12, v6, vcc
	v_cndmask_b32_e32 v12, v15, v16, vcc
	v_mov_b32_e32 v14, 0x3b800000
	v_lshlrev_b32_e32 v6, 20, v6
	v_lshl_add_u32 v12, v12, 23, v14
	v_or3_b32 v12, v13, v12, v6
.LBB2_7708:
	s_or_b64 exec, exec, s[6:7]
	s_movk_i32 s4, 0x7f
	v_cmp_gt_i16_sdwa s[6:7], v2, s4 src0_sel:BYTE_3 src1_sel:DWORD
	s_mov_b64 s[4:5], 0
                                        ; implicit-def: $sgpr10
	s_and_saveexec_b64 s[8:9], s[6:7]
	s_xor_b64 s[6:7], exec, s[8:9]
	s_cbranch_execz .LBB2_7709
; %bb.43549:
	s_getpc_b64 s[14:15]
.Lpost_getpc25358:
	s_add_u32 s14, s14, (.LBB2_22045-.Lpost_getpc25358)&4294967295
	s_addc_u32 s15, s15, (.LBB2_22045-.Lpost_getpc25358)>>32
	s_setpc_b64 s[14:15]
.LBB2_7709:
	s_or_saveexec_b64 s[6:7], s[6:7]
	v_mov_b32_e32 v6, s10
	s_xor_b64 exec, exec, s[6:7]
	s_cbranch_execz .LBB2_7710
; %bb.43551:
	s_getpc_b64 s[14:15]
.Lpost_getpc25359:
	s_add_u32 s14, s14, (.LBB2_22048-.Lpost_getpc25359)&4294967295
	s_addc_u32 s15, s15, (.LBB2_22048-.Lpost_getpc25359)>>32
	s_setpc_b64 s[14:15]
.LBB2_7710:
	s_or_b64 exec, exec, s[6:7]
	s_and_saveexec_b64 s[6:7], s[4:5]
	s_cbranch_execz .LBB2_7712
.LBB2_7711:
	v_bfe_u32 v6, v2, 24, 3
	v_ffbh_u32_e32 v16, v6
	v_min_u32_e32 v16, 32, v16
	v_lshrrev_b32_e32 v14, 27, v2
	v_subrev_u32_e32 v17, 28, v16
	v_and_b32_e32 v13, 0x80000000, v2
	v_and_b32_e32 v14, 15, v14
	v_bfe_u32 v15, v2, 27, 4
	v_lshlrev_b32_sdwa v2, v17, v2 dst_sel:DWORD dst_unused:UNUSED_PAD src0_sel:DWORD src1_sel:BYTE_3
	v_sub_u32_e32 v16, 29, v16
	v_and_b32_e32 v2, 7, v2
	v_cmp_eq_u16_e32 vcc, 0, v14
	v_cndmask_b32_e32 v2, v6, v2, vcc
	v_cndmask_b32_e32 v6, v15, v16, vcc
	v_mov_b32_e32 v14, 0x3b800000
	v_lshlrev_b32_e32 v2, 20, v2
	v_lshl_add_u32 v6, v6, 23, v14
	v_or3_b32 v6, v13, v6, v2
.LBB2_7712:
	s_or_b64 exec, exec, s[6:7]
	s_nop 0
	v_mfma_f32_16x16x4f32 a[0:3], v12, v6, a[0:3]
	s_movk_i32 s4, 0x7f
	v_cmp_gt_i16_sdwa s[6:7], v7, s4 src0_sel:BYTE_0 src1_sel:DWORD
	s_mov_b64 s[4:5], 0
                                        ; implicit-def: $sgpr10
	s_and_saveexec_b64 s[8:9], s[6:7]
	s_xor_b64 s[6:7], exec, s[8:9]
	s_cbranch_execz .LBB2_7713
; %bb.43553:
	s_getpc_b64 s[14:15]
.Lpost_getpc25360:
	s_add_u32 s14, s14, (.LBB2_22049-.Lpost_getpc25360)&4294967295
	s_addc_u32 s15, s15, (.LBB2_22049-.Lpost_getpc25360)>>32
	s_setpc_b64 s[14:15]
.LBB2_7713:
	s_or_saveexec_b64 s[6:7], s[6:7]
	v_mov_b32_e32 v2, s10
	s_xor_b64 exec, exec, s[6:7]
	s_cbranch_execz .LBB2_7714
; %bb.43555:
	s_getpc_b64 s[14:15]
.Lpost_getpc25361:
	s_add_u32 s14, s14, (.LBB2_22052-.Lpost_getpc25361)&4294967295
	s_addc_u32 s15, s15, (.LBB2_22052-.Lpost_getpc25361)>>32
	s_setpc_b64 s[14:15]
.LBB2_7714:
	s_or_b64 exec, exec, s[6:7]
	s_and_saveexec_b64 s[6:7], s[4:5]
	s_cbranch_execz .LBB2_7716
.LBB2_7715:
	v_and_b32_e32 v2, 7, v7
	v_ffbh_u32_e32 v12, v2
	v_min_u32_e32 v12, 32, v12
	v_lshrrev_b16_e32 v6, 3, v7
	v_subrev_u32_e32 v13, 28, v12
	v_and_b32_e32 v6, 15, v6
	v_lshlrev_b32_e32 v13, v13, v7
	v_sub_u32_e32 v12, 29, v12
	v_and_b32_e32 v13, 7, v13
	v_cmp_eq_u16_e32 vcc, 0, v6
	v_cndmask_b32_e32 v2, v2, v13, vcc
	v_cndmask_b32_e32 v6, v6, v12, vcc
	v_lshlrev_b32_e32 v12, 24, v7
	v_mov_b32_e32 v13, 0x3b800000
	v_lshlrev_b32_e32 v2, 20, v2
	v_and_b32_e32 v12, 0x80000000, v12
	v_lshl_add_u32 v6, v6, 23, v13
	v_or3_b32 v2, v12, v6, v2
.LBB2_7716:
	s_or_b64 exec, exec, s[6:7]
	s_movk_i32 s4, 0x7f
	v_cmp_gt_i16_sdwa s[6:7], v3, s4 src0_sel:BYTE_0 src1_sel:DWORD
	s_mov_b64 s[4:5], 0
                                        ; implicit-def: $sgpr10
	s_and_saveexec_b64 s[8:9], s[6:7]
	s_xor_b64 s[6:7], exec, s[8:9]
	s_cbranch_execz .LBB2_7717
; %bb.43557:
	s_getpc_b64 s[14:15]
.Lpost_getpc25362:
	s_add_u32 s14, s14, (.LBB2_22053-.Lpost_getpc25362)&4294967295
	s_addc_u32 s15, s15, (.LBB2_22053-.Lpost_getpc25362)>>32
	s_setpc_b64 s[14:15]
.LBB2_7717:
	s_or_saveexec_b64 s[6:7], s[6:7]
	v_mov_b32_e32 v6, s10
	s_xor_b64 exec, exec, s[6:7]
	s_cbranch_execz .LBB2_7718
; %bb.43559:
	s_getpc_b64 s[14:15]
.Lpost_getpc25363:
	s_add_u32 s14, s14, (.LBB2_22056-.Lpost_getpc25363)&4294967295
	s_addc_u32 s15, s15, (.LBB2_22056-.Lpost_getpc25363)>>32
	s_setpc_b64 s[14:15]
.LBB2_7718:
	s_or_b64 exec, exec, s[6:7]
	s_and_saveexec_b64 s[6:7], s[4:5]
	s_cbranch_execz .LBB2_7720
.LBB2_7719:
	v_and_b32_e32 v6, 7, v3
	v_ffbh_u32_e32 v13, v6
	v_min_u32_e32 v13, 32, v13
	v_lshrrev_b16_e32 v12, 3, v3
	v_subrev_u32_e32 v14, 28, v13
	v_and_b32_e32 v12, 15, v12
	v_lshlrev_b32_e32 v14, v14, v3
	v_sub_u32_e32 v13, 29, v13
	v_and_b32_e32 v14, 7, v14
	v_cmp_eq_u16_e32 vcc, 0, v12
	v_cndmask_b32_e32 v6, v6, v14, vcc
	v_cndmask_b32_e32 v12, v12, v13, vcc
	v_lshlrev_b32_e32 v13, 24, v3
	v_mov_b32_e32 v14, 0x3b800000
	v_lshlrev_b32_e32 v6, 20, v6
	v_and_b32_e32 v13, 0x80000000, v13
	v_lshl_add_u32 v12, v12, 23, v14
	v_or3_b32 v6, v13, v12, v6
.LBB2_7720:
	s_or_b64 exec, exec, s[6:7]
	s_nop 0
	v_mfma_f32_16x16x4f32 a[0:3], v2, v6, a[0:3]
	v_lshrrev_b32_e32 v6, 8, v7
	s_movk_i32 s4, 0x7f
	v_cmp_gt_i16_sdwa s[6:7], v6, s4 src0_sel:BYTE_0 src1_sel:DWORD
	s_mov_b64 s[4:5], 0
                                        ; implicit-def: $sgpr10
	s_and_saveexec_b64 s[8:9], s[6:7]
	s_xor_b64 s[6:7], exec, s[8:9]
	s_cbranch_execz .LBB2_7721
; %bb.43561:
	s_getpc_b64 s[14:15]
.Lpost_getpc25364:
	s_add_u32 s14, s14, (.LBB2_22057-.Lpost_getpc25364)&4294967295
	s_addc_u32 s15, s15, (.LBB2_22057-.Lpost_getpc25364)>>32
	s_setpc_b64 s[14:15]
.LBB2_7721:
	s_or_saveexec_b64 s[6:7], s[6:7]
	v_mov_b32_e32 v2, s10
	s_xor_b64 exec, exec, s[6:7]
	s_cbranch_execz .LBB2_7722
; %bb.43563:
	s_getpc_b64 s[14:15]
.Lpost_getpc25365:
	s_add_u32 s14, s14, (.LBB2_22060-.Lpost_getpc25365)&4294967295
	s_addc_u32 s15, s15, (.LBB2_22060-.Lpost_getpc25365)>>32
	s_setpc_b64 s[14:15]
.LBB2_7722:
	s_or_b64 exec, exec, s[6:7]
	s_and_saveexec_b64 s[6:7], s[4:5]
	s_cbranch_execz .LBB2_7724
.LBB2_7723:
	v_bfe_u32 v2, v7, 8, 3
	v_ffbh_u32_e32 v13, v2
	v_min_u32_e32 v13, 32, v13
	v_lshrrev_b16_e32 v12, 3, v6
	v_subrev_u32_e32 v14, 28, v13
	v_and_b32_e32 v12, 15, v12
	v_lshlrev_b32_e32 v6, v14, v6
	v_sub_u32_e32 v13, 29, v13
	v_and_b32_e32 v6, 7, v6
	v_cmp_eq_u16_e32 vcc, 0, v12
	v_cndmask_b32_e32 v2, v2, v6, vcc
	v_cndmask_b32_e32 v6, v12, v13, vcc
	v_lshlrev_b32_e32 v12, 16, v7
	v_mov_b32_e32 v13, 0x3b800000
	v_lshlrev_b32_e32 v2, 20, v2
	v_and_b32_e32 v12, 0x80000000, v12
	v_lshl_add_u32 v6, v6, 23, v13
	v_or3_b32 v2, v12, v6, v2
.LBB2_7724:
	s_or_b64 exec, exec, s[6:7]
	v_lshrrev_b32_e32 v6, 8, v3
	s_movk_i32 s4, 0x7f
	v_cmp_gt_i16_sdwa s[6:7], v6, s4 src0_sel:BYTE_0 src1_sel:DWORD
	s_mov_b64 s[4:5], 0
                                        ; implicit-def: $sgpr10
	s_and_saveexec_b64 s[8:9], s[6:7]
	s_xor_b64 s[6:7], exec, s[8:9]
	s_cbranch_execz .LBB2_7725
; %bb.43565:
	s_getpc_b64 s[14:15]
.Lpost_getpc25366:
	s_add_u32 s14, s14, (.LBB2_22061-.Lpost_getpc25366)&4294967295
	s_addc_u32 s15, s15, (.LBB2_22061-.Lpost_getpc25366)>>32
	s_setpc_b64 s[14:15]
.LBB2_7725:
	s_or_saveexec_b64 s[6:7], s[6:7]
	v_mov_b32_e32 v12, s10
	s_xor_b64 exec, exec, s[6:7]
	s_cbranch_execz .LBB2_7726
; %bb.43567:
	s_getpc_b64 s[14:15]
.Lpost_getpc25367:
	s_add_u32 s14, s14, (.LBB2_22064-.Lpost_getpc25367)&4294967295
	s_addc_u32 s15, s15, (.LBB2_22064-.Lpost_getpc25367)>>32
	s_setpc_b64 s[14:15]
.LBB2_7726:
	s_or_b64 exec, exec, s[6:7]
	s_and_saveexec_b64 s[6:7], s[4:5]
	s_cbranch_execz .LBB2_7728
.LBB2_7727:
	v_bfe_u32 v12, v3, 8, 3
	v_ffbh_u32_e32 v14, v12
	v_min_u32_e32 v14, 32, v14
	v_lshrrev_b16_e32 v13, 3, v6
	v_subrev_u32_e32 v15, 28, v14
	v_and_b32_e32 v13, 15, v13
	v_lshlrev_b32_e32 v6, v15, v6
	v_sub_u32_e32 v14, 29, v14
	v_and_b32_e32 v6, 7, v6
	v_cmp_eq_u16_e32 vcc, 0, v13
	v_cndmask_b32_e32 v6, v12, v6, vcc
	v_cndmask_b32_e32 v12, v13, v14, vcc
	v_lshlrev_b32_e32 v13, 16, v3
	v_mov_b32_e32 v14, 0x3b800000
	v_lshlrev_b32_e32 v6, 20, v6
	v_and_b32_e32 v13, 0x80000000, v13
	v_lshl_add_u32 v12, v12, 23, v14
	v_or3_b32 v12, v13, v12, v6
.LBB2_7728:
	s_or_b64 exec, exec, s[6:7]
	s_nop 0
	v_mfma_f32_16x16x4f32 a[0:3], v2, v12, a[0:3]
	s_movk_i32 s4, 0xff
	v_and_b32_sdwa v6, v7, s4 dst_sel:DWORD dst_unused:UNUSED_PAD src0_sel:WORD_1 src1_sel:DWORD
	s_movk_i32 s4, 0x7f
	v_cmp_lt_i16_e32 vcc, s4, v6
	s_mov_b64 s[4:5], 0
                                        ; implicit-def: $sgpr10
	s_and_saveexec_b64 s[6:7], vcc
	s_xor_b64 s[6:7], exec, s[6:7]
	s_cbranch_execz .LBB2_7729
; %bb.43569:
	s_getpc_b64 s[14:15]
.Lpost_getpc25368:
	s_add_u32 s14, s14, (.LBB2_22065-.Lpost_getpc25368)&4294967295
	s_addc_u32 s15, s15, (.LBB2_22065-.Lpost_getpc25368)>>32
	s_setpc_b64 s[14:15]
.LBB2_7729:
	s_or_saveexec_b64 s[6:7], s[6:7]
	v_mov_b32_e32 v2, s10
	s_xor_b64 exec, exec, s[6:7]
	s_cbranch_execz .LBB2_7730
; %bb.43571:
	s_getpc_b64 s[14:15]
.Lpost_getpc25369:
	s_add_u32 s14, s14, (.LBB2_22068-.Lpost_getpc25369)&4294967295
	s_addc_u32 s15, s15, (.LBB2_22068-.Lpost_getpc25369)>>32
	s_setpc_b64 s[14:15]
.LBB2_7730:
	s_or_b64 exec, exec, s[6:7]
	s_and_saveexec_b64 s[6:7], s[4:5]
	s_cbranch_execz .LBB2_7732
.LBB2_7731:
	v_bfe_u32 v2, v7, 16, 3
	v_ffbh_u32_e32 v13, v2
	v_min_u32_e32 v13, 32, v13
	v_lshrrev_b32_e32 v6, 19, v7
	v_subrev_u32_e32 v14, 28, v13
	v_and_b32_e32 v6, 15, v6
	v_lshlrev_b32_sdwa v14, v14, v7 dst_sel:DWORD dst_unused:UNUSED_PAD src0_sel:DWORD src1_sel:WORD_1
	v_bfe_u32 v12, v7, 19, 4
	v_sub_u32_e32 v13, 29, v13
	v_and_b32_e32 v14, 7, v14
	v_cmp_eq_u16_e32 vcc, 0, v6
	v_cndmask_b32_e32 v2, v2, v14, vcc
	v_cndmask_b32_e32 v6, v12, v13, vcc
	v_lshlrev_b32_e32 v12, 8, v7
	v_mov_b32_e32 v13, 0x3b800000
	v_lshlrev_b32_e32 v2, 20, v2
	v_and_b32_e32 v12, 0x80000000, v12
	v_lshl_add_u32 v6, v6, 23, v13
	v_or3_b32 v2, v12, v6, v2
.LBB2_7732:
	s_or_b64 exec, exec, s[6:7]
	s_movk_i32 s4, 0xff
	v_and_b32_sdwa v6, v3, s4 dst_sel:DWORD dst_unused:UNUSED_PAD src0_sel:WORD_1 src1_sel:DWORD
	s_movk_i32 s4, 0x7f
	v_cmp_lt_i16_e32 vcc, s4, v6
	s_mov_b64 s[4:5], 0
                                        ; implicit-def: $sgpr10
	s_and_saveexec_b64 s[6:7], vcc
	s_xor_b64 s[6:7], exec, s[6:7]
	s_cbranch_execz .LBB2_7733
; %bb.43573:
	s_getpc_b64 s[14:15]
.Lpost_getpc25370:
	s_add_u32 s14, s14, (.LBB2_22069-.Lpost_getpc25370)&4294967295
	s_addc_u32 s15, s15, (.LBB2_22069-.Lpost_getpc25370)>>32
	s_setpc_b64 s[14:15]
.LBB2_7733:
	s_or_saveexec_b64 s[6:7], s[6:7]
	v_mov_b32_e32 v12, s10
	s_xor_b64 exec, exec, s[6:7]
	s_cbranch_execz .LBB2_7734
; %bb.43575:
	s_getpc_b64 s[14:15]
.Lpost_getpc25371:
	s_add_u32 s14, s14, (.LBB2_22072-.Lpost_getpc25371)&4294967295
	s_addc_u32 s15, s15, (.LBB2_22072-.Lpost_getpc25371)>>32
	s_setpc_b64 s[14:15]
.LBB2_7734:
	s_or_b64 exec, exec, s[6:7]
	s_and_saveexec_b64 s[6:7], s[4:5]
	s_cbranch_execz .LBB2_7736
.LBB2_7735:
	v_bfe_u32 v6, v3, 16, 3
	v_ffbh_u32_e32 v14, v6
	v_min_u32_e32 v14, 32, v14
	v_lshrrev_b32_e32 v12, 19, v3
	v_subrev_u32_e32 v15, 28, v14
	v_and_b32_e32 v12, 15, v12
	v_lshlrev_b32_sdwa v15, v15, v3 dst_sel:DWORD dst_unused:UNUSED_PAD src0_sel:DWORD src1_sel:WORD_1
	v_bfe_u32 v13, v3, 19, 4
	v_sub_u32_e32 v14, 29, v14
	v_and_b32_e32 v15, 7, v15
	v_cmp_eq_u16_e32 vcc, 0, v12
	v_cndmask_b32_e32 v6, v6, v15, vcc
	v_cndmask_b32_e32 v12, v13, v14, vcc
	v_lshlrev_b32_e32 v13, 8, v3
	v_mov_b32_e32 v14, 0x3b800000
	v_lshlrev_b32_e32 v6, 20, v6
	v_and_b32_e32 v13, 0x80000000, v13
	v_lshl_add_u32 v12, v12, 23, v14
	v_or3_b32 v12, v13, v12, v6
.LBB2_7736:
	s_or_b64 exec, exec, s[6:7]
	s_nop 0
	v_mfma_f32_16x16x4f32 a[0:3], v2, v12, a[0:3]
	s_movk_i32 s4, 0x7f
	v_cmp_gt_i16_sdwa s[6:7], v7, s4 src0_sel:BYTE_3 src1_sel:DWORD
	s_mov_b64 s[4:5], 0
                                        ; implicit-def: $sgpr10
	s_and_saveexec_b64 s[8:9], s[6:7]
	s_xor_b64 s[6:7], exec, s[8:9]
	s_cbranch_execz .LBB2_7737
; %bb.43577:
	s_getpc_b64 s[14:15]
.Lpost_getpc25372:
	s_add_u32 s14, s14, (.LBB2_22073-.Lpost_getpc25372)&4294967295
	s_addc_u32 s15, s15, (.LBB2_22073-.Lpost_getpc25372)>>32
	s_setpc_b64 s[14:15]
.LBB2_7737:
	s_or_saveexec_b64 s[6:7], s[6:7]
	v_mov_b32_e32 v2, s10
	s_xor_b64 exec, exec, s[6:7]
	s_cbranch_execz .LBB2_7738
; %bb.43579:
	s_getpc_b64 s[14:15]
.Lpost_getpc25373:
	s_add_u32 s14, s14, (.LBB2_22076-.Lpost_getpc25373)&4294967295
	s_addc_u32 s15, s15, (.LBB2_22076-.Lpost_getpc25373)>>32
	s_setpc_b64 s[14:15]
.LBB2_7738:
	s_or_b64 exec, exec, s[6:7]
	s_and_saveexec_b64 s[6:7], s[4:5]
	s_cbranch_execz .LBB2_7740
.LBB2_7739:
	v_bfe_u32 v2, v7, 24, 3
	v_ffbh_u32_e32 v14, v2
	v_min_u32_e32 v14, 32, v14
	v_lshrrev_b32_e32 v12, 27, v7
	v_subrev_u32_e32 v15, 28, v14
	v_and_b32_e32 v6, 0x80000000, v7
	v_and_b32_e32 v12, 15, v12
	v_bfe_u32 v13, v7, 27, 4
	v_lshlrev_b32_sdwa v7, v15, v7 dst_sel:DWORD dst_unused:UNUSED_PAD src0_sel:DWORD src1_sel:BYTE_3
	v_sub_u32_e32 v14, 29, v14
	v_and_b32_e32 v7, 7, v7
	v_cmp_eq_u16_e32 vcc, 0, v12
	v_cndmask_b32_e32 v2, v2, v7, vcc
	v_cndmask_b32_e32 v7, v13, v14, vcc
	v_mov_b32_e32 v12, 0x3b800000
	v_lshlrev_b32_e32 v2, 20, v2
	v_lshl_add_u32 v7, v7, 23, v12
	v_or3_b32 v2, v6, v7, v2
.LBB2_7740:
	s_or_b64 exec, exec, s[6:7]
	s_movk_i32 s4, 0x7f
	v_cmp_gt_i16_sdwa s[6:7], v3, s4 src0_sel:BYTE_3 src1_sel:DWORD
	s_mov_b64 s[4:5], 0
                                        ; implicit-def: $sgpr10
	s_and_saveexec_b64 s[8:9], s[6:7]
	s_xor_b64 s[6:7], exec, s[8:9]
	s_cbranch_execz .LBB2_7741
; %bb.43581:
	s_getpc_b64 s[14:15]
.Lpost_getpc25374:
	s_add_u32 s14, s14, (.LBB2_22077-.Lpost_getpc25374)&4294967295
	s_addc_u32 s15, s15, (.LBB2_22077-.Lpost_getpc25374)>>32
	s_setpc_b64 s[14:15]
.LBB2_7741:
	s_or_saveexec_b64 s[6:7], s[6:7]
	v_mov_b32_e32 v6, s10
	s_xor_b64 exec, exec, s[6:7]
	s_cbranch_execz .LBB2_7742
; %bb.43583:
	s_getpc_b64 s[14:15]
.Lpost_getpc25375:
	s_add_u32 s14, s14, (.LBB2_22080-.Lpost_getpc25375)&4294967295
	s_addc_u32 s15, s15, (.LBB2_22080-.Lpost_getpc25375)>>32
	s_setpc_b64 s[14:15]
.LBB2_7742:
	s_or_b64 exec, exec, s[6:7]
	s_and_saveexec_b64 s[6:7], s[4:5]
	s_cbranch_execz .LBB2_7744
.LBB2_7743:
	v_bfe_u32 v6, v3, 24, 3
	v_ffbh_u32_e32 v14, v6
	v_min_u32_e32 v14, 32, v14
	v_lshrrev_b32_e32 v12, 27, v3
	v_subrev_u32_e32 v15, 28, v14
	v_and_b32_e32 v7, 0x80000000, v3
	v_and_b32_e32 v12, 15, v12
	v_bfe_u32 v13, v3, 27, 4
	v_lshlrev_b32_sdwa v3, v15, v3 dst_sel:DWORD dst_unused:UNUSED_PAD src0_sel:DWORD src1_sel:BYTE_3
	v_sub_u32_e32 v14, 29, v14
	v_and_b32_e32 v3, 7, v3
	v_cmp_eq_u16_e32 vcc, 0, v12
	v_cndmask_b32_e32 v3, v6, v3, vcc
	v_cndmask_b32_e32 v6, v13, v14, vcc
	v_mov_b32_e32 v12, 0x3b800000
	v_lshlrev_b32_e32 v3, 20, v3
	v_lshl_add_u32 v6, v6, 23, v12
	v_or3_b32 v6, v7, v6, v3
.LBB2_7744:
	s_or_b64 exec, exec, s[6:7]
	s_nop 0
	v_mfma_f32_16x16x4f32 a[0:3], v2, v6, a[0:3]
	s_movk_i32 s4, 0x7f
	v_cmp_gt_i16_sdwa s[6:7], v8, s4 src0_sel:BYTE_0 src1_sel:DWORD
	s_mov_b64 s[4:5], 0
                                        ; implicit-def: $sgpr10
	s_and_saveexec_b64 s[8:9], s[6:7]
	s_xor_b64 s[6:7], exec, s[8:9]
	s_cbranch_execz .LBB2_7745
; %bb.43585:
	s_getpc_b64 s[14:15]
.Lpost_getpc25376:
	s_add_u32 s14, s14, (.LBB2_22081-.Lpost_getpc25376)&4294967295
	s_addc_u32 s15, s15, (.LBB2_22081-.Lpost_getpc25376)>>32
	s_setpc_b64 s[14:15]
.LBB2_7745:
	s_or_saveexec_b64 s[6:7], s[6:7]
	v_mov_b32_e32 v2, s10
	s_xor_b64 exec, exec, s[6:7]
	s_cbranch_execz .LBB2_7746
; %bb.43587:
	s_getpc_b64 s[14:15]
.Lpost_getpc25377:
	s_add_u32 s14, s14, (.LBB2_22084-.Lpost_getpc25377)&4294967295
	s_addc_u32 s15, s15, (.LBB2_22084-.Lpost_getpc25377)>>32
	s_setpc_b64 s[14:15]
.LBB2_7746:
	s_or_b64 exec, exec, s[6:7]
	s_and_saveexec_b64 s[6:7], s[4:5]
	s_cbranch_execz .LBB2_7748
.LBB2_7747:
	v_and_b32_e32 v2, 7, v8
	v_ffbh_u32_e32 v6, v2
	v_min_u32_e32 v6, 32, v6
	v_lshrrev_b16_e32 v3, 3, v8
	v_subrev_u32_e32 v7, 28, v6
	v_and_b32_e32 v3, 15, v3
	v_lshlrev_b32_e32 v7, v7, v8
	v_sub_u32_e32 v6, 29, v6
	v_and_b32_e32 v7, 7, v7
	v_cmp_eq_u16_e32 vcc, 0, v3
	v_cndmask_b32_e32 v2, v2, v7, vcc
	v_cndmask_b32_e32 v3, v3, v6, vcc
	v_lshlrev_b32_e32 v6, 24, v8
	v_mov_b32_e32 v7, 0x3b800000
	v_lshlrev_b32_e32 v2, 20, v2
	v_and_b32_e32 v6, 0x80000000, v6
	v_lshl_add_u32 v3, v3, 23, v7
	v_or3_b32 v2, v6, v3, v2
.LBB2_7748:
	s_or_b64 exec, exec, s[6:7]
	s_movk_i32 s4, 0x7f
	v_cmp_gt_i16_sdwa s[6:7], v4, s4 src0_sel:BYTE_0 src1_sel:DWORD
	s_mov_b64 s[4:5], 0
                                        ; implicit-def: $sgpr10
	s_and_saveexec_b64 s[8:9], s[6:7]
	s_xor_b64 s[6:7], exec, s[8:9]
	s_cbranch_execz .LBB2_7749
; %bb.43589:
	s_getpc_b64 s[14:15]
.Lpost_getpc25378:
	s_add_u32 s14, s14, (.LBB2_22085-.Lpost_getpc25378)&4294967295
	s_addc_u32 s15, s15, (.LBB2_22085-.Lpost_getpc25378)>>32
	s_setpc_b64 s[14:15]
.LBB2_7749:
	s_or_saveexec_b64 s[6:7], s[6:7]
	v_mov_b32_e32 v3, s10
	s_xor_b64 exec, exec, s[6:7]
	s_cbranch_execz .LBB2_7750
; %bb.43591:
	s_getpc_b64 s[14:15]
.Lpost_getpc25379:
	s_add_u32 s14, s14, (.LBB2_22088-.Lpost_getpc25379)&4294967295
	s_addc_u32 s15, s15, (.LBB2_22088-.Lpost_getpc25379)>>32
	s_setpc_b64 s[14:15]
.LBB2_7750:
	s_or_b64 exec, exec, s[6:7]
	s_and_saveexec_b64 s[6:7], s[4:5]
	s_cbranch_execz .LBB2_7752
.LBB2_7751:
	v_and_b32_e32 v3, 7, v4
	v_ffbh_u32_e32 v7, v3
	v_min_u32_e32 v7, 32, v7
	v_lshrrev_b16_e32 v6, 3, v4
	v_subrev_u32_e32 v12, 28, v7
	v_and_b32_e32 v6, 15, v6
	v_lshlrev_b32_e32 v12, v12, v4
	v_sub_u32_e32 v7, 29, v7
	v_and_b32_e32 v12, 7, v12
	v_cmp_eq_u16_e32 vcc, 0, v6
	v_cndmask_b32_e32 v3, v3, v12, vcc
	v_cndmask_b32_e32 v6, v6, v7, vcc
	v_lshlrev_b32_e32 v7, 24, v4
	v_mov_b32_e32 v12, 0x3b800000
	v_lshlrev_b32_e32 v3, 20, v3
	v_and_b32_e32 v7, 0x80000000, v7
	v_lshl_add_u32 v6, v6, 23, v12
	v_or3_b32 v3, v7, v6, v3
.LBB2_7752:
	s_or_b64 exec, exec, s[6:7]
	s_nop 0
	v_mfma_f32_16x16x4f32 a[0:3], v2, v3, a[0:3]
	v_lshrrev_b32_e32 v3, 8, v8
	s_movk_i32 s4, 0x7f
	v_cmp_gt_i16_sdwa s[6:7], v3, s4 src0_sel:BYTE_0 src1_sel:DWORD
	s_mov_b64 s[4:5], 0
                                        ; implicit-def: $sgpr10
	s_and_saveexec_b64 s[8:9], s[6:7]
	s_xor_b64 s[6:7], exec, s[8:9]
	s_cbranch_execz .LBB2_7753
; %bb.43593:
	s_getpc_b64 s[14:15]
.Lpost_getpc25380:
	s_add_u32 s14, s14, (.LBB2_22089-.Lpost_getpc25380)&4294967295
	s_addc_u32 s15, s15, (.LBB2_22089-.Lpost_getpc25380)>>32
	s_setpc_b64 s[14:15]
.LBB2_7753:
	s_or_saveexec_b64 s[6:7], s[6:7]
	v_mov_b32_e32 v2, s10
	s_xor_b64 exec, exec, s[6:7]
	s_cbranch_execz .LBB2_7754
; %bb.43595:
	s_getpc_b64 s[14:15]
.Lpost_getpc25381:
	s_add_u32 s14, s14, (.LBB2_22092-.Lpost_getpc25381)&4294967295
	s_addc_u32 s15, s15, (.LBB2_22092-.Lpost_getpc25381)>>32
	s_setpc_b64 s[14:15]
.LBB2_7754:
	s_or_b64 exec, exec, s[6:7]
	s_and_saveexec_b64 s[6:7], s[4:5]
	s_cbranch_execz .LBB2_7756
.LBB2_7755:
	v_bfe_u32 v2, v8, 8, 3
	v_ffbh_u32_e32 v7, v2
	v_min_u32_e32 v7, 32, v7
	v_lshrrev_b16_e32 v6, 3, v3
	v_subrev_u32_e32 v12, 28, v7
	v_and_b32_e32 v6, 15, v6
	v_lshlrev_b32_e32 v3, v12, v3
	v_sub_u32_e32 v7, 29, v7
	v_and_b32_e32 v3, 7, v3
	v_cmp_eq_u16_e32 vcc, 0, v6
	v_cndmask_b32_e32 v2, v2, v3, vcc
	v_cndmask_b32_e32 v3, v6, v7, vcc
	v_lshlrev_b32_e32 v6, 16, v8
	v_mov_b32_e32 v7, 0x3b800000
	v_lshlrev_b32_e32 v2, 20, v2
	v_and_b32_e32 v6, 0x80000000, v6
	v_lshl_add_u32 v3, v3, 23, v7
	v_or3_b32 v2, v6, v3, v2
.LBB2_7756:
	s_or_b64 exec, exec, s[6:7]
	v_lshrrev_b32_e32 v3, 8, v4
	s_movk_i32 s4, 0x7f
	v_cmp_gt_i16_sdwa s[6:7], v3, s4 src0_sel:BYTE_0 src1_sel:DWORD
	s_mov_b64 s[4:5], 0
                                        ; implicit-def: $sgpr10
	s_and_saveexec_b64 s[8:9], s[6:7]
	s_xor_b64 s[6:7], exec, s[8:9]
	s_cbranch_execz .LBB2_7757
; %bb.43597:
	s_getpc_b64 s[14:15]
.Lpost_getpc25382:
	s_add_u32 s14, s14, (.LBB2_22093-.Lpost_getpc25382)&4294967295
	s_addc_u32 s15, s15, (.LBB2_22093-.Lpost_getpc25382)>>32
	s_setpc_b64 s[14:15]
.LBB2_7757:
	s_or_saveexec_b64 s[6:7], s[6:7]
	v_mov_b32_e32 v6, s10
	s_xor_b64 exec, exec, s[6:7]
	s_cbranch_execz .LBB2_7758
; %bb.43599:
	s_getpc_b64 s[14:15]
.Lpost_getpc25383:
	s_add_u32 s14, s14, (.LBB2_22096-.Lpost_getpc25383)&4294967295
	s_addc_u32 s15, s15, (.LBB2_22096-.Lpost_getpc25383)>>32
	s_setpc_b64 s[14:15]
.LBB2_7758:
	s_or_b64 exec, exec, s[6:7]
	s_and_saveexec_b64 s[6:7], s[4:5]
	s_cbranch_execz .LBB2_7760
.LBB2_7759:
	v_bfe_u32 v6, v4, 8, 3
	v_ffbh_u32_e32 v12, v6
	v_min_u32_e32 v12, 32, v12
	v_lshrrev_b16_e32 v7, 3, v3
	v_subrev_u32_e32 v13, 28, v12
	v_and_b32_e32 v7, 15, v7
	v_lshlrev_b32_e32 v3, v13, v3
	v_sub_u32_e32 v12, 29, v12
	v_and_b32_e32 v3, 7, v3
	v_cmp_eq_u16_e32 vcc, 0, v7
	v_cndmask_b32_e32 v3, v6, v3, vcc
	v_cndmask_b32_e32 v6, v7, v12, vcc
	v_lshlrev_b32_e32 v7, 16, v4
	v_mov_b32_e32 v12, 0x3b800000
	v_lshlrev_b32_e32 v3, 20, v3
	v_and_b32_e32 v7, 0x80000000, v7
	v_lshl_add_u32 v6, v6, 23, v12
	v_or3_b32 v6, v7, v6, v3
.LBB2_7760:
	s_or_b64 exec, exec, s[6:7]
	s_nop 0
	v_mfma_f32_16x16x4f32 a[0:3], v2, v6, a[0:3]
	s_movk_i32 s4, 0xff
	v_and_b32_sdwa v3, v8, s4 dst_sel:DWORD dst_unused:UNUSED_PAD src0_sel:WORD_1 src1_sel:DWORD
	s_movk_i32 s4, 0x7f
	v_cmp_lt_i16_e32 vcc, s4, v3
	s_mov_b64 s[4:5], 0
                                        ; implicit-def: $sgpr10
	s_and_saveexec_b64 s[6:7], vcc
	s_xor_b64 s[6:7], exec, s[6:7]
	s_cbranch_execz .LBB2_7761
; %bb.43601:
	s_getpc_b64 s[14:15]
.Lpost_getpc25384:
	s_add_u32 s14, s14, (.LBB2_22097-.Lpost_getpc25384)&4294967295
	s_addc_u32 s15, s15, (.LBB2_22097-.Lpost_getpc25384)>>32
	s_setpc_b64 s[14:15]
.LBB2_7761:
	s_or_saveexec_b64 s[6:7], s[6:7]
	v_mov_b32_e32 v2, s10
	s_xor_b64 exec, exec, s[6:7]
	s_cbranch_execz .LBB2_7762
; %bb.43603:
	s_getpc_b64 s[14:15]
.Lpost_getpc25385:
	s_add_u32 s14, s14, (.LBB2_22100-.Lpost_getpc25385)&4294967295
	s_addc_u32 s15, s15, (.LBB2_22100-.Lpost_getpc25385)>>32
	s_setpc_b64 s[14:15]
.LBB2_7762:
	s_or_b64 exec, exec, s[6:7]
	s_and_saveexec_b64 s[6:7], s[4:5]
	s_cbranch_execz .LBB2_7764
.LBB2_7763:
	v_bfe_u32 v2, v8, 16, 3
	v_ffbh_u32_e32 v7, v2
	v_min_u32_e32 v7, 32, v7
	v_lshrrev_b32_e32 v3, 19, v8
	v_subrev_u32_e32 v12, 28, v7
	v_and_b32_e32 v3, 15, v3
	v_lshlrev_b32_sdwa v12, v12, v8 dst_sel:DWORD dst_unused:UNUSED_PAD src0_sel:DWORD src1_sel:WORD_1
	v_bfe_u32 v6, v8, 19, 4
	v_sub_u32_e32 v7, 29, v7
	v_and_b32_e32 v12, 7, v12
	v_cmp_eq_u16_e32 vcc, 0, v3
	v_cndmask_b32_e32 v2, v2, v12, vcc
	v_cndmask_b32_e32 v3, v6, v7, vcc
	v_lshlrev_b32_e32 v6, 8, v8
	v_mov_b32_e32 v7, 0x3b800000
	v_lshlrev_b32_e32 v2, 20, v2
	v_and_b32_e32 v6, 0x80000000, v6
	v_lshl_add_u32 v3, v3, 23, v7
	v_or3_b32 v2, v6, v3, v2
.LBB2_7764:
	s_or_b64 exec, exec, s[6:7]
	s_movk_i32 s4, 0xff
	v_and_b32_sdwa v3, v4, s4 dst_sel:DWORD dst_unused:UNUSED_PAD src0_sel:WORD_1 src1_sel:DWORD
	s_movk_i32 s4, 0x7f
	v_cmp_lt_i16_e32 vcc, s4, v3
	s_mov_b64 s[4:5], 0
                                        ; implicit-def: $sgpr10
	s_and_saveexec_b64 s[6:7], vcc
	s_xor_b64 s[6:7], exec, s[6:7]
	s_cbranch_execz .LBB2_7765
; %bb.43605:
	s_getpc_b64 s[14:15]
.Lpost_getpc25386:
	s_add_u32 s14, s14, (.LBB2_22101-.Lpost_getpc25386)&4294967295
	s_addc_u32 s15, s15, (.LBB2_22101-.Lpost_getpc25386)>>32
	s_setpc_b64 s[14:15]
.LBB2_7765:
	s_or_saveexec_b64 s[6:7], s[6:7]
	v_mov_b32_e32 v6, s10
	s_xor_b64 exec, exec, s[6:7]
	s_cbranch_execz .LBB2_7766
; %bb.43607:
	s_getpc_b64 s[14:15]
.Lpost_getpc25387:
	s_add_u32 s14, s14, (.LBB2_22104-.Lpost_getpc25387)&4294967295
	s_addc_u32 s15, s15, (.LBB2_22104-.Lpost_getpc25387)>>32
	s_setpc_b64 s[14:15]
.LBB2_7766:
	s_or_b64 exec, exec, s[6:7]
	s_and_saveexec_b64 s[6:7], s[4:5]
	s_cbranch_execz .LBB2_7768
.LBB2_7767:
	v_bfe_u32 v3, v4, 16, 3
	v_ffbh_u32_e32 v12, v3
	v_min_u32_e32 v12, 32, v12
	v_lshrrev_b32_e32 v6, 19, v4
	v_subrev_u32_e32 v13, 28, v12
	v_and_b32_e32 v6, 15, v6
	v_lshlrev_b32_sdwa v13, v13, v4 dst_sel:DWORD dst_unused:UNUSED_PAD src0_sel:DWORD src1_sel:WORD_1
	v_bfe_u32 v7, v4, 19, 4
	v_sub_u32_e32 v12, 29, v12
	v_and_b32_e32 v13, 7, v13
	v_cmp_eq_u16_e32 vcc, 0, v6
	v_cndmask_b32_e32 v3, v3, v13, vcc
	v_cndmask_b32_e32 v6, v7, v12, vcc
	v_lshlrev_b32_e32 v7, 8, v4
	v_mov_b32_e32 v12, 0x3b800000
	v_lshlrev_b32_e32 v3, 20, v3
	v_and_b32_e32 v7, 0x80000000, v7
	v_lshl_add_u32 v6, v6, 23, v12
	v_or3_b32 v6, v7, v6, v3
.LBB2_7768:
	s_or_b64 exec, exec, s[6:7]
	s_nop 0
	v_mfma_f32_16x16x4f32 a[0:3], v2, v6, a[0:3]
	s_movk_i32 s4, 0x7f
	v_cmp_gt_i16_sdwa s[6:7], v8, s4 src0_sel:BYTE_3 src1_sel:DWORD
	s_mov_b64 s[4:5], 0
                                        ; implicit-def: $sgpr10
	s_and_saveexec_b64 s[8:9], s[6:7]
	s_xor_b64 s[6:7], exec, s[8:9]
	s_cbranch_execz .LBB2_7769
; %bb.43609:
	s_getpc_b64 s[14:15]
.Lpost_getpc25388:
	s_add_u32 s14, s14, (.LBB2_22105-.Lpost_getpc25388)&4294967295
	s_addc_u32 s15, s15, (.LBB2_22105-.Lpost_getpc25388)>>32
	s_setpc_b64 s[14:15]
.LBB2_7769:
	s_or_saveexec_b64 s[6:7], s[6:7]
	v_mov_b32_e32 v2, s10
	s_xor_b64 exec, exec, s[6:7]
	s_cbranch_execz .LBB2_7770
; %bb.43611:
	s_getpc_b64 s[14:15]
.Lpost_getpc25389:
	s_add_u32 s14, s14, (.LBB2_22108-.Lpost_getpc25389)&4294967295
	s_addc_u32 s15, s15, (.LBB2_22108-.Lpost_getpc25389)>>32
	s_setpc_b64 s[14:15]
.LBB2_7770:
	s_or_b64 exec, exec, s[6:7]
	s_and_saveexec_b64 s[6:7], s[4:5]
	s_cbranch_execz .LBB2_7772
.LBB2_7771:
	v_bfe_u32 v2, v8, 24, 3
	v_ffbh_u32_e32 v12, v2
	v_min_u32_e32 v12, 32, v12
	v_lshrrev_b32_e32 v6, 27, v8
	v_subrev_u32_e32 v13, 28, v12
	v_and_b32_e32 v3, 0x80000000, v8
	v_and_b32_e32 v6, 15, v6
	v_bfe_u32 v7, v8, 27, 4
	v_lshlrev_b32_sdwa v8, v13, v8 dst_sel:DWORD dst_unused:UNUSED_PAD src0_sel:DWORD src1_sel:BYTE_3
	v_sub_u32_e32 v12, 29, v12
	v_and_b32_e32 v8, 7, v8
	v_cmp_eq_u16_e32 vcc, 0, v6
	v_cndmask_b32_e32 v2, v2, v8, vcc
	v_cndmask_b32_e32 v6, v7, v12, vcc
	v_mov_b32_e32 v7, 0x3b800000
	v_lshlrev_b32_e32 v2, 20, v2
	v_lshl_add_u32 v6, v6, 23, v7
	v_or3_b32 v2, v3, v6, v2
.LBB2_7772:
	s_or_b64 exec, exec, s[6:7]
	s_movk_i32 s4, 0x7f
	v_cmp_gt_i16_sdwa s[6:7], v4, s4 src0_sel:BYTE_3 src1_sel:DWORD
	s_mov_b64 s[4:5], 0
                                        ; implicit-def: $sgpr10
	s_and_saveexec_b64 s[8:9], s[6:7]
	s_xor_b64 s[6:7], exec, s[8:9]
	s_cbranch_execz .LBB2_7773
; %bb.43613:
	s_getpc_b64 s[14:15]
.Lpost_getpc25390:
	s_add_u32 s14, s14, (.LBB2_22109-.Lpost_getpc25390)&4294967295
	s_addc_u32 s15, s15, (.LBB2_22109-.Lpost_getpc25390)>>32
	s_setpc_b64 s[14:15]
.LBB2_7773:
	s_or_saveexec_b64 s[6:7], s[6:7]
	v_mov_b32_e32 v3, s10
	s_xor_b64 exec, exec, s[6:7]
	s_cbranch_execz .LBB2_7774
; %bb.43615:
	s_getpc_b64 s[14:15]
.Lpost_getpc25391:
	s_add_u32 s14, s14, (.LBB2_22112-.Lpost_getpc25391)&4294967295
	s_addc_u32 s15, s15, (.LBB2_22112-.Lpost_getpc25391)>>32
	s_setpc_b64 s[14:15]
.LBB2_7774:
	s_or_b64 exec, exec, s[6:7]
	s_and_saveexec_b64 s[6:7], s[4:5]
	s_cbranch_execz .LBB2_7776
.LBB2_7775:
	v_bfe_u32 v3, v4, 24, 3
	v_ffbh_u32_e32 v12, v3
	v_min_u32_e32 v12, 32, v12
	v_lshrrev_b32_e32 v7, 27, v4
	v_subrev_u32_e32 v13, 28, v12
	v_and_b32_e32 v6, 0x80000000, v4
	v_and_b32_e32 v7, 15, v7
	v_bfe_u32 v8, v4, 27, 4
	v_lshlrev_b32_sdwa v4, v13, v4 dst_sel:DWORD dst_unused:UNUSED_PAD src0_sel:DWORD src1_sel:BYTE_3
	v_sub_u32_e32 v12, 29, v12
	v_and_b32_e32 v4, 7, v4
	v_cmp_eq_u16_e32 vcc, 0, v7
	v_cndmask_b32_e32 v3, v3, v4, vcc
	v_cndmask_b32_e32 v4, v8, v12, vcc
	v_mov_b32_e32 v7, 0x3b800000
	v_lshlrev_b32_e32 v3, 20, v3
	v_lshl_add_u32 v4, v4, 23, v7
	v_or3_b32 v3, v6, v4, v3
.LBB2_7776:
	s_or_b64 exec, exec, s[6:7]
	s_nop 0
	v_mfma_f32_16x16x4f32 a[0:3], v2, v3, a[0:3]
	s_movk_i32 s4, 0x7f
	v_cmp_gt_i16_sdwa s[6:7], v9, s4 src0_sel:BYTE_0 src1_sel:DWORD
	s_mov_b64 s[4:5], 0
                                        ; implicit-def: $sgpr10
	s_and_saveexec_b64 s[8:9], s[6:7]
	s_xor_b64 s[6:7], exec, s[8:9]
	s_cbranch_execz .LBB2_7777
; %bb.43617:
	s_getpc_b64 s[14:15]
.Lpost_getpc25392:
	s_add_u32 s14, s14, (.LBB2_22113-.Lpost_getpc25392)&4294967295
	s_addc_u32 s15, s15, (.LBB2_22113-.Lpost_getpc25392)>>32
	s_setpc_b64 s[14:15]
.LBB2_7777:
	s_or_saveexec_b64 s[6:7], s[6:7]
	v_mov_b32_e32 v2, s10
	s_xor_b64 exec, exec, s[6:7]
	s_cbranch_execz .LBB2_7778
; %bb.43619:
	s_getpc_b64 s[14:15]
.Lpost_getpc25393:
	s_add_u32 s14, s14, (.LBB2_22116-.Lpost_getpc25393)&4294967295
	s_addc_u32 s15, s15, (.LBB2_22116-.Lpost_getpc25393)>>32
	s_setpc_b64 s[14:15]
.LBB2_7778:
	s_or_b64 exec, exec, s[6:7]
	s_and_saveexec_b64 s[6:7], s[4:5]
	s_cbranch_execz .LBB2_7780
.LBB2_7779:
	v_mov_b32_e32 v2, 8
	v_and_b32_e32 v3, 7, v9
	v_lshrrev_b32_sdwa v2, v2, v9 dst_sel:BYTE_1 dst_unused:UNUSED_PAD src0_sel:DWORD src1_sel:DWORD
	v_ffbh_u32_e32 v4, v3
	v_or_b32_sdwa v2, v9, v2 dst_sel:DWORD dst_unused:UNUSED_PAD src0_sel:BYTE_0 src1_sel:DWORD
	v_min_u32_e32 v4, 32, v4
	v_lshrrev_b16_e32 v2, 3, v2
	v_subrev_u32_e32 v6, 28, v4
	v_and_b32_e32 v2, 15, v2
	v_lshlrev_b32_e32 v6, v6, v9
	v_sub_u32_e32 v4, 29, v4
	v_and_b32_e32 v6, 7, v6
	v_cmp_eq_u16_e32 vcc, 0, v2
	v_cndmask_b32_e32 v3, v3, v6, vcc
	v_cndmask_b32_e32 v2, v2, v4, vcc
	v_lshlrev_b32_e32 v4, 24, v9
	v_mov_b32_e32 v6, 0x3b800000
	v_lshlrev_b32_e32 v3, 20, v3
	v_and_b32_e32 v4, 0x80000000, v4
	v_lshl_add_u32 v2, v2, 23, v6
	v_or3_b32 v2, v4, v2, v3
.LBB2_7780:
	s_or_b64 exec, exec, s[6:7]
	s_movk_i32 s4, 0x7f
	v_cmp_gt_i16_sdwa s[6:7], v5, s4 src0_sel:BYTE_0 src1_sel:DWORD
	s_mov_b64 s[4:5], 0
                                        ; implicit-def: $sgpr10
	s_and_saveexec_b64 s[8:9], s[6:7]
	s_xor_b64 s[6:7], exec, s[8:9]
	s_cbranch_execz .LBB2_7781
; %bb.43621:
	s_getpc_b64 s[14:15]
.Lpost_getpc25394:
	s_add_u32 s14, s14, (.LBB2_22117-.Lpost_getpc25394)&4294967295
	s_addc_u32 s15, s15, (.LBB2_22117-.Lpost_getpc25394)>>32
	s_setpc_b64 s[14:15]
.LBB2_7781:
	s_or_saveexec_b64 s[6:7], s[6:7]
	v_mov_b32_e32 v3, s10
	s_xor_b64 exec, exec, s[6:7]
	s_cbranch_execz .LBB2_7782
; %bb.43623:
	s_getpc_b64 s[14:15]
.Lpost_getpc25395:
	s_add_u32 s14, s14, (.LBB2_22120-.Lpost_getpc25395)&4294967295
	s_addc_u32 s15, s15, (.LBB2_22120-.Lpost_getpc25395)>>32
	s_setpc_b64 s[14:15]
.LBB2_7782:
	s_or_b64 exec, exec, s[6:7]
	s_and_saveexec_b64 s[6:7], s[4:5]
	s_cbranch_execz .LBB2_7784
.LBB2_7783:
	v_mov_b32_e32 v3, 8
	v_and_b32_e32 v4, 7, v5
	v_lshrrev_b32_sdwa v3, v3, v5 dst_sel:BYTE_1 dst_unused:UNUSED_PAD src0_sel:DWORD src1_sel:DWORD
	v_ffbh_u32_e32 v6, v4
	v_or_b32_sdwa v3, v5, v3 dst_sel:DWORD dst_unused:UNUSED_PAD src0_sel:BYTE_0 src1_sel:DWORD
	v_min_u32_e32 v6, 32, v6
	v_lshrrev_b16_e32 v3, 3, v3
	v_subrev_u32_e32 v7, 28, v6
	v_and_b32_e32 v3, 15, v3
	v_lshlrev_b32_e32 v7, v7, v5
	v_sub_u32_e32 v6, 29, v6
	v_and_b32_e32 v7, 7, v7
	v_cmp_eq_u16_e32 vcc, 0, v3
	v_cndmask_b32_e32 v4, v4, v7, vcc
	v_cndmask_b32_e32 v3, v3, v6, vcc
	v_lshlrev_b32_e32 v6, 24, v5
	v_mov_b32_e32 v7, 0x3b800000
	v_lshlrev_b32_e32 v4, 20, v4
	v_and_b32_e32 v6, 0x80000000, v6
	v_lshl_add_u32 v3, v3, 23, v7
	v_or3_b32 v3, v6, v3, v4
.LBB2_7784:
	s_or_b64 exec, exec, s[6:7]
	s_nop 0
	v_mfma_f32_16x16x4f32 a[0:3], v2, v3, a[0:3]
	v_lshrrev_b32_e32 v3, 8, v9
	s_movk_i32 s4, 0x7f
	v_cmp_gt_i16_sdwa s[6:7], v3, s4 src0_sel:BYTE_0 src1_sel:DWORD
	s_mov_b64 s[4:5], 0
                                        ; implicit-def: $sgpr10
	s_and_saveexec_b64 s[8:9], s[6:7]
	s_xor_b64 s[6:7], exec, s[8:9]
	s_cbranch_execz .LBB2_7785
; %bb.43625:
	s_getpc_b64 s[14:15]
.Lpost_getpc25396:
	s_add_u32 s14, s14, (.LBB2_22121-.Lpost_getpc25396)&4294967295
	s_addc_u32 s15, s15, (.LBB2_22121-.Lpost_getpc25396)>>32
	s_setpc_b64 s[14:15]
.LBB2_7785:
	s_or_saveexec_b64 s[6:7], s[6:7]
	v_mov_b32_e32 v2, s10
	s_xor_b64 exec, exec, s[6:7]
	s_cbranch_execz .LBB2_7786
; %bb.43627:
	s_getpc_b64 s[14:15]
.Lpost_getpc25397:
	s_add_u32 s14, s14, (.LBB2_22124-.Lpost_getpc25397)&4294967295
	s_addc_u32 s15, s15, (.LBB2_22124-.Lpost_getpc25397)>>32
	s_setpc_b64 s[14:15]
.LBB2_7786:
	s_or_b64 exec, exec, s[6:7]
	s_and_saveexec_b64 s[6:7], s[4:5]
	s_cbranch_execz .LBB2_7788
.LBB2_7787:
	v_bfe_u32 v2, v9, 8, 3
	v_ffbh_u32_e32 v6, v2
	v_min_u32_e32 v6, 32, v6
	v_lshrrev_b16_e32 v4, 3, v3
	v_subrev_u32_e32 v7, 28, v6
	v_and_b32_e32 v4, 15, v4
	v_lshlrev_b32_e32 v3, v7, v3
	v_sub_u32_e32 v6, 29, v6
	v_and_b32_e32 v3, 7, v3
	v_cmp_eq_u16_e32 vcc, 0, v4
	v_cndmask_b32_e32 v2, v2, v3, vcc
	v_cndmask_b32_e32 v3, v4, v6, vcc
	v_lshlrev_b32_e32 v4, 16, v9
	v_mov_b32_e32 v6, 0x3b800000
	v_lshlrev_b32_e32 v2, 20, v2
	v_and_b32_e32 v4, 0x80000000, v4
	v_lshl_add_u32 v3, v3, 23, v6
	v_or3_b32 v2, v4, v3, v2
.LBB2_7788:
	s_or_b64 exec, exec, s[6:7]
	v_lshrrev_b32_e32 v3, 8, v5
	s_movk_i32 s4, 0x7f
	v_cmp_gt_i16_sdwa s[6:7], v3, s4 src0_sel:BYTE_0 src1_sel:DWORD
	s_mov_b64 s[4:5], 0
                                        ; implicit-def: $sgpr10
	s_and_saveexec_b64 s[8:9], s[6:7]
	s_xor_b64 s[6:7], exec, s[8:9]
	s_cbranch_execz .LBB2_7789
; %bb.43629:
	s_getpc_b64 s[14:15]
.Lpost_getpc25398:
	s_add_u32 s14, s14, (.LBB2_22125-.Lpost_getpc25398)&4294967295
	s_addc_u32 s15, s15, (.LBB2_22125-.Lpost_getpc25398)>>32
	s_setpc_b64 s[14:15]
.LBB2_7789:
	s_or_saveexec_b64 s[6:7], s[6:7]
	v_mov_b32_e32 v4, s10
	s_xor_b64 exec, exec, s[6:7]
	s_cbranch_execz .LBB2_7790
; %bb.43631:
	s_getpc_b64 s[14:15]
.Lpost_getpc25399:
	s_add_u32 s14, s14, (.LBB2_22128-.Lpost_getpc25399)&4294967295
	s_addc_u32 s15, s15, (.LBB2_22128-.Lpost_getpc25399)>>32
	s_setpc_b64 s[14:15]
.LBB2_7790:
	s_or_b64 exec, exec, s[6:7]
	s_and_saveexec_b64 s[6:7], s[4:5]
	s_cbranch_execz .LBB2_7792
.LBB2_7791:
	v_bfe_u32 v4, v5, 8, 3
	v_ffbh_u32_e32 v7, v4
	v_min_u32_e32 v7, 32, v7
	v_lshrrev_b16_e32 v6, 3, v3
	v_subrev_u32_e32 v8, 28, v7
	v_and_b32_e32 v6, 15, v6
	v_lshlrev_b32_e32 v3, v8, v3
	v_sub_u32_e32 v7, 29, v7
	v_and_b32_e32 v3, 7, v3
	v_cmp_eq_u16_e32 vcc, 0, v6
	v_cndmask_b32_e32 v3, v4, v3, vcc
	v_cndmask_b32_e32 v4, v6, v7, vcc
	v_lshlrev_b32_e32 v6, 16, v5
	v_mov_b32_e32 v7, 0x3b800000
	v_lshlrev_b32_e32 v3, 20, v3
	v_and_b32_e32 v6, 0x80000000, v6
	v_lshl_add_u32 v4, v4, 23, v7
	v_or3_b32 v4, v6, v4, v3
.LBB2_7792:
	s_or_b64 exec, exec, s[6:7]
	s_nop 0
	v_mfma_f32_16x16x4f32 a[0:3], v2, v4, a[0:3]
	s_movk_i32 s4, 0xff
	v_and_b32_sdwa v3, v9, s4 dst_sel:DWORD dst_unused:UNUSED_PAD src0_sel:WORD_1 src1_sel:DWORD
	s_movk_i32 s4, 0x7f
	v_cmp_lt_i16_e32 vcc, s4, v3
	s_mov_b64 s[4:5], 0
                                        ; implicit-def: $sgpr10
	s_and_saveexec_b64 s[6:7], vcc
	s_xor_b64 s[6:7], exec, s[6:7]
	s_cbranch_execz .LBB2_7793
; %bb.43633:
	s_getpc_b64 s[14:15]
.Lpost_getpc25400:
	s_add_u32 s14, s14, (.LBB2_22129-.Lpost_getpc25400)&4294967295
	s_addc_u32 s15, s15, (.LBB2_22129-.Lpost_getpc25400)>>32
	s_setpc_b64 s[14:15]
.LBB2_7793:
	s_or_saveexec_b64 s[6:7], s[6:7]
	v_mov_b32_e32 v2, s10
	s_xor_b64 exec, exec, s[6:7]
	s_cbranch_execz .LBB2_7794
; %bb.43635:
	s_getpc_b64 s[14:15]
.Lpost_getpc25401:
	s_add_u32 s14, s14, (.LBB2_22132-.Lpost_getpc25401)&4294967295
	s_addc_u32 s15, s15, (.LBB2_22132-.Lpost_getpc25401)>>32
	s_setpc_b64 s[14:15]
.LBB2_7794:
	s_or_b64 exec, exec, s[6:7]
	s_and_saveexec_b64 s[6:7], s[4:5]
	s_cbranch_execz .LBB2_7796
.LBB2_7795:
	v_bfe_u32 v2, v9, 16, 3
	v_ffbh_u32_e32 v6, v2
	v_min_u32_e32 v6, 32, v6
	v_lshrrev_b32_e32 v3, 19, v9
	v_subrev_u32_e32 v7, 28, v6
	v_and_b32_e32 v3, 15, v3
	v_lshlrev_b32_sdwa v7, v7, v9 dst_sel:DWORD dst_unused:UNUSED_PAD src0_sel:DWORD src1_sel:WORD_1
	v_bfe_u32 v4, v9, 19, 4
	v_sub_u32_e32 v6, 29, v6
	v_and_b32_e32 v7, 7, v7
	v_cmp_eq_u16_e32 vcc, 0, v3
	v_cndmask_b32_e32 v2, v2, v7, vcc
	v_cndmask_b32_e32 v3, v4, v6, vcc
	v_lshlrev_b32_e32 v4, 8, v9
	v_mov_b32_e32 v6, 0x3b800000
	v_lshlrev_b32_e32 v2, 20, v2
	v_and_b32_e32 v4, 0x80000000, v4
	v_lshl_add_u32 v3, v3, 23, v6
	v_or3_b32 v2, v4, v3, v2
.LBB2_7796:
	s_or_b64 exec, exec, s[6:7]
	s_movk_i32 s4, 0xff
	v_and_b32_sdwa v3, v5, s4 dst_sel:DWORD dst_unused:UNUSED_PAD src0_sel:WORD_1 src1_sel:DWORD
	s_movk_i32 s4, 0x7f
	v_cmp_lt_i16_e32 vcc, s4, v3
	s_mov_b64 s[4:5], 0
                                        ; implicit-def: $sgpr10
	s_and_saveexec_b64 s[6:7], vcc
	s_xor_b64 s[6:7], exec, s[6:7]
	s_cbranch_execz .LBB2_7797
; %bb.43637:
	s_getpc_b64 s[14:15]
.Lpost_getpc25402:
	s_add_u32 s14, s14, (.LBB2_22133-.Lpost_getpc25402)&4294967295
	s_addc_u32 s15, s15, (.LBB2_22133-.Lpost_getpc25402)>>32
	s_setpc_b64 s[14:15]
.LBB2_7797:
	s_or_saveexec_b64 s[6:7], s[6:7]
	v_mov_b32_e32 v4, s10
	s_xor_b64 exec, exec, s[6:7]
	s_cbranch_execz .LBB2_7798
; %bb.43639:
	s_getpc_b64 s[14:15]
.Lpost_getpc25403:
	s_add_u32 s14, s14, (.LBB2_22136-.Lpost_getpc25403)&4294967295
	s_addc_u32 s15, s15, (.LBB2_22136-.Lpost_getpc25403)>>32
	s_setpc_b64 s[14:15]
.LBB2_7798:
	s_or_b64 exec, exec, s[6:7]
	s_and_saveexec_b64 s[6:7], s[4:5]
	s_cbranch_execz .LBB2_7800
.LBB2_7799:
	v_bfe_u32 v3, v5, 16, 3
	v_ffbh_u32_e32 v7, v3
	v_min_u32_e32 v7, 32, v7
	v_lshrrev_b32_e32 v4, 19, v5
	v_subrev_u32_e32 v8, 28, v7
	v_and_b32_e32 v4, 15, v4
	v_lshlrev_b32_sdwa v8, v8, v5 dst_sel:DWORD dst_unused:UNUSED_PAD src0_sel:DWORD src1_sel:WORD_1
	v_bfe_u32 v6, v5, 19, 4
	v_sub_u32_e32 v7, 29, v7
	v_and_b32_e32 v8, 7, v8
	v_cmp_eq_u16_e32 vcc, 0, v4
	v_cndmask_b32_e32 v3, v3, v8, vcc
	v_cndmask_b32_e32 v4, v6, v7, vcc
	v_lshlrev_b32_e32 v6, 8, v5
	v_mov_b32_e32 v7, 0x3b800000
	v_lshlrev_b32_e32 v3, 20, v3
	v_and_b32_e32 v6, 0x80000000, v6
	v_lshl_add_u32 v4, v4, 23, v7
	v_or3_b32 v4, v6, v4, v3
.LBB2_7800:
	s_or_b64 exec, exec, s[6:7]
	s_nop 0
	v_mfma_f32_16x16x4f32 a[0:3], v2, v4, a[0:3]
	s_movk_i32 s4, 0x7f
	v_cmp_gt_i16_sdwa s[6:7], v9, s4 src0_sel:BYTE_3 src1_sel:DWORD
	s_mov_b64 s[4:5], 0
                                        ; implicit-def: $sgpr10
	s_and_saveexec_b64 s[8:9], s[6:7]
	s_xor_b64 s[6:7], exec, s[8:9]
	s_cbranch_execz .LBB2_7801
; %bb.43641:
	s_getpc_b64 s[14:15]
.Lpost_getpc25404:
	s_add_u32 s14, s14, (.LBB2_22137-.Lpost_getpc25404)&4294967295
	s_addc_u32 s15, s15, (.LBB2_22137-.Lpost_getpc25404)>>32
	s_setpc_b64 s[14:15]
.LBB2_7801:
	s_or_saveexec_b64 s[6:7], s[6:7]
	v_mov_b32_e32 v2, s10
	s_xor_b64 exec, exec, s[6:7]
	s_cbranch_execz .LBB2_7802
; %bb.43643:
	s_getpc_b64 s[14:15]
.Lpost_getpc25405:
	s_add_u32 s14, s14, (.LBB2_22140-.Lpost_getpc25405)&4294967295
	s_addc_u32 s15, s15, (.LBB2_22140-.Lpost_getpc25405)>>32
	s_setpc_b64 s[14:15]
.LBB2_7802:
	s_or_b64 exec, exec, s[6:7]
	s_and_saveexec_b64 s[6:7], s[4:5]
	s_cbranch_execz .LBB2_7804
.LBB2_7803:
	v_bfe_u32 v2, v9, 24, 3
	v_ffbh_u32_e32 v7, v2
	v_min_u32_e32 v7, 32, v7
	v_lshrrev_b32_e32 v4, 27, v9
	v_subrev_u32_e32 v8, 28, v7
	v_and_b32_e32 v4, 15, v4
	v_lshlrev_b32_sdwa v8, v8, v9 dst_sel:DWORD dst_unused:UNUSED_PAD src0_sel:DWORD src1_sel:BYTE_3
	v_bfe_u32 v6, v9, 27, 4
	v_sub_u32_e32 v7, 29, v7
	v_and_b32_e32 v8, 7, v8
	v_cmp_eq_u16_e32 vcc, 0, v4
	v_cndmask_b32_e32 v2, v2, v8, vcc
	v_cndmask_b32_e32 v4, v6, v7, vcc
	v_mov_b32_e32 v6, 0x3b800000
	v_and_b32_e32 v3, 0x80000000, v9
	v_lshlrev_b32_e32 v2, 20, v2
	v_lshl_add_u32 v4, v4, 23, v6
	v_or3_b32 v2, v3, v4, v2
.LBB2_7804:
	s_or_b64 exec, exec, s[6:7]
	s_movk_i32 s4, 0x7f
	v_cmp_gt_i16_sdwa s[6:7], v5, s4 src0_sel:BYTE_3 src1_sel:DWORD
	s_mov_b64 s[4:5], 0
                                        ; implicit-def: $sgpr10
	s_and_saveexec_b64 s[8:9], s[6:7]
	s_xor_b64 s[6:7], exec, s[8:9]
	s_cbranch_execz .LBB2_7805
; %bb.43645:
	s_getpc_b64 s[14:15]
.Lpost_getpc25406:
	s_add_u32 s14, s14, (.LBB2_22141-.Lpost_getpc25406)&4294967295
	s_addc_u32 s15, s15, (.LBB2_22141-.Lpost_getpc25406)>>32
	s_setpc_b64 s[14:15]
.LBB2_7805:
	s_or_saveexec_b64 s[6:7], s[6:7]
	v_mov_b32_e32 v3, s10
	s_xor_b64 exec, exec, s[6:7]
	s_cbranch_execz .LBB2_7806
; %bb.43647:
	s_getpc_b64 s[14:15]
.Lpost_getpc25407:
	s_add_u32 s14, s14, (.LBB2_22144-.Lpost_getpc25407)&4294967295
	s_addc_u32 s15, s15, (.LBB2_22144-.Lpost_getpc25407)>>32
	s_setpc_b64 s[14:15]
.LBB2_7806:
	s_or_b64 exec, exec, s[6:7]
	s_and_saveexec_b64 s[6:7], s[4:5]
	s_cbranch_execz .LBB2_7808
.LBB2_7807:
	v_bfe_u32 v3, v5, 24, 3
	v_ffbh_u32_e32 v8, v3
	v_min_u32_e32 v8, 32, v8
	v_lshrrev_b32_e32 v6, 27, v5
	v_subrev_u32_e32 v9, 28, v8
	v_and_b32_e32 v4, 0x80000000, v5
	v_and_b32_e32 v6, 15, v6
	v_bfe_u32 v7, v5, 27, 4
	v_lshlrev_b32_sdwa v5, v9, v5 dst_sel:DWORD dst_unused:UNUSED_PAD src0_sel:DWORD src1_sel:BYTE_3
	v_sub_u32_e32 v8, 29, v8
	v_and_b32_e32 v5, 7, v5
	v_cmp_eq_u16_e32 vcc, 0, v6
	v_cndmask_b32_e32 v3, v3, v5, vcc
	v_cndmask_b32_e32 v5, v7, v8, vcc
	v_mov_b32_e32 v6, 0x3b800000
	v_lshlrev_b32_e32 v3, 20, v3
	v_lshl_add_u32 v5, v5, 23, v6
	v_or3_b32 v3, v4, v5, v3
.LBB2_7808:
	s_or_b64 exec, exec, s[6:7]
	s_nop 0
	v_mfma_f32_16x16x4f32 a[0:3], v2, v3, a[0:3]
	s_movk_i32 s4, 0x7f
                                        ; implicit-def: $sgpr10
	s_nop 7
	s_nop 1
	flat_store_dwordx4 v[10:11], a[0:3] offset:64
	flat_load_dwordx4 v[12:15], v[0:1]
	s_nop 0
	flat_load_dwordx2 v[10:11], v[0:1] offset:16
	s_waitcnt vmcnt(0) lgkmcnt(0)
	flat_load_dwordx4 v[6:9], v[12:13] offset:112
	flat_load_dwordx4 v[2:5], v[14:15] offset:208
	s_waitcnt vmcnt(0) lgkmcnt(0)
	v_cmp_gt_i16_sdwa s[6:7], v6, s4 src0_sel:BYTE_0 src1_sel:DWORD
	s_mov_b64 s[4:5], 0
	s_and_saveexec_b64 s[8:9], s[6:7]
	s_xor_b64 s[6:7], exec, s[8:9]
	s_cbranch_execz .LBB2_7809
; %bb.43649:
	s_getpc_b64 s[14:15]
.Lpost_getpc25408:
	s_add_u32 s14, s14, (.LBB2_22145-.Lpost_getpc25408)&4294967295
	s_addc_u32 s15, s15, (.LBB2_22145-.Lpost_getpc25408)>>32
	s_setpc_b64 s[14:15]
.LBB2_7809:
	s_or_saveexec_b64 s[6:7], s[6:7]
	v_mov_b32_e32 v12, s10
	s_xor_b64 exec, exec, s[6:7]
	s_cbranch_execz .LBB2_7810
; %bb.43651:
	s_getpc_b64 s[14:15]
.Lpost_getpc25409:
	s_add_u32 s14, s14, (.LBB2_22148-.Lpost_getpc25409)&4294967295
	s_addc_u32 s15, s15, (.LBB2_22148-.Lpost_getpc25409)>>32
	s_setpc_b64 s[14:15]
.LBB2_7810:
	s_or_b64 exec, exec, s[6:7]
	s_and_saveexec_b64 s[6:7], s[4:5]
	s_cbranch_execz .LBB2_7812
.LBB2_7811:
	v_and_b32_e32 v12, 7, v6
	v_ffbh_u32_e32 v14, v12
	v_min_u32_e32 v14, 32, v14
	v_lshrrev_b16_e32 v13, 3, v6
	v_subrev_u32_e32 v15, 28, v14
	v_and_b32_e32 v13, 15, v13
	v_lshlrev_b32_e32 v15, v15, v6
	v_sub_u32_e32 v14, 29, v14
	v_and_b32_e32 v15, 7, v15
	v_cmp_eq_u16_e32 vcc, 0, v13
	v_cndmask_b32_e32 v12, v12, v15, vcc
	v_cndmask_b32_e32 v13, v13, v14, vcc
	v_lshlrev_b32_e32 v14, 24, v6
	v_mov_b32_e32 v15, 0x3b800000
	v_lshlrev_b32_e32 v12, 20, v12
	v_and_b32_e32 v14, 0x80000000, v14
	v_lshl_add_u32 v13, v13, 23, v15
	v_or3_b32 v12, v14, v13, v12
.LBB2_7812:
	s_or_b64 exec, exec, s[6:7]
	s_movk_i32 s4, 0x7f
	v_cmp_gt_i16_sdwa s[6:7], v2, s4 src0_sel:BYTE_0 src1_sel:DWORD
	s_mov_b64 s[4:5], 0
                                        ; implicit-def: $sgpr10
	s_and_saveexec_b64 s[8:9], s[6:7]
	s_xor_b64 s[6:7], exec, s[8:9]
	s_cbranch_execz .LBB2_7813
; %bb.43653:
	s_getpc_b64 s[14:15]
.Lpost_getpc25410:
	s_add_u32 s14, s14, (.LBB2_22149-.Lpost_getpc25410)&4294967295
	s_addc_u32 s15, s15, (.LBB2_22149-.Lpost_getpc25410)>>32
	s_setpc_b64 s[14:15]
.LBB2_7813:
	s_or_saveexec_b64 s[6:7], s[6:7]
	v_mov_b32_e32 v13, s10
	s_xor_b64 exec, exec, s[6:7]
	s_cbranch_execz .LBB2_7814
; %bb.43655:
	s_getpc_b64 s[14:15]
.Lpost_getpc25411:
	s_add_u32 s14, s14, (.LBB2_22152-.Lpost_getpc25411)&4294967295
	s_addc_u32 s15, s15, (.LBB2_22152-.Lpost_getpc25411)>>32
	s_setpc_b64 s[14:15]
.LBB2_7814:
	s_or_b64 exec, exec, s[6:7]
	s_and_saveexec_b64 s[6:7], s[4:5]
	s_cbranch_execz .LBB2_7816
.LBB2_7815:
	v_and_b32_e32 v13, 7, v2
	v_ffbh_u32_e32 v15, v13
	v_min_u32_e32 v15, 32, v15
	v_lshrrev_b16_e32 v14, 3, v2
	v_subrev_u32_e32 v16, 28, v15
	v_and_b32_e32 v14, 15, v14
	v_lshlrev_b32_e32 v16, v16, v2
	v_sub_u32_e32 v15, 29, v15
	v_and_b32_e32 v16, 7, v16
	v_cmp_eq_u16_e32 vcc, 0, v14
	v_cndmask_b32_e32 v13, v13, v16, vcc
	v_cndmask_b32_e32 v14, v14, v15, vcc
	v_lshlrev_b32_e32 v15, 24, v2
	v_mov_b32_e32 v16, 0x3b800000
	v_lshlrev_b32_e32 v13, 20, v13
	v_and_b32_e32 v15, 0x80000000, v15
	v_lshl_add_u32 v14, v14, 23, v16
	v_or3_b32 v13, v15, v14, v13
.LBB2_7816:
	s_or_b64 exec, exec, s[6:7]
	flat_load_dwordx4 a[0:3], v[10:11] offset:80
	s_movk_i32 s4, 0x7f
                                        ; implicit-def: $sgpr10
	s_waitcnt vmcnt(0) lgkmcnt(0)
	v_mfma_f32_16x16x4f32 a[0:3], v12, v13, a[0:3]
	v_lshrrev_b32_e32 v13, 8, v6
	v_cmp_gt_i16_sdwa s[6:7], v13, s4 src0_sel:BYTE_0 src1_sel:DWORD
	s_mov_b64 s[4:5], 0
	s_and_saveexec_b64 s[8:9], s[6:7]
	s_xor_b64 s[6:7], exec, s[8:9]
	s_cbranch_execz .LBB2_7817
; %bb.43657:
	s_getpc_b64 s[14:15]
.Lpost_getpc25412:
	s_add_u32 s14, s14, (.LBB2_22153-.Lpost_getpc25412)&4294967295
	s_addc_u32 s15, s15, (.LBB2_22153-.Lpost_getpc25412)>>32
	s_setpc_b64 s[14:15]
.LBB2_7817:
	s_or_saveexec_b64 s[6:7], s[6:7]
	v_mov_b32_e32 v12, s10
	s_xor_b64 exec, exec, s[6:7]
	s_cbranch_execz .LBB2_7818
; %bb.43659:
	s_getpc_b64 s[14:15]
.Lpost_getpc25413:
	s_add_u32 s14, s14, (.LBB2_22156-.Lpost_getpc25413)&4294967295
	s_addc_u32 s15, s15, (.LBB2_22156-.Lpost_getpc25413)>>32
	s_setpc_b64 s[14:15]
.LBB2_7818:
	s_or_b64 exec, exec, s[6:7]
	s_and_saveexec_b64 s[6:7], s[4:5]
	s_cbranch_execz .LBB2_7820
.LBB2_7819:
	v_bfe_u32 v12, v6, 8, 3
	v_ffbh_u32_e32 v15, v12
	v_min_u32_e32 v15, 32, v15
	v_lshrrev_b16_e32 v14, 3, v13
	v_subrev_u32_e32 v16, 28, v15
	v_and_b32_e32 v14, 15, v14
	v_lshlrev_b32_e32 v13, v16, v13
	v_sub_u32_e32 v15, 29, v15
	v_and_b32_e32 v13, 7, v13
	v_cmp_eq_u16_e32 vcc, 0, v14
	v_cndmask_b32_e32 v12, v12, v13, vcc
	v_cndmask_b32_e32 v13, v14, v15, vcc
	v_lshlrev_b32_e32 v14, 16, v6
	v_mov_b32_e32 v15, 0x3b800000
	v_lshlrev_b32_e32 v12, 20, v12
	v_and_b32_e32 v14, 0x80000000, v14
	v_lshl_add_u32 v13, v13, 23, v15
	v_or3_b32 v12, v14, v13, v12
.LBB2_7820:
	s_or_b64 exec, exec, s[6:7]
	v_lshrrev_b32_e32 v13, 8, v2
	s_movk_i32 s4, 0x7f
	v_cmp_gt_i16_sdwa s[6:7], v13, s4 src0_sel:BYTE_0 src1_sel:DWORD
	s_mov_b64 s[4:5], 0
                                        ; implicit-def: $sgpr10
	s_and_saveexec_b64 s[8:9], s[6:7]
	s_xor_b64 s[6:7], exec, s[8:9]
	s_cbranch_execz .LBB2_7821
; %bb.43661:
	s_getpc_b64 s[14:15]
.Lpost_getpc25414:
	s_add_u32 s14, s14, (.LBB2_22157-.Lpost_getpc25414)&4294967295
	s_addc_u32 s15, s15, (.LBB2_22157-.Lpost_getpc25414)>>32
	s_setpc_b64 s[14:15]
.LBB2_7821:
	s_or_saveexec_b64 s[6:7], s[6:7]
	v_mov_b32_e32 v14, s10
	s_xor_b64 exec, exec, s[6:7]
	s_cbranch_execz .LBB2_7822
; %bb.43663:
	s_getpc_b64 s[14:15]
.Lpost_getpc25415:
	s_add_u32 s14, s14, (.LBB2_22160-.Lpost_getpc25415)&4294967295
	s_addc_u32 s15, s15, (.LBB2_22160-.Lpost_getpc25415)>>32
	s_setpc_b64 s[14:15]
.LBB2_7822:
	s_or_b64 exec, exec, s[6:7]
	s_and_saveexec_b64 s[6:7], s[4:5]
	s_cbranch_execz .LBB2_7824
.LBB2_7823:
	v_bfe_u32 v14, v2, 8, 3
	v_ffbh_u32_e32 v16, v14
	v_min_u32_e32 v16, 32, v16
	v_lshrrev_b16_e32 v15, 3, v13
	v_subrev_u32_e32 v17, 28, v16
	v_and_b32_e32 v15, 15, v15
	v_lshlrev_b32_e32 v13, v17, v13
	v_sub_u32_e32 v16, 29, v16
	v_and_b32_e32 v13, 7, v13
	v_cmp_eq_u16_e32 vcc, 0, v15
	v_cndmask_b32_e32 v13, v14, v13, vcc
	v_cndmask_b32_e32 v14, v15, v16, vcc
	v_lshlrev_b32_e32 v15, 16, v2
	v_mov_b32_e32 v16, 0x3b800000
	v_lshlrev_b32_e32 v13, 20, v13
	v_and_b32_e32 v15, 0x80000000, v15
	v_lshl_add_u32 v14, v14, 23, v16
	v_or3_b32 v14, v15, v14, v13
.LBB2_7824:
	s_or_b64 exec, exec, s[6:7]
	s_nop 0
	v_mfma_f32_16x16x4f32 a[0:3], v12, v14, a[0:3]
	s_movk_i32 s4, 0xff
	v_and_b32_sdwa v13, v6, s4 dst_sel:DWORD dst_unused:UNUSED_PAD src0_sel:WORD_1 src1_sel:DWORD
	s_movk_i32 s4, 0x7f
	v_cmp_lt_i16_e32 vcc, s4, v13
	s_mov_b64 s[4:5], 0
                                        ; implicit-def: $sgpr10
	s_and_saveexec_b64 s[6:7], vcc
	s_xor_b64 s[6:7], exec, s[6:7]
	s_cbranch_execz .LBB2_7825
; %bb.43665:
	s_getpc_b64 s[14:15]
.Lpost_getpc25416:
	s_add_u32 s14, s14, (.LBB2_22161-.Lpost_getpc25416)&4294967295
	s_addc_u32 s15, s15, (.LBB2_22161-.Lpost_getpc25416)>>32
	s_setpc_b64 s[14:15]
.LBB2_7825:
	s_or_saveexec_b64 s[6:7], s[6:7]
	v_mov_b32_e32 v12, s10
	s_xor_b64 exec, exec, s[6:7]
	s_cbranch_execz .LBB2_7826
; %bb.43667:
	s_getpc_b64 s[14:15]
.Lpost_getpc25417:
	s_add_u32 s14, s14, (.LBB2_22164-.Lpost_getpc25417)&4294967295
	s_addc_u32 s15, s15, (.LBB2_22164-.Lpost_getpc25417)>>32
	s_setpc_b64 s[14:15]
.LBB2_7826:
	s_or_b64 exec, exec, s[6:7]
	s_and_saveexec_b64 s[6:7], s[4:5]
	s_cbranch_execz .LBB2_7828
.LBB2_7827:
	v_bfe_u32 v12, v6, 16, 3
	v_ffbh_u32_e32 v15, v12
	v_min_u32_e32 v15, 32, v15
	v_lshrrev_b32_e32 v13, 19, v6
	v_subrev_u32_e32 v16, 28, v15
	v_and_b32_e32 v13, 15, v13
	v_lshlrev_b32_sdwa v16, v16, v6 dst_sel:DWORD dst_unused:UNUSED_PAD src0_sel:DWORD src1_sel:WORD_1
	v_bfe_u32 v14, v6, 19, 4
	v_sub_u32_e32 v15, 29, v15
	v_and_b32_e32 v16, 7, v16
	v_cmp_eq_u16_e32 vcc, 0, v13
	v_cndmask_b32_e32 v12, v12, v16, vcc
	v_cndmask_b32_e32 v13, v14, v15, vcc
	v_lshlrev_b32_e32 v14, 8, v6
	v_mov_b32_e32 v15, 0x3b800000
	v_lshlrev_b32_e32 v12, 20, v12
	v_and_b32_e32 v14, 0x80000000, v14
	v_lshl_add_u32 v13, v13, 23, v15
	v_or3_b32 v12, v14, v13, v12
.LBB2_7828:
	s_or_b64 exec, exec, s[6:7]
	s_movk_i32 s4, 0xff
	v_and_b32_sdwa v13, v2, s4 dst_sel:DWORD dst_unused:UNUSED_PAD src0_sel:WORD_1 src1_sel:DWORD
	s_movk_i32 s4, 0x7f
	v_cmp_lt_i16_e32 vcc, s4, v13
	s_mov_b64 s[4:5], 0
                                        ; implicit-def: $sgpr10
	s_and_saveexec_b64 s[6:7], vcc
	s_xor_b64 s[6:7], exec, s[6:7]
	s_cbranch_execz .LBB2_7829
; %bb.43669:
	s_getpc_b64 s[14:15]
.Lpost_getpc25418:
	s_add_u32 s14, s14, (.LBB2_22165-.Lpost_getpc25418)&4294967295
	s_addc_u32 s15, s15, (.LBB2_22165-.Lpost_getpc25418)>>32
	s_setpc_b64 s[14:15]
.LBB2_7829:
	s_or_saveexec_b64 s[6:7], s[6:7]
	v_mov_b32_e32 v14, s10
	s_xor_b64 exec, exec, s[6:7]
	s_cbranch_execz .LBB2_7830
; %bb.43671:
	s_getpc_b64 s[14:15]
.Lpost_getpc25419:
	s_add_u32 s14, s14, (.LBB2_22168-.Lpost_getpc25419)&4294967295
	s_addc_u32 s15, s15, (.LBB2_22168-.Lpost_getpc25419)>>32
	s_setpc_b64 s[14:15]
.LBB2_7830:
	s_or_b64 exec, exec, s[6:7]
	s_and_saveexec_b64 s[6:7], s[4:5]
	s_cbranch_execz .LBB2_7832
.LBB2_7831:
	v_bfe_u32 v13, v2, 16, 3
	v_ffbh_u32_e32 v16, v13
	v_min_u32_e32 v16, 32, v16
	v_lshrrev_b32_e32 v14, 19, v2
	v_subrev_u32_e32 v17, 28, v16
	v_and_b32_e32 v14, 15, v14
	v_lshlrev_b32_sdwa v17, v17, v2 dst_sel:DWORD dst_unused:UNUSED_PAD src0_sel:DWORD src1_sel:WORD_1
	v_bfe_u32 v15, v2, 19, 4
	v_sub_u32_e32 v16, 29, v16
	v_and_b32_e32 v17, 7, v17
	v_cmp_eq_u16_e32 vcc, 0, v14
	v_cndmask_b32_e32 v13, v13, v17, vcc
	v_cndmask_b32_e32 v14, v15, v16, vcc
	v_lshlrev_b32_e32 v15, 8, v2
	v_mov_b32_e32 v16, 0x3b800000
	v_lshlrev_b32_e32 v13, 20, v13
	v_and_b32_e32 v15, 0x80000000, v15
	v_lshl_add_u32 v14, v14, 23, v16
	v_or3_b32 v14, v15, v14, v13
.LBB2_7832:
	s_or_b64 exec, exec, s[6:7]
	s_nop 0
	v_mfma_f32_16x16x4f32 a[0:3], v12, v14, a[0:3]
	s_movk_i32 s4, 0x7f
	v_cmp_gt_i16_sdwa s[6:7], v6, s4 src0_sel:BYTE_3 src1_sel:DWORD
	s_mov_b64 s[4:5], 0
                                        ; implicit-def: $sgpr10
	s_and_saveexec_b64 s[8:9], s[6:7]
	s_xor_b64 s[6:7], exec, s[8:9]
	s_cbranch_execz .LBB2_7833
; %bb.43673:
	s_getpc_b64 s[14:15]
.Lpost_getpc25420:
	s_add_u32 s14, s14, (.LBB2_22169-.Lpost_getpc25420)&4294967295
	s_addc_u32 s15, s15, (.LBB2_22169-.Lpost_getpc25420)>>32
	s_setpc_b64 s[14:15]
.LBB2_7833:
	s_or_saveexec_b64 s[6:7], s[6:7]
	v_mov_b32_e32 v12, s10
	s_xor_b64 exec, exec, s[6:7]
	s_cbranch_execz .LBB2_7834
; %bb.43675:
	s_getpc_b64 s[14:15]
.Lpost_getpc25421:
	s_add_u32 s14, s14, (.LBB2_22172-.Lpost_getpc25421)&4294967295
	s_addc_u32 s15, s15, (.LBB2_22172-.Lpost_getpc25421)>>32
	s_setpc_b64 s[14:15]
.LBB2_7834:
	s_or_b64 exec, exec, s[6:7]
	s_and_saveexec_b64 s[6:7], s[4:5]
	s_cbranch_execz .LBB2_7836
.LBB2_7835:
	v_bfe_u32 v12, v6, 24, 3
	v_ffbh_u32_e32 v16, v12
	v_min_u32_e32 v16, 32, v16
	v_lshrrev_b32_e32 v14, 27, v6
	v_subrev_u32_e32 v17, 28, v16
	v_and_b32_e32 v13, 0x80000000, v6
	v_and_b32_e32 v14, 15, v14
	v_bfe_u32 v15, v6, 27, 4
	v_lshlrev_b32_sdwa v6, v17, v6 dst_sel:DWORD dst_unused:UNUSED_PAD src0_sel:DWORD src1_sel:BYTE_3
	v_sub_u32_e32 v16, 29, v16
	v_and_b32_e32 v6, 7, v6
	v_cmp_eq_u16_e32 vcc, 0, v14
	v_cndmask_b32_e32 v6, v12, v6, vcc
	v_cndmask_b32_e32 v12, v15, v16, vcc
	v_mov_b32_e32 v14, 0x3b800000
	v_lshlrev_b32_e32 v6, 20, v6
	v_lshl_add_u32 v12, v12, 23, v14
	v_or3_b32 v12, v13, v12, v6
.LBB2_7836:
	s_or_b64 exec, exec, s[6:7]
	s_movk_i32 s4, 0x7f
	v_cmp_gt_i16_sdwa s[6:7], v2, s4 src0_sel:BYTE_3 src1_sel:DWORD
	s_mov_b64 s[4:5], 0
                                        ; implicit-def: $sgpr10
	s_and_saveexec_b64 s[8:9], s[6:7]
	s_xor_b64 s[6:7], exec, s[8:9]
	s_cbranch_execz .LBB2_7837
; %bb.43677:
	s_getpc_b64 s[14:15]
.Lpost_getpc25422:
	s_add_u32 s14, s14, (.LBB2_22173-.Lpost_getpc25422)&4294967295
	s_addc_u32 s15, s15, (.LBB2_22173-.Lpost_getpc25422)>>32
	s_setpc_b64 s[14:15]
.LBB2_7837:
	s_or_saveexec_b64 s[6:7], s[6:7]
	v_mov_b32_e32 v6, s10
	s_xor_b64 exec, exec, s[6:7]
	s_cbranch_execz .LBB2_7838
; %bb.43679:
	s_getpc_b64 s[14:15]
.Lpost_getpc25423:
	s_add_u32 s14, s14, (.LBB2_22176-.Lpost_getpc25423)&4294967295
	s_addc_u32 s15, s15, (.LBB2_22176-.Lpost_getpc25423)>>32
	s_setpc_b64 s[14:15]
.LBB2_7838:
	s_or_b64 exec, exec, s[6:7]
	s_and_saveexec_b64 s[6:7], s[4:5]
	s_cbranch_execz .LBB2_7840
.LBB2_7839:
	v_bfe_u32 v6, v2, 24, 3
	v_ffbh_u32_e32 v16, v6
	v_min_u32_e32 v16, 32, v16
	v_lshrrev_b32_e32 v14, 27, v2
	v_subrev_u32_e32 v17, 28, v16
	v_and_b32_e32 v13, 0x80000000, v2
	v_and_b32_e32 v14, 15, v14
	v_bfe_u32 v15, v2, 27, 4
	v_lshlrev_b32_sdwa v2, v17, v2 dst_sel:DWORD dst_unused:UNUSED_PAD src0_sel:DWORD src1_sel:BYTE_3
	v_sub_u32_e32 v16, 29, v16
	v_and_b32_e32 v2, 7, v2
	v_cmp_eq_u16_e32 vcc, 0, v14
	v_cndmask_b32_e32 v2, v6, v2, vcc
	v_cndmask_b32_e32 v6, v15, v16, vcc
	v_mov_b32_e32 v14, 0x3b800000
	v_lshlrev_b32_e32 v2, 20, v2
	v_lshl_add_u32 v6, v6, 23, v14
	v_or3_b32 v6, v13, v6, v2
.LBB2_7840:
	s_or_b64 exec, exec, s[6:7]
	s_nop 0
	v_mfma_f32_16x16x4f32 a[0:3], v12, v6, a[0:3]
	s_movk_i32 s4, 0x7f
	v_cmp_gt_i16_sdwa s[6:7], v7, s4 src0_sel:BYTE_0 src1_sel:DWORD
	s_mov_b64 s[4:5], 0
                                        ; implicit-def: $sgpr10
	s_and_saveexec_b64 s[8:9], s[6:7]
	s_xor_b64 s[6:7], exec, s[8:9]
	s_cbranch_execz .LBB2_7841
; %bb.43681:
	s_getpc_b64 s[14:15]
.Lpost_getpc25424:
	s_add_u32 s14, s14, (.LBB2_22177-.Lpost_getpc25424)&4294967295
	s_addc_u32 s15, s15, (.LBB2_22177-.Lpost_getpc25424)>>32
	s_setpc_b64 s[14:15]
.LBB2_7841:
	s_or_saveexec_b64 s[6:7], s[6:7]
	v_mov_b32_e32 v2, s10
	s_xor_b64 exec, exec, s[6:7]
	s_cbranch_execz .LBB2_7842
; %bb.43683:
	s_getpc_b64 s[14:15]
.Lpost_getpc25425:
	s_add_u32 s14, s14, (.LBB2_22180-.Lpost_getpc25425)&4294967295
	s_addc_u32 s15, s15, (.LBB2_22180-.Lpost_getpc25425)>>32
	s_setpc_b64 s[14:15]
.LBB2_7842:
	s_or_b64 exec, exec, s[6:7]
	s_and_saveexec_b64 s[6:7], s[4:5]
	s_cbranch_execz .LBB2_7844
.LBB2_7843:
	v_and_b32_e32 v2, 7, v7
	v_ffbh_u32_e32 v12, v2
	v_min_u32_e32 v12, 32, v12
	v_lshrrev_b16_e32 v6, 3, v7
	v_subrev_u32_e32 v13, 28, v12
	v_and_b32_e32 v6, 15, v6
	v_lshlrev_b32_e32 v13, v13, v7
	v_sub_u32_e32 v12, 29, v12
	v_and_b32_e32 v13, 7, v13
	v_cmp_eq_u16_e32 vcc, 0, v6
	v_cndmask_b32_e32 v2, v2, v13, vcc
	v_cndmask_b32_e32 v6, v6, v12, vcc
	v_lshlrev_b32_e32 v12, 24, v7
	v_mov_b32_e32 v13, 0x3b800000
	v_lshlrev_b32_e32 v2, 20, v2
	v_and_b32_e32 v12, 0x80000000, v12
	v_lshl_add_u32 v6, v6, 23, v13
	v_or3_b32 v2, v12, v6, v2
.LBB2_7844:
	s_or_b64 exec, exec, s[6:7]
	s_movk_i32 s4, 0x7f
	v_cmp_gt_i16_sdwa s[6:7], v3, s4 src0_sel:BYTE_0 src1_sel:DWORD
	s_mov_b64 s[4:5], 0
                                        ; implicit-def: $sgpr10
	s_and_saveexec_b64 s[8:9], s[6:7]
	s_xor_b64 s[6:7], exec, s[8:9]
	s_cbranch_execz .LBB2_7845
; %bb.43685:
	s_getpc_b64 s[14:15]
.Lpost_getpc25426:
	s_add_u32 s14, s14, (.LBB2_22181-.Lpost_getpc25426)&4294967295
	s_addc_u32 s15, s15, (.LBB2_22181-.Lpost_getpc25426)>>32
	s_setpc_b64 s[14:15]
.LBB2_7845:
	s_or_saveexec_b64 s[6:7], s[6:7]
	v_mov_b32_e32 v6, s10
	s_xor_b64 exec, exec, s[6:7]
	s_cbranch_execz .LBB2_7846
; %bb.43687:
	s_getpc_b64 s[14:15]
.Lpost_getpc25427:
	s_add_u32 s14, s14, (.LBB2_22184-.Lpost_getpc25427)&4294967295
	s_addc_u32 s15, s15, (.LBB2_22184-.Lpost_getpc25427)>>32
	s_setpc_b64 s[14:15]
.LBB2_7846:
	s_or_b64 exec, exec, s[6:7]
	s_and_saveexec_b64 s[6:7], s[4:5]
	s_cbranch_execz .LBB2_7848
.LBB2_7847:
	v_and_b32_e32 v6, 7, v3
	v_ffbh_u32_e32 v13, v6
	v_min_u32_e32 v13, 32, v13
	v_lshrrev_b16_e32 v12, 3, v3
	v_subrev_u32_e32 v14, 28, v13
	v_and_b32_e32 v12, 15, v12
	v_lshlrev_b32_e32 v14, v14, v3
	v_sub_u32_e32 v13, 29, v13
	v_and_b32_e32 v14, 7, v14
	v_cmp_eq_u16_e32 vcc, 0, v12
	v_cndmask_b32_e32 v6, v6, v14, vcc
	v_cndmask_b32_e32 v12, v12, v13, vcc
	v_lshlrev_b32_e32 v13, 24, v3
	v_mov_b32_e32 v14, 0x3b800000
	v_lshlrev_b32_e32 v6, 20, v6
	v_and_b32_e32 v13, 0x80000000, v13
	v_lshl_add_u32 v12, v12, 23, v14
	v_or3_b32 v6, v13, v12, v6
.LBB2_7848:
	s_or_b64 exec, exec, s[6:7]
	s_nop 0
	v_mfma_f32_16x16x4f32 a[0:3], v2, v6, a[0:3]
	v_lshrrev_b32_e32 v6, 8, v7
	s_movk_i32 s4, 0x7f
	v_cmp_gt_i16_sdwa s[6:7], v6, s4 src0_sel:BYTE_0 src1_sel:DWORD
	s_mov_b64 s[4:5], 0
                                        ; implicit-def: $sgpr10
	s_and_saveexec_b64 s[8:9], s[6:7]
	s_xor_b64 s[6:7], exec, s[8:9]
	s_cbranch_execz .LBB2_7849
; %bb.43689:
	s_getpc_b64 s[14:15]
.Lpost_getpc25428:
	s_add_u32 s14, s14, (.LBB2_22185-.Lpost_getpc25428)&4294967295
	s_addc_u32 s15, s15, (.LBB2_22185-.Lpost_getpc25428)>>32
	s_setpc_b64 s[14:15]
.LBB2_7849:
	s_or_saveexec_b64 s[6:7], s[6:7]
	v_mov_b32_e32 v2, s10
	s_xor_b64 exec, exec, s[6:7]
	s_cbranch_execz .LBB2_7850
; %bb.43691:
	s_getpc_b64 s[14:15]
.Lpost_getpc25429:
	s_add_u32 s14, s14, (.LBB2_22188-.Lpost_getpc25429)&4294967295
	s_addc_u32 s15, s15, (.LBB2_22188-.Lpost_getpc25429)>>32
	s_setpc_b64 s[14:15]
.LBB2_7850:
	s_or_b64 exec, exec, s[6:7]
	s_and_saveexec_b64 s[6:7], s[4:5]
	s_cbranch_execz .LBB2_7852
.LBB2_7851:
	v_bfe_u32 v2, v7, 8, 3
	v_ffbh_u32_e32 v13, v2
	v_min_u32_e32 v13, 32, v13
	v_lshrrev_b16_e32 v12, 3, v6
	v_subrev_u32_e32 v14, 28, v13
	v_and_b32_e32 v12, 15, v12
	v_lshlrev_b32_e32 v6, v14, v6
	v_sub_u32_e32 v13, 29, v13
	v_and_b32_e32 v6, 7, v6
	v_cmp_eq_u16_e32 vcc, 0, v12
	v_cndmask_b32_e32 v2, v2, v6, vcc
	v_cndmask_b32_e32 v6, v12, v13, vcc
	v_lshlrev_b32_e32 v12, 16, v7
	v_mov_b32_e32 v13, 0x3b800000
	v_lshlrev_b32_e32 v2, 20, v2
	v_and_b32_e32 v12, 0x80000000, v12
	v_lshl_add_u32 v6, v6, 23, v13
	v_or3_b32 v2, v12, v6, v2
.LBB2_7852:
	s_or_b64 exec, exec, s[6:7]
	v_lshrrev_b32_e32 v6, 8, v3
	s_movk_i32 s4, 0x7f
	v_cmp_gt_i16_sdwa s[6:7], v6, s4 src0_sel:BYTE_0 src1_sel:DWORD
	s_mov_b64 s[4:5], 0
                                        ; implicit-def: $sgpr10
	s_and_saveexec_b64 s[8:9], s[6:7]
	s_xor_b64 s[6:7], exec, s[8:9]
	s_cbranch_execz .LBB2_7853
; %bb.43693:
	s_getpc_b64 s[14:15]
.Lpost_getpc25430:
	s_add_u32 s14, s14, (.LBB2_22189-.Lpost_getpc25430)&4294967295
	s_addc_u32 s15, s15, (.LBB2_22189-.Lpost_getpc25430)>>32
	s_setpc_b64 s[14:15]
.LBB2_7853:
	s_or_saveexec_b64 s[6:7], s[6:7]
	v_mov_b32_e32 v12, s10
	s_xor_b64 exec, exec, s[6:7]
	s_cbranch_execz .LBB2_7854
; %bb.43695:
	s_getpc_b64 s[14:15]
.Lpost_getpc25431:
	s_add_u32 s14, s14, (.LBB2_22192-.Lpost_getpc25431)&4294967295
	s_addc_u32 s15, s15, (.LBB2_22192-.Lpost_getpc25431)>>32
	s_setpc_b64 s[14:15]
.LBB2_7854:
	s_or_b64 exec, exec, s[6:7]
	s_and_saveexec_b64 s[6:7], s[4:5]
	s_cbranch_execz .LBB2_7856
.LBB2_7855:
	v_bfe_u32 v12, v3, 8, 3
	v_ffbh_u32_e32 v14, v12
	v_min_u32_e32 v14, 32, v14
	v_lshrrev_b16_e32 v13, 3, v6
	v_subrev_u32_e32 v15, 28, v14
	v_and_b32_e32 v13, 15, v13
	v_lshlrev_b32_e32 v6, v15, v6
	v_sub_u32_e32 v14, 29, v14
	v_and_b32_e32 v6, 7, v6
	v_cmp_eq_u16_e32 vcc, 0, v13
	v_cndmask_b32_e32 v6, v12, v6, vcc
	v_cndmask_b32_e32 v12, v13, v14, vcc
	v_lshlrev_b32_e32 v13, 16, v3
	v_mov_b32_e32 v14, 0x3b800000
	v_lshlrev_b32_e32 v6, 20, v6
	v_and_b32_e32 v13, 0x80000000, v13
	v_lshl_add_u32 v12, v12, 23, v14
	v_or3_b32 v12, v13, v12, v6
.LBB2_7856:
	s_or_b64 exec, exec, s[6:7]
	s_nop 0
	v_mfma_f32_16x16x4f32 a[0:3], v2, v12, a[0:3]
	s_movk_i32 s4, 0xff
	v_and_b32_sdwa v6, v7, s4 dst_sel:DWORD dst_unused:UNUSED_PAD src0_sel:WORD_1 src1_sel:DWORD
	s_movk_i32 s4, 0x7f
	v_cmp_lt_i16_e32 vcc, s4, v6
	s_mov_b64 s[4:5], 0
                                        ; implicit-def: $sgpr10
	s_and_saveexec_b64 s[6:7], vcc
	s_xor_b64 s[6:7], exec, s[6:7]
	s_cbranch_execz .LBB2_7857
; %bb.43697:
	s_getpc_b64 s[14:15]
.Lpost_getpc25432:
	s_add_u32 s14, s14, (.LBB2_22193-.Lpost_getpc25432)&4294967295
	s_addc_u32 s15, s15, (.LBB2_22193-.Lpost_getpc25432)>>32
	s_setpc_b64 s[14:15]
.LBB2_7857:
	s_or_saveexec_b64 s[6:7], s[6:7]
	v_mov_b32_e32 v2, s10
	s_xor_b64 exec, exec, s[6:7]
	s_cbranch_execz .LBB2_7858
; %bb.43699:
	s_getpc_b64 s[14:15]
.Lpost_getpc25433:
	s_add_u32 s14, s14, (.LBB2_22196-.Lpost_getpc25433)&4294967295
	s_addc_u32 s15, s15, (.LBB2_22196-.Lpost_getpc25433)>>32
	s_setpc_b64 s[14:15]
.LBB2_7858:
	s_or_b64 exec, exec, s[6:7]
	s_and_saveexec_b64 s[6:7], s[4:5]
	s_cbranch_execz .LBB2_7860
.LBB2_7859:
	v_bfe_u32 v2, v7, 16, 3
	v_ffbh_u32_e32 v13, v2
	v_min_u32_e32 v13, 32, v13
	v_lshrrev_b32_e32 v6, 19, v7
	v_subrev_u32_e32 v14, 28, v13
	v_and_b32_e32 v6, 15, v6
	v_lshlrev_b32_sdwa v14, v14, v7 dst_sel:DWORD dst_unused:UNUSED_PAD src0_sel:DWORD src1_sel:WORD_1
	v_bfe_u32 v12, v7, 19, 4
	v_sub_u32_e32 v13, 29, v13
	v_and_b32_e32 v14, 7, v14
	v_cmp_eq_u16_e32 vcc, 0, v6
	v_cndmask_b32_e32 v2, v2, v14, vcc
	v_cndmask_b32_e32 v6, v12, v13, vcc
	v_lshlrev_b32_e32 v12, 8, v7
	v_mov_b32_e32 v13, 0x3b800000
	v_lshlrev_b32_e32 v2, 20, v2
	v_and_b32_e32 v12, 0x80000000, v12
	v_lshl_add_u32 v6, v6, 23, v13
	v_or3_b32 v2, v12, v6, v2
.LBB2_7860:
	s_or_b64 exec, exec, s[6:7]
	s_movk_i32 s4, 0xff
	v_and_b32_sdwa v6, v3, s4 dst_sel:DWORD dst_unused:UNUSED_PAD src0_sel:WORD_1 src1_sel:DWORD
	s_movk_i32 s4, 0x7f
	v_cmp_lt_i16_e32 vcc, s4, v6
	s_mov_b64 s[4:5], 0
                                        ; implicit-def: $sgpr10
	s_and_saveexec_b64 s[6:7], vcc
	s_xor_b64 s[6:7], exec, s[6:7]
	s_cbranch_execz .LBB2_7861
; %bb.43701:
	s_getpc_b64 s[14:15]
.Lpost_getpc25434:
	s_add_u32 s14, s14, (.LBB2_22197-.Lpost_getpc25434)&4294967295
	s_addc_u32 s15, s15, (.LBB2_22197-.Lpost_getpc25434)>>32
	s_setpc_b64 s[14:15]
.LBB2_7861:
	s_or_saveexec_b64 s[6:7], s[6:7]
	v_mov_b32_e32 v12, s10
	s_xor_b64 exec, exec, s[6:7]
	s_cbranch_execz .LBB2_7862
; %bb.43703:
	s_getpc_b64 s[14:15]
.Lpost_getpc25435:
	s_add_u32 s14, s14, (.LBB2_22200-.Lpost_getpc25435)&4294967295
	s_addc_u32 s15, s15, (.LBB2_22200-.Lpost_getpc25435)>>32
	s_setpc_b64 s[14:15]
.LBB2_7862:
	s_or_b64 exec, exec, s[6:7]
	s_and_saveexec_b64 s[6:7], s[4:5]
	s_cbranch_execz .LBB2_7864
.LBB2_7863:
	v_bfe_u32 v6, v3, 16, 3
	v_ffbh_u32_e32 v14, v6
	v_min_u32_e32 v14, 32, v14
	v_lshrrev_b32_e32 v12, 19, v3
	v_subrev_u32_e32 v15, 28, v14
	v_and_b32_e32 v12, 15, v12
	v_lshlrev_b32_sdwa v15, v15, v3 dst_sel:DWORD dst_unused:UNUSED_PAD src0_sel:DWORD src1_sel:WORD_1
	v_bfe_u32 v13, v3, 19, 4
	v_sub_u32_e32 v14, 29, v14
	v_and_b32_e32 v15, 7, v15
	v_cmp_eq_u16_e32 vcc, 0, v12
	v_cndmask_b32_e32 v6, v6, v15, vcc
	v_cndmask_b32_e32 v12, v13, v14, vcc
	v_lshlrev_b32_e32 v13, 8, v3
	v_mov_b32_e32 v14, 0x3b800000
	v_lshlrev_b32_e32 v6, 20, v6
	v_and_b32_e32 v13, 0x80000000, v13
	v_lshl_add_u32 v12, v12, 23, v14
	v_or3_b32 v12, v13, v12, v6
.LBB2_7864:
	s_or_b64 exec, exec, s[6:7]
	s_nop 0
	v_mfma_f32_16x16x4f32 a[0:3], v2, v12, a[0:3]
	s_movk_i32 s4, 0x7f
	v_cmp_gt_i16_sdwa s[6:7], v7, s4 src0_sel:BYTE_3 src1_sel:DWORD
	s_mov_b64 s[4:5], 0
                                        ; implicit-def: $sgpr10
	s_and_saveexec_b64 s[8:9], s[6:7]
	s_xor_b64 s[6:7], exec, s[8:9]
	s_cbranch_execz .LBB2_7865
; %bb.43705:
	s_getpc_b64 s[14:15]
.Lpost_getpc25436:
	s_add_u32 s14, s14, (.LBB2_22201-.Lpost_getpc25436)&4294967295
	s_addc_u32 s15, s15, (.LBB2_22201-.Lpost_getpc25436)>>32
	s_setpc_b64 s[14:15]
.LBB2_7865:
	s_or_saveexec_b64 s[6:7], s[6:7]
	v_mov_b32_e32 v2, s10
	s_xor_b64 exec, exec, s[6:7]
	s_cbranch_execz .LBB2_7866
; %bb.43707:
	s_getpc_b64 s[14:15]
.Lpost_getpc25437:
	s_add_u32 s14, s14, (.LBB2_22204-.Lpost_getpc25437)&4294967295
	s_addc_u32 s15, s15, (.LBB2_22204-.Lpost_getpc25437)>>32
	s_setpc_b64 s[14:15]
.LBB2_7866:
	s_or_b64 exec, exec, s[6:7]
	s_and_saveexec_b64 s[6:7], s[4:5]
	s_cbranch_execz .LBB2_7868
.LBB2_7867:
	v_bfe_u32 v2, v7, 24, 3
	v_ffbh_u32_e32 v14, v2
	v_min_u32_e32 v14, 32, v14
	v_lshrrev_b32_e32 v12, 27, v7
	v_subrev_u32_e32 v15, 28, v14
	v_and_b32_e32 v6, 0x80000000, v7
	v_and_b32_e32 v12, 15, v12
	v_bfe_u32 v13, v7, 27, 4
	v_lshlrev_b32_sdwa v7, v15, v7 dst_sel:DWORD dst_unused:UNUSED_PAD src0_sel:DWORD src1_sel:BYTE_3
	v_sub_u32_e32 v14, 29, v14
	v_and_b32_e32 v7, 7, v7
	v_cmp_eq_u16_e32 vcc, 0, v12
	v_cndmask_b32_e32 v2, v2, v7, vcc
	v_cndmask_b32_e32 v7, v13, v14, vcc
	v_mov_b32_e32 v12, 0x3b800000
	v_lshlrev_b32_e32 v2, 20, v2
	v_lshl_add_u32 v7, v7, 23, v12
	v_or3_b32 v2, v6, v7, v2
.LBB2_7868:
	s_or_b64 exec, exec, s[6:7]
	s_movk_i32 s4, 0x7f
	v_cmp_gt_i16_sdwa s[6:7], v3, s4 src0_sel:BYTE_3 src1_sel:DWORD
	s_mov_b64 s[4:5], 0
                                        ; implicit-def: $sgpr10
	s_and_saveexec_b64 s[8:9], s[6:7]
	s_xor_b64 s[6:7], exec, s[8:9]
	s_cbranch_execz .LBB2_7869
; %bb.43709:
	s_getpc_b64 s[14:15]
.Lpost_getpc25438:
	s_add_u32 s14, s14, (.LBB2_22205-.Lpost_getpc25438)&4294967295
	s_addc_u32 s15, s15, (.LBB2_22205-.Lpost_getpc25438)>>32
	s_setpc_b64 s[14:15]
.LBB2_7869:
	s_or_saveexec_b64 s[6:7], s[6:7]
	v_mov_b32_e32 v6, s10
	s_xor_b64 exec, exec, s[6:7]
	s_cbranch_execz .LBB2_7870
; %bb.43711:
	s_getpc_b64 s[14:15]
.Lpost_getpc25439:
	s_add_u32 s14, s14, (.LBB2_22208-.Lpost_getpc25439)&4294967295
	s_addc_u32 s15, s15, (.LBB2_22208-.Lpost_getpc25439)>>32
	s_setpc_b64 s[14:15]
.LBB2_7870:
	s_or_b64 exec, exec, s[6:7]
	s_and_saveexec_b64 s[6:7], s[4:5]
	s_cbranch_execz .LBB2_7872
.LBB2_7871:
	v_bfe_u32 v6, v3, 24, 3
	v_ffbh_u32_e32 v14, v6
	v_min_u32_e32 v14, 32, v14
	v_lshrrev_b32_e32 v12, 27, v3
	v_subrev_u32_e32 v15, 28, v14
	v_and_b32_e32 v7, 0x80000000, v3
	v_and_b32_e32 v12, 15, v12
	v_bfe_u32 v13, v3, 27, 4
	v_lshlrev_b32_sdwa v3, v15, v3 dst_sel:DWORD dst_unused:UNUSED_PAD src0_sel:DWORD src1_sel:BYTE_3
	v_sub_u32_e32 v14, 29, v14
	v_and_b32_e32 v3, 7, v3
	v_cmp_eq_u16_e32 vcc, 0, v12
	v_cndmask_b32_e32 v3, v6, v3, vcc
	v_cndmask_b32_e32 v6, v13, v14, vcc
	v_mov_b32_e32 v12, 0x3b800000
	v_lshlrev_b32_e32 v3, 20, v3
	v_lshl_add_u32 v6, v6, 23, v12
	v_or3_b32 v6, v7, v6, v3
.LBB2_7872:
	s_or_b64 exec, exec, s[6:7]
	s_nop 0
	v_mfma_f32_16x16x4f32 a[0:3], v2, v6, a[0:3]
	s_movk_i32 s4, 0x7f
	v_cmp_gt_i16_sdwa s[6:7], v8, s4 src0_sel:BYTE_0 src1_sel:DWORD
	s_mov_b64 s[4:5], 0
                                        ; implicit-def: $sgpr10
	s_and_saveexec_b64 s[8:9], s[6:7]
	s_xor_b64 s[6:7], exec, s[8:9]
	s_cbranch_execz .LBB2_7873
; %bb.43713:
	s_getpc_b64 s[14:15]
.Lpost_getpc25440:
	s_add_u32 s14, s14, (.LBB2_22209-.Lpost_getpc25440)&4294967295
	s_addc_u32 s15, s15, (.LBB2_22209-.Lpost_getpc25440)>>32
	s_setpc_b64 s[14:15]
.LBB2_7873:
	s_or_saveexec_b64 s[6:7], s[6:7]
	v_mov_b32_e32 v2, s10
	s_xor_b64 exec, exec, s[6:7]
	s_cbranch_execz .LBB2_7874
; %bb.43715:
	s_getpc_b64 s[14:15]
.Lpost_getpc25441:
	s_add_u32 s14, s14, (.LBB2_22212-.Lpost_getpc25441)&4294967295
	s_addc_u32 s15, s15, (.LBB2_22212-.Lpost_getpc25441)>>32
	s_setpc_b64 s[14:15]
.LBB2_7874:
	s_or_b64 exec, exec, s[6:7]
	s_and_saveexec_b64 s[6:7], s[4:5]
	s_cbranch_execz .LBB2_7876
.LBB2_7875:
	v_and_b32_e32 v2, 7, v8
	v_ffbh_u32_e32 v6, v2
	v_min_u32_e32 v6, 32, v6
	v_lshrrev_b16_e32 v3, 3, v8
	v_subrev_u32_e32 v7, 28, v6
	v_and_b32_e32 v3, 15, v3
	v_lshlrev_b32_e32 v7, v7, v8
	v_sub_u32_e32 v6, 29, v6
	v_and_b32_e32 v7, 7, v7
	v_cmp_eq_u16_e32 vcc, 0, v3
	v_cndmask_b32_e32 v2, v2, v7, vcc
	v_cndmask_b32_e32 v3, v3, v6, vcc
	v_lshlrev_b32_e32 v6, 24, v8
	v_mov_b32_e32 v7, 0x3b800000
	v_lshlrev_b32_e32 v2, 20, v2
	v_and_b32_e32 v6, 0x80000000, v6
	v_lshl_add_u32 v3, v3, 23, v7
	v_or3_b32 v2, v6, v3, v2
.LBB2_7876:
	s_or_b64 exec, exec, s[6:7]
	s_movk_i32 s4, 0x7f
	v_cmp_gt_i16_sdwa s[6:7], v4, s4 src0_sel:BYTE_0 src1_sel:DWORD
	s_mov_b64 s[4:5], 0
                                        ; implicit-def: $sgpr10
	s_and_saveexec_b64 s[8:9], s[6:7]
	s_xor_b64 s[6:7], exec, s[8:9]
	s_cbranch_execz .LBB2_7877
; %bb.43717:
	s_getpc_b64 s[14:15]
.Lpost_getpc25442:
	s_add_u32 s14, s14, (.LBB2_22213-.Lpost_getpc25442)&4294967295
	s_addc_u32 s15, s15, (.LBB2_22213-.Lpost_getpc25442)>>32
	s_setpc_b64 s[14:15]
.LBB2_7877:
	s_or_saveexec_b64 s[6:7], s[6:7]
	v_mov_b32_e32 v3, s10
	s_xor_b64 exec, exec, s[6:7]
	s_cbranch_execz .LBB2_7878
; %bb.43719:
	s_getpc_b64 s[14:15]
.Lpost_getpc25443:
	s_add_u32 s14, s14, (.LBB2_22216-.Lpost_getpc25443)&4294967295
	s_addc_u32 s15, s15, (.LBB2_22216-.Lpost_getpc25443)>>32
	s_setpc_b64 s[14:15]
.LBB2_7878:
	s_or_b64 exec, exec, s[6:7]
	s_and_saveexec_b64 s[6:7], s[4:5]
	s_cbranch_execz .LBB2_7880
.LBB2_7879:
	v_and_b32_e32 v3, 7, v4
	v_ffbh_u32_e32 v7, v3
	v_min_u32_e32 v7, 32, v7
	v_lshrrev_b16_e32 v6, 3, v4
	v_subrev_u32_e32 v12, 28, v7
	v_and_b32_e32 v6, 15, v6
	v_lshlrev_b32_e32 v12, v12, v4
	v_sub_u32_e32 v7, 29, v7
	v_and_b32_e32 v12, 7, v12
	v_cmp_eq_u16_e32 vcc, 0, v6
	v_cndmask_b32_e32 v3, v3, v12, vcc
	v_cndmask_b32_e32 v6, v6, v7, vcc
	v_lshlrev_b32_e32 v7, 24, v4
	v_mov_b32_e32 v12, 0x3b800000
	v_lshlrev_b32_e32 v3, 20, v3
	v_and_b32_e32 v7, 0x80000000, v7
	v_lshl_add_u32 v6, v6, 23, v12
	v_or3_b32 v3, v7, v6, v3
.LBB2_7880:
	s_or_b64 exec, exec, s[6:7]
	s_nop 0
	v_mfma_f32_16x16x4f32 a[0:3], v2, v3, a[0:3]
	v_lshrrev_b32_e32 v3, 8, v8
	s_movk_i32 s4, 0x7f
	v_cmp_gt_i16_sdwa s[6:7], v3, s4 src0_sel:BYTE_0 src1_sel:DWORD
	s_mov_b64 s[4:5], 0
                                        ; implicit-def: $sgpr10
	s_and_saveexec_b64 s[8:9], s[6:7]
	s_xor_b64 s[6:7], exec, s[8:9]
	s_cbranch_execz .LBB2_7881
; %bb.43721:
	s_getpc_b64 s[14:15]
.Lpost_getpc25444:
	s_add_u32 s14, s14, (.LBB2_22217-.Lpost_getpc25444)&4294967295
	s_addc_u32 s15, s15, (.LBB2_22217-.Lpost_getpc25444)>>32
	s_setpc_b64 s[14:15]
.LBB2_7881:
	s_or_saveexec_b64 s[6:7], s[6:7]
	v_mov_b32_e32 v2, s10
	s_xor_b64 exec, exec, s[6:7]
	s_cbranch_execz .LBB2_7882
; %bb.43723:
	s_getpc_b64 s[14:15]
.Lpost_getpc25445:
	s_add_u32 s14, s14, (.LBB2_22220-.Lpost_getpc25445)&4294967295
	s_addc_u32 s15, s15, (.LBB2_22220-.Lpost_getpc25445)>>32
	s_setpc_b64 s[14:15]
.LBB2_7882:
	s_or_b64 exec, exec, s[6:7]
	s_and_saveexec_b64 s[6:7], s[4:5]
	s_cbranch_execz .LBB2_7884
.LBB2_7883:
	v_bfe_u32 v2, v8, 8, 3
	v_ffbh_u32_e32 v7, v2
	v_min_u32_e32 v7, 32, v7
	v_lshrrev_b16_e32 v6, 3, v3
	v_subrev_u32_e32 v12, 28, v7
	v_and_b32_e32 v6, 15, v6
	v_lshlrev_b32_e32 v3, v12, v3
	v_sub_u32_e32 v7, 29, v7
	v_and_b32_e32 v3, 7, v3
	v_cmp_eq_u16_e32 vcc, 0, v6
	v_cndmask_b32_e32 v2, v2, v3, vcc
	v_cndmask_b32_e32 v3, v6, v7, vcc
	v_lshlrev_b32_e32 v6, 16, v8
	v_mov_b32_e32 v7, 0x3b800000
	v_lshlrev_b32_e32 v2, 20, v2
	v_and_b32_e32 v6, 0x80000000, v6
	v_lshl_add_u32 v3, v3, 23, v7
	v_or3_b32 v2, v6, v3, v2
.LBB2_7884:
	s_or_b64 exec, exec, s[6:7]
	v_lshrrev_b32_e32 v3, 8, v4
	s_movk_i32 s4, 0x7f
	v_cmp_gt_i16_sdwa s[6:7], v3, s4 src0_sel:BYTE_0 src1_sel:DWORD
	s_mov_b64 s[4:5], 0
                                        ; implicit-def: $sgpr10
	s_and_saveexec_b64 s[8:9], s[6:7]
	s_xor_b64 s[6:7], exec, s[8:9]
	s_cbranch_execz .LBB2_7885
; %bb.43725:
	s_getpc_b64 s[14:15]
.Lpost_getpc25446:
	s_add_u32 s14, s14, (.LBB2_22221-.Lpost_getpc25446)&4294967295
	s_addc_u32 s15, s15, (.LBB2_22221-.Lpost_getpc25446)>>32
	s_setpc_b64 s[14:15]
.LBB2_7885:
	s_or_saveexec_b64 s[6:7], s[6:7]
	v_mov_b32_e32 v6, s10
	s_xor_b64 exec, exec, s[6:7]
	s_cbranch_execz .LBB2_7886
; %bb.43727:
	s_getpc_b64 s[14:15]
.Lpost_getpc25447:
	s_add_u32 s14, s14, (.LBB2_22224-.Lpost_getpc25447)&4294967295
	s_addc_u32 s15, s15, (.LBB2_22224-.Lpost_getpc25447)>>32
	s_setpc_b64 s[14:15]
.LBB2_7886:
	s_or_b64 exec, exec, s[6:7]
	s_and_saveexec_b64 s[6:7], s[4:5]
	s_cbranch_execz .LBB2_7888
.LBB2_7887:
	v_bfe_u32 v6, v4, 8, 3
	v_ffbh_u32_e32 v12, v6
	v_min_u32_e32 v12, 32, v12
	v_lshrrev_b16_e32 v7, 3, v3
	v_subrev_u32_e32 v13, 28, v12
	v_and_b32_e32 v7, 15, v7
	v_lshlrev_b32_e32 v3, v13, v3
	v_sub_u32_e32 v12, 29, v12
	v_and_b32_e32 v3, 7, v3
	v_cmp_eq_u16_e32 vcc, 0, v7
	v_cndmask_b32_e32 v3, v6, v3, vcc
	v_cndmask_b32_e32 v6, v7, v12, vcc
	v_lshlrev_b32_e32 v7, 16, v4
	v_mov_b32_e32 v12, 0x3b800000
	v_lshlrev_b32_e32 v3, 20, v3
	v_and_b32_e32 v7, 0x80000000, v7
	v_lshl_add_u32 v6, v6, 23, v12
	v_or3_b32 v6, v7, v6, v3
.LBB2_7888:
	s_or_b64 exec, exec, s[6:7]
	s_nop 0
	v_mfma_f32_16x16x4f32 a[0:3], v2, v6, a[0:3]
	s_movk_i32 s4, 0xff
	v_and_b32_sdwa v3, v8, s4 dst_sel:DWORD dst_unused:UNUSED_PAD src0_sel:WORD_1 src1_sel:DWORD
	s_movk_i32 s4, 0x7f
	v_cmp_lt_i16_e32 vcc, s4, v3
	s_mov_b64 s[4:5], 0
                                        ; implicit-def: $sgpr10
	s_and_saveexec_b64 s[6:7], vcc
	s_xor_b64 s[6:7], exec, s[6:7]
	s_cbranch_execz .LBB2_7889
; %bb.43729:
	s_getpc_b64 s[14:15]
.Lpost_getpc25448:
	s_add_u32 s14, s14, (.LBB2_22225-.Lpost_getpc25448)&4294967295
	s_addc_u32 s15, s15, (.LBB2_22225-.Lpost_getpc25448)>>32
	s_setpc_b64 s[14:15]
.LBB2_7889:
	s_or_saveexec_b64 s[6:7], s[6:7]
	v_mov_b32_e32 v2, s10
	s_xor_b64 exec, exec, s[6:7]
	s_cbranch_execz .LBB2_7890
; %bb.43731:
	s_getpc_b64 s[14:15]
.Lpost_getpc25449:
	s_add_u32 s14, s14, (.LBB2_22228-.Lpost_getpc25449)&4294967295
	s_addc_u32 s15, s15, (.LBB2_22228-.Lpost_getpc25449)>>32
	s_setpc_b64 s[14:15]
.LBB2_7890:
	s_or_b64 exec, exec, s[6:7]
	s_and_saveexec_b64 s[6:7], s[4:5]
	s_cbranch_execz .LBB2_7892
.LBB2_7891:
	v_bfe_u32 v2, v8, 16, 3
	v_ffbh_u32_e32 v7, v2
	v_min_u32_e32 v7, 32, v7
	v_lshrrev_b32_e32 v3, 19, v8
	v_subrev_u32_e32 v12, 28, v7
	v_and_b32_e32 v3, 15, v3
	v_lshlrev_b32_sdwa v12, v12, v8 dst_sel:DWORD dst_unused:UNUSED_PAD src0_sel:DWORD src1_sel:WORD_1
	v_bfe_u32 v6, v8, 19, 4
	v_sub_u32_e32 v7, 29, v7
	v_and_b32_e32 v12, 7, v12
	v_cmp_eq_u16_e32 vcc, 0, v3
	v_cndmask_b32_e32 v2, v2, v12, vcc
	v_cndmask_b32_e32 v3, v6, v7, vcc
	v_lshlrev_b32_e32 v6, 8, v8
	v_mov_b32_e32 v7, 0x3b800000
	v_lshlrev_b32_e32 v2, 20, v2
	v_and_b32_e32 v6, 0x80000000, v6
	v_lshl_add_u32 v3, v3, 23, v7
	v_or3_b32 v2, v6, v3, v2
.LBB2_7892:
	s_or_b64 exec, exec, s[6:7]
	s_movk_i32 s4, 0xff
	v_and_b32_sdwa v3, v4, s4 dst_sel:DWORD dst_unused:UNUSED_PAD src0_sel:WORD_1 src1_sel:DWORD
	s_movk_i32 s4, 0x7f
	v_cmp_lt_i16_e32 vcc, s4, v3
	s_mov_b64 s[4:5], 0
                                        ; implicit-def: $sgpr10
	s_and_saveexec_b64 s[6:7], vcc
	s_xor_b64 s[6:7], exec, s[6:7]
	s_cbranch_execz .LBB2_7893
; %bb.43733:
	s_getpc_b64 s[14:15]
.Lpost_getpc25450:
	s_add_u32 s14, s14, (.LBB2_22229-.Lpost_getpc25450)&4294967295
	s_addc_u32 s15, s15, (.LBB2_22229-.Lpost_getpc25450)>>32
	s_setpc_b64 s[14:15]
.LBB2_7893:
	s_or_saveexec_b64 s[6:7], s[6:7]
	v_mov_b32_e32 v6, s10
	s_xor_b64 exec, exec, s[6:7]
	s_cbranch_execz .LBB2_7894
; %bb.43735:
	s_getpc_b64 s[14:15]
.Lpost_getpc25451:
	s_add_u32 s14, s14, (.LBB2_22232-.Lpost_getpc25451)&4294967295
	s_addc_u32 s15, s15, (.LBB2_22232-.Lpost_getpc25451)>>32
	s_setpc_b64 s[14:15]
.LBB2_7894:
	s_or_b64 exec, exec, s[6:7]
	s_and_saveexec_b64 s[6:7], s[4:5]
	s_cbranch_execz .LBB2_7896
.LBB2_7895:
	v_bfe_u32 v3, v4, 16, 3
	v_ffbh_u32_e32 v12, v3
	v_min_u32_e32 v12, 32, v12
	v_lshrrev_b32_e32 v6, 19, v4
	v_subrev_u32_e32 v13, 28, v12
	v_and_b32_e32 v6, 15, v6
	v_lshlrev_b32_sdwa v13, v13, v4 dst_sel:DWORD dst_unused:UNUSED_PAD src0_sel:DWORD src1_sel:WORD_1
	v_bfe_u32 v7, v4, 19, 4
	v_sub_u32_e32 v12, 29, v12
	v_and_b32_e32 v13, 7, v13
	v_cmp_eq_u16_e32 vcc, 0, v6
	v_cndmask_b32_e32 v3, v3, v13, vcc
	v_cndmask_b32_e32 v6, v7, v12, vcc
	v_lshlrev_b32_e32 v7, 8, v4
	v_mov_b32_e32 v12, 0x3b800000
	v_lshlrev_b32_e32 v3, 20, v3
	v_and_b32_e32 v7, 0x80000000, v7
	v_lshl_add_u32 v6, v6, 23, v12
	v_or3_b32 v6, v7, v6, v3
.LBB2_7896:
	s_or_b64 exec, exec, s[6:7]
	s_nop 0
	v_mfma_f32_16x16x4f32 a[0:3], v2, v6, a[0:3]
	s_movk_i32 s4, 0x7f
	v_cmp_gt_i16_sdwa s[6:7], v8, s4 src0_sel:BYTE_3 src1_sel:DWORD
	s_mov_b64 s[4:5], 0
                                        ; implicit-def: $sgpr10
	s_and_saveexec_b64 s[8:9], s[6:7]
	s_xor_b64 s[6:7], exec, s[8:9]
	s_cbranch_execz .LBB2_7897
; %bb.43737:
	s_getpc_b64 s[14:15]
.Lpost_getpc25452:
	s_add_u32 s14, s14, (.LBB2_22233-.Lpost_getpc25452)&4294967295
	s_addc_u32 s15, s15, (.LBB2_22233-.Lpost_getpc25452)>>32
	s_setpc_b64 s[14:15]
.LBB2_7897:
	s_or_saveexec_b64 s[6:7], s[6:7]
	v_mov_b32_e32 v2, s10
	s_xor_b64 exec, exec, s[6:7]
	s_cbranch_execz .LBB2_7898
; %bb.43739:
	s_getpc_b64 s[14:15]
.Lpost_getpc25453:
	s_add_u32 s14, s14, (.LBB2_22236-.Lpost_getpc25453)&4294967295
	s_addc_u32 s15, s15, (.LBB2_22236-.Lpost_getpc25453)>>32
	s_setpc_b64 s[14:15]
.LBB2_7898:
	s_or_b64 exec, exec, s[6:7]
	s_and_saveexec_b64 s[6:7], s[4:5]
	s_cbranch_execz .LBB2_7900
.LBB2_7899:
	v_bfe_u32 v2, v8, 24, 3
	v_ffbh_u32_e32 v12, v2
	v_min_u32_e32 v12, 32, v12
	v_lshrrev_b32_e32 v6, 27, v8
	v_subrev_u32_e32 v13, 28, v12
	v_and_b32_e32 v3, 0x80000000, v8
	v_and_b32_e32 v6, 15, v6
	v_bfe_u32 v7, v8, 27, 4
	v_lshlrev_b32_sdwa v8, v13, v8 dst_sel:DWORD dst_unused:UNUSED_PAD src0_sel:DWORD src1_sel:BYTE_3
	v_sub_u32_e32 v12, 29, v12
	v_and_b32_e32 v8, 7, v8
	v_cmp_eq_u16_e32 vcc, 0, v6
	v_cndmask_b32_e32 v2, v2, v8, vcc
	v_cndmask_b32_e32 v6, v7, v12, vcc
	v_mov_b32_e32 v7, 0x3b800000
	v_lshlrev_b32_e32 v2, 20, v2
	v_lshl_add_u32 v6, v6, 23, v7
	v_or3_b32 v2, v3, v6, v2
.LBB2_7900:
	s_or_b64 exec, exec, s[6:7]
	s_movk_i32 s4, 0x7f
	v_cmp_gt_i16_sdwa s[6:7], v4, s4 src0_sel:BYTE_3 src1_sel:DWORD
	s_mov_b64 s[4:5], 0
                                        ; implicit-def: $sgpr10
	s_and_saveexec_b64 s[8:9], s[6:7]
	s_xor_b64 s[6:7], exec, s[8:9]
	s_cbranch_execz .LBB2_7901
; %bb.43741:
	s_getpc_b64 s[14:15]
.Lpost_getpc25454:
	s_add_u32 s14, s14, (.LBB2_22237-.Lpost_getpc25454)&4294967295
	s_addc_u32 s15, s15, (.LBB2_22237-.Lpost_getpc25454)>>32
	s_setpc_b64 s[14:15]
.LBB2_7901:
	s_or_saveexec_b64 s[6:7], s[6:7]
	v_mov_b32_e32 v3, s10
	s_xor_b64 exec, exec, s[6:7]
	s_cbranch_execz .LBB2_7902
; %bb.43743:
	s_getpc_b64 s[14:15]
.Lpost_getpc25455:
	s_add_u32 s14, s14, (.LBB2_22240-.Lpost_getpc25455)&4294967295
	s_addc_u32 s15, s15, (.LBB2_22240-.Lpost_getpc25455)>>32
	s_setpc_b64 s[14:15]
.LBB2_7902:
	s_or_b64 exec, exec, s[6:7]
	s_and_saveexec_b64 s[6:7], s[4:5]
	s_cbranch_execz .LBB2_7904
.LBB2_7903:
	v_bfe_u32 v3, v4, 24, 3
	v_ffbh_u32_e32 v12, v3
	v_min_u32_e32 v12, 32, v12
	v_lshrrev_b32_e32 v7, 27, v4
	v_subrev_u32_e32 v13, 28, v12
	v_and_b32_e32 v6, 0x80000000, v4
	v_and_b32_e32 v7, 15, v7
	v_bfe_u32 v8, v4, 27, 4
	v_lshlrev_b32_sdwa v4, v13, v4 dst_sel:DWORD dst_unused:UNUSED_PAD src0_sel:DWORD src1_sel:BYTE_3
	v_sub_u32_e32 v12, 29, v12
	v_and_b32_e32 v4, 7, v4
	v_cmp_eq_u16_e32 vcc, 0, v7
	v_cndmask_b32_e32 v3, v3, v4, vcc
	v_cndmask_b32_e32 v4, v8, v12, vcc
	v_mov_b32_e32 v7, 0x3b800000
	v_lshlrev_b32_e32 v3, 20, v3
	v_lshl_add_u32 v4, v4, 23, v7
	v_or3_b32 v3, v6, v4, v3
.LBB2_7904:
	s_or_b64 exec, exec, s[6:7]
	s_nop 0
	v_mfma_f32_16x16x4f32 a[0:3], v2, v3, a[0:3]
	s_movk_i32 s4, 0x7f
	v_cmp_gt_i16_sdwa s[6:7], v9, s4 src0_sel:BYTE_0 src1_sel:DWORD
	s_mov_b64 s[4:5], 0
                                        ; implicit-def: $sgpr10
	s_and_saveexec_b64 s[8:9], s[6:7]
	s_xor_b64 s[6:7], exec, s[8:9]
	s_cbranch_execz .LBB2_7905
; %bb.43745:
	s_getpc_b64 s[14:15]
.Lpost_getpc25456:
	s_add_u32 s14, s14, (.LBB2_22241-.Lpost_getpc25456)&4294967295
	s_addc_u32 s15, s15, (.LBB2_22241-.Lpost_getpc25456)>>32
	s_setpc_b64 s[14:15]
.LBB2_7905:
	s_or_saveexec_b64 s[6:7], s[6:7]
	v_mov_b32_e32 v2, s10
	s_xor_b64 exec, exec, s[6:7]
	s_cbranch_execz .LBB2_7906
; %bb.43747:
	s_getpc_b64 s[14:15]
.Lpost_getpc25457:
	s_add_u32 s14, s14, (.LBB2_22244-.Lpost_getpc25457)&4294967295
	s_addc_u32 s15, s15, (.LBB2_22244-.Lpost_getpc25457)>>32
	s_setpc_b64 s[14:15]
.LBB2_7906:
	s_or_b64 exec, exec, s[6:7]
	s_and_saveexec_b64 s[6:7], s[4:5]
	s_cbranch_execz .LBB2_7908
.LBB2_7907:
	v_mov_b32_e32 v2, 8
	v_and_b32_e32 v3, 7, v9
	v_lshrrev_b32_sdwa v2, v2, v9 dst_sel:BYTE_1 dst_unused:UNUSED_PAD src0_sel:DWORD src1_sel:DWORD
	v_ffbh_u32_e32 v4, v3
	v_or_b32_sdwa v2, v9, v2 dst_sel:DWORD dst_unused:UNUSED_PAD src0_sel:BYTE_0 src1_sel:DWORD
	v_min_u32_e32 v4, 32, v4
	v_lshrrev_b16_e32 v2, 3, v2
	v_subrev_u32_e32 v6, 28, v4
	v_and_b32_e32 v2, 15, v2
	v_lshlrev_b32_e32 v6, v6, v9
	v_sub_u32_e32 v4, 29, v4
	v_and_b32_e32 v6, 7, v6
	v_cmp_eq_u16_e32 vcc, 0, v2
	v_cndmask_b32_e32 v3, v3, v6, vcc
	v_cndmask_b32_e32 v2, v2, v4, vcc
	v_lshlrev_b32_e32 v4, 24, v9
	v_mov_b32_e32 v6, 0x3b800000
	v_lshlrev_b32_e32 v3, 20, v3
	v_and_b32_e32 v4, 0x80000000, v4
	v_lshl_add_u32 v2, v2, 23, v6
	v_or3_b32 v2, v4, v2, v3
.LBB2_7908:
	s_or_b64 exec, exec, s[6:7]
	s_movk_i32 s4, 0x7f
	v_cmp_gt_i16_sdwa s[6:7], v5, s4 src0_sel:BYTE_0 src1_sel:DWORD
	s_mov_b64 s[4:5], 0
                                        ; implicit-def: $sgpr10
	s_and_saveexec_b64 s[8:9], s[6:7]
	s_xor_b64 s[6:7], exec, s[8:9]
	s_cbranch_execz .LBB2_7909
; %bb.43749:
	s_getpc_b64 s[14:15]
.Lpost_getpc25458:
	s_add_u32 s14, s14, (.LBB2_22245-.Lpost_getpc25458)&4294967295
	s_addc_u32 s15, s15, (.LBB2_22245-.Lpost_getpc25458)>>32
	s_setpc_b64 s[14:15]
.LBB2_7909:
	s_or_saveexec_b64 s[6:7], s[6:7]
	v_mov_b32_e32 v3, s10
	s_xor_b64 exec, exec, s[6:7]
	s_cbranch_execz .LBB2_7910
; %bb.43751:
	s_getpc_b64 s[14:15]
.Lpost_getpc25459:
	s_add_u32 s14, s14, (.LBB2_22248-.Lpost_getpc25459)&4294967295
	s_addc_u32 s15, s15, (.LBB2_22248-.Lpost_getpc25459)>>32
	s_setpc_b64 s[14:15]
.LBB2_7910:
	s_or_b64 exec, exec, s[6:7]
	s_and_saveexec_b64 s[6:7], s[4:5]
	s_cbranch_execz .LBB2_7912
.LBB2_7911:
	v_mov_b32_e32 v3, 8
	v_and_b32_e32 v4, 7, v5
	v_lshrrev_b32_sdwa v3, v3, v5 dst_sel:BYTE_1 dst_unused:UNUSED_PAD src0_sel:DWORD src1_sel:DWORD
	v_ffbh_u32_e32 v6, v4
	v_or_b32_sdwa v3, v5, v3 dst_sel:DWORD dst_unused:UNUSED_PAD src0_sel:BYTE_0 src1_sel:DWORD
	v_min_u32_e32 v6, 32, v6
	v_lshrrev_b16_e32 v3, 3, v3
	v_subrev_u32_e32 v7, 28, v6
	v_and_b32_e32 v3, 15, v3
	v_lshlrev_b32_e32 v7, v7, v5
	v_sub_u32_e32 v6, 29, v6
	v_and_b32_e32 v7, 7, v7
	v_cmp_eq_u16_e32 vcc, 0, v3
	v_cndmask_b32_e32 v4, v4, v7, vcc
	v_cndmask_b32_e32 v3, v3, v6, vcc
	v_lshlrev_b32_e32 v6, 24, v5
	v_mov_b32_e32 v7, 0x3b800000
	v_lshlrev_b32_e32 v4, 20, v4
	v_and_b32_e32 v6, 0x80000000, v6
	v_lshl_add_u32 v3, v3, 23, v7
	v_or3_b32 v3, v6, v3, v4
.LBB2_7912:
	s_or_b64 exec, exec, s[6:7]
	s_nop 0
	v_mfma_f32_16x16x4f32 a[0:3], v2, v3, a[0:3]
	v_lshrrev_b32_e32 v3, 8, v9
	s_movk_i32 s4, 0x7f
	v_cmp_gt_i16_sdwa s[6:7], v3, s4 src0_sel:BYTE_0 src1_sel:DWORD
	s_mov_b64 s[4:5], 0
                                        ; implicit-def: $sgpr10
	s_and_saveexec_b64 s[8:9], s[6:7]
	s_xor_b64 s[6:7], exec, s[8:9]
	s_cbranch_execz .LBB2_7913
; %bb.43753:
	s_getpc_b64 s[14:15]
.Lpost_getpc25460:
	s_add_u32 s14, s14, (.LBB2_22249-.Lpost_getpc25460)&4294967295
	s_addc_u32 s15, s15, (.LBB2_22249-.Lpost_getpc25460)>>32
	s_setpc_b64 s[14:15]
.LBB2_7913:
	s_or_saveexec_b64 s[6:7], s[6:7]
	v_mov_b32_e32 v2, s10
	s_xor_b64 exec, exec, s[6:7]
	s_cbranch_execz .LBB2_7914
; %bb.43755:
	s_getpc_b64 s[14:15]
.Lpost_getpc25461:
	s_add_u32 s14, s14, (.LBB2_22252-.Lpost_getpc25461)&4294967295
	s_addc_u32 s15, s15, (.LBB2_22252-.Lpost_getpc25461)>>32
	s_setpc_b64 s[14:15]
.LBB2_7914:
	s_or_b64 exec, exec, s[6:7]
	s_and_saveexec_b64 s[6:7], s[4:5]
	s_cbranch_execz .LBB2_7916
.LBB2_7915:
	v_bfe_u32 v2, v9, 8, 3
	v_ffbh_u32_e32 v6, v2
	v_min_u32_e32 v6, 32, v6
	v_lshrrev_b16_e32 v4, 3, v3
	v_subrev_u32_e32 v7, 28, v6
	v_and_b32_e32 v4, 15, v4
	v_lshlrev_b32_e32 v3, v7, v3
	v_sub_u32_e32 v6, 29, v6
	v_and_b32_e32 v3, 7, v3
	v_cmp_eq_u16_e32 vcc, 0, v4
	v_cndmask_b32_e32 v2, v2, v3, vcc
	v_cndmask_b32_e32 v3, v4, v6, vcc
	v_lshlrev_b32_e32 v4, 16, v9
	v_mov_b32_e32 v6, 0x3b800000
	v_lshlrev_b32_e32 v2, 20, v2
	v_and_b32_e32 v4, 0x80000000, v4
	v_lshl_add_u32 v3, v3, 23, v6
	v_or3_b32 v2, v4, v3, v2
.LBB2_7916:
	s_or_b64 exec, exec, s[6:7]
	v_lshrrev_b32_e32 v3, 8, v5
	s_movk_i32 s4, 0x7f
	v_cmp_gt_i16_sdwa s[6:7], v3, s4 src0_sel:BYTE_0 src1_sel:DWORD
	s_mov_b64 s[4:5], 0
                                        ; implicit-def: $sgpr10
	s_and_saveexec_b64 s[8:9], s[6:7]
	s_xor_b64 s[6:7], exec, s[8:9]
	s_cbranch_execz .LBB2_7917
; %bb.43757:
	s_getpc_b64 s[14:15]
.Lpost_getpc25462:
	s_add_u32 s14, s14, (.LBB2_22253-.Lpost_getpc25462)&4294967295
	s_addc_u32 s15, s15, (.LBB2_22253-.Lpost_getpc25462)>>32
	s_setpc_b64 s[14:15]
.LBB2_7917:
	s_or_saveexec_b64 s[6:7], s[6:7]
	v_mov_b32_e32 v4, s10
	s_xor_b64 exec, exec, s[6:7]
	s_cbranch_execz .LBB2_7918
; %bb.43759:
	s_getpc_b64 s[14:15]
.Lpost_getpc25463:
	s_add_u32 s14, s14, (.LBB2_22256-.Lpost_getpc25463)&4294967295
	s_addc_u32 s15, s15, (.LBB2_22256-.Lpost_getpc25463)>>32
	s_setpc_b64 s[14:15]
.LBB2_7918:
	s_or_b64 exec, exec, s[6:7]
	s_and_saveexec_b64 s[6:7], s[4:5]
	s_cbranch_execz .LBB2_7920
.LBB2_7919:
	v_bfe_u32 v4, v5, 8, 3
	v_ffbh_u32_e32 v7, v4
	v_min_u32_e32 v7, 32, v7
	v_lshrrev_b16_e32 v6, 3, v3
	v_subrev_u32_e32 v8, 28, v7
	v_and_b32_e32 v6, 15, v6
	v_lshlrev_b32_e32 v3, v8, v3
	v_sub_u32_e32 v7, 29, v7
	v_and_b32_e32 v3, 7, v3
	v_cmp_eq_u16_e32 vcc, 0, v6
	v_cndmask_b32_e32 v3, v4, v3, vcc
	v_cndmask_b32_e32 v4, v6, v7, vcc
	v_lshlrev_b32_e32 v6, 16, v5
	v_mov_b32_e32 v7, 0x3b800000
	v_lshlrev_b32_e32 v3, 20, v3
	v_and_b32_e32 v6, 0x80000000, v6
	v_lshl_add_u32 v4, v4, 23, v7
	v_or3_b32 v4, v6, v4, v3
.LBB2_7920:
	s_or_b64 exec, exec, s[6:7]
	s_nop 0
	v_mfma_f32_16x16x4f32 a[0:3], v2, v4, a[0:3]
	s_movk_i32 s4, 0xff
	v_and_b32_sdwa v3, v9, s4 dst_sel:DWORD dst_unused:UNUSED_PAD src0_sel:WORD_1 src1_sel:DWORD
	s_movk_i32 s4, 0x7f
	v_cmp_lt_i16_e32 vcc, s4, v3
	s_mov_b64 s[4:5], 0
                                        ; implicit-def: $sgpr10
	s_and_saveexec_b64 s[6:7], vcc
	s_xor_b64 s[6:7], exec, s[6:7]
	s_cbranch_execz .LBB2_7921
; %bb.43761:
	s_getpc_b64 s[14:15]
.Lpost_getpc25464:
	s_add_u32 s14, s14, (.LBB2_22257-.Lpost_getpc25464)&4294967295
	s_addc_u32 s15, s15, (.LBB2_22257-.Lpost_getpc25464)>>32
	s_setpc_b64 s[14:15]
.LBB2_7921:
	s_or_saveexec_b64 s[6:7], s[6:7]
	v_mov_b32_e32 v2, s10
	s_xor_b64 exec, exec, s[6:7]
	s_cbranch_execz .LBB2_7922
; %bb.43763:
	s_getpc_b64 s[14:15]
.Lpost_getpc25465:
	s_add_u32 s14, s14, (.LBB2_22260-.Lpost_getpc25465)&4294967295
	s_addc_u32 s15, s15, (.LBB2_22260-.Lpost_getpc25465)>>32
	s_setpc_b64 s[14:15]
.LBB2_7922:
	s_or_b64 exec, exec, s[6:7]
	s_and_saveexec_b64 s[6:7], s[4:5]
	s_cbranch_execz .LBB2_7924
.LBB2_7923:
	v_bfe_u32 v2, v9, 16, 3
	v_ffbh_u32_e32 v6, v2
	v_min_u32_e32 v6, 32, v6
	v_lshrrev_b32_e32 v3, 19, v9
	v_subrev_u32_e32 v7, 28, v6
	v_and_b32_e32 v3, 15, v3
	v_lshlrev_b32_sdwa v7, v7, v9 dst_sel:DWORD dst_unused:UNUSED_PAD src0_sel:DWORD src1_sel:WORD_1
	v_bfe_u32 v4, v9, 19, 4
	v_sub_u32_e32 v6, 29, v6
	v_and_b32_e32 v7, 7, v7
	v_cmp_eq_u16_e32 vcc, 0, v3
	v_cndmask_b32_e32 v2, v2, v7, vcc
	v_cndmask_b32_e32 v3, v4, v6, vcc
	v_lshlrev_b32_e32 v4, 8, v9
	v_mov_b32_e32 v6, 0x3b800000
	v_lshlrev_b32_e32 v2, 20, v2
	v_and_b32_e32 v4, 0x80000000, v4
	v_lshl_add_u32 v3, v3, 23, v6
	v_or3_b32 v2, v4, v3, v2
.LBB2_7924:
	s_or_b64 exec, exec, s[6:7]
	s_movk_i32 s4, 0xff
	v_and_b32_sdwa v3, v5, s4 dst_sel:DWORD dst_unused:UNUSED_PAD src0_sel:WORD_1 src1_sel:DWORD
	s_movk_i32 s4, 0x7f
	v_cmp_lt_i16_e32 vcc, s4, v3
	s_mov_b64 s[4:5], 0
                                        ; implicit-def: $sgpr10
	s_and_saveexec_b64 s[6:7], vcc
	s_xor_b64 s[6:7], exec, s[6:7]
	s_cbranch_execz .LBB2_7925
; %bb.43765:
	s_getpc_b64 s[14:15]
.Lpost_getpc25466:
	s_add_u32 s14, s14, (.LBB2_22261-.Lpost_getpc25466)&4294967295
	s_addc_u32 s15, s15, (.LBB2_22261-.Lpost_getpc25466)>>32
	s_setpc_b64 s[14:15]
.LBB2_7925:
	s_or_saveexec_b64 s[6:7], s[6:7]
	v_mov_b32_e32 v4, s10
	s_xor_b64 exec, exec, s[6:7]
	s_cbranch_execz .LBB2_7926
; %bb.43767:
	s_getpc_b64 s[14:15]
.Lpost_getpc25467:
	s_add_u32 s14, s14, (.LBB2_22264-.Lpost_getpc25467)&4294967295
	s_addc_u32 s15, s15, (.LBB2_22264-.Lpost_getpc25467)>>32
	s_setpc_b64 s[14:15]
.LBB2_7926:
	s_or_b64 exec, exec, s[6:7]
	s_and_saveexec_b64 s[6:7], s[4:5]
	s_cbranch_execz .LBB2_7928
.LBB2_7927:
	v_bfe_u32 v3, v5, 16, 3
	v_ffbh_u32_e32 v7, v3
	v_min_u32_e32 v7, 32, v7
	v_lshrrev_b32_e32 v4, 19, v5
	v_subrev_u32_e32 v8, 28, v7
	v_and_b32_e32 v4, 15, v4
	v_lshlrev_b32_sdwa v8, v8, v5 dst_sel:DWORD dst_unused:UNUSED_PAD src0_sel:DWORD src1_sel:WORD_1
	v_bfe_u32 v6, v5, 19, 4
	v_sub_u32_e32 v7, 29, v7
	v_and_b32_e32 v8, 7, v8
	v_cmp_eq_u16_e32 vcc, 0, v4
	v_cndmask_b32_e32 v3, v3, v8, vcc
	v_cndmask_b32_e32 v4, v6, v7, vcc
	v_lshlrev_b32_e32 v6, 8, v5
	v_mov_b32_e32 v7, 0x3b800000
	v_lshlrev_b32_e32 v3, 20, v3
	v_and_b32_e32 v6, 0x80000000, v6
	v_lshl_add_u32 v4, v4, 23, v7
	v_or3_b32 v4, v6, v4, v3
.LBB2_7928:
	s_or_b64 exec, exec, s[6:7]
	s_nop 0
	v_mfma_f32_16x16x4f32 a[0:3], v2, v4, a[0:3]
	s_movk_i32 s4, 0x7f
	v_cmp_gt_i16_sdwa s[6:7], v9, s4 src0_sel:BYTE_3 src1_sel:DWORD
	s_mov_b64 s[4:5], 0
                                        ; implicit-def: $sgpr10
	s_and_saveexec_b64 s[8:9], s[6:7]
	s_xor_b64 s[6:7], exec, s[8:9]
	s_cbranch_execz .LBB2_7929
; %bb.43769:
	s_getpc_b64 s[14:15]
.Lpost_getpc25468:
	s_add_u32 s14, s14, (.LBB2_22265-.Lpost_getpc25468)&4294967295
	s_addc_u32 s15, s15, (.LBB2_22265-.Lpost_getpc25468)>>32
	s_setpc_b64 s[14:15]
.LBB2_7929:
	s_or_saveexec_b64 s[6:7], s[6:7]
	v_mov_b32_e32 v2, s10
	s_xor_b64 exec, exec, s[6:7]
	s_cbranch_execz .LBB2_7930
; %bb.43771:
	s_getpc_b64 s[14:15]
.Lpost_getpc25469:
	s_add_u32 s14, s14, (.LBB2_22268-.Lpost_getpc25469)&4294967295
	s_addc_u32 s15, s15, (.LBB2_22268-.Lpost_getpc25469)>>32
	s_setpc_b64 s[14:15]
.LBB2_7930:
	s_or_b64 exec, exec, s[6:7]
	s_and_saveexec_b64 s[6:7], s[4:5]
	s_cbranch_execz .LBB2_7932
.LBB2_7931:
	v_bfe_u32 v2, v9, 24, 3
	v_ffbh_u32_e32 v7, v2
	v_min_u32_e32 v7, 32, v7
	v_lshrrev_b32_e32 v4, 27, v9
	v_subrev_u32_e32 v8, 28, v7
	v_and_b32_e32 v4, 15, v4
	v_lshlrev_b32_sdwa v8, v8, v9 dst_sel:DWORD dst_unused:UNUSED_PAD src0_sel:DWORD src1_sel:BYTE_3
	v_bfe_u32 v6, v9, 27, 4
	v_sub_u32_e32 v7, 29, v7
	v_and_b32_e32 v8, 7, v8
	v_cmp_eq_u16_e32 vcc, 0, v4
	v_cndmask_b32_e32 v2, v2, v8, vcc
	v_cndmask_b32_e32 v4, v6, v7, vcc
	v_mov_b32_e32 v6, 0x3b800000
	v_and_b32_e32 v3, 0x80000000, v9
	v_lshlrev_b32_e32 v2, 20, v2
	v_lshl_add_u32 v4, v4, 23, v6
	v_or3_b32 v2, v3, v4, v2
.LBB2_7932:
	s_or_b64 exec, exec, s[6:7]
	s_movk_i32 s4, 0x7f
	v_cmp_gt_i16_sdwa s[6:7], v5, s4 src0_sel:BYTE_3 src1_sel:DWORD
	s_mov_b64 s[4:5], 0
                                        ; implicit-def: $sgpr10
	s_and_saveexec_b64 s[8:9], s[6:7]
	s_xor_b64 s[6:7], exec, s[8:9]
	s_cbranch_execz .LBB2_7933
; %bb.43773:
	s_getpc_b64 s[14:15]
.Lpost_getpc25470:
	s_add_u32 s14, s14, (.LBB2_22269-.Lpost_getpc25470)&4294967295
	s_addc_u32 s15, s15, (.LBB2_22269-.Lpost_getpc25470)>>32
	s_setpc_b64 s[14:15]
.LBB2_7933:
	s_or_saveexec_b64 s[6:7], s[6:7]
	v_mov_b32_e32 v3, s10
	s_xor_b64 exec, exec, s[6:7]
	s_cbranch_execz .LBB2_7934
; %bb.43775:
	s_getpc_b64 s[14:15]
.Lpost_getpc25471:
	s_add_u32 s14, s14, (.LBB2_22272-.Lpost_getpc25471)&4294967295
	s_addc_u32 s15, s15, (.LBB2_22272-.Lpost_getpc25471)>>32
	s_setpc_b64 s[14:15]
.LBB2_7934:
	s_or_b64 exec, exec, s[6:7]
	s_and_saveexec_b64 s[6:7], s[4:5]
	s_cbranch_execz .LBB2_7936
.LBB2_7935:
	v_bfe_u32 v3, v5, 24, 3
	v_ffbh_u32_e32 v8, v3
	v_min_u32_e32 v8, 32, v8
	v_lshrrev_b32_e32 v6, 27, v5
	v_subrev_u32_e32 v9, 28, v8
	v_and_b32_e32 v4, 0x80000000, v5
	v_and_b32_e32 v6, 15, v6
	v_bfe_u32 v7, v5, 27, 4
	v_lshlrev_b32_sdwa v5, v9, v5 dst_sel:DWORD dst_unused:UNUSED_PAD src0_sel:DWORD src1_sel:BYTE_3
	v_sub_u32_e32 v8, 29, v8
	v_and_b32_e32 v5, 7, v5
	v_cmp_eq_u16_e32 vcc, 0, v6
	v_cndmask_b32_e32 v3, v3, v5, vcc
	v_cndmask_b32_e32 v5, v7, v8, vcc
	v_mov_b32_e32 v6, 0x3b800000
	v_lshlrev_b32_e32 v3, 20, v3
	v_lshl_add_u32 v5, v5, 23, v6
	v_or3_b32 v3, v4, v5, v3
.LBB2_7936:
	s_or_b64 exec, exec, s[6:7]
	s_nop 0
	v_mfma_f32_16x16x4f32 a[0:3], v2, v3, a[0:3]
	s_movk_i32 s4, 0x7f
                                        ; implicit-def: $sgpr10
	s_nop 7
	s_nop 1
	flat_store_dwordx4 v[10:11], a[0:3] offset:80
	flat_load_dwordx4 v[12:15], v[0:1]
	s_nop 0
	flat_load_dwordx2 v[10:11], v[0:1] offset:16
	s_waitcnt vmcnt(0) lgkmcnt(0)
	flat_load_dwordx4 v[6:9], v[12:13] offset:112
	flat_load_dwordx4 v[2:5], v[14:15] offset:224
	s_waitcnt vmcnt(0) lgkmcnt(0)
	v_cmp_gt_i16_sdwa s[6:7], v6, s4 src0_sel:BYTE_0 src1_sel:DWORD
	s_mov_b64 s[4:5], 0
	s_and_saveexec_b64 s[8:9], s[6:7]
	s_xor_b64 s[6:7], exec, s[8:9]
	s_cbranch_execz .LBB2_7937
; %bb.43777:
	s_getpc_b64 s[14:15]
.Lpost_getpc25472:
	s_add_u32 s14, s14, (.LBB2_22273-.Lpost_getpc25472)&4294967295
	s_addc_u32 s15, s15, (.LBB2_22273-.Lpost_getpc25472)>>32
	s_setpc_b64 s[14:15]
.LBB2_7937:
	s_or_saveexec_b64 s[6:7], s[6:7]
	v_mov_b32_e32 v12, s10
	s_xor_b64 exec, exec, s[6:7]
	s_cbranch_execz .LBB2_7938
; %bb.43779:
	s_getpc_b64 s[14:15]
.Lpost_getpc25473:
	s_add_u32 s14, s14, (.LBB2_22276-.Lpost_getpc25473)&4294967295
	s_addc_u32 s15, s15, (.LBB2_22276-.Lpost_getpc25473)>>32
	s_setpc_b64 s[14:15]
.LBB2_7938:
	s_or_b64 exec, exec, s[6:7]
	s_and_saveexec_b64 s[6:7], s[4:5]
	s_cbranch_execz .LBB2_7940
.LBB2_7939:
	v_and_b32_e32 v12, 7, v6
	v_ffbh_u32_e32 v14, v12
	v_min_u32_e32 v14, 32, v14
	v_lshrrev_b16_e32 v13, 3, v6
	v_subrev_u32_e32 v15, 28, v14
	v_and_b32_e32 v13, 15, v13
	v_lshlrev_b32_e32 v15, v15, v6
	v_sub_u32_e32 v14, 29, v14
	v_and_b32_e32 v15, 7, v15
	v_cmp_eq_u16_e32 vcc, 0, v13
	v_cndmask_b32_e32 v12, v12, v15, vcc
	v_cndmask_b32_e32 v13, v13, v14, vcc
	v_lshlrev_b32_e32 v14, 24, v6
	v_mov_b32_e32 v15, 0x3b800000
	v_lshlrev_b32_e32 v12, 20, v12
	v_and_b32_e32 v14, 0x80000000, v14
	v_lshl_add_u32 v13, v13, 23, v15
	v_or3_b32 v12, v14, v13, v12
.LBB2_7940:
	s_or_b64 exec, exec, s[6:7]
	s_movk_i32 s4, 0x7f
	v_cmp_gt_i16_sdwa s[6:7], v2, s4 src0_sel:BYTE_0 src1_sel:DWORD
	s_mov_b64 s[4:5], 0
                                        ; implicit-def: $sgpr10
	s_and_saveexec_b64 s[8:9], s[6:7]
	s_xor_b64 s[6:7], exec, s[8:9]
	s_cbranch_execz .LBB2_7941
; %bb.43781:
	s_getpc_b64 s[14:15]
.Lpost_getpc25474:
	s_add_u32 s14, s14, (.LBB2_22277-.Lpost_getpc25474)&4294967295
	s_addc_u32 s15, s15, (.LBB2_22277-.Lpost_getpc25474)>>32
	s_setpc_b64 s[14:15]
.LBB2_7941:
	s_or_saveexec_b64 s[6:7], s[6:7]
	v_mov_b32_e32 v13, s10
	s_xor_b64 exec, exec, s[6:7]
	s_cbranch_execz .LBB2_7942
; %bb.43783:
	s_getpc_b64 s[14:15]
.Lpost_getpc25475:
	s_add_u32 s14, s14, (.LBB2_22280-.Lpost_getpc25475)&4294967295
	s_addc_u32 s15, s15, (.LBB2_22280-.Lpost_getpc25475)>>32
	s_setpc_b64 s[14:15]
.LBB2_7942:
	s_or_b64 exec, exec, s[6:7]
	s_and_saveexec_b64 s[6:7], s[4:5]
	s_cbranch_execz .LBB2_7944
.LBB2_7943:
	v_and_b32_e32 v13, 7, v2
	v_ffbh_u32_e32 v15, v13
	v_min_u32_e32 v15, 32, v15
	v_lshrrev_b16_e32 v14, 3, v2
	v_subrev_u32_e32 v16, 28, v15
	v_and_b32_e32 v14, 15, v14
	v_lshlrev_b32_e32 v16, v16, v2
	v_sub_u32_e32 v15, 29, v15
	v_and_b32_e32 v16, 7, v16
	v_cmp_eq_u16_e32 vcc, 0, v14
	v_cndmask_b32_e32 v13, v13, v16, vcc
	v_cndmask_b32_e32 v14, v14, v15, vcc
	v_lshlrev_b32_e32 v15, 24, v2
	v_mov_b32_e32 v16, 0x3b800000
	v_lshlrev_b32_e32 v13, 20, v13
	v_and_b32_e32 v15, 0x80000000, v15
	v_lshl_add_u32 v14, v14, 23, v16
	v_or3_b32 v13, v15, v14, v13
.LBB2_7944:
	s_or_b64 exec, exec, s[6:7]
	flat_load_dwordx4 a[0:3], v[10:11] offset:96
	s_movk_i32 s4, 0x7f
                                        ; implicit-def: $sgpr10
	s_waitcnt vmcnt(0) lgkmcnt(0)
	v_mfma_f32_16x16x4f32 a[0:3], v12, v13, a[0:3]
	v_lshrrev_b32_e32 v13, 8, v6
	v_cmp_gt_i16_sdwa s[6:7], v13, s4 src0_sel:BYTE_0 src1_sel:DWORD
	s_mov_b64 s[4:5], 0
	s_and_saveexec_b64 s[8:9], s[6:7]
	s_xor_b64 s[6:7], exec, s[8:9]
	s_cbranch_execz .LBB2_7945
; %bb.43785:
	s_getpc_b64 s[14:15]
.Lpost_getpc25476:
	s_add_u32 s14, s14, (.LBB2_22281-.Lpost_getpc25476)&4294967295
	s_addc_u32 s15, s15, (.LBB2_22281-.Lpost_getpc25476)>>32
	s_setpc_b64 s[14:15]
.LBB2_7945:
	s_or_saveexec_b64 s[6:7], s[6:7]
	v_mov_b32_e32 v12, s10
	s_xor_b64 exec, exec, s[6:7]
	s_cbranch_execz .LBB2_7946
; %bb.43787:
	s_getpc_b64 s[14:15]
.Lpost_getpc25477:
	s_add_u32 s14, s14, (.LBB2_22284-.Lpost_getpc25477)&4294967295
	s_addc_u32 s15, s15, (.LBB2_22284-.Lpost_getpc25477)>>32
	s_setpc_b64 s[14:15]
.LBB2_7946:
	s_or_b64 exec, exec, s[6:7]
	s_and_saveexec_b64 s[6:7], s[4:5]
	s_cbranch_execz .LBB2_7948
.LBB2_7947:
	v_bfe_u32 v12, v6, 8, 3
	v_ffbh_u32_e32 v15, v12
	v_min_u32_e32 v15, 32, v15
	v_lshrrev_b16_e32 v14, 3, v13
	v_subrev_u32_e32 v16, 28, v15
	v_and_b32_e32 v14, 15, v14
	v_lshlrev_b32_e32 v13, v16, v13
	v_sub_u32_e32 v15, 29, v15
	v_and_b32_e32 v13, 7, v13
	v_cmp_eq_u16_e32 vcc, 0, v14
	v_cndmask_b32_e32 v12, v12, v13, vcc
	v_cndmask_b32_e32 v13, v14, v15, vcc
	v_lshlrev_b32_e32 v14, 16, v6
	v_mov_b32_e32 v15, 0x3b800000
	v_lshlrev_b32_e32 v12, 20, v12
	v_and_b32_e32 v14, 0x80000000, v14
	v_lshl_add_u32 v13, v13, 23, v15
	v_or3_b32 v12, v14, v13, v12
.LBB2_7948:
	s_or_b64 exec, exec, s[6:7]
	v_lshrrev_b32_e32 v13, 8, v2
	s_movk_i32 s4, 0x7f
	v_cmp_gt_i16_sdwa s[6:7], v13, s4 src0_sel:BYTE_0 src1_sel:DWORD
	s_mov_b64 s[4:5], 0
                                        ; implicit-def: $sgpr10
	s_and_saveexec_b64 s[8:9], s[6:7]
	s_xor_b64 s[6:7], exec, s[8:9]
	s_cbranch_execz .LBB2_7949
; %bb.43789:
	s_getpc_b64 s[14:15]
.Lpost_getpc25478:
	s_add_u32 s14, s14, (.LBB2_22285-.Lpost_getpc25478)&4294967295
	s_addc_u32 s15, s15, (.LBB2_22285-.Lpost_getpc25478)>>32
	s_setpc_b64 s[14:15]
.LBB2_7949:
	s_or_saveexec_b64 s[6:7], s[6:7]
	v_mov_b32_e32 v14, s10
	s_xor_b64 exec, exec, s[6:7]
	s_cbranch_execz .LBB2_7950
; %bb.43791:
	s_getpc_b64 s[14:15]
.Lpost_getpc25479:
	s_add_u32 s14, s14, (.LBB2_22288-.Lpost_getpc25479)&4294967295
	s_addc_u32 s15, s15, (.LBB2_22288-.Lpost_getpc25479)>>32
	s_setpc_b64 s[14:15]
.LBB2_7950:
	s_or_b64 exec, exec, s[6:7]
	s_and_saveexec_b64 s[6:7], s[4:5]
	s_cbranch_execz .LBB2_7952
.LBB2_7951:
	v_bfe_u32 v14, v2, 8, 3
	v_ffbh_u32_e32 v16, v14
	v_min_u32_e32 v16, 32, v16
	v_lshrrev_b16_e32 v15, 3, v13
	v_subrev_u32_e32 v17, 28, v16
	v_and_b32_e32 v15, 15, v15
	v_lshlrev_b32_e32 v13, v17, v13
	v_sub_u32_e32 v16, 29, v16
	v_and_b32_e32 v13, 7, v13
	v_cmp_eq_u16_e32 vcc, 0, v15
	v_cndmask_b32_e32 v13, v14, v13, vcc
	v_cndmask_b32_e32 v14, v15, v16, vcc
	v_lshlrev_b32_e32 v15, 16, v2
	v_mov_b32_e32 v16, 0x3b800000
	v_lshlrev_b32_e32 v13, 20, v13
	v_and_b32_e32 v15, 0x80000000, v15
	v_lshl_add_u32 v14, v14, 23, v16
	v_or3_b32 v14, v15, v14, v13
.LBB2_7952:
	s_or_b64 exec, exec, s[6:7]
	s_nop 0
	v_mfma_f32_16x16x4f32 a[0:3], v12, v14, a[0:3]
	s_movk_i32 s4, 0xff
	v_and_b32_sdwa v13, v6, s4 dst_sel:DWORD dst_unused:UNUSED_PAD src0_sel:WORD_1 src1_sel:DWORD
	s_movk_i32 s4, 0x7f
	v_cmp_lt_i16_e32 vcc, s4, v13
	s_mov_b64 s[4:5], 0
                                        ; implicit-def: $sgpr10
	s_and_saveexec_b64 s[6:7], vcc
	s_xor_b64 s[6:7], exec, s[6:7]
	s_cbranch_execz .LBB2_7953
; %bb.43793:
	s_getpc_b64 s[14:15]
.Lpost_getpc25480:
	s_add_u32 s14, s14, (.LBB2_22289-.Lpost_getpc25480)&4294967295
	s_addc_u32 s15, s15, (.LBB2_22289-.Lpost_getpc25480)>>32
	s_setpc_b64 s[14:15]
.LBB2_7953:
	s_or_saveexec_b64 s[6:7], s[6:7]
	v_mov_b32_e32 v12, s10
	s_xor_b64 exec, exec, s[6:7]
	s_cbranch_execz .LBB2_7954
; %bb.43795:
	s_getpc_b64 s[14:15]
.Lpost_getpc25481:
	s_add_u32 s14, s14, (.LBB2_22292-.Lpost_getpc25481)&4294967295
	s_addc_u32 s15, s15, (.LBB2_22292-.Lpost_getpc25481)>>32
	s_setpc_b64 s[14:15]
.LBB2_7954:
	s_or_b64 exec, exec, s[6:7]
	s_and_saveexec_b64 s[6:7], s[4:5]
	s_cbranch_execz .LBB2_7956
.LBB2_7955:
	v_bfe_u32 v12, v6, 16, 3
	v_ffbh_u32_e32 v15, v12
	v_min_u32_e32 v15, 32, v15
	v_lshrrev_b32_e32 v13, 19, v6
	v_subrev_u32_e32 v16, 28, v15
	v_and_b32_e32 v13, 15, v13
	v_lshlrev_b32_sdwa v16, v16, v6 dst_sel:DWORD dst_unused:UNUSED_PAD src0_sel:DWORD src1_sel:WORD_1
	v_bfe_u32 v14, v6, 19, 4
	v_sub_u32_e32 v15, 29, v15
	v_and_b32_e32 v16, 7, v16
	v_cmp_eq_u16_e32 vcc, 0, v13
	v_cndmask_b32_e32 v12, v12, v16, vcc
	v_cndmask_b32_e32 v13, v14, v15, vcc
	v_lshlrev_b32_e32 v14, 8, v6
	v_mov_b32_e32 v15, 0x3b800000
	v_lshlrev_b32_e32 v12, 20, v12
	v_and_b32_e32 v14, 0x80000000, v14
	v_lshl_add_u32 v13, v13, 23, v15
	v_or3_b32 v12, v14, v13, v12
.LBB2_7956:
	s_or_b64 exec, exec, s[6:7]
	s_movk_i32 s4, 0xff
	v_and_b32_sdwa v13, v2, s4 dst_sel:DWORD dst_unused:UNUSED_PAD src0_sel:WORD_1 src1_sel:DWORD
	s_movk_i32 s4, 0x7f
	v_cmp_lt_i16_e32 vcc, s4, v13
	s_mov_b64 s[4:5], 0
                                        ; implicit-def: $sgpr10
	s_and_saveexec_b64 s[6:7], vcc
	s_xor_b64 s[6:7], exec, s[6:7]
	s_cbranch_execz .LBB2_7957
; %bb.43797:
	s_getpc_b64 s[14:15]
.Lpost_getpc25482:
	s_add_u32 s14, s14, (.LBB2_22293-.Lpost_getpc25482)&4294967295
	s_addc_u32 s15, s15, (.LBB2_22293-.Lpost_getpc25482)>>32
	s_setpc_b64 s[14:15]
.LBB2_7957:
	s_or_saveexec_b64 s[6:7], s[6:7]
	v_mov_b32_e32 v14, s10
	s_xor_b64 exec, exec, s[6:7]
	s_cbranch_execz .LBB2_7958
; %bb.43799:
	s_getpc_b64 s[14:15]
.Lpost_getpc25483:
	s_add_u32 s14, s14, (.LBB2_22296-.Lpost_getpc25483)&4294967295
	s_addc_u32 s15, s15, (.LBB2_22296-.Lpost_getpc25483)>>32
	s_setpc_b64 s[14:15]
.LBB2_7958:
	s_or_b64 exec, exec, s[6:7]
	s_and_saveexec_b64 s[6:7], s[4:5]
	s_cbranch_execz .LBB2_7960
.LBB2_7959:
	v_bfe_u32 v13, v2, 16, 3
	v_ffbh_u32_e32 v16, v13
	v_min_u32_e32 v16, 32, v16
	v_lshrrev_b32_e32 v14, 19, v2
	v_subrev_u32_e32 v17, 28, v16
	v_and_b32_e32 v14, 15, v14
	v_lshlrev_b32_sdwa v17, v17, v2 dst_sel:DWORD dst_unused:UNUSED_PAD src0_sel:DWORD src1_sel:WORD_1
	v_bfe_u32 v15, v2, 19, 4
	v_sub_u32_e32 v16, 29, v16
	v_and_b32_e32 v17, 7, v17
	v_cmp_eq_u16_e32 vcc, 0, v14
	v_cndmask_b32_e32 v13, v13, v17, vcc
	v_cndmask_b32_e32 v14, v15, v16, vcc
	v_lshlrev_b32_e32 v15, 8, v2
	v_mov_b32_e32 v16, 0x3b800000
	v_lshlrev_b32_e32 v13, 20, v13
	v_and_b32_e32 v15, 0x80000000, v15
	v_lshl_add_u32 v14, v14, 23, v16
	v_or3_b32 v14, v15, v14, v13
.LBB2_7960:
	s_or_b64 exec, exec, s[6:7]
	s_nop 0
	v_mfma_f32_16x16x4f32 a[0:3], v12, v14, a[0:3]
	s_movk_i32 s4, 0x7f
	v_cmp_gt_i16_sdwa s[6:7], v6, s4 src0_sel:BYTE_3 src1_sel:DWORD
	s_mov_b64 s[4:5], 0
                                        ; implicit-def: $sgpr10
	s_and_saveexec_b64 s[8:9], s[6:7]
	s_xor_b64 s[6:7], exec, s[8:9]
	s_cbranch_execz .LBB2_7961
; %bb.43801:
	s_getpc_b64 s[14:15]
.Lpost_getpc25484:
	s_add_u32 s14, s14, (.LBB2_22297-.Lpost_getpc25484)&4294967295
	s_addc_u32 s15, s15, (.LBB2_22297-.Lpost_getpc25484)>>32
	s_setpc_b64 s[14:15]
.LBB2_7961:
	s_or_saveexec_b64 s[6:7], s[6:7]
	v_mov_b32_e32 v12, s10
	s_xor_b64 exec, exec, s[6:7]
	s_cbranch_execz .LBB2_7962
; %bb.43803:
	s_getpc_b64 s[14:15]
.Lpost_getpc25485:
	s_add_u32 s14, s14, (.LBB2_22300-.Lpost_getpc25485)&4294967295
	s_addc_u32 s15, s15, (.LBB2_22300-.Lpost_getpc25485)>>32
	s_setpc_b64 s[14:15]
.LBB2_7962:
	s_or_b64 exec, exec, s[6:7]
	s_and_saveexec_b64 s[6:7], s[4:5]
	s_cbranch_execz .LBB2_7964
.LBB2_7963:
	v_bfe_u32 v12, v6, 24, 3
	v_ffbh_u32_e32 v16, v12
	v_min_u32_e32 v16, 32, v16
	v_lshrrev_b32_e32 v14, 27, v6
	v_subrev_u32_e32 v17, 28, v16
	v_and_b32_e32 v13, 0x80000000, v6
	v_and_b32_e32 v14, 15, v14
	v_bfe_u32 v15, v6, 27, 4
	v_lshlrev_b32_sdwa v6, v17, v6 dst_sel:DWORD dst_unused:UNUSED_PAD src0_sel:DWORD src1_sel:BYTE_3
	v_sub_u32_e32 v16, 29, v16
	v_and_b32_e32 v6, 7, v6
	v_cmp_eq_u16_e32 vcc, 0, v14
	v_cndmask_b32_e32 v6, v12, v6, vcc
	v_cndmask_b32_e32 v12, v15, v16, vcc
	v_mov_b32_e32 v14, 0x3b800000
	v_lshlrev_b32_e32 v6, 20, v6
	v_lshl_add_u32 v12, v12, 23, v14
	v_or3_b32 v12, v13, v12, v6
.LBB2_7964:
	s_or_b64 exec, exec, s[6:7]
	s_movk_i32 s4, 0x7f
	v_cmp_gt_i16_sdwa s[6:7], v2, s4 src0_sel:BYTE_3 src1_sel:DWORD
	s_mov_b64 s[4:5], 0
                                        ; implicit-def: $sgpr10
	s_and_saveexec_b64 s[8:9], s[6:7]
	s_xor_b64 s[6:7], exec, s[8:9]
	s_cbranch_execz .LBB2_7965
; %bb.43805:
	s_getpc_b64 s[14:15]
.Lpost_getpc25486:
	s_add_u32 s14, s14, (.LBB2_22301-.Lpost_getpc25486)&4294967295
	s_addc_u32 s15, s15, (.LBB2_22301-.Lpost_getpc25486)>>32
	s_setpc_b64 s[14:15]
.LBB2_7965:
	s_or_saveexec_b64 s[6:7], s[6:7]
	v_mov_b32_e32 v6, s10
	s_xor_b64 exec, exec, s[6:7]
	s_cbranch_execz .LBB2_7966
; %bb.43807:
	s_getpc_b64 s[14:15]
.Lpost_getpc25487:
	s_add_u32 s14, s14, (.LBB2_22304-.Lpost_getpc25487)&4294967295
	s_addc_u32 s15, s15, (.LBB2_22304-.Lpost_getpc25487)>>32
	s_setpc_b64 s[14:15]
.LBB2_7966:
	s_or_b64 exec, exec, s[6:7]
	s_and_saveexec_b64 s[6:7], s[4:5]
	s_cbranch_execz .LBB2_7968
.LBB2_7967:
	v_bfe_u32 v6, v2, 24, 3
	v_ffbh_u32_e32 v16, v6
	v_min_u32_e32 v16, 32, v16
	v_lshrrev_b32_e32 v14, 27, v2
	v_subrev_u32_e32 v17, 28, v16
	v_and_b32_e32 v13, 0x80000000, v2
	v_and_b32_e32 v14, 15, v14
	v_bfe_u32 v15, v2, 27, 4
	v_lshlrev_b32_sdwa v2, v17, v2 dst_sel:DWORD dst_unused:UNUSED_PAD src0_sel:DWORD src1_sel:BYTE_3
	v_sub_u32_e32 v16, 29, v16
	v_and_b32_e32 v2, 7, v2
	v_cmp_eq_u16_e32 vcc, 0, v14
	v_cndmask_b32_e32 v2, v6, v2, vcc
	v_cndmask_b32_e32 v6, v15, v16, vcc
	v_mov_b32_e32 v14, 0x3b800000
	v_lshlrev_b32_e32 v2, 20, v2
	v_lshl_add_u32 v6, v6, 23, v14
	v_or3_b32 v6, v13, v6, v2
.LBB2_7968:
	s_or_b64 exec, exec, s[6:7]
	s_nop 0
	v_mfma_f32_16x16x4f32 a[0:3], v12, v6, a[0:3]
	s_movk_i32 s4, 0x7f
	v_cmp_gt_i16_sdwa s[6:7], v7, s4 src0_sel:BYTE_0 src1_sel:DWORD
	s_mov_b64 s[4:5], 0
                                        ; implicit-def: $sgpr10
	s_and_saveexec_b64 s[8:9], s[6:7]
	s_xor_b64 s[6:7], exec, s[8:9]
	s_cbranch_execz .LBB2_7969
; %bb.43809:
	s_getpc_b64 s[14:15]
.Lpost_getpc25488:
	s_add_u32 s14, s14, (.LBB2_22305-.Lpost_getpc25488)&4294967295
	s_addc_u32 s15, s15, (.LBB2_22305-.Lpost_getpc25488)>>32
	s_setpc_b64 s[14:15]
.LBB2_7969:
	s_or_saveexec_b64 s[6:7], s[6:7]
	v_mov_b32_e32 v2, s10
	s_xor_b64 exec, exec, s[6:7]
	s_cbranch_execz .LBB2_7970
; %bb.43811:
	s_getpc_b64 s[14:15]
.Lpost_getpc25489:
	s_add_u32 s14, s14, (.LBB2_22308-.Lpost_getpc25489)&4294967295
	s_addc_u32 s15, s15, (.LBB2_22308-.Lpost_getpc25489)>>32
	s_setpc_b64 s[14:15]
.LBB2_7970:
	s_or_b64 exec, exec, s[6:7]
	s_and_saveexec_b64 s[6:7], s[4:5]
	s_cbranch_execz .LBB2_7972
.LBB2_7971:
	v_and_b32_e32 v2, 7, v7
	v_ffbh_u32_e32 v12, v2
	v_min_u32_e32 v12, 32, v12
	v_lshrrev_b16_e32 v6, 3, v7
	v_subrev_u32_e32 v13, 28, v12
	v_and_b32_e32 v6, 15, v6
	v_lshlrev_b32_e32 v13, v13, v7
	v_sub_u32_e32 v12, 29, v12
	v_and_b32_e32 v13, 7, v13
	v_cmp_eq_u16_e32 vcc, 0, v6
	v_cndmask_b32_e32 v2, v2, v13, vcc
	v_cndmask_b32_e32 v6, v6, v12, vcc
	v_lshlrev_b32_e32 v12, 24, v7
	v_mov_b32_e32 v13, 0x3b800000
	v_lshlrev_b32_e32 v2, 20, v2
	v_and_b32_e32 v12, 0x80000000, v12
	v_lshl_add_u32 v6, v6, 23, v13
	v_or3_b32 v2, v12, v6, v2
.LBB2_7972:
	s_or_b64 exec, exec, s[6:7]
	s_movk_i32 s4, 0x7f
	v_cmp_gt_i16_sdwa s[6:7], v3, s4 src0_sel:BYTE_0 src1_sel:DWORD
	s_mov_b64 s[4:5], 0
                                        ; implicit-def: $sgpr10
	s_and_saveexec_b64 s[8:9], s[6:7]
	s_xor_b64 s[6:7], exec, s[8:9]
	s_cbranch_execz .LBB2_7973
; %bb.43813:
	s_getpc_b64 s[14:15]
.Lpost_getpc25490:
	s_add_u32 s14, s14, (.LBB2_22309-.Lpost_getpc25490)&4294967295
	s_addc_u32 s15, s15, (.LBB2_22309-.Lpost_getpc25490)>>32
	s_setpc_b64 s[14:15]
.LBB2_7973:
	s_or_saveexec_b64 s[6:7], s[6:7]
	v_mov_b32_e32 v6, s10
	s_xor_b64 exec, exec, s[6:7]
	s_cbranch_execz .LBB2_7974
; %bb.43815:
	s_getpc_b64 s[14:15]
.Lpost_getpc25491:
	s_add_u32 s14, s14, (.LBB2_22312-.Lpost_getpc25491)&4294967295
	s_addc_u32 s15, s15, (.LBB2_22312-.Lpost_getpc25491)>>32
	s_setpc_b64 s[14:15]
.LBB2_7974:
	s_or_b64 exec, exec, s[6:7]
	s_and_saveexec_b64 s[6:7], s[4:5]
	s_cbranch_execz .LBB2_7976
.LBB2_7975:
	v_and_b32_e32 v6, 7, v3
	v_ffbh_u32_e32 v13, v6
	v_min_u32_e32 v13, 32, v13
	v_lshrrev_b16_e32 v12, 3, v3
	v_subrev_u32_e32 v14, 28, v13
	v_and_b32_e32 v12, 15, v12
	v_lshlrev_b32_e32 v14, v14, v3
	v_sub_u32_e32 v13, 29, v13
	v_and_b32_e32 v14, 7, v14
	v_cmp_eq_u16_e32 vcc, 0, v12
	v_cndmask_b32_e32 v6, v6, v14, vcc
	v_cndmask_b32_e32 v12, v12, v13, vcc
	v_lshlrev_b32_e32 v13, 24, v3
	v_mov_b32_e32 v14, 0x3b800000
	v_lshlrev_b32_e32 v6, 20, v6
	v_and_b32_e32 v13, 0x80000000, v13
	v_lshl_add_u32 v12, v12, 23, v14
	v_or3_b32 v6, v13, v12, v6
.LBB2_7976:
	s_or_b64 exec, exec, s[6:7]
	s_nop 0
	v_mfma_f32_16x16x4f32 a[0:3], v2, v6, a[0:3]
	v_lshrrev_b32_e32 v6, 8, v7
	s_movk_i32 s4, 0x7f
	v_cmp_gt_i16_sdwa s[6:7], v6, s4 src0_sel:BYTE_0 src1_sel:DWORD
	s_mov_b64 s[4:5], 0
                                        ; implicit-def: $sgpr10
	s_and_saveexec_b64 s[8:9], s[6:7]
	s_xor_b64 s[6:7], exec, s[8:9]
	s_cbranch_execz .LBB2_7977
; %bb.43817:
	s_getpc_b64 s[14:15]
.Lpost_getpc25492:
	s_add_u32 s14, s14, (.LBB2_22313-.Lpost_getpc25492)&4294967295
	s_addc_u32 s15, s15, (.LBB2_22313-.Lpost_getpc25492)>>32
	s_setpc_b64 s[14:15]
.LBB2_7977:
	s_or_saveexec_b64 s[6:7], s[6:7]
	v_mov_b32_e32 v2, s10
	s_xor_b64 exec, exec, s[6:7]
	s_cbranch_execz .LBB2_7978
; %bb.43819:
	s_getpc_b64 s[14:15]
.Lpost_getpc25493:
	s_add_u32 s14, s14, (.LBB2_22316-.Lpost_getpc25493)&4294967295
	s_addc_u32 s15, s15, (.LBB2_22316-.Lpost_getpc25493)>>32
	s_setpc_b64 s[14:15]
.LBB2_7978:
	s_or_b64 exec, exec, s[6:7]
	s_and_saveexec_b64 s[6:7], s[4:5]
	s_cbranch_execz .LBB2_7980
.LBB2_7979:
	v_bfe_u32 v2, v7, 8, 3
	v_ffbh_u32_e32 v13, v2
	v_min_u32_e32 v13, 32, v13
	v_lshrrev_b16_e32 v12, 3, v6
	v_subrev_u32_e32 v14, 28, v13
	v_and_b32_e32 v12, 15, v12
	v_lshlrev_b32_e32 v6, v14, v6
	v_sub_u32_e32 v13, 29, v13
	v_and_b32_e32 v6, 7, v6
	v_cmp_eq_u16_e32 vcc, 0, v12
	v_cndmask_b32_e32 v2, v2, v6, vcc
	v_cndmask_b32_e32 v6, v12, v13, vcc
	v_lshlrev_b32_e32 v12, 16, v7
	v_mov_b32_e32 v13, 0x3b800000
	v_lshlrev_b32_e32 v2, 20, v2
	v_and_b32_e32 v12, 0x80000000, v12
	v_lshl_add_u32 v6, v6, 23, v13
	v_or3_b32 v2, v12, v6, v2
.LBB2_7980:
	s_or_b64 exec, exec, s[6:7]
	v_lshrrev_b32_e32 v6, 8, v3
	s_movk_i32 s4, 0x7f
	v_cmp_gt_i16_sdwa s[6:7], v6, s4 src0_sel:BYTE_0 src1_sel:DWORD
	s_mov_b64 s[4:5], 0
                                        ; implicit-def: $sgpr10
	s_and_saveexec_b64 s[8:9], s[6:7]
	s_xor_b64 s[6:7], exec, s[8:9]
	s_cbranch_execz .LBB2_7981
; %bb.43821:
	s_getpc_b64 s[14:15]
.Lpost_getpc25494:
	s_add_u32 s14, s14, (.LBB2_22317-.Lpost_getpc25494)&4294967295
	s_addc_u32 s15, s15, (.LBB2_22317-.Lpost_getpc25494)>>32
	s_setpc_b64 s[14:15]
.LBB2_7981:
	s_or_saveexec_b64 s[6:7], s[6:7]
	v_mov_b32_e32 v12, s10
	s_xor_b64 exec, exec, s[6:7]
	s_cbranch_execz .LBB2_7982
; %bb.43823:
	s_getpc_b64 s[14:15]
.Lpost_getpc25495:
	s_add_u32 s14, s14, (.LBB2_22320-.Lpost_getpc25495)&4294967295
	s_addc_u32 s15, s15, (.LBB2_22320-.Lpost_getpc25495)>>32
	s_setpc_b64 s[14:15]
.LBB2_7982:
	s_or_b64 exec, exec, s[6:7]
	s_and_saveexec_b64 s[6:7], s[4:5]
	s_cbranch_execz .LBB2_7984
.LBB2_7983:
	v_bfe_u32 v12, v3, 8, 3
	v_ffbh_u32_e32 v14, v12
	v_min_u32_e32 v14, 32, v14
	v_lshrrev_b16_e32 v13, 3, v6
	v_subrev_u32_e32 v15, 28, v14
	v_and_b32_e32 v13, 15, v13
	v_lshlrev_b32_e32 v6, v15, v6
	v_sub_u32_e32 v14, 29, v14
	v_and_b32_e32 v6, 7, v6
	v_cmp_eq_u16_e32 vcc, 0, v13
	v_cndmask_b32_e32 v6, v12, v6, vcc
	v_cndmask_b32_e32 v12, v13, v14, vcc
	v_lshlrev_b32_e32 v13, 16, v3
	v_mov_b32_e32 v14, 0x3b800000
	v_lshlrev_b32_e32 v6, 20, v6
	v_and_b32_e32 v13, 0x80000000, v13
	v_lshl_add_u32 v12, v12, 23, v14
	v_or3_b32 v12, v13, v12, v6
.LBB2_7984:
	s_or_b64 exec, exec, s[6:7]
	s_nop 0
	v_mfma_f32_16x16x4f32 a[0:3], v2, v12, a[0:3]
	s_movk_i32 s4, 0xff
	v_and_b32_sdwa v6, v7, s4 dst_sel:DWORD dst_unused:UNUSED_PAD src0_sel:WORD_1 src1_sel:DWORD
	s_movk_i32 s4, 0x7f
	v_cmp_lt_i16_e32 vcc, s4, v6
	s_mov_b64 s[4:5], 0
                                        ; implicit-def: $sgpr10
	s_and_saveexec_b64 s[6:7], vcc
	s_xor_b64 s[6:7], exec, s[6:7]
	s_cbranch_execz .LBB2_7985
; %bb.43825:
	s_getpc_b64 s[14:15]
.Lpost_getpc25496:
	s_add_u32 s14, s14, (.LBB2_22321-.Lpost_getpc25496)&4294967295
	s_addc_u32 s15, s15, (.LBB2_22321-.Lpost_getpc25496)>>32
	s_setpc_b64 s[14:15]
.LBB2_7985:
	s_or_saveexec_b64 s[6:7], s[6:7]
	v_mov_b32_e32 v2, s10
	s_xor_b64 exec, exec, s[6:7]
	s_cbranch_execz .LBB2_7986
; %bb.43827:
	s_getpc_b64 s[14:15]
.Lpost_getpc25497:
	s_add_u32 s14, s14, (.LBB2_22324-.Lpost_getpc25497)&4294967295
	s_addc_u32 s15, s15, (.LBB2_22324-.Lpost_getpc25497)>>32
	s_setpc_b64 s[14:15]
.LBB2_7986:
	s_or_b64 exec, exec, s[6:7]
	s_and_saveexec_b64 s[6:7], s[4:5]
	s_cbranch_execz .LBB2_7988
.LBB2_7987:
	v_bfe_u32 v2, v7, 16, 3
	v_ffbh_u32_e32 v13, v2
	v_min_u32_e32 v13, 32, v13
	v_lshrrev_b32_e32 v6, 19, v7
	v_subrev_u32_e32 v14, 28, v13
	v_and_b32_e32 v6, 15, v6
	v_lshlrev_b32_sdwa v14, v14, v7 dst_sel:DWORD dst_unused:UNUSED_PAD src0_sel:DWORD src1_sel:WORD_1
	v_bfe_u32 v12, v7, 19, 4
	v_sub_u32_e32 v13, 29, v13
	v_and_b32_e32 v14, 7, v14
	v_cmp_eq_u16_e32 vcc, 0, v6
	v_cndmask_b32_e32 v2, v2, v14, vcc
	v_cndmask_b32_e32 v6, v12, v13, vcc
	v_lshlrev_b32_e32 v12, 8, v7
	v_mov_b32_e32 v13, 0x3b800000
	v_lshlrev_b32_e32 v2, 20, v2
	v_and_b32_e32 v12, 0x80000000, v12
	v_lshl_add_u32 v6, v6, 23, v13
	v_or3_b32 v2, v12, v6, v2
.LBB2_7988:
	s_or_b64 exec, exec, s[6:7]
	s_movk_i32 s4, 0xff
	v_and_b32_sdwa v6, v3, s4 dst_sel:DWORD dst_unused:UNUSED_PAD src0_sel:WORD_1 src1_sel:DWORD
	s_movk_i32 s4, 0x7f
	v_cmp_lt_i16_e32 vcc, s4, v6
	s_mov_b64 s[4:5], 0
                                        ; implicit-def: $sgpr10
	s_and_saveexec_b64 s[6:7], vcc
	s_xor_b64 s[6:7], exec, s[6:7]
	s_cbranch_execz .LBB2_7989
; %bb.43829:
	s_getpc_b64 s[14:15]
.Lpost_getpc25498:
	s_add_u32 s14, s14, (.LBB2_22325-.Lpost_getpc25498)&4294967295
	s_addc_u32 s15, s15, (.LBB2_22325-.Lpost_getpc25498)>>32
	s_setpc_b64 s[14:15]
.LBB2_7989:
	s_or_saveexec_b64 s[6:7], s[6:7]
	v_mov_b32_e32 v12, s10
	s_xor_b64 exec, exec, s[6:7]
	s_cbranch_execz .LBB2_7990
; %bb.43831:
	s_getpc_b64 s[14:15]
.Lpost_getpc25499:
	s_add_u32 s14, s14, (.LBB2_22328-.Lpost_getpc25499)&4294967295
	s_addc_u32 s15, s15, (.LBB2_22328-.Lpost_getpc25499)>>32
	s_setpc_b64 s[14:15]
.LBB2_7990:
	s_or_b64 exec, exec, s[6:7]
	s_and_saveexec_b64 s[6:7], s[4:5]
	s_cbranch_execz .LBB2_7992
.LBB2_7991:
	v_bfe_u32 v6, v3, 16, 3
	v_ffbh_u32_e32 v14, v6
	v_min_u32_e32 v14, 32, v14
	v_lshrrev_b32_e32 v12, 19, v3
	v_subrev_u32_e32 v15, 28, v14
	v_and_b32_e32 v12, 15, v12
	v_lshlrev_b32_sdwa v15, v15, v3 dst_sel:DWORD dst_unused:UNUSED_PAD src0_sel:DWORD src1_sel:WORD_1
	v_bfe_u32 v13, v3, 19, 4
	v_sub_u32_e32 v14, 29, v14
	v_and_b32_e32 v15, 7, v15
	v_cmp_eq_u16_e32 vcc, 0, v12
	v_cndmask_b32_e32 v6, v6, v15, vcc
	v_cndmask_b32_e32 v12, v13, v14, vcc
	v_lshlrev_b32_e32 v13, 8, v3
	v_mov_b32_e32 v14, 0x3b800000
	v_lshlrev_b32_e32 v6, 20, v6
	v_and_b32_e32 v13, 0x80000000, v13
	v_lshl_add_u32 v12, v12, 23, v14
	v_or3_b32 v12, v13, v12, v6
.LBB2_7992:
	s_or_b64 exec, exec, s[6:7]
	s_nop 0
	v_mfma_f32_16x16x4f32 a[0:3], v2, v12, a[0:3]
	s_movk_i32 s4, 0x7f
	v_cmp_gt_i16_sdwa s[6:7], v7, s4 src0_sel:BYTE_3 src1_sel:DWORD
	s_mov_b64 s[4:5], 0
                                        ; implicit-def: $sgpr10
	s_and_saveexec_b64 s[8:9], s[6:7]
	s_xor_b64 s[6:7], exec, s[8:9]
	s_cbranch_execz .LBB2_7993
; %bb.43833:
	s_getpc_b64 s[14:15]
.Lpost_getpc25500:
	s_add_u32 s14, s14, (.LBB2_22329-.Lpost_getpc25500)&4294967295
	s_addc_u32 s15, s15, (.LBB2_22329-.Lpost_getpc25500)>>32
	s_setpc_b64 s[14:15]
.LBB2_7993:
	s_or_saveexec_b64 s[6:7], s[6:7]
	v_mov_b32_e32 v2, s10
	s_xor_b64 exec, exec, s[6:7]
	s_cbranch_execz .LBB2_7994
; %bb.43835:
	s_getpc_b64 s[14:15]
.Lpost_getpc25501:
	s_add_u32 s14, s14, (.LBB2_22332-.Lpost_getpc25501)&4294967295
	s_addc_u32 s15, s15, (.LBB2_22332-.Lpost_getpc25501)>>32
	s_setpc_b64 s[14:15]
.LBB2_7994:
	s_or_b64 exec, exec, s[6:7]
	s_and_saveexec_b64 s[6:7], s[4:5]
	s_cbranch_execz .LBB2_7996
.LBB2_7995:
	v_bfe_u32 v2, v7, 24, 3
	v_ffbh_u32_e32 v14, v2
	v_min_u32_e32 v14, 32, v14
	v_lshrrev_b32_e32 v12, 27, v7
	v_subrev_u32_e32 v15, 28, v14
	v_and_b32_e32 v6, 0x80000000, v7
	v_and_b32_e32 v12, 15, v12
	v_bfe_u32 v13, v7, 27, 4
	v_lshlrev_b32_sdwa v7, v15, v7 dst_sel:DWORD dst_unused:UNUSED_PAD src0_sel:DWORD src1_sel:BYTE_3
	v_sub_u32_e32 v14, 29, v14
	v_and_b32_e32 v7, 7, v7
	v_cmp_eq_u16_e32 vcc, 0, v12
	v_cndmask_b32_e32 v2, v2, v7, vcc
	v_cndmask_b32_e32 v7, v13, v14, vcc
	v_mov_b32_e32 v12, 0x3b800000
	v_lshlrev_b32_e32 v2, 20, v2
	v_lshl_add_u32 v7, v7, 23, v12
	v_or3_b32 v2, v6, v7, v2
.LBB2_7996:
	s_or_b64 exec, exec, s[6:7]
	s_movk_i32 s4, 0x7f
	v_cmp_gt_i16_sdwa s[6:7], v3, s4 src0_sel:BYTE_3 src1_sel:DWORD
	s_mov_b64 s[4:5], 0
                                        ; implicit-def: $sgpr10
	s_and_saveexec_b64 s[8:9], s[6:7]
	s_xor_b64 s[6:7], exec, s[8:9]
	s_cbranch_execz .LBB2_7997
; %bb.43837:
	s_getpc_b64 s[14:15]
.Lpost_getpc25502:
	s_add_u32 s14, s14, (.LBB2_22333-.Lpost_getpc25502)&4294967295
	s_addc_u32 s15, s15, (.LBB2_22333-.Lpost_getpc25502)>>32
	s_setpc_b64 s[14:15]
.LBB2_7997:
	s_or_saveexec_b64 s[6:7], s[6:7]
	v_mov_b32_e32 v6, s10
	s_xor_b64 exec, exec, s[6:7]
	s_cbranch_execz .LBB2_7998
; %bb.43839:
	s_getpc_b64 s[14:15]
.Lpost_getpc25503:
	s_add_u32 s14, s14, (.LBB2_22336-.Lpost_getpc25503)&4294967295
	s_addc_u32 s15, s15, (.LBB2_22336-.Lpost_getpc25503)>>32
	s_setpc_b64 s[14:15]
.LBB2_7998:
	s_or_b64 exec, exec, s[6:7]
	s_and_saveexec_b64 s[6:7], s[4:5]
	s_cbranch_execz .LBB2_8000
.LBB2_7999:
	v_bfe_u32 v6, v3, 24, 3
	v_ffbh_u32_e32 v14, v6
	v_min_u32_e32 v14, 32, v14
	v_lshrrev_b32_e32 v12, 27, v3
	v_subrev_u32_e32 v15, 28, v14
	v_and_b32_e32 v7, 0x80000000, v3
	v_and_b32_e32 v12, 15, v12
	v_bfe_u32 v13, v3, 27, 4
	v_lshlrev_b32_sdwa v3, v15, v3 dst_sel:DWORD dst_unused:UNUSED_PAD src0_sel:DWORD src1_sel:BYTE_3
	v_sub_u32_e32 v14, 29, v14
	v_and_b32_e32 v3, 7, v3
	v_cmp_eq_u16_e32 vcc, 0, v12
	v_cndmask_b32_e32 v3, v6, v3, vcc
	v_cndmask_b32_e32 v6, v13, v14, vcc
	v_mov_b32_e32 v12, 0x3b800000
	v_lshlrev_b32_e32 v3, 20, v3
	v_lshl_add_u32 v6, v6, 23, v12
	v_or3_b32 v6, v7, v6, v3
.LBB2_8000:
	s_or_b64 exec, exec, s[6:7]
	s_nop 0
	v_mfma_f32_16x16x4f32 a[0:3], v2, v6, a[0:3]
	s_movk_i32 s4, 0x7f
	v_cmp_gt_i16_sdwa s[6:7], v8, s4 src0_sel:BYTE_0 src1_sel:DWORD
	s_mov_b64 s[4:5], 0
                                        ; implicit-def: $sgpr10
	s_and_saveexec_b64 s[8:9], s[6:7]
	s_xor_b64 s[6:7], exec, s[8:9]
	s_cbranch_execz .LBB2_8001
; %bb.43841:
	s_getpc_b64 s[14:15]
.Lpost_getpc25504:
	s_add_u32 s14, s14, (.LBB2_22337-.Lpost_getpc25504)&4294967295
	s_addc_u32 s15, s15, (.LBB2_22337-.Lpost_getpc25504)>>32
	s_setpc_b64 s[14:15]
.LBB2_8001:
	s_or_saveexec_b64 s[6:7], s[6:7]
	v_mov_b32_e32 v2, s10
	s_xor_b64 exec, exec, s[6:7]
	s_cbranch_execz .LBB2_8002
; %bb.43843:
	s_getpc_b64 s[14:15]
.Lpost_getpc25505:
	s_add_u32 s14, s14, (.LBB2_22340-.Lpost_getpc25505)&4294967295
	s_addc_u32 s15, s15, (.LBB2_22340-.Lpost_getpc25505)>>32
	s_setpc_b64 s[14:15]
.LBB2_8002:
	s_or_b64 exec, exec, s[6:7]
	s_and_saveexec_b64 s[6:7], s[4:5]
	s_cbranch_execz .LBB2_8004
.LBB2_8003:
	v_and_b32_e32 v2, 7, v8
	v_ffbh_u32_e32 v6, v2
	v_min_u32_e32 v6, 32, v6
	v_lshrrev_b16_e32 v3, 3, v8
	v_subrev_u32_e32 v7, 28, v6
	v_and_b32_e32 v3, 15, v3
	v_lshlrev_b32_e32 v7, v7, v8
	v_sub_u32_e32 v6, 29, v6
	v_and_b32_e32 v7, 7, v7
	v_cmp_eq_u16_e32 vcc, 0, v3
	v_cndmask_b32_e32 v2, v2, v7, vcc
	v_cndmask_b32_e32 v3, v3, v6, vcc
	v_lshlrev_b32_e32 v6, 24, v8
	v_mov_b32_e32 v7, 0x3b800000
	v_lshlrev_b32_e32 v2, 20, v2
	v_and_b32_e32 v6, 0x80000000, v6
	v_lshl_add_u32 v3, v3, 23, v7
	v_or3_b32 v2, v6, v3, v2
.LBB2_8004:
	s_or_b64 exec, exec, s[6:7]
	s_movk_i32 s4, 0x7f
	v_cmp_gt_i16_sdwa s[6:7], v4, s4 src0_sel:BYTE_0 src1_sel:DWORD
	s_mov_b64 s[4:5], 0
                                        ; implicit-def: $sgpr10
	s_and_saveexec_b64 s[8:9], s[6:7]
	s_xor_b64 s[6:7], exec, s[8:9]
	s_cbranch_execz .LBB2_8005
; %bb.43845:
	s_getpc_b64 s[14:15]
.Lpost_getpc25506:
	s_add_u32 s14, s14, (.LBB2_22341-.Lpost_getpc25506)&4294967295
	s_addc_u32 s15, s15, (.LBB2_22341-.Lpost_getpc25506)>>32
	s_setpc_b64 s[14:15]
.LBB2_8005:
	s_or_saveexec_b64 s[6:7], s[6:7]
	v_mov_b32_e32 v3, s10
	s_xor_b64 exec, exec, s[6:7]
	s_cbranch_execz .LBB2_8006
; %bb.43847:
	s_getpc_b64 s[14:15]
.Lpost_getpc25507:
	s_add_u32 s14, s14, (.LBB2_22344-.Lpost_getpc25507)&4294967295
	s_addc_u32 s15, s15, (.LBB2_22344-.Lpost_getpc25507)>>32
	s_setpc_b64 s[14:15]
.LBB2_8006:
	s_or_b64 exec, exec, s[6:7]
	s_and_saveexec_b64 s[6:7], s[4:5]
	s_cbranch_execz .LBB2_8008
.LBB2_8007:
	v_and_b32_e32 v3, 7, v4
	v_ffbh_u32_e32 v7, v3
	v_min_u32_e32 v7, 32, v7
	v_lshrrev_b16_e32 v6, 3, v4
	v_subrev_u32_e32 v12, 28, v7
	v_and_b32_e32 v6, 15, v6
	v_lshlrev_b32_e32 v12, v12, v4
	v_sub_u32_e32 v7, 29, v7
	v_and_b32_e32 v12, 7, v12
	v_cmp_eq_u16_e32 vcc, 0, v6
	v_cndmask_b32_e32 v3, v3, v12, vcc
	v_cndmask_b32_e32 v6, v6, v7, vcc
	v_lshlrev_b32_e32 v7, 24, v4
	v_mov_b32_e32 v12, 0x3b800000
	v_lshlrev_b32_e32 v3, 20, v3
	v_and_b32_e32 v7, 0x80000000, v7
	v_lshl_add_u32 v6, v6, 23, v12
	v_or3_b32 v3, v7, v6, v3
.LBB2_8008:
	s_or_b64 exec, exec, s[6:7]
	s_nop 0
	v_mfma_f32_16x16x4f32 a[0:3], v2, v3, a[0:3]
	v_lshrrev_b32_e32 v3, 8, v8
	s_movk_i32 s4, 0x7f
	v_cmp_gt_i16_sdwa s[6:7], v3, s4 src0_sel:BYTE_0 src1_sel:DWORD
	s_mov_b64 s[4:5], 0
                                        ; implicit-def: $sgpr10
	s_and_saveexec_b64 s[8:9], s[6:7]
	s_xor_b64 s[6:7], exec, s[8:9]
	s_cbranch_execz .LBB2_8009
; %bb.43849:
	s_getpc_b64 s[14:15]
.Lpost_getpc25508:
	s_add_u32 s14, s14, (.LBB2_22345-.Lpost_getpc25508)&4294967295
	s_addc_u32 s15, s15, (.LBB2_22345-.Lpost_getpc25508)>>32
	s_setpc_b64 s[14:15]
.LBB2_8009:
	s_or_saveexec_b64 s[6:7], s[6:7]
	v_mov_b32_e32 v2, s10
	s_xor_b64 exec, exec, s[6:7]
	s_cbranch_execz .LBB2_8010
; %bb.43851:
	s_getpc_b64 s[14:15]
.Lpost_getpc25509:
	s_add_u32 s14, s14, (.LBB2_22348-.Lpost_getpc25509)&4294967295
	s_addc_u32 s15, s15, (.LBB2_22348-.Lpost_getpc25509)>>32
	s_setpc_b64 s[14:15]
.LBB2_8010:
	s_or_b64 exec, exec, s[6:7]
	s_and_saveexec_b64 s[6:7], s[4:5]
	s_cbranch_execz .LBB2_8012
.LBB2_8011:
	v_bfe_u32 v2, v8, 8, 3
	v_ffbh_u32_e32 v7, v2
	v_min_u32_e32 v7, 32, v7
	v_lshrrev_b16_e32 v6, 3, v3
	v_subrev_u32_e32 v12, 28, v7
	v_and_b32_e32 v6, 15, v6
	v_lshlrev_b32_e32 v3, v12, v3
	v_sub_u32_e32 v7, 29, v7
	v_and_b32_e32 v3, 7, v3
	v_cmp_eq_u16_e32 vcc, 0, v6
	v_cndmask_b32_e32 v2, v2, v3, vcc
	v_cndmask_b32_e32 v3, v6, v7, vcc
	v_lshlrev_b32_e32 v6, 16, v8
	v_mov_b32_e32 v7, 0x3b800000
	v_lshlrev_b32_e32 v2, 20, v2
	v_and_b32_e32 v6, 0x80000000, v6
	v_lshl_add_u32 v3, v3, 23, v7
	v_or3_b32 v2, v6, v3, v2
.LBB2_8012:
	s_or_b64 exec, exec, s[6:7]
	v_lshrrev_b32_e32 v3, 8, v4
	s_movk_i32 s4, 0x7f
	v_cmp_gt_i16_sdwa s[6:7], v3, s4 src0_sel:BYTE_0 src1_sel:DWORD
	s_mov_b64 s[4:5], 0
                                        ; implicit-def: $sgpr10
	s_and_saveexec_b64 s[8:9], s[6:7]
	s_xor_b64 s[6:7], exec, s[8:9]
	s_cbranch_execz .LBB2_8013
; %bb.43853:
	s_getpc_b64 s[14:15]
.Lpost_getpc25510:
	s_add_u32 s14, s14, (.LBB2_22349-.Lpost_getpc25510)&4294967295
	s_addc_u32 s15, s15, (.LBB2_22349-.Lpost_getpc25510)>>32
	s_setpc_b64 s[14:15]
.LBB2_8013:
	s_or_saveexec_b64 s[6:7], s[6:7]
	v_mov_b32_e32 v6, s10
	s_xor_b64 exec, exec, s[6:7]
	s_cbranch_execz .LBB2_8014
; %bb.43855:
	s_getpc_b64 s[14:15]
.Lpost_getpc25511:
	s_add_u32 s14, s14, (.LBB2_22352-.Lpost_getpc25511)&4294967295
	s_addc_u32 s15, s15, (.LBB2_22352-.Lpost_getpc25511)>>32
	s_setpc_b64 s[14:15]
.LBB2_8014:
	s_or_b64 exec, exec, s[6:7]
	s_and_saveexec_b64 s[6:7], s[4:5]
	s_cbranch_execz .LBB2_8016
.LBB2_8015:
	v_bfe_u32 v6, v4, 8, 3
	v_ffbh_u32_e32 v12, v6
	v_min_u32_e32 v12, 32, v12
	v_lshrrev_b16_e32 v7, 3, v3
	v_subrev_u32_e32 v13, 28, v12
	v_and_b32_e32 v7, 15, v7
	v_lshlrev_b32_e32 v3, v13, v3
	v_sub_u32_e32 v12, 29, v12
	v_and_b32_e32 v3, 7, v3
	v_cmp_eq_u16_e32 vcc, 0, v7
	v_cndmask_b32_e32 v3, v6, v3, vcc
	v_cndmask_b32_e32 v6, v7, v12, vcc
	v_lshlrev_b32_e32 v7, 16, v4
	v_mov_b32_e32 v12, 0x3b800000
	v_lshlrev_b32_e32 v3, 20, v3
	v_and_b32_e32 v7, 0x80000000, v7
	v_lshl_add_u32 v6, v6, 23, v12
	v_or3_b32 v6, v7, v6, v3
.LBB2_8016:
	s_or_b64 exec, exec, s[6:7]
	s_nop 0
	v_mfma_f32_16x16x4f32 a[0:3], v2, v6, a[0:3]
	s_movk_i32 s4, 0xff
	v_and_b32_sdwa v3, v8, s4 dst_sel:DWORD dst_unused:UNUSED_PAD src0_sel:WORD_1 src1_sel:DWORD
	s_movk_i32 s4, 0x7f
	v_cmp_lt_i16_e32 vcc, s4, v3
	s_mov_b64 s[4:5], 0
                                        ; implicit-def: $sgpr10
	s_and_saveexec_b64 s[6:7], vcc
	s_xor_b64 s[6:7], exec, s[6:7]
	s_cbranch_execz .LBB2_8017
; %bb.43857:
	s_getpc_b64 s[14:15]
.Lpost_getpc25512:
	s_add_u32 s14, s14, (.LBB2_22353-.Lpost_getpc25512)&4294967295
	s_addc_u32 s15, s15, (.LBB2_22353-.Lpost_getpc25512)>>32
	s_setpc_b64 s[14:15]
.LBB2_8017:
	s_or_saveexec_b64 s[6:7], s[6:7]
	v_mov_b32_e32 v2, s10
	s_xor_b64 exec, exec, s[6:7]
	s_cbranch_execz .LBB2_8018
; %bb.43859:
	s_getpc_b64 s[14:15]
.Lpost_getpc25513:
	s_add_u32 s14, s14, (.LBB2_22356-.Lpost_getpc25513)&4294967295
	s_addc_u32 s15, s15, (.LBB2_22356-.Lpost_getpc25513)>>32
	s_setpc_b64 s[14:15]
.LBB2_8018:
	s_or_b64 exec, exec, s[6:7]
	s_and_saveexec_b64 s[6:7], s[4:5]
	s_cbranch_execz .LBB2_8020
.LBB2_8019:
	v_bfe_u32 v2, v8, 16, 3
	v_ffbh_u32_e32 v7, v2
	v_min_u32_e32 v7, 32, v7
	v_lshrrev_b32_e32 v3, 19, v8
	v_subrev_u32_e32 v12, 28, v7
	v_and_b32_e32 v3, 15, v3
	v_lshlrev_b32_sdwa v12, v12, v8 dst_sel:DWORD dst_unused:UNUSED_PAD src0_sel:DWORD src1_sel:WORD_1
	v_bfe_u32 v6, v8, 19, 4
	v_sub_u32_e32 v7, 29, v7
	v_and_b32_e32 v12, 7, v12
	v_cmp_eq_u16_e32 vcc, 0, v3
	v_cndmask_b32_e32 v2, v2, v12, vcc
	v_cndmask_b32_e32 v3, v6, v7, vcc
	v_lshlrev_b32_e32 v6, 8, v8
	v_mov_b32_e32 v7, 0x3b800000
	v_lshlrev_b32_e32 v2, 20, v2
	v_and_b32_e32 v6, 0x80000000, v6
	v_lshl_add_u32 v3, v3, 23, v7
	v_or3_b32 v2, v6, v3, v2
.LBB2_8020:
	s_or_b64 exec, exec, s[6:7]
	s_movk_i32 s4, 0xff
	v_and_b32_sdwa v3, v4, s4 dst_sel:DWORD dst_unused:UNUSED_PAD src0_sel:WORD_1 src1_sel:DWORD
	s_movk_i32 s4, 0x7f
	v_cmp_lt_i16_e32 vcc, s4, v3
	s_mov_b64 s[4:5], 0
                                        ; implicit-def: $sgpr10
	s_and_saveexec_b64 s[6:7], vcc
	s_xor_b64 s[6:7], exec, s[6:7]
	s_cbranch_execz .LBB2_8021
; %bb.43861:
	s_getpc_b64 s[14:15]
.Lpost_getpc25514:
	s_add_u32 s14, s14, (.LBB2_22357-.Lpost_getpc25514)&4294967295
	s_addc_u32 s15, s15, (.LBB2_22357-.Lpost_getpc25514)>>32
	s_setpc_b64 s[14:15]
.LBB2_8021:
	s_or_saveexec_b64 s[6:7], s[6:7]
	v_mov_b32_e32 v6, s10
	s_xor_b64 exec, exec, s[6:7]
	s_cbranch_execz .LBB2_8022
; %bb.43863:
	s_getpc_b64 s[14:15]
.Lpost_getpc25515:
	s_add_u32 s14, s14, (.LBB2_22360-.Lpost_getpc25515)&4294967295
	s_addc_u32 s15, s15, (.LBB2_22360-.Lpost_getpc25515)>>32
	s_setpc_b64 s[14:15]
.LBB2_8022:
	s_or_b64 exec, exec, s[6:7]
	s_and_saveexec_b64 s[6:7], s[4:5]
	s_cbranch_execz .LBB2_8024
.LBB2_8023:
	v_bfe_u32 v3, v4, 16, 3
	v_ffbh_u32_e32 v12, v3
	v_min_u32_e32 v12, 32, v12
	v_lshrrev_b32_e32 v6, 19, v4
	v_subrev_u32_e32 v13, 28, v12
	v_and_b32_e32 v6, 15, v6
	v_lshlrev_b32_sdwa v13, v13, v4 dst_sel:DWORD dst_unused:UNUSED_PAD src0_sel:DWORD src1_sel:WORD_1
	v_bfe_u32 v7, v4, 19, 4
	v_sub_u32_e32 v12, 29, v12
	v_and_b32_e32 v13, 7, v13
	v_cmp_eq_u16_e32 vcc, 0, v6
	v_cndmask_b32_e32 v3, v3, v13, vcc
	v_cndmask_b32_e32 v6, v7, v12, vcc
	v_lshlrev_b32_e32 v7, 8, v4
	v_mov_b32_e32 v12, 0x3b800000
	v_lshlrev_b32_e32 v3, 20, v3
	v_and_b32_e32 v7, 0x80000000, v7
	v_lshl_add_u32 v6, v6, 23, v12
	v_or3_b32 v6, v7, v6, v3
.LBB2_8024:
	s_or_b64 exec, exec, s[6:7]
	s_nop 0
	v_mfma_f32_16x16x4f32 a[0:3], v2, v6, a[0:3]
	s_movk_i32 s4, 0x7f
	v_cmp_gt_i16_sdwa s[6:7], v8, s4 src0_sel:BYTE_3 src1_sel:DWORD
	s_mov_b64 s[4:5], 0
                                        ; implicit-def: $sgpr10
	s_and_saveexec_b64 s[8:9], s[6:7]
	s_xor_b64 s[6:7], exec, s[8:9]
	s_cbranch_execz .LBB2_8025
; %bb.43865:
	s_getpc_b64 s[14:15]
.Lpost_getpc25516:
	s_add_u32 s14, s14, (.LBB2_22361-.Lpost_getpc25516)&4294967295
	s_addc_u32 s15, s15, (.LBB2_22361-.Lpost_getpc25516)>>32
	s_setpc_b64 s[14:15]
.LBB2_8025:
	s_or_saveexec_b64 s[6:7], s[6:7]
	v_mov_b32_e32 v2, s10
	s_xor_b64 exec, exec, s[6:7]
	s_cbranch_execz .LBB2_8026
; %bb.43867:
	s_getpc_b64 s[14:15]
.Lpost_getpc25517:
	s_add_u32 s14, s14, (.LBB2_22364-.Lpost_getpc25517)&4294967295
	s_addc_u32 s15, s15, (.LBB2_22364-.Lpost_getpc25517)>>32
	s_setpc_b64 s[14:15]
.LBB2_8026:
	s_or_b64 exec, exec, s[6:7]
	s_and_saveexec_b64 s[6:7], s[4:5]
	s_cbranch_execz .LBB2_8028
.LBB2_8027:
	v_bfe_u32 v2, v8, 24, 3
	v_ffbh_u32_e32 v12, v2
	v_min_u32_e32 v12, 32, v12
	v_lshrrev_b32_e32 v6, 27, v8
	v_subrev_u32_e32 v13, 28, v12
	v_and_b32_e32 v3, 0x80000000, v8
	v_and_b32_e32 v6, 15, v6
	v_bfe_u32 v7, v8, 27, 4
	v_lshlrev_b32_sdwa v8, v13, v8 dst_sel:DWORD dst_unused:UNUSED_PAD src0_sel:DWORD src1_sel:BYTE_3
	v_sub_u32_e32 v12, 29, v12
	v_and_b32_e32 v8, 7, v8
	v_cmp_eq_u16_e32 vcc, 0, v6
	v_cndmask_b32_e32 v2, v2, v8, vcc
	v_cndmask_b32_e32 v6, v7, v12, vcc
	v_mov_b32_e32 v7, 0x3b800000
	v_lshlrev_b32_e32 v2, 20, v2
	v_lshl_add_u32 v6, v6, 23, v7
	v_or3_b32 v2, v3, v6, v2
.LBB2_8028:
	s_or_b64 exec, exec, s[6:7]
	s_movk_i32 s4, 0x7f
	v_cmp_gt_i16_sdwa s[6:7], v4, s4 src0_sel:BYTE_3 src1_sel:DWORD
	s_mov_b64 s[4:5], 0
                                        ; implicit-def: $sgpr10
	s_and_saveexec_b64 s[8:9], s[6:7]
	s_xor_b64 s[6:7], exec, s[8:9]
	s_cbranch_execz .LBB2_8029
; %bb.43869:
	s_getpc_b64 s[14:15]
.Lpost_getpc25518:
	s_add_u32 s14, s14, (.LBB2_22365-.Lpost_getpc25518)&4294967295
	s_addc_u32 s15, s15, (.LBB2_22365-.Lpost_getpc25518)>>32
	s_setpc_b64 s[14:15]
.LBB2_8029:
	s_or_saveexec_b64 s[6:7], s[6:7]
	v_mov_b32_e32 v3, s10
	s_xor_b64 exec, exec, s[6:7]
	s_cbranch_execz .LBB2_8030
; %bb.43871:
	s_getpc_b64 s[14:15]
.Lpost_getpc25519:
	s_add_u32 s14, s14, (.LBB2_22368-.Lpost_getpc25519)&4294967295
	s_addc_u32 s15, s15, (.LBB2_22368-.Lpost_getpc25519)>>32
	s_setpc_b64 s[14:15]
.LBB2_8030:
	s_or_b64 exec, exec, s[6:7]
	s_and_saveexec_b64 s[6:7], s[4:5]
	s_cbranch_execz .LBB2_8032
.LBB2_8031:
	v_bfe_u32 v3, v4, 24, 3
	v_ffbh_u32_e32 v12, v3
	v_min_u32_e32 v12, 32, v12
	v_lshrrev_b32_e32 v7, 27, v4
	v_subrev_u32_e32 v13, 28, v12
	v_and_b32_e32 v6, 0x80000000, v4
	v_and_b32_e32 v7, 15, v7
	v_bfe_u32 v8, v4, 27, 4
	v_lshlrev_b32_sdwa v4, v13, v4 dst_sel:DWORD dst_unused:UNUSED_PAD src0_sel:DWORD src1_sel:BYTE_3
	v_sub_u32_e32 v12, 29, v12
	v_and_b32_e32 v4, 7, v4
	v_cmp_eq_u16_e32 vcc, 0, v7
	v_cndmask_b32_e32 v3, v3, v4, vcc
	v_cndmask_b32_e32 v4, v8, v12, vcc
	v_mov_b32_e32 v7, 0x3b800000
	v_lshlrev_b32_e32 v3, 20, v3
	v_lshl_add_u32 v4, v4, 23, v7
	v_or3_b32 v3, v6, v4, v3
.LBB2_8032:
	s_or_b64 exec, exec, s[6:7]
	s_nop 0
	v_mfma_f32_16x16x4f32 a[0:3], v2, v3, a[0:3]
	s_movk_i32 s4, 0x7f
	v_cmp_gt_i16_sdwa s[6:7], v9, s4 src0_sel:BYTE_0 src1_sel:DWORD
	s_mov_b64 s[4:5], 0
                                        ; implicit-def: $sgpr10
	s_and_saveexec_b64 s[8:9], s[6:7]
	s_xor_b64 s[6:7], exec, s[8:9]
	s_cbranch_execz .LBB2_8033
; %bb.43873:
	s_getpc_b64 s[14:15]
.Lpost_getpc25520:
	s_add_u32 s14, s14, (.LBB2_22369-.Lpost_getpc25520)&4294967295
	s_addc_u32 s15, s15, (.LBB2_22369-.Lpost_getpc25520)>>32
	s_setpc_b64 s[14:15]
.LBB2_8033:
	s_or_saveexec_b64 s[6:7], s[6:7]
	v_mov_b32_e32 v2, s10
	s_xor_b64 exec, exec, s[6:7]
	s_cbranch_execz .LBB2_8034
; %bb.43875:
	s_getpc_b64 s[14:15]
.Lpost_getpc25521:
	s_add_u32 s14, s14, (.LBB2_22372-.Lpost_getpc25521)&4294967295
	s_addc_u32 s15, s15, (.LBB2_22372-.Lpost_getpc25521)>>32
	s_setpc_b64 s[14:15]
.LBB2_8034:
	s_or_b64 exec, exec, s[6:7]
	s_and_saveexec_b64 s[6:7], s[4:5]
	s_cbranch_execz .LBB2_8036
.LBB2_8035:
	v_mov_b32_e32 v2, 8
	v_and_b32_e32 v3, 7, v9
	v_lshrrev_b32_sdwa v2, v2, v9 dst_sel:BYTE_1 dst_unused:UNUSED_PAD src0_sel:DWORD src1_sel:DWORD
	v_ffbh_u32_e32 v4, v3
	v_or_b32_sdwa v2, v9, v2 dst_sel:DWORD dst_unused:UNUSED_PAD src0_sel:BYTE_0 src1_sel:DWORD
	v_min_u32_e32 v4, 32, v4
	v_lshrrev_b16_e32 v2, 3, v2
	v_subrev_u32_e32 v6, 28, v4
	v_and_b32_e32 v2, 15, v2
	v_lshlrev_b32_e32 v6, v6, v9
	v_sub_u32_e32 v4, 29, v4
	v_and_b32_e32 v6, 7, v6
	v_cmp_eq_u16_e32 vcc, 0, v2
	v_cndmask_b32_e32 v3, v3, v6, vcc
	v_cndmask_b32_e32 v2, v2, v4, vcc
	v_lshlrev_b32_e32 v4, 24, v9
	v_mov_b32_e32 v6, 0x3b800000
	v_lshlrev_b32_e32 v3, 20, v3
	v_and_b32_e32 v4, 0x80000000, v4
	v_lshl_add_u32 v2, v2, 23, v6
	v_or3_b32 v2, v4, v2, v3
.LBB2_8036:
	s_or_b64 exec, exec, s[6:7]
	s_movk_i32 s4, 0x7f
	v_cmp_gt_i16_sdwa s[6:7], v5, s4 src0_sel:BYTE_0 src1_sel:DWORD
	s_mov_b64 s[4:5], 0
                                        ; implicit-def: $sgpr10
	s_and_saveexec_b64 s[8:9], s[6:7]
	s_xor_b64 s[6:7], exec, s[8:9]
	s_cbranch_execz .LBB2_8037
; %bb.43877:
	s_getpc_b64 s[14:15]
.Lpost_getpc25522:
	s_add_u32 s14, s14, (.LBB2_22373-.Lpost_getpc25522)&4294967295
	s_addc_u32 s15, s15, (.LBB2_22373-.Lpost_getpc25522)>>32
	s_setpc_b64 s[14:15]
.LBB2_8037:
	s_or_saveexec_b64 s[6:7], s[6:7]
	v_mov_b32_e32 v3, s10
	s_xor_b64 exec, exec, s[6:7]
	s_cbranch_execz .LBB2_8038
; %bb.43879:
	s_getpc_b64 s[14:15]
.Lpost_getpc25523:
	s_add_u32 s14, s14, (.LBB2_22376-.Lpost_getpc25523)&4294967295
	s_addc_u32 s15, s15, (.LBB2_22376-.Lpost_getpc25523)>>32
	s_setpc_b64 s[14:15]
.LBB2_8038:
	s_or_b64 exec, exec, s[6:7]
	s_and_saveexec_b64 s[6:7], s[4:5]
	s_cbranch_execz .LBB2_8040
.LBB2_8039:
	v_mov_b32_e32 v3, 8
	v_and_b32_e32 v4, 7, v5
	v_lshrrev_b32_sdwa v3, v3, v5 dst_sel:BYTE_1 dst_unused:UNUSED_PAD src0_sel:DWORD src1_sel:DWORD
	v_ffbh_u32_e32 v6, v4
	v_or_b32_sdwa v3, v5, v3 dst_sel:DWORD dst_unused:UNUSED_PAD src0_sel:BYTE_0 src1_sel:DWORD
	v_min_u32_e32 v6, 32, v6
	v_lshrrev_b16_e32 v3, 3, v3
	v_subrev_u32_e32 v7, 28, v6
	v_and_b32_e32 v3, 15, v3
	v_lshlrev_b32_e32 v7, v7, v5
	v_sub_u32_e32 v6, 29, v6
	v_and_b32_e32 v7, 7, v7
	v_cmp_eq_u16_e32 vcc, 0, v3
	v_cndmask_b32_e32 v4, v4, v7, vcc
	v_cndmask_b32_e32 v3, v3, v6, vcc
	v_lshlrev_b32_e32 v6, 24, v5
	v_mov_b32_e32 v7, 0x3b800000
	v_lshlrev_b32_e32 v4, 20, v4
	v_and_b32_e32 v6, 0x80000000, v6
	v_lshl_add_u32 v3, v3, 23, v7
	v_or3_b32 v3, v6, v3, v4
.LBB2_8040:
	s_or_b64 exec, exec, s[6:7]
	s_nop 0
	v_mfma_f32_16x16x4f32 a[0:3], v2, v3, a[0:3]
	v_lshrrev_b32_e32 v3, 8, v9
	s_movk_i32 s4, 0x7f
	v_cmp_gt_i16_sdwa s[6:7], v3, s4 src0_sel:BYTE_0 src1_sel:DWORD
	s_mov_b64 s[4:5], 0
                                        ; implicit-def: $sgpr10
	s_and_saveexec_b64 s[8:9], s[6:7]
	s_xor_b64 s[6:7], exec, s[8:9]
	s_cbranch_execz .LBB2_8041
; %bb.43881:
	s_getpc_b64 s[14:15]
.Lpost_getpc25524:
	s_add_u32 s14, s14, (.LBB2_22377-.Lpost_getpc25524)&4294967295
	s_addc_u32 s15, s15, (.LBB2_22377-.Lpost_getpc25524)>>32
	s_setpc_b64 s[14:15]
.LBB2_8041:
	s_or_saveexec_b64 s[6:7], s[6:7]
	v_mov_b32_e32 v2, s10
	s_xor_b64 exec, exec, s[6:7]
	s_cbranch_execz .LBB2_8042
; %bb.43883:
	s_getpc_b64 s[14:15]
.Lpost_getpc25525:
	s_add_u32 s14, s14, (.LBB2_22380-.Lpost_getpc25525)&4294967295
	s_addc_u32 s15, s15, (.LBB2_22380-.Lpost_getpc25525)>>32
	s_setpc_b64 s[14:15]
.LBB2_8042:
	s_or_b64 exec, exec, s[6:7]
	s_and_saveexec_b64 s[6:7], s[4:5]
	s_cbranch_execz .LBB2_8044
.LBB2_8043:
	v_bfe_u32 v2, v9, 8, 3
	v_ffbh_u32_e32 v6, v2
	v_min_u32_e32 v6, 32, v6
	v_lshrrev_b16_e32 v4, 3, v3
	v_subrev_u32_e32 v7, 28, v6
	v_and_b32_e32 v4, 15, v4
	v_lshlrev_b32_e32 v3, v7, v3
	v_sub_u32_e32 v6, 29, v6
	v_and_b32_e32 v3, 7, v3
	v_cmp_eq_u16_e32 vcc, 0, v4
	v_cndmask_b32_e32 v2, v2, v3, vcc
	v_cndmask_b32_e32 v3, v4, v6, vcc
	v_lshlrev_b32_e32 v4, 16, v9
	v_mov_b32_e32 v6, 0x3b800000
	v_lshlrev_b32_e32 v2, 20, v2
	v_and_b32_e32 v4, 0x80000000, v4
	v_lshl_add_u32 v3, v3, 23, v6
	v_or3_b32 v2, v4, v3, v2
.LBB2_8044:
	s_or_b64 exec, exec, s[6:7]
	v_lshrrev_b32_e32 v3, 8, v5
	s_movk_i32 s4, 0x7f
	v_cmp_gt_i16_sdwa s[6:7], v3, s4 src0_sel:BYTE_0 src1_sel:DWORD
	s_mov_b64 s[4:5], 0
                                        ; implicit-def: $sgpr10
	s_and_saveexec_b64 s[8:9], s[6:7]
	s_xor_b64 s[6:7], exec, s[8:9]
	s_cbranch_execz .LBB2_8045
; %bb.43885:
	s_getpc_b64 s[14:15]
.Lpost_getpc25526:
	s_add_u32 s14, s14, (.LBB2_22381-.Lpost_getpc25526)&4294967295
	s_addc_u32 s15, s15, (.LBB2_22381-.Lpost_getpc25526)>>32
	s_setpc_b64 s[14:15]
.LBB2_8045:
	s_or_saveexec_b64 s[6:7], s[6:7]
	v_mov_b32_e32 v4, s10
	s_xor_b64 exec, exec, s[6:7]
	s_cbranch_execz .LBB2_8046
; %bb.43887:
	s_getpc_b64 s[14:15]
.Lpost_getpc25527:
	s_add_u32 s14, s14, (.LBB2_22384-.Lpost_getpc25527)&4294967295
	s_addc_u32 s15, s15, (.LBB2_22384-.Lpost_getpc25527)>>32
	s_setpc_b64 s[14:15]
.LBB2_8046:
	s_or_b64 exec, exec, s[6:7]
	s_and_saveexec_b64 s[6:7], s[4:5]
	s_cbranch_execz .LBB2_8048
.LBB2_8047:
	v_bfe_u32 v4, v5, 8, 3
	v_ffbh_u32_e32 v7, v4
	v_min_u32_e32 v7, 32, v7
	v_lshrrev_b16_e32 v6, 3, v3
	v_subrev_u32_e32 v8, 28, v7
	v_and_b32_e32 v6, 15, v6
	v_lshlrev_b32_e32 v3, v8, v3
	v_sub_u32_e32 v7, 29, v7
	v_and_b32_e32 v3, 7, v3
	v_cmp_eq_u16_e32 vcc, 0, v6
	v_cndmask_b32_e32 v3, v4, v3, vcc
	v_cndmask_b32_e32 v4, v6, v7, vcc
	v_lshlrev_b32_e32 v6, 16, v5
	v_mov_b32_e32 v7, 0x3b800000
	v_lshlrev_b32_e32 v3, 20, v3
	v_and_b32_e32 v6, 0x80000000, v6
	v_lshl_add_u32 v4, v4, 23, v7
	v_or3_b32 v4, v6, v4, v3
.LBB2_8048:
	s_or_b64 exec, exec, s[6:7]
	s_nop 0
	v_mfma_f32_16x16x4f32 a[0:3], v2, v4, a[0:3]
	s_movk_i32 s4, 0xff
	v_and_b32_sdwa v3, v9, s4 dst_sel:DWORD dst_unused:UNUSED_PAD src0_sel:WORD_1 src1_sel:DWORD
	s_movk_i32 s4, 0x7f
	v_cmp_lt_i16_e32 vcc, s4, v3
	s_mov_b64 s[4:5], 0
                                        ; implicit-def: $sgpr10
	s_and_saveexec_b64 s[6:7], vcc
	s_xor_b64 s[6:7], exec, s[6:7]
	s_cbranch_execz .LBB2_8049
; %bb.43889:
	s_getpc_b64 s[14:15]
.Lpost_getpc25528:
	s_add_u32 s14, s14, (.LBB2_22385-.Lpost_getpc25528)&4294967295
	s_addc_u32 s15, s15, (.LBB2_22385-.Lpost_getpc25528)>>32
	s_setpc_b64 s[14:15]
.LBB2_8049:
	s_or_saveexec_b64 s[6:7], s[6:7]
	v_mov_b32_e32 v2, s10
	s_xor_b64 exec, exec, s[6:7]
	s_cbranch_execz .LBB2_8050
; %bb.43891:
	s_getpc_b64 s[14:15]
.Lpost_getpc25529:
	s_add_u32 s14, s14, (.LBB2_22388-.Lpost_getpc25529)&4294967295
	s_addc_u32 s15, s15, (.LBB2_22388-.Lpost_getpc25529)>>32
	s_setpc_b64 s[14:15]
.LBB2_8050:
	s_or_b64 exec, exec, s[6:7]
	s_and_saveexec_b64 s[6:7], s[4:5]
	s_cbranch_execz .LBB2_8052
.LBB2_8051:
	v_bfe_u32 v2, v9, 16, 3
	v_ffbh_u32_e32 v6, v2
	v_min_u32_e32 v6, 32, v6
	v_lshrrev_b32_e32 v3, 19, v9
	v_subrev_u32_e32 v7, 28, v6
	v_and_b32_e32 v3, 15, v3
	v_lshlrev_b32_sdwa v7, v7, v9 dst_sel:DWORD dst_unused:UNUSED_PAD src0_sel:DWORD src1_sel:WORD_1
	v_bfe_u32 v4, v9, 19, 4
	v_sub_u32_e32 v6, 29, v6
	v_and_b32_e32 v7, 7, v7
	v_cmp_eq_u16_e32 vcc, 0, v3
	v_cndmask_b32_e32 v2, v2, v7, vcc
	v_cndmask_b32_e32 v3, v4, v6, vcc
	v_lshlrev_b32_e32 v4, 8, v9
	v_mov_b32_e32 v6, 0x3b800000
	v_lshlrev_b32_e32 v2, 20, v2
	v_and_b32_e32 v4, 0x80000000, v4
	v_lshl_add_u32 v3, v3, 23, v6
	v_or3_b32 v2, v4, v3, v2
.LBB2_8052:
	s_or_b64 exec, exec, s[6:7]
	s_movk_i32 s4, 0xff
	v_and_b32_sdwa v3, v5, s4 dst_sel:DWORD dst_unused:UNUSED_PAD src0_sel:WORD_1 src1_sel:DWORD
	s_movk_i32 s4, 0x7f
	v_cmp_lt_i16_e32 vcc, s4, v3
	s_mov_b64 s[4:5], 0
                                        ; implicit-def: $sgpr10
	s_and_saveexec_b64 s[6:7], vcc
	s_xor_b64 s[6:7], exec, s[6:7]
	s_cbranch_execz .LBB2_8053
; %bb.43893:
	s_getpc_b64 s[14:15]
.Lpost_getpc25530:
	s_add_u32 s14, s14, (.LBB2_22389-.Lpost_getpc25530)&4294967295
	s_addc_u32 s15, s15, (.LBB2_22389-.Lpost_getpc25530)>>32
	s_setpc_b64 s[14:15]
.LBB2_8053:
	s_or_saveexec_b64 s[6:7], s[6:7]
	v_mov_b32_e32 v4, s10
	s_xor_b64 exec, exec, s[6:7]
	s_cbranch_execz .LBB2_8054
; %bb.43895:
	s_getpc_b64 s[14:15]
.Lpost_getpc25531:
	s_add_u32 s14, s14, (.LBB2_22392-.Lpost_getpc25531)&4294967295
	s_addc_u32 s15, s15, (.LBB2_22392-.Lpost_getpc25531)>>32
	s_setpc_b64 s[14:15]
.LBB2_8054:
	s_or_b64 exec, exec, s[6:7]
	s_and_saveexec_b64 s[6:7], s[4:5]
	s_cbranch_execz .LBB2_8056
.LBB2_8055:
	v_bfe_u32 v3, v5, 16, 3
	v_ffbh_u32_e32 v7, v3
	v_min_u32_e32 v7, 32, v7
	v_lshrrev_b32_e32 v4, 19, v5
	v_subrev_u32_e32 v8, 28, v7
	v_and_b32_e32 v4, 15, v4
	v_lshlrev_b32_sdwa v8, v8, v5 dst_sel:DWORD dst_unused:UNUSED_PAD src0_sel:DWORD src1_sel:WORD_1
	v_bfe_u32 v6, v5, 19, 4
	v_sub_u32_e32 v7, 29, v7
	v_and_b32_e32 v8, 7, v8
	v_cmp_eq_u16_e32 vcc, 0, v4
	v_cndmask_b32_e32 v3, v3, v8, vcc
	v_cndmask_b32_e32 v4, v6, v7, vcc
	v_lshlrev_b32_e32 v6, 8, v5
	v_mov_b32_e32 v7, 0x3b800000
	v_lshlrev_b32_e32 v3, 20, v3
	v_and_b32_e32 v6, 0x80000000, v6
	v_lshl_add_u32 v4, v4, 23, v7
	v_or3_b32 v4, v6, v4, v3
.LBB2_8056:
	s_or_b64 exec, exec, s[6:7]
	s_nop 0
	v_mfma_f32_16x16x4f32 a[0:3], v2, v4, a[0:3]
	s_movk_i32 s4, 0x7f
	v_cmp_gt_i16_sdwa s[6:7], v9, s4 src0_sel:BYTE_3 src1_sel:DWORD
	s_mov_b64 s[4:5], 0
                                        ; implicit-def: $sgpr10
	s_and_saveexec_b64 s[8:9], s[6:7]
	s_xor_b64 s[6:7], exec, s[8:9]
	s_cbranch_execz .LBB2_8057
; %bb.43897:
	s_getpc_b64 s[14:15]
.Lpost_getpc25532:
	s_add_u32 s14, s14, (.LBB2_22393-.Lpost_getpc25532)&4294967295
	s_addc_u32 s15, s15, (.LBB2_22393-.Lpost_getpc25532)>>32
	s_setpc_b64 s[14:15]
.LBB2_8057:
	s_or_saveexec_b64 s[6:7], s[6:7]
	v_mov_b32_e32 v2, s10
	s_xor_b64 exec, exec, s[6:7]
	s_cbranch_execz .LBB2_8058
; %bb.43899:
	s_getpc_b64 s[14:15]
.Lpost_getpc25533:
	s_add_u32 s14, s14, (.LBB2_22396-.Lpost_getpc25533)&4294967295
	s_addc_u32 s15, s15, (.LBB2_22396-.Lpost_getpc25533)>>32
	s_setpc_b64 s[14:15]
.LBB2_8058:
	s_or_b64 exec, exec, s[6:7]
	s_and_saveexec_b64 s[6:7], s[4:5]
	s_cbranch_execz .LBB2_8060
.LBB2_8059:
	v_bfe_u32 v2, v9, 24, 3
	v_ffbh_u32_e32 v7, v2
	v_min_u32_e32 v7, 32, v7
	v_lshrrev_b32_e32 v4, 27, v9
	v_subrev_u32_e32 v8, 28, v7
	v_and_b32_e32 v4, 15, v4
	v_lshlrev_b32_sdwa v8, v8, v9 dst_sel:DWORD dst_unused:UNUSED_PAD src0_sel:DWORD src1_sel:BYTE_3
	v_bfe_u32 v6, v9, 27, 4
	v_sub_u32_e32 v7, 29, v7
	v_and_b32_e32 v8, 7, v8
	v_cmp_eq_u16_e32 vcc, 0, v4
	v_cndmask_b32_e32 v2, v2, v8, vcc
	v_cndmask_b32_e32 v4, v6, v7, vcc
	v_mov_b32_e32 v6, 0x3b800000
	v_and_b32_e32 v3, 0x80000000, v9
	v_lshlrev_b32_e32 v2, 20, v2
	v_lshl_add_u32 v4, v4, 23, v6
	v_or3_b32 v2, v3, v4, v2
.LBB2_8060:
	s_or_b64 exec, exec, s[6:7]
	s_movk_i32 s4, 0x7f
	v_cmp_gt_i16_sdwa s[6:7], v5, s4 src0_sel:BYTE_3 src1_sel:DWORD
	s_mov_b64 s[4:5], 0
                                        ; implicit-def: $sgpr10
	s_and_saveexec_b64 s[8:9], s[6:7]
	s_xor_b64 s[6:7], exec, s[8:9]
	s_cbranch_execz .LBB2_8061
; %bb.43901:
	s_getpc_b64 s[14:15]
.Lpost_getpc25534:
	s_add_u32 s14, s14, (.LBB2_22397-.Lpost_getpc25534)&4294967295
	s_addc_u32 s15, s15, (.LBB2_22397-.Lpost_getpc25534)>>32
	s_setpc_b64 s[14:15]
.LBB2_8061:
	s_or_saveexec_b64 s[6:7], s[6:7]
	v_mov_b32_e32 v3, s10
	s_xor_b64 exec, exec, s[6:7]
	s_cbranch_execz .LBB2_8062
; %bb.43903:
	s_getpc_b64 s[14:15]
.Lpost_getpc25535:
	s_add_u32 s14, s14, (.LBB2_22400-.Lpost_getpc25535)&4294967295
	s_addc_u32 s15, s15, (.LBB2_22400-.Lpost_getpc25535)>>32
	s_setpc_b64 s[14:15]
.LBB2_8062:
	s_or_b64 exec, exec, s[6:7]
	s_and_saveexec_b64 s[6:7], s[4:5]
	s_cbranch_execz .LBB2_8064
.LBB2_8063:
	v_bfe_u32 v3, v5, 24, 3
	v_ffbh_u32_e32 v8, v3
	v_min_u32_e32 v8, 32, v8
	v_lshrrev_b32_e32 v6, 27, v5
	v_subrev_u32_e32 v9, 28, v8
	v_and_b32_e32 v4, 0x80000000, v5
	v_and_b32_e32 v6, 15, v6
	v_bfe_u32 v7, v5, 27, 4
	v_lshlrev_b32_sdwa v5, v9, v5 dst_sel:DWORD dst_unused:UNUSED_PAD src0_sel:DWORD src1_sel:BYTE_3
	v_sub_u32_e32 v8, 29, v8
	v_and_b32_e32 v5, 7, v5
	v_cmp_eq_u16_e32 vcc, 0, v6
	v_cndmask_b32_e32 v3, v3, v5, vcc
	v_cndmask_b32_e32 v5, v7, v8, vcc
	v_mov_b32_e32 v6, 0x3b800000
	v_lshlrev_b32_e32 v3, 20, v3
	v_lshl_add_u32 v5, v5, 23, v6
	v_or3_b32 v3, v4, v5, v3
.LBB2_8064:
	s_or_b64 exec, exec, s[6:7]
	s_nop 0
	v_mfma_f32_16x16x4f32 a[0:3], v2, v3, a[0:3]
	s_movk_i32 s4, 0x7f
                                        ; implicit-def: $sgpr10
	s_nop 7
	s_nop 1
	flat_store_dwordx4 v[10:11], a[0:3] offset:96
	flat_load_dwordx4 v[12:15], v[0:1]
	s_nop 0
	flat_load_dwordx2 v[10:11], v[0:1] offset:16
	s_waitcnt vmcnt(0) lgkmcnt(0)
	flat_load_dwordx4 v[6:9], v[12:13] offset:112
	flat_load_dwordx4 v[2:5], v[14:15] offset:240
	s_waitcnt vmcnt(0) lgkmcnt(0)
	v_cmp_gt_i16_sdwa s[6:7], v6, s4 src0_sel:BYTE_0 src1_sel:DWORD
	s_mov_b64 s[4:5], 0
	s_and_saveexec_b64 s[8:9], s[6:7]
	s_xor_b64 s[6:7], exec, s[8:9]
	s_cbranch_execz .LBB2_8065
; %bb.43905:
	s_getpc_b64 s[14:15]
.Lpost_getpc25536:
	s_add_u32 s14, s14, (.LBB2_22401-.Lpost_getpc25536)&4294967295
	s_addc_u32 s15, s15, (.LBB2_22401-.Lpost_getpc25536)>>32
	s_setpc_b64 s[14:15]
.LBB2_8065:
	s_or_saveexec_b64 s[6:7], s[6:7]
	v_mov_b32_e32 v12, s10
	s_xor_b64 exec, exec, s[6:7]
	s_cbranch_execz .LBB2_8066
; %bb.43907:
	s_getpc_b64 s[14:15]
.Lpost_getpc25537:
	s_add_u32 s14, s14, (.LBB2_22404-.Lpost_getpc25537)&4294967295
	s_addc_u32 s15, s15, (.LBB2_22404-.Lpost_getpc25537)>>32
	s_setpc_b64 s[14:15]
.LBB2_8066:
	s_or_b64 exec, exec, s[6:7]
	s_and_saveexec_b64 s[6:7], s[4:5]
	s_cbranch_execz .LBB2_8068
.LBB2_8067:
	v_and_b32_e32 v12, 7, v6
	v_ffbh_u32_e32 v14, v12
	v_min_u32_e32 v14, 32, v14
	v_lshrrev_b16_e32 v13, 3, v6
	v_subrev_u32_e32 v15, 28, v14
	v_and_b32_e32 v13, 15, v13
	v_lshlrev_b32_e32 v15, v15, v6
	v_sub_u32_e32 v14, 29, v14
	v_and_b32_e32 v15, 7, v15
	v_cmp_eq_u16_e32 vcc, 0, v13
	v_cndmask_b32_e32 v12, v12, v15, vcc
	v_cndmask_b32_e32 v13, v13, v14, vcc
	v_lshlrev_b32_e32 v14, 24, v6
	v_mov_b32_e32 v15, 0x3b800000
	v_lshlrev_b32_e32 v12, 20, v12
	v_and_b32_e32 v14, 0x80000000, v14
	v_lshl_add_u32 v13, v13, 23, v15
	v_or3_b32 v12, v14, v13, v12
.LBB2_8068:
	s_or_b64 exec, exec, s[6:7]
	s_movk_i32 s4, 0x7f
	v_cmp_gt_i16_sdwa s[6:7], v2, s4 src0_sel:BYTE_0 src1_sel:DWORD
	s_mov_b64 s[4:5], 0
                                        ; implicit-def: $sgpr10
	s_and_saveexec_b64 s[8:9], s[6:7]
	s_xor_b64 s[6:7], exec, s[8:9]
	s_cbranch_execz .LBB2_8069
; %bb.43909:
	s_getpc_b64 s[14:15]
.Lpost_getpc25538:
	s_add_u32 s14, s14, (.LBB2_22405-.Lpost_getpc25538)&4294967295
	s_addc_u32 s15, s15, (.LBB2_22405-.Lpost_getpc25538)>>32
	s_setpc_b64 s[14:15]
.LBB2_8069:
	s_or_saveexec_b64 s[6:7], s[6:7]
	v_mov_b32_e32 v13, s10
	s_xor_b64 exec, exec, s[6:7]
	s_cbranch_execz .LBB2_8070
; %bb.43911:
	s_getpc_b64 s[14:15]
.Lpost_getpc25539:
	s_add_u32 s14, s14, (.LBB2_22408-.Lpost_getpc25539)&4294967295
	s_addc_u32 s15, s15, (.LBB2_22408-.Lpost_getpc25539)>>32
	s_setpc_b64 s[14:15]
.LBB2_8070:
	s_or_b64 exec, exec, s[6:7]
	s_and_saveexec_b64 s[6:7], s[4:5]
	s_cbranch_execz .LBB2_8072
.LBB2_8071:
	v_and_b32_e32 v13, 7, v2
	v_ffbh_u32_e32 v15, v13
	v_min_u32_e32 v15, 32, v15
	v_lshrrev_b16_e32 v14, 3, v2
	v_subrev_u32_e32 v16, 28, v15
	v_and_b32_e32 v14, 15, v14
	v_lshlrev_b32_e32 v16, v16, v2
	v_sub_u32_e32 v15, 29, v15
	v_and_b32_e32 v16, 7, v16
	v_cmp_eq_u16_e32 vcc, 0, v14
	v_cndmask_b32_e32 v13, v13, v16, vcc
	v_cndmask_b32_e32 v14, v14, v15, vcc
	v_lshlrev_b32_e32 v15, 24, v2
	v_mov_b32_e32 v16, 0x3b800000
	v_lshlrev_b32_e32 v13, 20, v13
	v_and_b32_e32 v15, 0x80000000, v15
	v_lshl_add_u32 v14, v14, 23, v16
	v_or3_b32 v13, v15, v14, v13
.LBB2_8072:
	s_or_b64 exec, exec, s[6:7]
	flat_load_dwordx4 a[0:3], v[10:11] offset:112
	s_movk_i32 s4, 0x7f
                                        ; implicit-def: $sgpr10
	s_waitcnt vmcnt(0) lgkmcnt(0)
	v_mfma_f32_16x16x4f32 a[0:3], v12, v13, a[0:3]
	v_lshrrev_b32_e32 v13, 8, v6
	v_cmp_gt_i16_sdwa s[6:7], v13, s4 src0_sel:BYTE_0 src1_sel:DWORD
	s_mov_b64 s[4:5], 0
	s_and_saveexec_b64 s[8:9], s[6:7]
	s_xor_b64 s[6:7], exec, s[8:9]
	s_cbranch_execz .LBB2_8073
; %bb.43913:
	s_getpc_b64 s[14:15]
.Lpost_getpc25540:
	s_add_u32 s14, s14, (.LBB2_22409-.Lpost_getpc25540)&4294967295
	s_addc_u32 s15, s15, (.LBB2_22409-.Lpost_getpc25540)>>32
	s_setpc_b64 s[14:15]
.LBB2_8073:
	s_or_saveexec_b64 s[6:7], s[6:7]
	v_mov_b32_e32 v12, s10
	s_xor_b64 exec, exec, s[6:7]
	s_cbranch_execz .LBB2_8074
; %bb.43915:
	s_getpc_b64 s[14:15]
.Lpost_getpc25541:
	s_add_u32 s14, s14, (.LBB2_22412-.Lpost_getpc25541)&4294967295
	s_addc_u32 s15, s15, (.LBB2_22412-.Lpost_getpc25541)>>32
	s_setpc_b64 s[14:15]
.LBB2_8074:
	s_or_b64 exec, exec, s[6:7]
	s_and_saveexec_b64 s[6:7], s[4:5]
	s_cbranch_execz .LBB2_8076
.LBB2_8075:
	v_bfe_u32 v12, v6, 8, 3
	v_ffbh_u32_e32 v15, v12
	v_min_u32_e32 v15, 32, v15
	v_lshrrev_b16_e32 v14, 3, v13
	v_subrev_u32_e32 v16, 28, v15
	v_and_b32_e32 v14, 15, v14
	v_lshlrev_b32_e32 v13, v16, v13
	v_sub_u32_e32 v15, 29, v15
	v_and_b32_e32 v13, 7, v13
	v_cmp_eq_u16_e32 vcc, 0, v14
	v_cndmask_b32_e32 v12, v12, v13, vcc
	v_cndmask_b32_e32 v13, v14, v15, vcc
	v_lshlrev_b32_e32 v14, 16, v6
	v_mov_b32_e32 v15, 0x3b800000
	v_lshlrev_b32_e32 v12, 20, v12
	v_and_b32_e32 v14, 0x80000000, v14
	v_lshl_add_u32 v13, v13, 23, v15
	v_or3_b32 v12, v14, v13, v12
.LBB2_8076:
	s_or_b64 exec, exec, s[6:7]
	v_lshrrev_b32_e32 v13, 8, v2
	s_movk_i32 s4, 0x7f
	v_cmp_gt_i16_sdwa s[6:7], v13, s4 src0_sel:BYTE_0 src1_sel:DWORD
	s_mov_b64 s[4:5], 0
                                        ; implicit-def: $sgpr10
	s_and_saveexec_b64 s[8:9], s[6:7]
	s_xor_b64 s[6:7], exec, s[8:9]
	s_cbranch_execz .LBB2_8077
; %bb.43917:
	s_getpc_b64 s[14:15]
.Lpost_getpc25542:
	s_add_u32 s14, s14, (.LBB2_22413-.Lpost_getpc25542)&4294967295
	s_addc_u32 s15, s15, (.LBB2_22413-.Lpost_getpc25542)>>32
	s_setpc_b64 s[14:15]
.LBB2_8077:
	s_or_saveexec_b64 s[6:7], s[6:7]
	v_mov_b32_e32 v14, s10
	s_xor_b64 exec, exec, s[6:7]
	s_cbranch_execz .LBB2_8078
; %bb.43919:
	s_getpc_b64 s[14:15]
.Lpost_getpc25543:
	s_add_u32 s14, s14, (.LBB2_22416-.Lpost_getpc25543)&4294967295
	s_addc_u32 s15, s15, (.LBB2_22416-.Lpost_getpc25543)>>32
	s_setpc_b64 s[14:15]
.LBB2_8078:
	s_or_b64 exec, exec, s[6:7]
	s_and_saveexec_b64 s[6:7], s[4:5]
	s_cbranch_execz .LBB2_8080
.LBB2_8079:
	v_bfe_u32 v14, v2, 8, 3
	v_ffbh_u32_e32 v16, v14
	v_min_u32_e32 v16, 32, v16
	v_lshrrev_b16_e32 v15, 3, v13
	v_subrev_u32_e32 v17, 28, v16
	v_and_b32_e32 v15, 15, v15
	v_lshlrev_b32_e32 v13, v17, v13
	v_sub_u32_e32 v16, 29, v16
	v_and_b32_e32 v13, 7, v13
	v_cmp_eq_u16_e32 vcc, 0, v15
	v_cndmask_b32_e32 v13, v14, v13, vcc
	v_cndmask_b32_e32 v14, v15, v16, vcc
	v_lshlrev_b32_e32 v15, 16, v2
	v_mov_b32_e32 v16, 0x3b800000
	v_lshlrev_b32_e32 v13, 20, v13
	v_and_b32_e32 v15, 0x80000000, v15
	v_lshl_add_u32 v14, v14, 23, v16
	v_or3_b32 v14, v15, v14, v13
.LBB2_8080:
	s_or_b64 exec, exec, s[6:7]
	s_nop 0
	v_mfma_f32_16x16x4f32 a[0:3], v12, v14, a[0:3]
	s_movk_i32 s4, 0xff
	v_and_b32_sdwa v13, v6, s4 dst_sel:DWORD dst_unused:UNUSED_PAD src0_sel:WORD_1 src1_sel:DWORD
	s_movk_i32 s4, 0x7f
	v_cmp_lt_i16_e32 vcc, s4, v13
	s_mov_b64 s[4:5], 0
                                        ; implicit-def: $sgpr10
	s_and_saveexec_b64 s[6:7], vcc
	s_xor_b64 s[6:7], exec, s[6:7]
	s_cbranch_execz .LBB2_8081
; %bb.43921:
	s_getpc_b64 s[14:15]
.Lpost_getpc25544:
	s_add_u32 s14, s14, (.LBB2_22417-.Lpost_getpc25544)&4294967295
	s_addc_u32 s15, s15, (.LBB2_22417-.Lpost_getpc25544)>>32
	s_setpc_b64 s[14:15]
.LBB2_8081:
	s_or_saveexec_b64 s[6:7], s[6:7]
	v_mov_b32_e32 v12, s10
	s_xor_b64 exec, exec, s[6:7]
	s_cbranch_execz .LBB2_8082
; %bb.43923:
	s_getpc_b64 s[14:15]
.Lpost_getpc25545:
	s_add_u32 s14, s14, (.LBB2_22420-.Lpost_getpc25545)&4294967295
	s_addc_u32 s15, s15, (.LBB2_22420-.Lpost_getpc25545)>>32
	s_setpc_b64 s[14:15]
.LBB2_8082:
	s_or_b64 exec, exec, s[6:7]
	s_and_saveexec_b64 s[6:7], s[4:5]
	s_cbranch_execz .LBB2_8084
.LBB2_8083:
	v_bfe_u32 v12, v6, 16, 3
	v_ffbh_u32_e32 v15, v12
	v_min_u32_e32 v15, 32, v15
	v_lshrrev_b32_e32 v13, 19, v6
	v_subrev_u32_e32 v16, 28, v15
	v_and_b32_e32 v13, 15, v13
	v_lshlrev_b32_sdwa v16, v16, v6 dst_sel:DWORD dst_unused:UNUSED_PAD src0_sel:DWORD src1_sel:WORD_1
	v_bfe_u32 v14, v6, 19, 4
	v_sub_u32_e32 v15, 29, v15
	v_and_b32_e32 v16, 7, v16
	v_cmp_eq_u16_e32 vcc, 0, v13
	v_cndmask_b32_e32 v12, v12, v16, vcc
	v_cndmask_b32_e32 v13, v14, v15, vcc
	v_lshlrev_b32_e32 v14, 8, v6
	v_mov_b32_e32 v15, 0x3b800000
	v_lshlrev_b32_e32 v12, 20, v12
	v_and_b32_e32 v14, 0x80000000, v14
	v_lshl_add_u32 v13, v13, 23, v15
	v_or3_b32 v12, v14, v13, v12
.LBB2_8084:
	s_or_b64 exec, exec, s[6:7]
	s_movk_i32 s4, 0xff
	v_and_b32_sdwa v13, v2, s4 dst_sel:DWORD dst_unused:UNUSED_PAD src0_sel:WORD_1 src1_sel:DWORD
	s_movk_i32 s4, 0x7f
	v_cmp_lt_i16_e32 vcc, s4, v13
	s_mov_b64 s[4:5], 0
                                        ; implicit-def: $sgpr10
	s_and_saveexec_b64 s[6:7], vcc
	s_xor_b64 s[6:7], exec, s[6:7]
	s_cbranch_execz .LBB2_8085
; %bb.43925:
	s_getpc_b64 s[14:15]
.Lpost_getpc25546:
	s_add_u32 s14, s14, (.LBB2_22421-.Lpost_getpc25546)&4294967295
	s_addc_u32 s15, s15, (.LBB2_22421-.Lpost_getpc25546)>>32
	s_setpc_b64 s[14:15]
.LBB2_8085:
	s_or_saveexec_b64 s[6:7], s[6:7]
	v_mov_b32_e32 v14, s10
	s_xor_b64 exec, exec, s[6:7]
	s_cbranch_execz .LBB2_8086
; %bb.43927:
	s_getpc_b64 s[14:15]
.Lpost_getpc25547:
	s_add_u32 s14, s14, (.LBB2_22424-.Lpost_getpc25547)&4294967295
	s_addc_u32 s15, s15, (.LBB2_22424-.Lpost_getpc25547)>>32
	s_setpc_b64 s[14:15]
.LBB2_8086:
	s_or_b64 exec, exec, s[6:7]
	s_and_saveexec_b64 s[6:7], s[4:5]
	s_cbranch_execz .LBB2_8088
.LBB2_8087:
	v_bfe_u32 v13, v2, 16, 3
	v_ffbh_u32_e32 v16, v13
	v_min_u32_e32 v16, 32, v16
	v_lshrrev_b32_e32 v14, 19, v2
	v_subrev_u32_e32 v17, 28, v16
	v_and_b32_e32 v14, 15, v14
	v_lshlrev_b32_sdwa v17, v17, v2 dst_sel:DWORD dst_unused:UNUSED_PAD src0_sel:DWORD src1_sel:WORD_1
	v_bfe_u32 v15, v2, 19, 4
	v_sub_u32_e32 v16, 29, v16
	v_and_b32_e32 v17, 7, v17
	v_cmp_eq_u16_e32 vcc, 0, v14
	v_cndmask_b32_e32 v13, v13, v17, vcc
	v_cndmask_b32_e32 v14, v15, v16, vcc
	v_lshlrev_b32_e32 v15, 8, v2
	v_mov_b32_e32 v16, 0x3b800000
	v_lshlrev_b32_e32 v13, 20, v13
	v_and_b32_e32 v15, 0x80000000, v15
	v_lshl_add_u32 v14, v14, 23, v16
	v_or3_b32 v14, v15, v14, v13
.LBB2_8088:
	s_or_b64 exec, exec, s[6:7]
	s_nop 0
	v_mfma_f32_16x16x4f32 a[0:3], v12, v14, a[0:3]
	s_movk_i32 s4, 0x7f
	v_cmp_gt_i16_sdwa s[6:7], v6, s4 src0_sel:BYTE_3 src1_sel:DWORD
	s_mov_b64 s[4:5], 0
                                        ; implicit-def: $sgpr10
	s_and_saveexec_b64 s[8:9], s[6:7]
	s_xor_b64 s[6:7], exec, s[8:9]
	s_cbranch_execz .LBB2_8089
; %bb.43929:
	s_getpc_b64 s[14:15]
.Lpost_getpc25548:
	s_add_u32 s14, s14, (.LBB2_22425-.Lpost_getpc25548)&4294967295
	s_addc_u32 s15, s15, (.LBB2_22425-.Lpost_getpc25548)>>32
	s_setpc_b64 s[14:15]
.LBB2_8089:
	s_or_saveexec_b64 s[6:7], s[6:7]
	v_mov_b32_e32 v12, s10
	s_xor_b64 exec, exec, s[6:7]
	s_cbranch_execz .LBB2_8090
; %bb.43931:
	s_getpc_b64 s[14:15]
.Lpost_getpc25549:
	s_add_u32 s14, s14, (.LBB2_22428-.Lpost_getpc25549)&4294967295
	s_addc_u32 s15, s15, (.LBB2_22428-.Lpost_getpc25549)>>32
	s_setpc_b64 s[14:15]
.LBB2_8090:
	s_or_b64 exec, exec, s[6:7]
	s_and_saveexec_b64 s[6:7], s[4:5]
	s_cbranch_execz .LBB2_8092
.LBB2_8091:
	v_bfe_u32 v12, v6, 24, 3
	v_ffbh_u32_e32 v16, v12
	v_min_u32_e32 v16, 32, v16
	v_lshrrev_b32_e32 v14, 27, v6
	v_subrev_u32_e32 v17, 28, v16
	v_and_b32_e32 v13, 0x80000000, v6
	v_and_b32_e32 v14, 15, v14
	v_bfe_u32 v15, v6, 27, 4
	v_lshlrev_b32_sdwa v6, v17, v6 dst_sel:DWORD dst_unused:UNUSED_PAD src0_sel:DWORD src1_sel:BYTE_3
	v_sub_u32_e32 v16, 29, v16
	v_and_b32_e32 v6, 7, v6
	v_cmp_eq_u16_e32 vcc, 0, v14
	v_cndmask_b32_e32 v6, v12, v6, vcc
	v_cndmask_b32_e32 v12, v15, v16, vcc
	v_mov_b32_e32 v14, 0x3b800000
	v_lshlrev_b32_e32 v6, 20, v6
	v_lshl_add_u32 v12, v12, 23, v14
	v_or3_b32 v12, v13, v12, v6
.LBB2_8092:
	s_or_b64 exec, exec, s[6:7]
	s_movk_i32 s4, 0x7f
	v_cmp_gt_i16_sdwa s[6:7], v2, s4 src0_sel:BYTE_3 src1_sel:DWORD
	s_mov_b64 s[4:5], 0
                                        ; implicit-def: $sgpr10
	s_and_saveexec_b64 s[8:9], s[6:7]
	s_xor_b64 s[6:7], exec, s[8:9]
	s_cbranch_execz .LBB2_8093
; %bb.43933:
	s_getpc_b64 s[14:15]
.Lpost_getpc25550:
	s_add_u32 s14, s14, (.LBB2_22429-.Lpost_getpc25550)&4294967295
	s_addc_u32 s15, s15, (.LBB2_22429-.Lpost_getpc25550)>>32
	s_setpc_b64 s[14:15]
.LBB2_8093:
	s_or_saveexec_b64 s[6:7], s[6:7]
	v_mov_b32_e32 v6, s10
	s_xor_b64 exec, exec, s[6:7]
	s_cbranch_execz .LBB2_8094
; %bb.43935:
	s_getpc_b64 s[14:15]
.Lpost_getpc25551:
	s_add_u32 s14, s14, (.LBB2_22432-.Lpost_getpc25551)&4294967295
	s_addc_u32 s15, s15, (.LBB2_22432-.Lpost_getpc25551)>>32
	s_setpc_b64 s[14:15]
.LBB2_8094:
	s_or_b64 exec, exec, s[6:7]
	s_and_saveexec_b64 s[6:7], s[4:5]
	s_cbranch_execz .LBB2_8096
.LBB2_8095:
	v_bfe_u32 v6, v2, 24, 3
	v_ffbh_u32_e32 v16, v6
	v_min_u32_e32 v16, 32, v16
	v_lshrrev_b32_e32 v14, 27, v2
	v_subrev_u32_e32 v17, 28, v16
	v_and_b32_e32 v13, 0x80000000, v2
	v_and_b32_e32 v14, 15, v14
	v_bfe_u32 v15, v2, 27, 4
	v_lshlrev_b32_sdwa v2, v17, v2 dst_sel:DWORD dst_unused:UNUSED_PAD src0_sel:DWORD src1_sel:BYTE_3
	v_sub_u32_e32 v16, 29, v16
	v_and_b32_e32 v2, 7, v2
	v_cmp_eq_u16_e32 vcc, 0, v14
	v_cndmask_b32_e32 v2, v6, v2, vcc
	v_cndmask_b32_e32 v6, v15, v16, vcc
	v_mov_b32_e32 v14, 0x3b800000
	v_lshlrev_b32_e32 v2, 20, v2
	v_lshl_add_u32 v6, v6, 23, v14
	v_or3_b32 v6, v13, v6, v2
.LBB2_8096:
	s_or_b64 exec, exec, s[6:7]
	s_nop 0
	v_mfma_f32_16x16x4f32 a[0:3], v12, v6, a[0:3]
	s_movk_i32 s4, 0x7f
	v_cmp_gt_i16_sdwa s[6:7], v7, s4 src0_sel:BYTE_0 src1_sel:DWORD
	s_mov_b64 s[4:5], 0
                                        ; implicit-def: $sgpr10
	s_and_saveexec_b64 s[8:9], s[6:7]
	s_xor_b64 s[6:7], exec, s[8:9]
	s_cbranch_execz .LBB2_8097
; %bb.43937:
	s_getpc_b64 s[14:15]
.Lpost_getpc25552:
	s_add_u32 s14, s14, (.LBB2_22433-.Lpost_getpc25552)&4294967295
	s_addc_u32 s15, s15, (.LBB2_22433-.Lpost_getpc25552)>>32
	s_setpc_b64 s[14:15]
.LBB2_8097:
	s_or_saveexec_b64 s[6:7], s[6:7]
	v_mov_b32_e32 v2, s10
	s_xor_b64 exec, exec, s[6:7]
	s_cbranch_execz .LBB2_8098
; %bb.43939:
	s_getpc_b64 s[14:15]
.Lpost_getpc25553:
	s_add_u32 s14, s14, (.LBB2_22436-.Lpost_getpc25553)&4294967295
	s_addc_u32 s15, s15, (.LBB2_22436-.Lpost_getpc25553)>>32
	s_setpc_b64 s[14:15]
.LBB2_8098:
	s_or_b64 exec, exec, s[6:7]
	s_and_saveexec_b64 s[6:7], s[4:5]
	s_cbranch_execz .LBB2_8100
.LBB2_8099:
	v_and_b32_e32 v2, 7, v7
	v_ffbh_u32_e32 v12, v2
	v_min_u32_e32 v12, 32, v12
	v_lshrrev_b16_e32 v6, 3, v7
	v_subrev_u32_e32 v13, 28, v12
	v_and_b32_e32 v6, 15, v6
	v_lshlrev_b32_e32 v13, v13, v7
	v_sub_u32_e32 v12, 29, v12
	v_and_b32_e32 v13, 7, v13
	v_cmp_eq_u16_e32 vcc, 0, v6
	v_cndmask_b32_e32 v2, v2, v13, vcc
	v_cndmask_b32_e32 v6, v6, v12, vcc
	v_lshlrev_b32_e32 v12, 24, v7
	v_mov_b32_e32 v13, 0x3b800000
	v_lshlrev_b32_e32 v2, 20, v2
	v_and_b32_e32 v12, 0x80000000, v12
	v_lshl_add_u32 v6, v6, 23, v13
	v_or3_b32 v2, v12, v6, v2
.LBB2_8100:
	s_or_b64 exec, exec, s[6:7]
	s_movk_i32 s4, 0x7f
	v_cmp_gt_i16_sdwa s[6:7], v3, s4 src0_sel:BYTE_0 src1_sel:DWORD
	s_mov_b64 s[4:5], 0
                                        ; implicit-def: $sgpr10
	s_and_saveexec_b64 s[8:9], s[6:7]
	s_xor_b64 s[6:7], exec, s[8:9]
	s_cbranch_execz .LBB2_8101
; %bb.43941:
	s_getpc_b64 s[14:15]
.Lpost_getpc25554:
	s_add_u32 s14, s14, (.LBB2_22437-.Lpost_getpc25554)&4294967295
	s_addc_u32 s15, s15, (.LBB2_22437-.Lpost_getpc25554)>>32
	s_setpc_b64 s[14:15]
.LBB2_8101:
	s_or_saveexec_b64 s[6:7], s[6:7]
	v_mov_b32_e32 v6, s10
	s_xor_b64 exec, exec, s[6:7]
	s_cbranch_execz .LBB2_8102
; %bb.43943:
	s_getpc_b64 s[14:15]
.Lpost_getpc25555:
	s_add_u32 s14, s14, (.LBB2_22440-.Lpost_getpc25555)&4294967295
	s_addc_u32 s15, s15, (.LBB2_22440-.Lpost_getpc25555)>>32
	s_setpc_b64 s[14:15]
.LBB2_8102:
	s_or_b64 exec, exec, s[6:7]
	s_and_saveexec_b64 s[6:7], s[4:5]
	s_cbranch_execz .LBB2_8104
.LBB2_8103:
	v_and_b32_e32 v6, 7, v3
	v_ffbh_u32_e32 v13, v6
	v_min_u32_e32 v13, 32, v13
	v_lshrrev_b16_e32 v12, 3, v3
	v_subrev_u32_e32 v14, 28, v13
	v_and_b32_e32 v12, 15, v12
	v_lshlrev_b32_e32 v14, v14, v3
	v_sub_u32_e32 v13, 29, v13
	v_and_b32_e32 v14, 7, v14
	v_cmp_eq_u16_e32 vcc, 0, v12
	v_cndmask_b32_e32 v6, v6, v14, vcc
	v_cndmask_b32_e32 v12, v12, v13, vcc
	v_lshlrev_b32_e32 v13, 24, v3
	v_mov_b32_e32 v14, 0x3b800000
	v_lshlrev_b32_e32 v6, 20, v6
	v_and_b32_e32 v13, 0x80000000, v13
	v_lshl_add_u32 v12, v12, 23, v14
	v_or3_b32 v6, v13, v12, v6
.LBB2_8104:
	s_or_b64 exec, exec, s[6:7]
	s_nop 0
	v_mfma_f32_16x16x4f32 a[0:3], v2, v6, a[0:3]
	v_lshrrev_b32_e32 v6, 8, v7
	s_movk_i32 s4, 0x7f
	v_cmp_gt_i16_sdwa s[6:7], v6, s4 src0_sel:BYTE_0 src1_sel:DWORD
	s_mov_b64 s[4:5], 0
                                        ; implicit-def: $sgpr10
	s_and_saveexec_b64 s[8:9], s[6:7]
	s_xor_b64 s[6:7], exec, s[8:9]
	s_cbranch_execz .LBB2_8105
; %bb.43945:
	s_getpc_b64 s[14:15]
.Lpost_getpc25556:
	s_add_u32 s14, s14, (.LBB2_22441-.Lpost_getpc25556)&4294967295
	s_addc_u32 s15, s15, (.LBB2_22441-.Lpost_getpc25556)>>32
	s_setpc_b64 s[14:15]
.LBB2_8105:
	s_or_saveexec_b64 s[6:7], s[6:7]
	v_mov_b32_e32 v2, s10
	s_xor_b64 exec, exec, s[6:7]
	s_cbranch_execz .LBB2_8106
; %bb.43947:
	s_getpc_b64 s[14:15]
.Lpost_getpc25557:
	s_add_u32 s14, s14, (.LBB2_22444-.Lpost_getpc25557)&4294967295
	s_addc_u32 s15, s15, (.LBB2_22444-.Lpost_getpc25557)>>32
	s_setpc_b64 s[14:15]
.LBB2_8106:
	s_or_b64 exec, exec, s[6:7]
	s_and_saveexec_b64 s[6:7], s[4:5]
	s_cbranch_execz .LBB2_8108
.LBB2_8107:
	v_bfe_u32 v2, v7, 8, 3
	v_ffbh_u32_e32 v13, v2
	v_min_u32_e32 v13, 32, v13
	v_lshrrev_b16_e32 v12, 3, v6
	v_subrev_u32_e32 v14, 28, v13
	v_and_b32_e32 v12, 15, v12
	v_lshlrev_b32_e32 v6, v14, v6
	v_sub_u32_e32 v13, 29, v13
	v_and_b32_e32 v6, 7, v6
	v_cmp_eq_u16_e32 vcc, 0, v12
	v_cndmask_b32_e32 v2, v2, v6, vcc
	v_cndmask_b32_e32 v6, v12, v13, vcc
	v_lshlrev_b32_e32 v12, 16, v7
	v_mov_b32_e32 v13, 0x3b800000
	v_lshlrev_b32_e32 v2, 20, v2
	v_and_b32_e32 v12, 0x80000000, v12
	v_lshl_add_u32 v6, v6, 23, v13
	v_or3_b32 v2, v12, v6, v2
.LBB2_8108:
	s_or_b64 exec, exec, s[6:7]
	v_lshrrev_b32_e32 v6, 8, v3
	s_movk_i32 s4, 0x7f
	v_cmp_gt_i16_sdwa s[6:7], v6, s4 src0_sel:BYTE_0 src1_sel:DWORD
	s_mov_b64 s[4:5], 0
                                        ; implicit-def: $sgpr10
	s_and_saveexec_b64 s[8:9], s[6:7]
	s_xor_b64 s[6:7], exec, s[8:9]
	s_cbranch_execz .LBB2_8109
; %bb.43949:
	s_getpc_b64 s[14:15]
.Lpost_getpc25558:
	s_add_u32 s14, s14, (.LBB2_22445-.Lpost_getpc25558)&4294967295
	s_addc_u32 s15, s15, (.LBB2_22445-.Lpost_getpc25558)>>32
	s_setpc_b64 s[14:15]
.LBB2_8109:
	s_or_saveexec_b64 s[6:7], s[6:7]
	v_mov_b32_e32 v12, s10
	s_xor_b64 exec, exec, s[6:7]
	s_cbranch_execz .LBB2_8110
; %bb.43951:
	s_getpc_b64 s[14:15]
.Lpost_getpc25559:
	s_add_u32 s14, s14, (.LBB2_22448-.Lpost_getpc25559)&4294967295
	s_addc_u32 s15, s15, (.LBB2_22448-.Lpost_getpc25559)>>32
	s_setpc_b64 s[14:15]
.LBB2_8110:
	s_or_b64 exec, exec, s[6:7]
	s_and_saveexec_b64 s[6:7], s[4:5]
	s_cbranch_execz .LBB2_8112
.LBB2_8111:
	v_bfe_u32 v12, v3, 8, 3
	v_ffbh_u32_e32 v14, v12
	v_min_u32_e32 v14, 32, v14
	v_lshrrev_b16_e32 v13, 3, v6
	v_subrev_u32_e32 v15, 28, v14
	v_and_b32_e32 v13, 15, v13
	v_lshlrev_b32_e32 v6, v15, v6
	v_sub_u32_e32 v14, 29, v14
	v_and_b32_e32 v6, 7, v6
	v_cmp_eq_u16_e32 vcc, 0, v13
	v_cndmask_b32_e32 v6, v12, v6, vcc
	v_cndmask_b32_e32 v12, v13, v14, vcc
	v_lshlrev_b32_e32 v13, 16, v3
	v_mov_b32_e32 v14, 0x3b800000
	v_lshlrev_b32_e32 v6, 20, v6
	v_and_b32_e32 v13, 0x80000000, v13
	v_lshl_add_u32 v12, v12, 23, v14
	v_or3_b32 v12, v13, v12, v6
.LBB2_8112:
	s_or_b64 exec, exec, s[6:7]
	s_nop 0
	v_mfma_f32_16x16x4f32 a[0:3], v2, v12, a[0:3]
	s_movk_i32 s4, 0xff
	v_and_b32_sdwa v6, v7, s4 dst_sel:DWORD dst_unused:UNUSED_PAD src0_sel:WORD_1 src1_sel:DWORD
	s_movk_i32 s4, 0x7f
	v_cmp_lt_i16_e32 vcc, s4, v6
	s_mov_b64 s[4:5], 0
                                        ; implicit-def: $sgpr10
	s_and_saveexec_b64 s[6:7], vcc
	s_xor_b64 s[6:7], exec, s[6:7]
	s_cbranch_execz .LBB2_8113
; %bb.43953:
	s_getpc_b64 s[14:15]
.Lpost_getpc25560:
	s_add_u32 s14, s14, (.LBB2_22449-.Lpost_getpc25560)&4294967295
	s_addc_u32 s15, s15, (.LBB2_22449-.Lpost_getpc25560)>>32
	s_setpc_b64 s[14:15]
.LBB2_8113:
	s_or_saveexec_b64 s[6:7], s[6:7]
	v_mov_b32_e32 v2, s10
	s_xor_b64 exec, exec, s[6:7]
	s_cbranch_execz .LBB2_8114
; %bb.43955:
	s_getpc_b64 s[14:15]
.Lpost_getpc25561:
	s_add_u32 s14, s14, (.LBB2_22452-.Lpost_getpc25561)&4294967295
	s_addc_u32 s15, s15, (.LBB2_22452-.Lpost_getpc25561)>>32
	s_setpc_b64 s[14:15]
.LBB2_8114:
	s_or_b64 exec, exec, s[6:7]
	s_and_saveexec_b64 s[6:7], s[4:5]
	s_cbranch_execz .LBB2_8116
.LBB2_8115:
	v_bfe_u32 v2, v7, 16, 3
	v_ffbh_u32_e32 v13, v2
	v_min_u32_e32 v13, 32, v13
	v_lshrrev_b32_e32 v6, 19, v7
	v_subrev_u32_e32 v14, 28, v13
	v_and_b32_e32 v6, 15, v6
	v_lshlrev_b32_sdwa v14, v14, v7 dst_sel:DWORD dst_unused:UNUSED_PAD src0_sel:DWORD src1_sel:WORD_1
	v_bfe_u32 v12, v7, 19, 4
	v_sub_u32_e32 v13, 29, v13
	v_and_b32_e32 v14, 7, v14
	v_cmp_eq_u16_e32 vcc, 0, v6
	v_cndmask_b32_e32 v2, v2, v14, vcc
	v_cndmask_b32_e32 v6, v12, v13, vcc
	v_lshlrev_b32_e32 v12, 8, v7
	v_mov_b32_e32 v13, 0x3b800000
	v_lshlrev_b32_e32 v2, 20, v2
	v_and_b32_e32 v12, 0x80000000, v12
	v_lshl_add_u32 v6, v6, 23, v13
	v_or3_b32 v2, v12, v6, v2
.LBB2_8116:
	s_or_b64 exec, exec, s[6:7]
	s_movk_i32 s4, 0xff
	v_and_b32_sdwa v6, v3, s4 dst_sel:DWORD dst_unused:UNUSED_PAD src0_sel:WORD_1 src1_sel:DWORD
	s_movk_i32 s4, 0x7f
	v_cmp_lt_i16_e32 vcc, s4, v6
	s_mov_b64 s[4:5], 0
                                        ; implicit-def: $sgpr10
	s_and_saveexec_b64 s[6:7], vcc
	s_xor_b64 s[6:7], exec, s[6:7]
	s_cbranch_execz .LBB2_8117
; %bb.43957:
	s_getpc_b64 s[14:15]
.Lpost_getpc25562:
	s_add_u32 s14, s14, (.LBB2_22453-.Lpost_getpc25562)&4294967295
	s_addc_u32 s15, s15, (.LBB2_22453-.Lpost_getpc25562)>>32
	s_setpc_b64 s[14:15]
.LBB2_8117:
	s_or_saveexec_b64 s[6:7], s[6:7]
	v_mov_b32_e32 v12, s10
	s_xor_b64 exec, exec, s[6:7]
	s_cbranch_execz .LBB2_8118
; %bb.43959:
	s_getpc_b64 s[14:15]
.Lpost_getpc25563:
	s_add_u32 s14, s14, (.LBB2_22456-.Lpost_getpc25563)&4294967295
	s_addc_u32 s15, s15, (.LBB2_22456-.Lpost_getpc25563)>>32
	s_setpc_b64 s[14:15]
.LBB2_8118:
	s_or_b64 exec, exec, s[6:7]
	s_and_saveexec_b64 s[6:7], s[4:5]
	s_cbranch_execz .LBB2_8120
.LBB2_8119:
	v_bfe_u32 v6, v3, 16, 3
	v_ffbh_u32_e32 v14, v6
	v_min_u32_e32 v14, 32, v14
	v_lshrrev_b32_e32 v12, 19, v3
	v_subrev_u32_e32 v15, 28, v14
	v_and_b32_e32 v12, 15, v12
	v_lshlrev_b32_sdwa v15, v15, v3 dst_sel:DWORD dst_unused:UNUSED_PAD src0_sel:DWORD src1_sel:WORD_1
	v_bfe_u32 v13, v3, 19, 4
	v_sub_u32_e32 v14, 29, v14
	v_and_b32_e32 v15, 7, v15
	v_cmp_eq_u16_e32 vcc, 0, v12
	v_cndmask_b32_e32 v6, v6, v15, vcc
	v_cndmask_b32_e32 v12, v13, v14, vcc
	v_lshlrev_b32_e32 v13, 8, v3
	v_mov_b32_e32 v14, 0x3b800000
	v_lshlrev_b32_e32 v6, 20, v6
	v_and_b32_e32 v13, 0x80000000, v13
	v_lshl_add_u32 v12, v12, 23, v14
	v_or3_b32 v12, v13, v12, v6
.LBB2_8120:
	s_or_b64 exec, exec, s[6:7]
	s_nop 0
	v_mfma_f32_16x16x4f32 a[0:3], v2, v12, a[0:3]
	s_movk_i32 s4, 0x7f
	v_cmp_gt_i16_sdwa s[6:7], v7, s4 src0_sel:BYTE_3 src1_sel:DWORD
	s_mov_b64 s[4:5], 0
                                        ; implicit-def: $sgpr10
	s_and_saveexec_b64 s[8:9], s[6:7]
	s_xor_b64 s[6:7], exec, s[8:9]
	s_cbranch_execz .LBB2_8121
; %bb.43961:
	s_getpc_b64 s[14:15]
.Lpost_getpc25564:
	s_add_u32 s14, s14, (.LBB2_22457-.Lpost_getpc25564)&4294967295
	s_addc_u32 s15, s15, (.LBB2_22457-.Lpost_getpc25564)>>32
	s_setpc_b64 s[14:15]
.LBB2_8121:
	s_or_saveexec_b64 s[6:7], s[6:7]
	v_mov_b32_e32 v2, s10
	s_xor_b64 exec, exec, s[6:7]
	s_cbranch_execz .LBB2_8122
; %bb.43963:
	s_getpc_b64 s[14:15]
.Lpost_getpc25565:
	s_add_u32 s14, s14, (.LBB2_22460-.Lpost_getpc25565)&4294967295
	s_addc_u32 s15, s15, (.LBB2_22460-.Lpost_getpc25565)>>32
	s_setpc_b64 s[14:15]
.LBB2_8122:
	s_or_b64 exec, exec, s[6:7]
	s_and_saveexec_b64 s[6:7], s[4:5]
	s_cbranch_execz .LBB2_8124
.LBB2_8123:
	v_bfe_u32 v2, v7, 24, 3
	v_ffbh_u32_e32 v14, v2
	v_min_u32_e32 v14, 32, v14
	v_lshrrev_b32_e32 v12, 27, v7
	v_subrev_u32_e32 v15, 28, v14
	v_and_b32_e32 v6, 0x80000000, v7
	v_and_b32_e32 v12, 15, v12
	v_bfe_u32 v13, v7, 27, 4
	v_lshlrev_b32_sdwa v7, v15, v7 dst_sel:DWORD dst_unused:UNUSED_PAD src0_sel:DWORD src1_sel:BYTE_3
	v_sub_u32_e32 v14, 29, v14
	v_and_b32_e32 v7, 7, v7
	v_cmp_eq_u16_e32 vcc, 0, v12
	v_cndmask_b32_e32 v2, v2, v7, vcc
	v_cndmask_b32_e32 v7, v13, v14, vcc
	v_mov_b32_e32 v12, 0x3b800000
	v_lshlrev_b32_e32 v2, 20, v2
	v_lshl_add_u32 v7, v7, 23, v12
	v_or3_b32 v2, v6, v7, v2
.LBB2_8124:
	s_or_b64 exec, exec, s[6:7]
	s_movk_i32 s4, 0x7f
	v_cmp_gt_i16_sdwa s[6:7], v3, s4 src0_sel:BYTE_3 src1_sel:DWORD
	s_mov_b64 s[4:5], 0
                                        ; implicit-def: $sgpr10
	s_and_saveexec_b64 s[8:9], s[6:7]
	s_xor_b64 s[6:7], exec, s[8:9]
	s_cbranch_execz .LBB2_8125
; %bb.43965:
	s_getpc_b64 s[14:15]
.Lpost_getpc25566:
	s_add_u32 s14, s14, (.LBB2_22461-.Lpost_getpc25566)&4294967295
	s_addc_u32 s15, s15, (.LBB2_22461-.Lpost_getpc25566)>>32
	s_setpc_b64 s[14:15]
.LBB2_8125:
	s_or_saveexec_b64 s[6:7], s[6:7]
	v_mov_b32_e32 v6, s10
	s_xor_b64 exec, exec, s[6:7]
	s_cbranch_execz .LBB2_8126
; %bb.43967:
	s_getpc_b64 s[14:15]
.Lpost_getpc25567:
	s_add_u32 s14, s14, (.LBB2_22464-.Lpost_getpc25567)&4294967295
	s_addc_u32 s15, s15, (.LBB2_22464-.Lpost_getpc25567)>>32
	s_setpc_b64 s[14:15]
.LBB2_8126:
	s_or_b64 exec, exec, s[6:7]
	s_and_saveexec_b64 s[6:7], s[4:5]
	s_cbranch_execz .LBB2_8128
.LBB2_8127:
	v_bfe_u32 v6, v3, 24, 3
	v_ffbh_u32_e32 v14, v6
	v_min_u32_e32 v14, 32, v14
	v_lshrrev_b32_e32 v12, 27, v3
	v_subrev_u32_e32 v15, 28, v14
	v_and_b32_e32 v7, 0x80000000, v3
	v_and_b32_e32 v12, 15, v12
	v_bfe_u32 v13, v3, 27, 4
	v_lshlrev_b32_sdwa v3, v15, v3 dst_sel:DWORD dst_unused:UNUSED_PAD src0_sel:DWORD src1_sel:BYTE_3
	v_sub_u32_e32 v14, 29, v14
	v_and_b32_e32 v3, 7, v3
	v_cmp_eq_u16_e32 vcc, 0, v12
	v_cndmask_b32_e32 v3, v6, v3, vcc
	v_cndmask_b32_e32 v6, v13, v14, vcc
	v_mov_b32_e32 v12, 0x3b800000
	v_lshlrev_b32_e32 v3, 20, v3
	v_lshl_add_u32 v6, v6, 23, v12
	v_or3_b32 v6, v7, v6, v3
.LBB2_8128:
	s_or_b64 exec, exec, s[6:7]
	s_nop 0
	v_mfma_f32_16x16x4f32 a[0:3], v2, v6, a[0:3]
	s_movk_i32 s4, 0x7f
	v_cmp_gt_i16_sdwa s[6:7], v8, s4 src0_sel:BYTE_0 src1_sel:DWORD
	s_mov_b64 s[4:5], 0
                                        ; implicit-def: $sgpr10
	s_and_saveexec_b64 s[8:9], s[6:7]
	s_xor_b64 s[6:7], exec, s[8:9]
	s_cbranch_execz .LBB2_8129
; %bb.43969:
	s_getpc_b64 s[14:15]
.Lpost_getpc25568:
	s_add_u32 s14, s14, (.LBB2_22465-.Lpost_getpc25568)&4294967295
	s_addc_u32 s15, s15, (.LBB2_22465-.Lpost_getpc25568)>>32
	s_setpc_b64 s[14:15]
.LBB2_8129:
	s_or_saveexec_b64 s[6:7], s[6:7]
	v_mov_b32_e32 v2, s10
	s_xor_b64 exec, exec, s[6:7]
	s_cbranch_execz .LBB2_8130
; %bb.43971:
	s_getpc_b64 s[14:15]
.Lpost_getpc25569:
	s_add_u32 s14, s14, (.LBB2_22468-.Lpost_getpc25569)&4294967295
	s_addc_u32 s15, s15, (.LBB2_22468-.Lpost_getpc25569)>>32
	s_setpc_b64 s[14:15]
.LBB2_8130:
	s_or_b64 exec, exec, s[6:7]
	s_and_saveexec_b64 s[6:7], s[4:5]
	s_cbranch_execz .LBB2_8132
.LBB2_8131:
	v_and_b32_e32 v2, 7, v8
	v_ffbh_u32_e32 v6, v2
	v_min_u32_e32 v6, 32, v6
	v_lshrrev_b16_e32 v3, 3, v8
	v_subrev_u32_e32 v7, 28, v6
	v_and_b32_e32 v3, 15, v3
	v_lshlrev_b32_e32 v7, v7, v8
	v_sub_u32_e32 v6, 29, v6
	v_and_b32_e32 v7, 7, v7
	v_cmp_eq_u16_e32 vcc, 0, v3
	v_cndmask_b32_e32 v2, v2, v7, vcc
	v_cndmask_b32_e32 v3, v3, v6, vcc
	v_lshlrev_b32_e32 v6, 24, v8
	v_mov_b32_e32 v7, 0x3b800000
	v_lshlrev_b32_e32 v2, 20, v2
	v_and_b32_e32 v6, 0x80000000, v6
	v_lshl_add_u32 v3, v3, 23, v7
	v_or3_b32 v2, v6, v3, v2
.LBB2_8132:
	s_or_b64 exec, exec, s[6:7]
	s_movk_i32 s4, 0x7f
	v_cmp_gt_i16_sdwa s[6:7], v4, s4 src0_sel:BYTE_0 src1_sel:DWORD
	s_mov_b64 s[4:5], 0
                                        ; implicit-def: $sgpr10
	s_and_saveexec_b64 s[8:9], s[6:7]
	s_xor_b64 s[6:7], exec, s[8:9]
	s_cbranch_execz .LBB2_8133
; %bb.43973:
	s_getpc_b64 s[14:15]
.Lpost_getpc25570:
	s_add_u32 s14, s14, (.LBB2_22469-.Lpost_getpc25570)&4294967295
	s_addc_u32 s15, s15, (.LBB2_22469-.Lpost_getpc25570)>>32
	s_setpc_b64 s[14:15]
.LBB2_8133:
	s_or_saveexec_b64 s[6:7], s[6:7]
	v_mov_b32_e32 v3, s10
	s_xor_b64 exec, exec, s[6:7]
	s_cbranch_execz .LBB2_8134
; %bb.43975:
	s_getpc_b64 s[14:15]
.Lpost_getpc25571:
	s_add_u32 s14, s14, (.LBB2_22472-.Lpost_getpc25571)&4294967295
	s_addc_u32 s15, s15, (.LBB2_22472-.Lpost_getpc25571)>>32
	s_setpc_b64 s[14:15]
.LBB2_8134:
	s_or_b64 exec, exec, s[6:7]
	s_and_saveexec_b64 s[6:7], s[4:5]
	s_cbranch_execz .LBB2_8136
.LBB2_8135:
	v_and_b32_e32 v3, 7, v4
	v_ffbh_u32_e32 v7, v3
	v_min_u32_e32 v7, 32, v7
	v_lshrrev_b16_e32 v6, 3, v4
	v_subrev_u32_e32 v12, 28, v7
	v_and_b32_e32 v6, 15, v6
	v_lshlrev_b32_e32 v12, v12, v4
	v_sub_u32_e32 v7, 29, v7
	v_and_b32_e32 v12, 7, v12
	v_cmp_eq_u16_e32 vcc, 0, v6
	v_cndmask_b32_e32 v3, v3, v12, vcc
	v_cndmask_b32_e32 v6, v6, v7, vcc
	v_lshlrev_b32_e32 v7, 24, v4
	v_mov_b32_e32 v12, 0x3b800000
	v_lshlrev_b32_e32 v3, 20, v3
	v_and_b32_e32 v7, 0x80000000, v7
	v_lshl_add_u32 v6, v6, 23, v12
	v_or3_b32 v3, v7, v6, v3
.LBB2_8136:
	s_or_b64 exec, exec, s[6:7]
	s_nop 0
	v_mfma_f32_16x16x4f32 a[0:3], v2, v3, a[0:3]
	v_lshrrev_b32_e32 v3, 8, v8
	s_movk_i32 s4, 0x7f
	v_cmp_gt_i16_sdwa s[6:7], v3, s4 src0_sel:BYTE_0 src1_sel:DWORD
	s_mov_b64 s[4:5], 0
                                        ; implicit-def: $sgpr10
	s_and_saveexec_b64 s[8:9], s[6:7]
	s_xor_b64 s[6:7], exec, s[8:9]
	s_cbranch_execz .LBB2_8137
; %bb.43977:
	s_getpc_b64 s[14:15]
.Lpost_getpc25572:
	s_add_u32 s14, s14, (.LBB2_22473-.Lpost_getpc25572)&4294967295
	s_addc_u32 s15, s15, (.LBB2_22473-.Lpost_getpc25572)>>32
	s_setpc_b64 s[14:15]
.LBB2_8137:
	s_or_saveexec_b64 s[6:7], s[6:7]
	v_mov_b32_e32 v2, s10
	s_xor_b64 exec, exec, s[6:7]
	s_cbranch_execz .LBB2_8138
; %bb.43979:
	s_getpc_b64 s[14:15]
.Lpost_getpc25573:
	s_add_u32 s14, s14, (.LBB2_22476-.Lpost_getpc25573)&4294967295
	s_addc_u32 s15, s15, (.LBB2_22476-.Lpost_getpc25573)>>32
	s_setpc_b64 s[14:15]
.LBB2_8138:
	s_or_b64 exec, exec, s[6:7]
	s_and_saveexec_b64 s[6:7], s[4:5]
	s_cbranch_execz .LBB2_8140
.LBB2_8139:
	v_bfe_u32 v2, v8, 8, 3
	v_ffbh_u32_e32 v7, v2
	v_min_u32_e32 v7, 32, v7
	v_lshrrev_b16_e32 v6, 3, v3
	v_subrev_u32_e32 v12, 28, v7
	v_and_b32_e32 v6, 15, v6
	v_lshlrev_b32_e32 v3, v12, v3
	v_sub_u32_e32 v7, 29, v7
	v_and_b32_e32 v3, 7, v3
	v_cmp_eq_u16_e32 vcc, 0, v6
	v_cndmask_b32_e32 v2, v2, v3, vcc
	v_cndmask_b32_e32 v3, v6, v7, vcc
	v_lshlrev_b32_e32 v6, 16, v8
	v_mov_b32_e32 v7, 0x3b800000
	v_lshlrev_b32_e32 v2, 20, v2
	v_and_b32_e32 v6, 0x80000000, v6
	v_lshl_add_u32 v3, v3, 23, v7
	v_or3_b32 v2, v6, v3, v2
.LBB2_8140:
	s_or_b64 exec, exec, s[6:7]
	v_lshrrev_b32_e32 v3, 8, v4
	s_movk_i32 s4, 0x7f
	v_cmp_gt_i16_sdwa s[6:7], v3, s4 src0_sel:BYTE_0 src1_sel:DWORD
	s_mov_b64 s[4:5], 0
                                        ; implicit-def: $sgpr10
	s_and_saveexec_b64 s[8:9], s[6:7]
	s_xor_b64 s[6:7], exec, s[8:9]
	s_cbranch_execz .LBB2_8141
; %bb.43981:
	s_getpc_b64 s[14:15]
.Lpost_getpc25574:
	s_add_u32 s14, s14, (.LBB2_22477-.Lpost_getpc25574)&4294967295
	s_addc_u32 s15, s15, (.LBB2_22477-.Lpost_getpc25574)>>32
	s_setpc_b64 s[14:15]
.LBB2_8141:
	s_or_saveexec_b64 s[6:7], s[6:7]
	v_mov_b32_e32 v6, s10
	s_xor_b64 exec, exec, s[6:7]
	s_cbranch_execz .LBB2_8142
; %bb.43983:
	s_getpc_b64 s[14:15]
.Lpost_getpc25575:
	s_add_u32 s14, s14, (.LBB2_22480-.Lpost_getpc25575)&4294967295
	s_addc_u32 s15, s15, (.LBB2_22480-.Lpost_getpc25575)>>32
	s_setpc_b64 s[14:15]
.LBB2_8142:
	s_or_b64 exec, exec, s[6:7]
	s_and_saveexec_b64 s[6:7], s[4:5]
	s_cbranch_execz .LBB2_8144
.LBB2_8143:
	v_bfe_u32 v6, v4, 8, 3
	v_ffbh_u32_e32 v12, v6
	v_min_u32_e32 v12, 32, v12
	v_lshrrev_b16_e32 v7, 3, v3
	v_subrev_u32_e32 v13, 28, v12
	v_and_b32_e32 v7, 15, v7
	v_lshlrev_b32_e32 v3, v13, v3
	v_sub_u32_e32 v12, 29, v12
	v_and_b32_e32 v3, 7, v3
	v_cmp_eq_u16_e32 vcc, 0, v7
	v_cndmask_b32_e32 v3, v6, v3, vcc
	v_cndmask_b32_e32 v6, v7, v12, vcc
	v_lshlrev_b32_e32 v7, 16, v4
	v_mov_b32_e32 v12, 0x3b800000
	v_lshlrev_b32_e32 v3, 20, v3
	v_and_b32_e32 v7, 0x80000000, v7
	v_lshl_add_u32 v6, v6, 23, v12
	v_or3_b32 v6, v7, v6, v3
.LBB2_8144:
	s_or_b64 exec, exec, s[6:7]
	s_nop 0
	v_mfma_f32_16x16x4f32 a[0:3], v2, v6, a[0:3]
	s_movk_i32 s4, 0xff
	v_and_b32_sdwa v3, v8, s4 dst_sel:DWORD dst_unused:UNUSED_PAD src0_sel:WORD_1 src1_sel:DWORD
	s_movk_i32 s4, 0x7f
	v_cmp_lt_i16_e32 vcc, s4, v3
	s_mov_b64 s[4:5], 0
                                        ; implicit-def: $sgpr10
	s_and_saveexec_b64 s[6:7], vcc
	s_xor_b64 s[6:7], exec, s[6:7]
	s_cbranch_execz .LBB2_8145
; %bb.43985:
	s_getpc_b64 s[14:15]
.Lpost_getpc25576:
	s_add_u32 s14, s14, (.LBB2_22481-.Lpost_getpc25576)&4294967295
	s_addc_u32 s15, s15, (.LBB2_22481-.Lpost_getpc25576)>>32
	s_setpc_b64 s[14:15]
.LBB2_8145:
	s_or_saveexec_b64 s[6:7], s[6:7]
	v_mov_b32_e32 v2, s10
	s_xor_b64 exec, exec, s[6:7]
	s_cbranch_execz .LBB2_8146
; %bb.43987:
	s_getpc_b64 s[14:15]
.Lpost_getpc25577:
	s_add_u32 s14, s14, (.LBB2_22484-.Lpost_getpc25577)&4294967295
	s_addc_u32 s15, s15, (.LBB2_22484-.Lpost_getpc25577)>>32
	s_setpc_b64 s[14:15]
.LBB2_8146:
	s_or_b64 exec, exec, s[6:7]
	s_and_saveexec_b64 s[6:7], s[4:5]
	s_cbranch_execz .LBB2_8148
.LBB2_8147:
	v_bfe_u32 v2, v8, 16, 3
	v_ffbh_u32_e32 v7, v2
	v_min_u32_e32 v7, 32, v7
	v_lshrrev_b32_e32 v3, 19, v8
	v_subrev_u32_e32 v12, 28, v7
	v_and_b32_e32 v3, 15, v3
	v_lshlrev_b32_sdwa v12, v12, v8 dst_sel:DWORD dst_unused:UNUSED_PAD src0_sel:DWORD src1_sel:WORD_1
	v_bfe_u32 v6, v8, 19, 4
	v_sub_u32_e32 v7, 29, v7
	v_and_b32_e32 v12, 7, v12
	v_cmp_eq_u16_e32 vcc, 0, v3
	v_cndmask_b32_e32 v2, v2, v12, vcc
	v_cndmask_b32_e32 v3, v6, v7, vcc
	v_lshlrev_b32_e32 v6, 8, v8
	v_mov_b32_e32 v7, 0x3b800000
	v_lshlrev_b32_e32 v2, 20, v2
	v_and_b32_e32 v6, 0x80000000, v6
	v_lshl_add_u32 v3, v3, 23, v7
	v_or3_b32 v2, v6, v3, v2
.LBB2_8148:
	s_or_b64 exec, exec, s[6:7]
	s_movk_i32 s4, 0xff
	v_and_b32_sdwa v3, v4, s4 dst_sel:DWORD dst_unused:UNUSED_PAD src0_sel:WORD_1 src1_sel:DWORD
	s_movk_i32 s4, 0x7f
	v_cmp_lt_i16_e32 vcc, s4, v3
	s_mov_b64 s[4:5], 0
                                        ; implicit-def: $sgpr10
	s_and_saveexec_b64 s[6:7], vcc
	s_xor_b64 s[6:7], exec, s[6:7]
	s_cbranch_execz .LBB2_8149
; %bb.43989:
	s_getpc_b64 s[14:15]
.Lpost_getpc25578:
	s_add_u32 s14, s14, (.LBB2_22485-.Lpost_getpc25578)&4294967295
	s_addc_u32 s15, s15, (.LBB2_22485-.Lpost_getpc25578)>>32
	s_setpc_b64 s[14:15]
.LBB2_8149:
	s_or_saveexec_b64 s[6:7], s[6:7]
	v_mov_b32_e32 v6, s10
	s_xor_b64 exec, exec, s[6:7]
	s_cbranch_execz .LBB2_8150
; %bb.43991:
	s_getpc_b64 s[14:15]
.Lpost_getpc25579:
	s_add_u32 s14, s14, (.LBB2_22488-.Lpost_getpc25579)&4294967295
	s_addc_u32 s15, s15, (.LBB2_22488-.Lpost_getpc25579)>>32
	s_setpc_b64 s[14:15]
.LBB2_8150:
	s_or_b64 exec, exec, s[6:7]
	s_and_saveexec_b64 s[6:7], s[4:5]
	s_cbranch_execz .LBB2_8152
.LBB2_8151:
	v_bfe_u32 v3, v4, 16, 3
	v_ffbh_u32_e32 v12, v3
	v_min_u32_e32 v12, 32, v12
	v_lshrrev_b32_e32 v6, 19, v4
	v_subrev_u32_e32 v13, 28, v12
	v_and_b32_e32 v6, 15, v6
	v_lshlrev_b32_sdwa v13, v13, v4 dst_sel:DWORD dst_unused:UNUSED_PAD src0_sel:DWORD src1_sel:WORD_1
	v_bfe_u32 v7, v4, 19, 4
	v_sub_u32_e32 v12, 29, v12
	v_and_b32_e32 v13, 7, v13
	v_cmp_eq_u16_e32 vcc, 0, v6
	v_cndmask_b32_e32 v3, v3, v13, vcc
	v_cndmask_b32_e32 v6, v7, v12, vcc
	v_lshlrev_b32_e32 v7, 8, v4
	v_mov_b32_e32 v12, 0x3b800000
	v_lshlrev_b32_e32 v3, 20, v3
	v_and_b32_e32 v7, 0x80000000, v7
	v_lshl_add_u32 v6, v6, 23, v12
	v_or3_b32 v6, v7, v6, v3
.LBB2_8152:
	s_or_b64 exec, exec, s[6:7]
	s_nop 0
	v_mfma_f32_16x16x4f32 a[0:3], v2, v6, a[0:3]
	s_movk_i32 s4, 0x7f
	v_cmp_gt_i16_sdwa s[6:7], v8, s4 src0_sel:BYTE_3 src1_sel:DWORD
	s_mov_b64 s[4:5], 0
                                        ; implicit-def: $sgpr10
	s_and_saveexec_b64 s[8:9], s[6:7]
	s_xor_b64 s[6:7], exec, s[8:9]
	s_cbranch_execz .LBB2_8153
; %bb.43993:
	s_getpc_b64 s[14:15]
.Lpost_getpc25580:
	s_add_u32 s14, s14, (.LBB2_22489-.Lpost_getpc25580)&4294967295
	s_addc_u32 s15, s15, (.LBB2_22489-.Lpost_getpc25580)>>32
	s_setpc_b64 s[14:15]
.LBB2_8153:
	s_or_saveexec_b64 s[6:7], s[6:7]
	v_mov_b32_e32 v2, s10
	s_xor_b64 exec, exec, s[6:7]
	s_cbranch_execz .LBB2_8154
; %bb.43995:
	s_getpc_b64 s[14:15]
.Lpost_getpc25581:
	s_add_u32 s14, s14, (.LBB2_22492-.Lpost_getpc25581)&4294967295
	s_addc_u32 s15, s15, (.LBB2_22492-.Lpost_getpc25581)>>32
	s_setpc_b64 s[14:15]
.LBB2_8154:
	s_or_b64 exec, exec, s[6:7]
	s_and_saveexec_b64 s[6:7], s[4:5]
	s_cbranch_execz .LBB2_8156
.LBB2_8155:
	v_bfe_u32 v2, v8, 24, 3
	v_ffbh_u32_e32 v12, v2
	v_min_u32_e32 v12, 32, v12
	v_lshrrev_b32_e32 v6, 27, v8
	v_subrev_u32_e32 v13, 28, v12
	v_and_b32_e32 v3, 0x80000000, v8
	v_and_b32_e32 v6, 15, v6
	v_bfe_u32 v7, v8, 27, 4
	v_lshlrev_b32_sdwa v8, v13, v8 dst_sel:DWORD dst_unused:UNUSED_PAD src0_sel:DWORD src1_sel:BYTE_3
	v_sub_u32_e32 v12, 29, v12
	v_and_b32_e32 v8, 7, v8
	v_cmp_eq_u16_e32 vcc, 0, v6
	v_cndmask_b32_e32 v2, v2, v8, vcc
	v_cndmask_b32_e32 v6, v7, v12, vcc
	v_mov_b32_e32 v7, 0x3b800000
	v_lshlrev_b32_e32 v2, 20, v2
	v_lshl_add_u32 v6, v6, 23, v7
	v_or3_b32 v2, v3, v6, v2
.LBB2_8156:
	s_or_b64 exec, exec, s[6:7]
	s_movk_i32 s4, 0x7f
	v_cmp_gt_i16_sdwa s[6:7], v4, s4 src0_sel:BYTE_3 src1_sel:DWORD
	s_mov_b64 s[4:5], 0
                                        ; implicit-def: $sgpr10
	s_and_saveexec_b64 s[8:9], s[6:7]
	s_xor_b64 s[6:7], exec, s[8:9]
	s_cbranch_execz .LBB2_8157
; %bb.43997:
	s_getpc_b64 s[14:15]
.Lpost_getpc25582:
	s_add_u32 s14, s14, (.LBB2_22493-.Lpost_getpc25582)&4294967295
	s_addc_u32 s15, s15, (.LBB2_22493-.Lpost_getpc25582)>>32
	s_setpc_b64 s[14:15]
.LBB2_8157:
	s_or_saveexec_b64 s[6:7], s[6:7]
	v_mov_b32_e32 v3, s10
	s_xor_b64 exec, exec, s[6:7]
	s_cbranch_execz .LBB2_8158
; %bb.43999:
	s_getpc_b64 s[14:15]
.Lpost_getpc25583:
	s_add_u32 s14, s14, (.LBB2_22496-.Lpost_getpc25583)&4294967295
	s_addc_u32 s15, s15, (.LBB2_22496-.Lpost_getpc25583)>>32
	s_setpc_b64 s[14:15]
.LBB2_8158:
	s_or_b64 exec, exec, s[6:7]
	s_and_saveexec_b64 s[6:7], s[4:5]
	s_cbranch_execz .LBB2_8160
.LBB2_8159:
	v_bfe_u32 v3, v4, 24, 3
	v_ffbh_u32_e32 v12, v3
	v_min_u32_e32 v12, 32, v12
	v_lshrrev_b32_e32 v7, 27, v4
	v_subrev_u32_e32 v13, 28, v12
	v_and_b32_e32 v6, 0x80000000, v4
	v_and_b32_e32 v7, 15, v7
	v_bfe_u32 v8, v4, 27, 4
	v_lshlrev_b32_sdwa v4, v13, v4 dst_sel:DWORD dst_unused:UNUSED_PAD src0_sel:DWORD src1_sel:BYTE_3
	v_sub_u32_e32 v12, 29, v12
	v_and_b32_e32 v4, 7, v4
	v_cmp_eq_u16_e32 vcc, 0, v7
	v_cndmask_b32_e32 v3, v3, v4, vcc
	v_cndmask_b32_e32 v4, v8, v12, vcc
	v_mov_b32_e32 v7, 0x3b800000
	v_lshlrev_b32_e32 v3, 20, v3
	v_lshl_add_u32 v4, v4, 23, v7
	v_or3_b32 v3, v6, v4, v3
.LBB2_8160:
	s_or_b64 exec, exec, s[6:7]
	s_nop 0
	v_mfma_f32_16x16x4f32 a[0:3], v2, v3, a[0:3]
	s_movk_i32 s4, 0x7f
	v_cmp_gt_i16_sdwa s[6:7], v9, s4 src0_sel:BYTE_0 src1_sel:DWORD
	s_mov_b64 s[4:5], 0
                                        ; implicit-def: $sgpr10
	s_and_saveexec_b64 s[8:9], s[6:7]
	s_xor_b64 s[6:7], exec, s[8:9]
	s_cbranch_execz .LBB2_8161
; %bb.44001:
	s_getpc_b64 s[14:15]
.Lpost_getpc25584:
	s_add_u32 s14, s14, (.LBB2_22497-.Lpost_getpc25584)&4294967295
	s_addc_u32 s15, s15, (.LBB2_22497-.Lpost_getpc25584)>>32
	s_setpc_b64 s[14:15]
.LBB2_8161:
	s_or_saveexec_b64 s[6:7], s[6:7]
	v_mov_b32_e32 v2, s10
	s_xor_b64 exec, exec, s[6:7]
	s_cbranch_execz .LBB2_8162
; %bb.44003:
	s_getpc_b64 s[14:15]
.Lpost_getpc25585:
	s_add_u32 s14, s14, (.LBB2_22500-.Lpost_getpc25585)&4294967295
	s_addc_u32 s15, s15, (.LBB2_22500-.Lpost_getpc25585)>>32
	s_setpc_b64 s[14:15]
.LBB2_8162:
	s_or_b64 exec, exec, s[6:7]
	s_and_saveexec_b64 s[6:7], s[4:5]
	s_cbranch_execz .LBB2_8164
.LBB2_8163:
	v_mov_b32_e32 v2, 8
	v_and_b32_e32 v3, 7, v9
	v_lshrrev_b32_sdwa v2, v2, v9 dst_sel:BYTE_1 dst_unused:UNUSED_PAD src0_sel:DWORD src1_sel:DWORD
	v_ffbh_u32_e32 v4, v3
	v_or_b32_sdwa v2, v9, v2 dst_sel:DWORD dst_unused:UNUSED_PAD src0_sel:BYTE_0 src1_sel:DWORD
	v_min_u32_e32 v4, 32, v4
	v_lshrrev_b16_e32 v2, 3, v2
	v_subrev_u32_e32 v6, 28, v4
	v_and_b32_e32 v2, 15, v2
	v_lshlrev_b32_e32 v6, v6, v9
	v_sub_u32_e32 v4, 29, v4
	v_and_b32_e32 v6, 7, v6
	v_cmp_eq_u16_e32 vcc, 0, v2
	v_cndmask_b32_e32 v3, v3, v6, vcc
	v_cndmask_b32_e32 v2, v2, v4, vcc
	v_lshlrev_b32_e32 v4, 24, v9
	v_mov_b32_e32 v6, 0x3b800000
	v_lshlrev_b32_e32 v3, 20, v3
	v_and_b32_e32 v4, 0x80000000, v4
	v_lshl_add_u32 v2, v2, 23, v6
	v_or3_b32 v2, v4, v2, v3
.LBB2_8164:
	s_or_b64 exec, exec, s[6:7]
	s_movk_i32 s4, 0x7f
	v_cmp_gt_i16_sdwa s[6:7], v5, s4 src0_sel:BYTE_0 src1_sel:DWORD
	s_mov_b64 s[4:5], 0
                                        ; implicit-def: $sgpr10
	s_and_saveexec_b64 s[8:9], s[6:7]
	s_xor_b64 s[6:7], exec, s[8:9]
	s_cbranch_execz .LBB2_8165
; %bb.44005:
	s_getpc_b64 s[14:15]
.Lpost_getpc25586:
	s_add_u32 s14, s14, (.LBB2_22501-.Lpost_getpc25586)&4294967295
	s_addc_u32 s15, s15, (.LBB2_22501-.Lpost_getpc25586)>>32
	s_setpc_b64 s[14:15]
.LBB2_8165:
	s_or_saveexec_b64 s[6:7], s[6:7]
	v_mov_b32_e32 v3, s10
	s_xor_b64 exec, exec, s[6:7]
	s_cbranch_execz .LBB2_8166
; %bb.44007:
	s_getpc_b64 s[14:15]
.Lpost_getpc25587:
	s_add_u32 s14, s14, (.LBB2_22504-.Lpost_getpc25587)&4294967295
	s_addc_u32 s15, s15, (.LBB2_22504-.Lpost_getpc25587)>>32
	s_setpc_b64 s[14:15]
.LBB2_8166:
	s_or_b64 exec, exec, s[6:7]
	s_and_saveexec_b64 s[6:7], s[4:5]
	s_cbranch_execz .LBB2_8168
.LBB2_8167:
	v_mov_b32_e32 v3, 8
	v_and_b32_e32 v4, 7, v5
	v_lshrrev_b32_sdwa v3, v3, v5 dst_sel:BYTE_1 dst_unused:UNUSED_PAD src0_sel:DWORD src1_sel:DWORD
	v_ffbh_u32_e32 v6, v4
	v_or_b32_sdwa v3, v5, v3 dst_sel:DWORD dst_unused:UNUSED_PAD src0_sel:BYTE_0 src1_sel:DWORD
	v_min_u32_e32 v6, 32, v6
	v_lshrrev_b16_e32 v3, 3, v3
	v_subrev_u32_e32 v7, 28, v6
	v_and_b32_e32 v3, 15, v3
	v_lshlrev_b32_e32 v7, v7, v5
	v_sub_u32_e32 v6, 29, v6
	v_and_b32_e32 v7, 7, v7
	v_cmp_eq_u16_e32 vcc, 0, v3
	v_cndmask_b32_e32 v4, v4, v7, vcc
	v_cndmask_b32_e32 v3, v3, v6, vcc
	v_lshlrev_b32_e32 v6, 24, v5
	v_mov_b32_e32 v7, 0x3b800000
	v_lshlrev_b32_e32 v4, 20, v4
	v_and_b32_e32 v6, 0x80000000, v6
	v_lshl_add_u32 v3, v3, 23, v7
	v_or3_b32 v3, v6, v3, v4
.LBB2_8168:
	s_or_b64 exec, exec, s[6:7]
	s_nop 0
	v_mfma_f32_16x16x4f32 a[0:3], v2, v3, a[0:3]
	v_lshrrev_b32_e32 v3, 8, v9
	s_movk_i32 s4, 0x7f
	v_cmp_gt_i16_sdwa s[6:7], v3, s4 src0_sel:BYTE_0 src1_sel:DWORD
	s_mov_b64 s[4:5], 0
                                        ; implicit-def: $sgpr10
	s_and_saveexec_b64 s[8:9], s[6:7]
	s_xor_b64 s[6:7], exec, s[8:9]
	s_cbranch_execz .LBB2_8169
; %bb.44009:
	s_getpc_b64 s[14:15]
.Lpost_getpc25588:
	s_add_u32 s14, s14, (.LBB2_22505-.Lpost_getpc25588)&4294967295
	s_addc_u32 s15, s15, (.LBB2_22505-.Lpost_getpc25588)>>32
	s_setpc_b64 s[14:15]
.LBB2_8169:
	s_or_saveexec_b64 s[6:7], s[6:7]
	v_mov_b32_e32 v2, s10
	s_xor_b64 exec, exec, s[6:7]
	s_cbranch_execz .LBB2_8170
; %bb.44011:
	s_getpc_b64 s[14:15]
.Lpost_getpc25589:
	s_add_u32 s14, s14, (.LBB2_22508-.Lpost_getpc25589)&4294967295
	s_addc_u32 s15, s15, (.LBB2_22508-.Lpost_getpc25589)>>32
	s_setpc_b64 s[14:15]
.LBB2_8170:
	s_or_b64 exec, exec, s[6:7]
	s_and_saveexec_b64 s[6:7], s[4:5]
	s_cbranch_execz .LBB2_8172
.LBB2_8171:
	v_bfe_u32 v2, v9, 8, 3
	v_ffbh_u32_e32 v6, v2
	v_min_u32_e32 v6, 32, v6
	v_lshrrev_b16_e32 v4, 3, v3
	v_subrev_u32_e32 v7, 28, v6
	v_and_b32_e32 v4, 15, v4
	v_lshlrev_b32_e32 v3, v7, v3
	v_sub_u32_e32 v6, 29, v6
	v_and_b32_e32 v3, 7, v3
	v_cmp_eq_u16_e32 vcc, 0, v4
	v_cndmask_b32_e32 v2, v2, v3, vcc
	v_cndmask_b32_e32 v3, v4, v6, vcc
	v_lshlrev_b32_e32 v4, 16, v9
	v_mov_b32_e32 v6, 0x3b800000
	v_lshlrev_b32_e32 v2, 20, v2
	v_and_b32_e32 v4, 0x80000000, v4
	v_lshl_add_u32 v3, v3, 23, v6
	v_or3_b32 v2, v4, v3, v2
.LBB2_8172:
	s_or_b64 exec, exec, s[6:7]
	v_lshrrev_b32_e32 v3, 8, v5
	s_movk_i32 s4, 0x7f
	v_cmp_gt_i16_sdwa s[6:7], v3, s4 src0_sel:BYTE_0 src1_sel:DWORD
	s_mov_b64 s[4:5], 0
                                        ; implicit-def: $sgpr10
	s_and_saveexec_b64 s[8:9], s[6:7]
	s_xor_b64 s[6:7], exec, s[8:9]
	s_cbranch_execz .LBB2_8173
; %bb.44013:
	s_getpc_b64 s[14:15]
.Lpost_getpc25590:
	s_add_u32 s14, s14, (.LBB2_22509-.Lpost_getpc25590)&4294967295
	s_addc_u32 s15, s15, (.LBB2_22509-.Lpost_getpc25590)>>32
	s_setpc_b64 s[14:15]
.LBB2_8173:
	s_or_saveexec_b64 s[6:7], s[6:7]
	v_mov_b32_e32 v4, s10
	s_xor_b64 exec, exec, s[6:7]
	s_cbranch_execz .LBB2_8174
; %bb.44015:
	s_getpc_b64 s[14:15]
.Lpost_getpc25591:
	s_add_u32 s14, s14, (.LBB2_22512-.Lpost_getpc25591)&4294967295
	s_addc_u32 s15, s15, (.LBB2_22512-.Lpost_getpc25591)>>32
	s_setpc_b64 s[14:15]
.LBB2_8174:
	s_or_b64 exec, exec, s[6:7]
	s_and_saveexec_b64 s[6:7], s[4:5]
	s_cbranch_execz .LBB2_8176
.LBB2_8175:
	v_bfe_u32 v4, v5, 8, 3
	v_ffbh_u32_e32 v7, v4
	v_min_u32_e32 v7, 32, v7
	v_lshrrev_b16_e32 v6, 3, v3
	v_subrev_u32_e32 v8, 28, v7
	v_and_b32_e32 v6, 15, v6
	v_lshlrev_b32_e32 v3, v8, v3
	v_sub_u32_e32 v7, 29, v7
	v_and_b32_e32 v3, 7, v3
	v_cmp_eq_u16_e32 vcc, 0, v6
	v_cndmask_b32_e32 v3, v4, v3, vcc
	v_cndmask_b32_e32 v4, v6, v7, vcc
	v_lshlrev_b32_e32 v6, 16, v5
	v_mov_b32_e32 v7, 0x3b800000
	v_lshlrev_b32_e32 v3, 20, v3
	v_and_b32_e32 v6, 0x80000000, v6
	v_lshl_add_u32 v4, v4, 23, v7
	v_or3_b32 v4, v6, v4, v3
.LBB2_8176:
	s_or_b64 exec, exec, s[6:7]
	s_nop 0
	v_mfma_f32_16x16x4f32 a[0:3], v2, v4, a[0:3]
	s_movk_i32 s4, 0xff
	v_and_b32_sdwa v3, v9, s4 dst_sel:DWORD dst_unused:UNUSED_PAD src0_sel:WORD_1 src1_sel:DWORD
	s_movk_i32 s4, 0x7f
	v_cmp_lt_i16_e32 vcc, s4, v3
	s_mov_b64 s[4:5], 0
                                        ; implicit-def: $sgpr10
	s_and_saveexec_b64 s[6:7], vcc
	s_xor_b64 s[6:7], exec, s[6:7]
	s_cbranch_execz .LBB2_8177
; %bb.44017:
	s_getpc_b64 s[14:15]
.Lpost_getpc25592:
	s_add_u32 s14, s14, (.LBB2_22513-.Lpost_getpc25592)&4294967295
	s_addc_u32 s15, s15, (.LBB2_22513-.Lpost_getpc25592)>>32
	s_setpc_b64 s[14:15]
.LBB2_8177:
	s_or_saveexec_b64 s[6:7], s[6:7]
	v_mov_b32_e32 v2, s10
	s_xor_b64 exec, exec, s[6:7]
	s_cbranch_execz .LBB2_8178
; %bb.44019:
	s_getpc_b64 s[14:15]
.Lpost_getpc25593:
	s_add_u32 s14, s14, (.LBB2_22516-.Lpost_getpc25593)&4294967295
	s_addc_u32 s15, s15, (.LBB2_22516-.Lpost_getpc25593)>>32
	s_setpc_b64 s[14:15]
.LBB2_8178:
	s_or_b64 exec, exec, s[6:7]
	s_and_saveexec_b64 s[6:7], s[4:5]
	s_cbranch_execz .LBB2_8180
.LBB2_8179:
	v_bfe_u32 v2, v9, 16, 3
	v_ffbh_u32_e32 v6, v2
	v_min_u32_e32 v6, 32, v6
	v_lshrrev_b32_e32 v3, 19, v9
	v_subrev_u32_e32 v7, 28, v6
	v_and_b32_e32 v3, 15, v3
	v_lshlrev_b32_sdwa v7, v7, v9 dst_sel:DWORD dst_unused:UNUSED_PAD src0_sel:DWORD src1_sel:WORD_1
	v_bfe_u32 v4, v9, 19, 4
	v_sub_u32_e32 v6, 29, v6
	v_and_b32_e32 v7, 7, v7
	v_cmp_eq_u16_e32 vcc, 0, v3
	v_cndmask_b32_e32 v2, v2, v7, vcc
	v_cndmask_b32_e32 v3, v4, v6, vcc
	v_lshlrev_b32_e32 v4, 8, v9
	v_mov_b32_e32 v6, 0x3b800000
	v_lshlrev_b32_e32 v2, 20, v2
	v_and_b32_e32 v4, 0x80000000, v4
	v_lshl_add_u32 v3, v3, 23, v6
	v_or3_b32 v2, v4, v3, v2
.LBB2_8180:
	s_or_b64 exec, exec, s[6:7]
	s_movk_i32 s4, 0xff
	v_and_b32_sdwa v3, v5, s4 dst_sel:DWORD dst_unused:UNUSED_PAD src0_sel:WORD_1 src1_sel:DWORD
	s_movk_i32 s4, 0x7f
	v_cmp_lt_i16_e32 vcc, s4, v3
	s_mov_b64 s[4:5], 0
                                        ; implicit-def: $sgpr10
	s_and_saveexec_b64 s[6:7], vcc
	s_xor_b64 s[6:7], exec, s[6:7]
	s_cbranch_execz .LBB2_8181
; %bb.44021:
	s_getpc_b64 s[14:15]
.Lpost_getpc25594:
	s_add_u32 s14, s14, (.LBB2_22517-.Lpost_getpc25594)&4294967295
	s_addc_u32 s15, s15, (.LBB2_22517-.Lpost_getpc25594)>>32
	s_setpc_b64 s[14:15]
.LBB2_8181:
	s_or_saveexec_b64 s[6:7], s[6:7]
	v_mov_b32_e32 v4, s10
	s_xor_b64 exec, exec, s[6:7]
	s_cbranch_execz .LBB2_8182
; %bb.44023:
	s_getpc_b64 s[14:15]
.Lpost_getpc25595:
	s_add_u32 s14, s14, (.LBB2_22520-.Lpost_getpc25595)&4294967295
	s_addc_u32 s15, s15, (.LBB2_22520-.Lpost_getpc25595)>>32
	s_setpc_b64 s[14:15]
.LBB2_8182:
	s_or_b64 exec, exec, s[6:7]
	s_and_saveexec_b64 s[6:7], s[4:5]
	s_cbranch_execz .LBB2_8184
.LBB2_8183:
	v_bfe_u32 v3, v5, 16, 3
	v_ffbh_u32_e32 v7, v3
	v_min_u32_e32 v7, 32, v7
	v_lshrrev_b32_e32 v4, 19, v5
	v_subrev_u32_e32 v8, 28, v7
	v_and_b32_e32 v4, 15, v4
	v_lshlrev_b32_sdwa v8, v8, v5 dst_sel:DWORD dst_unused:UNUSED_PAD src0_sel:DWORD src1_sel:WORD_1
	v_bfe_u32 v6, v5, 19, 4
	v_sub_u32_e32 v7, 29, v7
	v_and_b32_e32 v8, 7, v8
	v_cmp_eq_u16_e32 vcc, 0, v4
	v_cndmask_b32_e32 v3, v3, v8, vcc
	v_cndmask_b32_e32 v4, v6, v7, vcc
	v_lshlrev_b32_e32 v6, 8, v5
	v_mov_b32_e32 v7, 0x3b800000
	v_lshlrev_b32_e32 v3, 20, v3
	v_and_b32_e32 v6, 0x80000000, v6
	v_lshl_add_u32 v4, v4, 23, v7
	v_or3_b32 v4, v6, v4, v3
.LBB2_8184:
	s_or_b64 exec, exec, s[6:7]
	s_nop 0
	v_mfma_f32_16x16x4f32 a[0:3], v2, v4, a[0:3]
	s_movk_i32 s4, 0x7f
	v_cmp_gt_i16_sdwa s[6:7], v9, s4 src0_sel:BYTE_3 src1_sel:DWORD
	s_mov_b64 s[4:5], 0
                                        ; implicit-def: $sgpr10
	s_and_saveexec_b64 s[8:9], s[6:7]
	s_xor_b64 s[6:7], exec, s[8:9]
	s_cbranch_execz .LBB2_8185
; %bb.44025:
	s_getpc_b64 s[14:15]
.Lpost_getpc25596:
	s_add_u32 s14, s14, (.LBB2_22521-.Lpost_getpc25596)&4294967295
	s_addc_u32 s15, s15, (.LBB2_22521-.Lpost_getpc25596)>>32
	s_setpc_b64 s[14:15]
.LBB2_8185:
	s_or_saveexec_b64 s[6:7], s[6:7]
	v_mov_b32_e32 v2, s10
	s_xor_b64 exec, exec, s[6:7]
	s_cbranch_execz .LBB2_8186
; %bb.44027:
	s_getpc_b64 s[14:15]
.Lpost_getpc25597:
	s_add_u32 s14, s14, (.LBB2_22524-.Lpost_getpc25597)&4294967295
	s_addc_u32 s15, s15, (.LBB2_22524-.Lpost_getpc25597)>>32
	s_setpc_b64 s[14:15]
.LBB2_8186:
	s_or_b64 exec, exec, s[6:7]
	s_and_saveexec_b64 s[6:7], s[4:5]
	s_cbranch_execz .LBB2_8188
.LBB2_8187:
	v_bfe_u32 v2, v9, 24, 3
	v_ffbh_u32_e32 v7, v2
	v_min_u32_e32 v7, 32, v7
	v_lshrrev_b32_e32 v4, 27, v9
	v_subrev_u32_e32 v8, 28, v7
	v_and_b32_e32 v4, 15, v4
	v_lshlrev_b32_sdwa v8, v8, v9 dst_sel:DWORD dst_unused:UNUSED_PAD src0_sel:DWORD src1_sel:BYTE_3
	v_bfe_u32 v6, v9, 27, 4
	v_sub_u32_e32 v7, 29, v7
	v_and_b32_e32 v8, 7, v8
	v_cmp_eq_u16_e32 vcc, 0, v4
	v_cndmask_b32_e32 v2, v2, v8, vcc
	v_cndmask_b32_e32 v4, v6, v7, vcc
	v_mov_b32_e32 v6, 0x3b800000
	v_and_b32_e32 v3, 0x80000000, v9
	v_lshlrev_b32_e32 v2, 20, v2
	v_lshl_add_u32 v4, v4, 23, v6
	v_or3_b32 v2, v3, v4, v2
.LBB2_8188:
	s_or_b64 exec, exec, s[6:7]
	s_movk_i32 s4, 0x7f
	v_cmp_gt_i16_sdwa s[6:7], v5, s4 src0_sel:BYTE_3 src1_sel:DWORD
	s_mov_b64 s[4:5], 0
                                        ; implicit-def: $sgpr10
	s_and_saveexec_b64 s[8:9], s[6:7]
	s_xor_b64 s[6:7], exec, s[8:9]
	s_cbranch_execz .LBB2_8189
; %bb.44029:
	s_getpc_b64 s[14:15]
.Lpost_getpc25598:
	s_add_u32 s14, s14, (.LBB2_22525-.Lpost_getpc25598)&4294967295
	s_addc_u32 s15, s15, (.LBB2_22525-.Lpost_getpc25598)>>32
	s_setpc_b64 s[14:15]
.LBB2_8189:
	s_or_saveexec_b64 s[6:7], s[6:7]
	v_mov_b32_e32 v3, s10
	s_xor_b64 exec, exec, s[6:7]
	s_cbranch_execz .LBB2_8190
; %bb.44031:
	s_getpc_b64 s[14:15]
.Lpost_getpc25599:
	s_add_u32 s14, s14, (.LBB2_22528-.Lpost_getpc25599)&4294967295
	s_addc_u32 s15, s15, (.LBB2_22528-.Lpost_getpc25599)>>32
	s_setpc_b64 s[14:15]
.LBB2_8190:
	s_or_b64 exec, exec, s[6:7]
	s_and_saveexec_b64 s[6:7], s[4:5]
	s_cbranch_execz .LBB2_8192
.LBB2_8191:
	v_bfe_u32 v3, v5, 24, 3
	v_ffbh_u32_e32 v8, v3
	v_min_u32_e32 v8, 32, v8
	v_lshrrev_b32_e32 v6, 27, v5
	v_subrev_u32_e32 v9, 28, v8
	v_and_b32_e32 v4, 0x80000000, v5
	v_and_b32_e32 v6, 15, v6
	v_bfe_u32 v7, v5, 27, 4
	v_lshlrev_b32_sdwa v5, v9, v5 dst_sel:DWORD dst_unused:UNUSED_PAD src0_sel:DWORD src1_sel:BYTE_3
	v_sub_u32_e32 v8, 29, v8
	v_and_b32_e32 v5, 7, v5
	v_cmp_eq_u16_e32 vcc, 0, v6
	v_cndmask_b32_e32 v3, v3, v5, vcc
	v_cndmask_b32_e32 v5, v7, v8, vcc
	v_mov_b32_e32 v6, 0x3b800000
	v_lshlrev_b32_e32 v3, 20, v3
	v_lshl_add_u32 v5, v5, 23, v6
	v_or3_b32 v3, v4, v5, v3
.LBB2_8192:
	s_or_b64 exec, exec, s[6:7]
	s_nop 0
	v_mfma_f32_16x16x4f32 a[0:3], v2, v3, a[0:3]
	s_movk_i32 s4, 0x7f
                                        ; implicit-def: $sgpr10
	s_nop 7
	s_nop 1
	flat_store_dwordx4 v[10:11], a[0:3] offset:112
	flat_load_dwordx4 v[12:15], v[0:1]
	s_nop 0
	flat_load_dwordx2 v[10:11], v[0:1] offset:16
	s_waitcnt vmcnt(0) lgkmcnt(0)
	flat_load_dwordx4 v[6:9], v[12:13] offset:128
	flat_load_dwordx4 v[2:5], v[14:15] offset:128
	s_waitcnt vmcnt(0) lgkmcnt(0)
	v_cmp_gt_i16_sdwa s[6:7], v6, s4 src0_sel:BYTE_0 src1_sel:DWORD
	s_mov_b64 s[4:5], 0
	s_and_saveexec_b64 s[8:9], s[6:7]
	s_xor_b64 s[6:7], exec, s[8:9]
	s_cbranch_execz .LBB2_8193
; %bb.44033:
	s_getpc_b64 s[14:15]
.Lpost_getpc25600:
	s_add_u32 s14, s14, (.LBB2_22529-.Lpost_getpc25600)&4294967295
	s_addc_u32 s15, s15, (.LBB2_22529-.Lpost_getpc25600)>>32
	s_setpc_b64 s[14:15]
.LBB2_8193:
	s_or_saveexec_b64 s[6:7], s[6:7]
	v_mov_b32_e32 v12, s10
	s_xor_b64 exec, exec, s[6:7]
	s_cbranch_execz .LBB2_8194
; %bb.44035:
	s_getpc_b64 s[14:15]
.Lpost_getpc25601:
	s_add_u32 s14, s14, (.LBB2_22532-.Lpost_getpc25601)&4294967295
	s_addc_u32 s15, s15, (.LBB2_22532-.Lpost_getpc25601)>>32
	s_setpc_b64 s[14:15]
.LBB2_8194:
	s_or_b64 exec, exec, s[6:7]
	s_and_saveexec_b64 s[6:7], s[4:5]
	s_cbranch_execz .LBB2_8196
.LBB2_8195:
	v_and_b32_e32 v12, 7, v6
	v_ffbh_u32_e32 v14, v12
	v_min_u32_e32 v14, 32, v14
	v_lshrrev_b16_e32 v13, 3, v6
	v_subrev_u32_e32 v15, 28, v14
	v_and_b32_e32 v13, 15, v13
	v_lshlrev_b32_e32 v15, v15, v6
	v_sub_u32_e32 v14, 29, v14
	v_and_b32_e32 v15, 7, v15
	v_cmp_eq_u16_e32 vcc, 0, v13
	v_cndmask_b32_e32 v12, v12, v15, vcc
	v_cndmask_b32_e32 v13, v13, v14, vcc
	v_lshlrev_b32_e32 v14, 24, v6
	v_mov_b32_e32 v15, 0x3b800000
	v_lshlrev_b32_e32 v12, 20, v12
	v_and_b32_e32 v14, 0x80000000, v14
	v_lshl_add_u32 v13, v13, 23, v15
	v_or3_b32 v12, v14, v13, v12
.LBB2_8196:
	s_or_b64 exec, exec, s[6:7]
	s_movk_i32 s4, 0x7f
	v_cmp_gt_i16_sdwa s[6:7], v2, s4 src0_sel:BYTE_0 src1_sel:DWORD
	s_mov_b64 s[4:5], 0
                                        ; implicit-def: $sgpr10
	s_and_saveexec_b64 s[8:9], s[6:7]
	s_xor_b64 s[6:7], exec, s[8:9]
	s_cbranch_execz .LBB2_8197
; %bb.44037:
	s_getpc_b64 s[14:15]
.Lpost_getpc25602:
	s_add_u32 s14, s14, (.LBB2_22533-.Lpost_getpc25602)&4294967295
	s_addc_u32 s15, s15, (.LBB2_22533-.Lpost_getpc25602)>>32
	s_setpc_b64 s[14:15]
.LBB2_8197:
	s_or_saveexec_b64 s[6:7], s[6:7]
	v_mov_b32_e32 v13, s10
	s_xor_b64 exec, exec, s[6:7]
	s_cbranch_execz .LBB2_8198
; %bb.44039:
	s_getpc_b64 s[14:15]
.Lpost_getpc25603:
	s_add_u32 s14, s14, (.LBB2_22536-.Lpost_getpc25603)&4294967295
	s_addc_u32 s15, s15, (.LBB2_22536-.Lpost_getpc25603)>>32
	s_setpc_b64 s[14:15]
.LBB2_8198:
	s_or_b64 exec, exec, s[6:7]
	s_and_saveexec_b64 s[6:7], s[4:5]
	s_cbranch_execz .LBB2_8200
.LBB2_8199:
	v_and_b32_e32 v13, 7, v2
	v_ffbh_u32_e32 v15, v13
	v_min_u32_e32 v15, 32, v15
	v_lshrrev_b16_e32 v14, 3, v2
	v_subrev_u32_e32 v16, 28, v15
	v_and_b32_e32 v14, 15, v14
	v_lshlrev_b32_e32 v16, v16, v2
	v_sub_u32_e32 v15, 29, v15
	v_and_b32_e32 v16, 7, v16
	v_cmp_eq_u16_e32 vcc, 0, v14
	v_cndmask_b32_e32 v13, v13, v16, vcc
	v_cndmask_b32_e32 v14, v14, v15, vcc
	v_lshlrev_b32_e32 v15, 24, v2
	v_mov_b32_e32 v16, 0x3b800000
	v_lshlrev_b32_e32 v13, 20, v13
	v_and_b32_e32 v15, 0x80000000, v15
	v_lshl_add_u32 v14, v14, 23, v16
	v_or3_b32 v13, v15, v14, v13
.LBB2_8200:
	s_or_b64 exec, exec, s[6:7]
	flat_load_dwordx4 a[0:3], v[10:11] offset:128
	s_movk_i32 s4, 0x7f
                                        ; implicit-def: $sgpr10
	s_waitcnt vmcnt(0) lgkmcnt(0)
	v_mfma_f32_16x16x4f32 a[0:3], v12, v13, a[0:3]
	v_lshrrev_b32_e32 v13, 8, v6
	v_cmp_gt_i16_sdwa s[6:7], v13, s4 src0_sel:BYTE_0 src1_sel:DWORD
	s_mov_b64 s[4:5], 0
	s_and_saveexec_b64 s[8:9], s[6:7]
	s_xor_b64 s[6:7], exec, s[8:9]
	s_cbranch_execz .LBB2_8201
; %bb.44041:
	s_getpc_b64 s[14:15]
.Lpost_getpc25604:
	s_add_u32 s14, s14, (.LBB2_22537-.Lpost_getpc25604)&4294967295
	s_addc_u32 s15, s15, (.LBB2_22537-.Lpost_getpc25604)>>32
	s_setpc_b64 s[14:15]
.LBB2_8201:
	s_or_saveexec_b64 s[6:7], s[6:7]
	v_mov_b32_e32 v12, s10
	s_xor_b64 exec, exec, s[6:7]
	s_cbranch_execz .LBB2_8202
; %bb.44043:
	s_getpc_b64 s[14:15]
.Lpost_getpc25605:
	s_add_u32 s14, s14, (.LBB2_22540-.Lpost_getpc25605)&4294967295
	s_addc_u32 s15, s15, (.LBB2_22540-.Lpost_getpc25605)>>32
	s_setpc_b64 s[14:15]
.LBB2_8202:
	s_or_b64 exec, exec, s[6:7]
	s_and_saveexec_b64 s[6:7], s[4:5]
	s_cbranch_execz .LBB2_8204
.LBB2_8203:
	v_bfe_u32 v12, v6, 8, 3
	v_ffbh_u32_e32 v15, v12
	v_min_u32_e32 v15, 32, v15
	v_lshrrev_b16_e32 v14, 3, v13
	v_subrev_u32_e32 v16, 28, v15
	v_and_b32_e32 v14, 15, v14
	v_lshlrev_b32_e32 v13, v16, v13
	v_sub_u32_e32 v15, 29, v15
	v_and_b32_e32 v13, 7, v13
	v_cmp_eq_u16_e32 vcc, 0, v14
	v_cndmask_b32_e32 v12, v12, v13, vcc
	v_cndmask_b32_e32 v13, v14, v15, vcc
	v_lshlrev_b32_e32 v14, 16, v6
	v_mov_b32_e32 v15, 0x3b800000
	v_lshlrev_b32_e32 v12, 20, v12
	v_and_b32_e32 v14, 0x80000000, v14
	v_lshl_add_u32 v13, v13, 23, v15
	v_or3_b32 v12, v14, v13, v12
.LBB2_8204:
	s_or_b64 exec, exec, s[6:7]
	v_lshrrev_b32_e32 v13, 8, v2
	s_movk_i32 s4, 0x7f
	v_cmp_gt_i16_sdwa s[6:7], v13, s4 src0_sel:BYTE_0 src1_sel:DWORD
	s_mov_b64 s[4:5], 0
                                        ; implicit-def: $sgpr10
	s_and_saveexec_b64 s[8:9], s[6:7]
	s_xor_b64 s[6:7], exec, s[8:9]
	s_cbranch_execz .LBB2_8205
; %bb.44045:
	s_getpc_b64 s[14:15]
.Lpost_getpc25606:
	s_add_u32 s14, s14, (.LBB2_22541-.Lpost_getpc25606)&4294967295
	s_addc_u32 s15, s15, (.LBB2_22541-.Lpost_getpc25606)>>32
	s_setpc_b64 s[14:15]
.LBB2_8205:
	s_or_saveexec_b64 s[6:7], s[6:7]
	v_mov_b32_e32 v14, s10
	s_xor_b64 exec, exec, s[6:7]
	s_cbranch_execz .LBB2_8206
; %bb.44047:
	s_getpc_b64 s[14:15]
.Lpost_getpc25607:
	s_add_u32 s14, s14, (.LBB2_22544-.Lpost_getpc25607)&4294967295
	s_addc_u32 s15, s15, (.LBB2_22544-.Lpost_getpc25607)>>32
	s_setpc_b64 s[14:15]
.LBB2_8206:
	s_or_b64 exec, exec, s[6:7]
	s_and_saveexec_b64 s[6:7], s[4:5]
	s_cbranch_execz .LBB2_8208
.LBB2_8207:
	v_bfe_u32 v14, v2, 8, 3
	v_ffbh_u32_e32 v16, v14
	v_min_u32_e32 v16, 32, v16
	v_lshrrev_b16_e32 v15, 3, v13
	v_subrev_u32_e32 v17, 28, v16
	v_and_b32_e32 v15, 15, v15
	v_lshlrev_b32_e32 v13, v17, v13
	v_sub_u32_e32 v16, 29, v16
	v_and_b32_e32 v13, 7, v13
	v_cmp_eq_u16_e32 vcc, 0, v15
	v_cndmask_b32_e32 v13, v14, v13, vcc
	v_cndmask_b32_e32 v14, v15, v16, vcc
	v_lshlrev_b32_e32 v15, 16, v2
	v_mov_b32_e32 v16, 0x3b800000
	v_lshlrev_b32_e32 v13, 20, v13
	v_and_b32_e32 v15, 0x80000000, v15
	v_lshl_add_u32 v14, v14, 23, v16
	v_or3_b32 v14, v15, v14, v13
.LBB2_8208:
	s_or_b64 exec, exec, s[6:7]
	s_nop 0
	v_mfma_f32_16x16x4f32 a[0:3], v12, v14, a[0:3]
	s_movk_i32 s4, 0xff
	v_and_b32_sdwa v13, v6, s4 dst_sel:DWORD dst_unused:UNUSED_PAD src0_sel:WORD_1 src1_sel:DWORD
	s_movk_i32 s4, 0x7f
	v_cmp_lt_i16_e32 vcc, s4, v13
	s_mov_b64 s[4:5], 0
                                        ; implicit-def: $sgpr10
	s_and_saveexec_b64 s[6:7], vcc
	s_xor_b64 s[6:7], exec, s[6:7]
	s_cbranch_execz .LBB2_8209
; %bb.44049:
	s_getpc_b64 s[14:15]
.Lpost_getpc25608:
	s_add_u32 s14, s14, (.LBB2_22545-.Lpost_getpc25608)&4294967295
	s_addc_u32 s15, s15, (.LBB2_22545-.Lpost_getpc25608)>>32
	s_setpc_b64 s[14:15]
.LBB2_8209:
	s_or_saveexec_b64 s[6:7], s[6:7]
	v_mov_b32_e32 v12, s10
	s_xor_b64 exec, exec, s[6:7]
	s_cbranch_execz .LBB2_8210
; %bb.44051:
	s_getpc_b64 s[14:15]
.Lpost_getpc25609:
	s_add_u32 s14, s14, (.LBB2_22548-.Lpost_getpc25609)&4294967295
	s_addc_u32 s15, s15, (.LBB2_22548-.Lpost_getpc25609)>>32
	s_setpc_b64 s[14:15]
.LBB2_8210:
	s_or_b64 exec, exec, s[6:7]
	s_and_saveexec_b64 s[6:7], s[4:5]
	s_cbranch_execz .LBB2_8212
.LBB2_8211:
	v_bfe_u32 v12, v6, 16, 3
	v_ffbh_u32_e32 v15, v12
	v_min_u32_e32 v15, 32, v15
	v_lshrrev_b32_e32 v13, 19, v6
	v_subrev_u32_e32 v16, 28, v15
	v_and_b32_e32 v13, 15, v13
	v_lshlrev_b32_sdwa v16, v16, v6 dst_sel:DWORD dst_unused:UNUSED_PAD src0_sel:DWORD src1_sel:WORD_1
	v_bfe_u32 v14, v6, 19, 4
	v_sub_u32_e32 v15, 29, v15
	v_and_b32_e32 v16, 7, v16
	v_cmp_eq_u16_e32 vcc, 0, v13
	v_cndmask_b32_e32 v12, v12, v16, vcc
	v_cndmask_b32_e32 v13, v14, v15, vcc
	v_lshlrev_b32_e32 v14, 8, v6
	v_mov_b32_e32 v15, 0x3b800000
	v_lshlrev_b32_e32 v12, 20, v12
	v_and_b32_e32 v14, 0x80000000, v14
	v_lshl_add_u32 v13, v13, 23, v15
	v_or3_b32 v12, v14, v13, v12
.LBB2_8212:
	s_or_b64 exec, exec, s[6:7]
	s_movk_i32 s4, 0xff
	v_and_b32_sdwa v13, v2, s4 dst_sel:DWORD dst_unused:UNUSED_PAD src0_sel:WORD_1 src1_sel:DWORD
	s_movk_i32 s4, 0x7f
	v_cmp_lt_i16_e32 vcc, s4, v13
	s_mov_b64 s[4:5], 0
                                        ; implicit-def: $sgpr10
	s_and_saveexec_b64 s[6:7], vcc
	s_xor_b64 s[6:7], exec, s[6:7]
	s_cbranch_execz .LBB2_8213
; %bb.44053:
	s_getpc_b64 s[14:15]
.Lpost_getpc25610:
	s_add_u32 s14, s14, (.LBB2_22549-.Lpost_getpc25610)&4294967295
	s_addc_u32 s15, s15, (.LBB2_22549-.Lpost_getpc25610)>>32
	s_setpc_b64 s[14:15]
.LBB2_8213:
	s_or_saveexec_b64 s[6:7], s[6:7]
	v_mov_b32_e32 v14, s10
	s_xor_b64 exec, exec, s[6:7]
	s_cbranch_execz .LBB2_8214
; %bb.44055:
	s_getpc_b64 s[14:15]
.Lpost_getpc25611:
	s_add_u32 s14, s14, (.LBB2_22552-.Lpost_getpc25611)&4294967295
	s_addc_u32 s15, s15, (.LBB2_22552-.Lpost_getpc25611)>>32
	s_setpc_b64 s[14:15]
.LBB2_8214:
	s_or_b64 exec, exec, s[6:7]
	s_and_saveexec_b64 s[6:7], s[4:5]
	s_cbranch_execz .LBB2_8216
.LBB2_8215:
	v_bfe_u32 v13, v2, 16, 3
	v_ffbh_u32_e32 v16, v13
	v_min_u32_e32 v16, 32, v16
	v_lshrrev_b32_e32 v14, 19, v2
	v_subrev_u32_e32 v17, 28, v16
	v_and_b32_e32 v14, 15, v14
	v_lshlrev_b32_sdwa v17, v17, v2 dst_sel:DWORD dst_unused:UNUSED_PAD src0_sel:DWORD src1_sel:WORD_1
	v_bfe_u32 v15, v2, 19, 4
	v_sub_u32_e32 v16, 29, v16
	v_and_b32_e32 v17, 7, v17
	v_cmp_eq_u16_e32 vcc, 0, v14
	v_cndmask_b32_e32 v13, v13, v17, vcc
	v_cndmask_b32_e32 v14, v15, v16, vcc
	v_lshlrev_b32_e32 v15, 8, v2
	v_mov_b32_e32 v16, 0x3b800000
	v_lshlrev_b32_e32 v13, 20, v13
	v_and_b32_e32 v15, 0x80000000, v15
	v_lshl_add_u32 v14, v14, 23, v16
	v_or3_b32 v14, v15, v14, v13
.LBB2_8216:
	s_or_b64 exec, exec, s[6:7]
	s_nop 0
	v_mfma_f32_16x16x4f32 a[0:3], v12, v14, a[0:3]
	s_movk_i32 s4, 0x7f
	v_cmp_gt_i16_sdwa s[6:7], v6, s4 src0_sel:BYTE_3 src1_sel:DWORD
	s_mov_b64 s[4:5], 0
                                        ; implicit-def: $sgpr10
	s_and_saveexec_b64 s[8:9], s[6:7]
	s_xor_b64 s[6:7], exec, s[8:9]
	s_cbranch_execz .LBB2_8217
; %bb.44057:
	s_getpc_b64 s[14:15]
.Lpost_getpc25612:
	s_add_u32 s14, s14, (.LBB2_22553-.Lpost_getpc25612)&4294967295
	s_addc_u32 s15, s15, (.LBB2_22553-.Lpost_getpc25612)>>32
	s_setpc_b64 s[14:15]
.LBB2_8217:
	s_or_saveexec_b64 s[6:7], s[6:7]
	v_mov_b32_e32 v12, s10
	s_xor_b64 exec, exec, s[6:7]
	s_cbranch_execz .LBB2_8218
; %bb.44059:
	s_getpc_b64 s[14:15]
.Lpost_getpc25613:
	s_add_u32 s14, s14, (.LBB2_22556-.Lpost_getpc25613)&4294967295
	s_addc_u32 s15, s15, (.LBB2_22556-.Lpost_getpc25613)>>32
	s_setpc_b64 s[14:15]
.LBB2_8218:
	s_or_b64 exec, exec, s[6:7]
	s_and_saveexec_b64 s[6:7], s[4:5]
	s_cbranch_execz .LBB2_8220
.LBB2_8219:
	v_bfe_u32 v12, v6, 24, 3
	v_ffbh_u32_e32 v16, v12
	v_min_u32_e32 v16, 32, v16
	v_lshrrev_b32_e32 v14, 27, v6
	v_subrev_u32_e32 v17, 28, v16
	v_and_b32_e32 v13, 0x80000000, v6
	v_and_b32_e32 v14, 15, v14
	v_bfe_u32 v15, v6, 27, 4
	v_lshlrev_b32_sdwa v6, v17, v6 dst_sel:DWORD dst_unused:UNUSED_PAD src0_sel:DWORD src1_sel:BYTE_3
	v_sub_u32_e32 v16, 29, v16
	v_and_b32_e32 v6, 7, v6
	v_cmp_eq_u16_e32 vcc, 0, v14
	v_cndmask_b32_e32 v6, v12, v6, vcc
	v_cndmask_b32_e32 v12, v15, v16, vcc
	v_mov_b32_e32 v14, 0x3b800000
	v_lshlrev_b32_e32 v6, 20, v6
	v_lshl_add_u32 v12, v12, 23, v14
	v_or3_b32 v12, v13, v12, v6
.LBB2_8220:
	s_or_b64 exec, exec, s[6:7]
	s_movk_i32 s4, 0x7f
	v_cmp_gt_i16_sdwa s[6:7], v2, s4 src0_sel:BYTE_3 src1_sel:DWORD
	s_mov_b64 s[4:5], 0
                                        ; implicit-def: $sgpr10
	s_and_saveexec_b64 s[8:9], s[6:7]
	s_xor_b64 s[6:7], exec, s[8:9]
	s_cbranch_execz .LBB2_8221
; %bb.44061:
	s_getpc_b64 s[14:15]
.Lpost_getpc25614:
	s_add_u32 s14, s14, (.LBB2_22557-.Lpost_getpc25614)&4294967295
	s_addc_u32 s15, s15, (.LBB2_22557-.Lpost_getpc25614)>>32
	s_setpc_b64 s[14:15]
.LBB2_8221:
	s_or_saveexec_b64 s[6:7], s[6:7]
	v_mov_b32_e32 v6, s10
	s_xor_b64 exec, exec, s[6:7]
	s_cbranch_execz .LBB2_8222
; %bb.44063:
	s_getpc_b64 s[14:15]
.Lpost_getpc25615:
	s_add_u32 s14, s14, (.LBB2_22560-.Lpost_getpc25615)&4294967295
	s_addc_u32 s15, s15, (.LBB2_22560-.Lpost_getpc25615)>>32
	s_setpc_b64 s[14:15]
.LBB2_8222:
	s_or_b64 exec, exec, s[6:7]
	s_and_saveexec_b64 s[6:7], s[4:5]
	s_cbranch_execz .LBB2_8224
.LBB2_8223:
	v_bfe_u32 v6, v2, 24, 3
	v_ffbh_u32_e32 v16, v6
	v_min_u32_e32 v16, 32, v16
	v_lshrrev_b32_e32 v14, 27, v2
	v_subrev_u32_e32 v17, 28, v16
	v_and_b32_e32 v13, 0x80000000, v2
	v_and_b32_e32 v14, 15, v14
	v_bfe_u32 v15, v2, 27, 4
	v_lshlrev_b32_sdwa v2, v17, v2 dst_sel:DWORD dst_unused:UNUSED_PAD src0_sel:DWORD src1_sel:BYTE_3
	v_sub_u32_e32 v16, 29, v16
	v_and_b32_e32 v2, 7, v2
	v_cmp_eq_u16_e32 vcc, 0, v14
	v_cndmask_b32_e32 v2, v6, v2, vcc
	v_cndmask_b32_e32 v6, v15, v16, vcc
	v_mov_b32_e32 v14, 0x3b800000
	v_lshlrev_b32_e32 v2, 20, v2
	v_lshl_add_u32 v6, v6, 23, v14
	v_or3_b32 v6, v13, v6, v2
.LBB2_8224:
	s_or_b64 exec, exec, s[6:7]
	s_nop 0
	v_mfma_f32_16x16x4f32 a[0:3], v12, v6, a[0:3]
	s_movk_i32 s4, 0x7f
	v_cmp_gt_i16_sdwa s[6:7], v7, s4 src0_sel:BYTE_0 src1_sel:DWORD
	s_mov_b64 s[4:5], 0
                                        ; implicit-def: $sgpr10
	s_and_saveexec_b64 s[8:9], s[6:7]
	s_xor_b64 s[6:7], exec, s[8:9]
	s_cbranch_execz .LBB2_8225
; %bb.44065:
	s_getpc_b64 s[14:15]
.Lpost_getpc25616:
	s_add_u32 s14, s14, (.LBB2_22561-.Lpost_getpc25616)&4294967295
	s_addc_u32 s15, s15, (.LBB2_22561-.Lpost_getpc25616)>>32
	s_setpc_b64 s[14:15]
.LBB2_8225:
	s_or_saveexec_b64 s[6:7], s[6:7]
	v_mov_b32_e32 v2, s10
	s_xor_b64 exec, exec, s[6:7]
	s_cbranch_execz .LBB2_8226
; %bb.44067:
	s_getpc_b64 s[14:15]
.Lpost_getpc25617:
	s_add_u32 s14, s14, (.LBB2_22564-.Lpost_getpc25617)&4294967295
	s_addc_u32 s15, s15, (.LBB2_22564-.Lpost_getpc25617)>>32
	s_setpc_b64 s[14:15]
.LBB2_8226:
	s_or_b64 exec, exec, s[6:7]
	s_and_saveexec_b64 s[6:7], s[4:5]
	s_cbranch_execz .LBB2_8228
.LBB2_8227:
	v_and_b32_e32 v2, 7, v7
	v_ffbh_u32_e32 v12, v2
	v_min_u32_e32 v12, 32, v12
	v_lshrrev_b16_e32 v6, 3, v7
	v_subrev_u32_e32 v13, 28, v12
	v_and_b32_e32 v6, 15, v6
	v_lshlrev_b32_e32 v13, v13, v7
	v_sub_u32_e32 v12, 29, v12
	v_and_b32_e32 v13, 7, v13
	v_cmp_eq_u16_e32 vcc, 0, v6
	v_cndmask_b32_e32 v2, v2, v13, vcc
	v_cndmask_b32_e32 v6, v6, v12, vcc
	v_lshlrev_b32_e32 v12, 24, v7
	v_mov_b32_e32 v13, 0x3b800000
	v_lshlrev_b32_e32 v2, 20, v2
	v_and_b32_e32 v12, 0x80000000, v12
	v_lshl_add_u32 v6, v6, 23, v13
	v_or3_b32 v2, v12, v6, v2
.LBB2_8228:
	s_or_b64 exec, exec, s[6:7]
	s_movk_i32 s4, 0x7f
	v_cmp_gt_i16_sdwa s[6:7], v3, s4 src0_sel:BYTE_0 src1_sel:DWORD
	s_mov_b64 s[4:5], 0
                                        ; implicit-def: $sgpr10
	s_and_saveexec_b64 s[8:9], s[6:7]
	s_xor_b64 s[6:7], exec, s[8:9]
	s_cbranch_execz .LBB2_8229
; %bb.44069:
	s_getpc_b64 s[14:15]
.Lpost_getpc25618:
	s_add_u32 s14, s14, (.LBB2_22565-.Lpost_getpc25618)&4294967295
	s_addc_u32 s15, s15, (.LBB2_22565-.Lpost_getpc25618)>>32
	s_setpc_b64 s[14:15]
.LBB2_8229:
	s_or_saveexec_b64 s[6:7], s[6:7]
	v_mov_b32_e32 v6, s10
	s_xor_b64 exec, exec, s[6:7]
	s_cbranch_execz .LBB2_8230
; %bb.44071:
	s_getpc_b64 s[14:15]
.Lpost_getpc25619:
	s_add_u32 s14, s14, (.LBB2_22568-.Lpost_getpc25619)&4294967295
	s_addc_u32 s15, s15, (.LBB2_22568-.Lpost_getpc25619)>>32
	s_setpc_b64 s[14:15]
.LBB2_8230:
	s_or_b64 exec, exec, s[6:7]
	s_and_saveexec_b64 s[6:7], s[4:5]
	s_cbranch_execz .LBB2_8232
.LBB2_8231:
	v_and_b32_e32 v6, 7, v3
	v_ffbh_u32_e32 v13, v6
	v_min_u32_e32 v13, 32, v13
	v_lshrrev_b16_e32 v12, 3, v3
	v_subrev_u32_e32 v14, 28, v13
	v_and_b32_e32 v12, 15, v12
	v_lshlrev_b32_e32 v14, v14, v3
	v_sub_u32_e32 v13, 29, v13
	v_and_b32_e32 v14, 7, v14
	v_cmp_eq_u16_e32 vcc, 0, v12
	v_cndmask_b32_e32 v6, v6, v14, vcc
	v_cndmask_b32_e32 v12, v12, v13, vcc
	v_lshlrev_b32_e32 v13, 24, v3
	v_mov_b32_e32 v14, 0x3b800000
	v_lshlrev_b32_e32 v6, 20, v6
	v_and_b32_e32 v13, 0x80000000, v13
	v_lshl_add_u32 v12, v12, 23, v14
	v_or3_b32 v6, v13, v12, v6
.LBB2_8232:
	s_or_b64 exec, exec, s[6:7]
	s_nop 0
	v_mfma_f32_16x16x4f32 a[0:3], v2, v6, a[0:3]
	v_lshrrev_b32_e32 v6, 8, v7
	s_movk_i32 s4, 0x7f
	v_cmp_gt_i16_sdwa s[6:7], v6, s4 src0_sel:BYTE_0 src1_sel:DWORD
	s_mov_b64 s[4:5], 0
                                        ; implicit-def: $sgpr10
	s_and_saveexec_b64 s[8:9], s[6:7]
	s_xor_b64 s[6:7], exec, s[8:9]
	s_cbranch_execz .LBB2_8233
; %bb.44073:
	s_getpc_b64 s[14:15]
.Lpost_getpc25620:
	s_add_u32 s14, s14, (.LBB2_22569-.Lpost_getpc25620)&4294967295
	s_addc_u32 s15, s15, (.LBB2_22569-.Lpost_getpc25620)>>32
	s_setpc_b64 s[14:15]
.LBB2_8233:
	s_or_saveexec_b64 s[6:7], s[6:7]
	v_mov_b32_e32 v2, s10
	s_xor_b64 exec, exec, s[6:7]
	s_cbranch_execz .LBB2_8234
; %bb.44075:
	s_getpc_b64 s[14:15]
.Lpost_getpc25621:
	s_add_u32 s14, s14, (.LBB2_22572-.Lpost_getpc25621)&4294967295
	s_addc_u32 s15, s15, (.LBB2_22572-.Lpost_getpc25621)>>32
	s_setpc_b64 s[14:15]
.LBB2_8234:
	s_or_b64 exec, exec, s[6:7]
	s_and_saveexec_b64 s[6:7], s[4:5]
	s_cbranch_execz .LBB2_8236
.LBB2_8235:
	v_bfe_u32 v2, v7, 8, 3
	v_ffbh_u32_e32 v13, v2
	v_min_u32_e32 v13, 32, v13
	v_lshrrev_b16_e32 v12, 3, v6
	v_subrev_u32_e32 v14, 28, v13
	v_and_b32_e32 v12, 15, v12
	v_lshlrev_b32_e32 v6, v14, v6
	v_sub_u32_e32 v13, 29, v13
	v_and_b32_e32 v6, 7, v6
	v_cmp_eq_u16_e32 vcc, 0, v12
	v_cndmask_b32_e32 v2, v2, v6, vcc
	v_cndmask_b32_e32 v6, v12, v13, vcc
	v_lshlrev_b32_e32 v12, 16, v7
	v_mov_b32_e32 v13, 0x3b800000
	v_lshlrev_b32_e32 v2, 20, v2
	v_and_b32_e32 v12, 0x80000000, v12
	v_lshl_add_u32 v6, v6, 23, v13
	v_or3_b32 v2, v12, v6, v2
.LBB2_8236:
	s_or_b64 exec, exec, s[6:7]
	v_lshrrev_b32_e32 v6, 8, v3
	s_movk_i32 s4, 0x7f
	v_cmp_gt_i16_sdwa s[6:7], v6, s4 src0_sel:BYTE_0 src1_sel:DWORD
	s_mov_b64 s[4:5], 0
                                        ; implicit-def: $sgpr10
	s_and_saveexec_b64 s[8:9], s[6:7]
	s_xor_b64 s[6:7], exec, s[8:9]
	s_cbranch_execz .LBB2_8237
; %bb.44077:
	s_getpc_b64 s[14:15]
.Lpost_getpc25622:
	s_add_u32 s14, s14, (.LBB2_22573-.Lpost_getpc25622)&4294967295
	s_addc_u32 s15, s15, (.LBB2_22573-.Lpost_getpc25622)>>32
	s_setpc_b64 s[14:15]
.LBB2_8237:
	s_or_saveexec_b64 s[6:7], s[6:7]
	v_mov_b32_e32 v12, s10
	s_xor_b64 exec, exec, s[6:7]
	s_cbranch_execz .LBB2_8238
; %bb.44079:
	s_getpc_b64 s[14:15]
.Lpost_getpc25623:
	s_add_u32 s14, s14, (.LBB2_22576-.Lpost_getpc25623)&4294967295
	s_addc_u32 s15, s15, (.LBB2_22576-.Lpost_getpc25623)>>32
	s_setpc_b64 s[14:15]
.LBB2_8238:
	s_or_b64 exec, exec, s[6:7]
	s_and_saveexec_b64 s[6:7], s[4:5]
	s_cbranch_execz .LBB2_8240
.LBB2_8239:
	v_bfe_u32 v12, v3, 8, 3
	v_ffbh_u32_e32 v14, v12
	v_min_u32_e32 v14, 32, v14
	v_lshrrev_b16_e32 v13, 3, v6
	v_subrev_u32_e32 v15, 28, v14
	v_and_b32_e32 v13, 15, v13
	v_lshlrev_b32_e32 v6, v15, v6
	v_sub_u32_e32 v14, 29, v14
	v_and_b32_e32 v6, 7, v6
	v_cmp_eq_u16_e32 vcc, 0, v13
	v_cndmask_b32_e32 v6, v12, v6, vcc
	v_cndmask_b32_e32 v12, v13, v14, vcc
	v_lshlrev_b32_e32 v13, 16, v3
	v_mov_b32_e32 v14, 0x3b800000
	v_lshlrev_b32_e32 v6, 20, v6
	v_and_b32_e32 v13, 0x80000000, v13
	v_lshl_add_u32 v12, v12, 23, v14
	v_or3_b32 v12, v13, v12, v6
.LBB2_8240:
	s_or_b64 exec, exec, s[6:7]
	s_nop 0
	v_mfma_f32_16x16x4f32 a[0:3], v2, v12, a[0:3]
	s_movk_i32 s4, 0xff
	v_and_b32_sdwa v6, v7, s4 dst_sel:DWORD dst_unused:UNUSED_PAD src0_sel:WORD_1 src1_sel:DWORD
	s_movk_i32 s4, 0x7f
	v_cmp_lt_i16_e32 vcc, s4, v6
	s_mov_b64 s[4:5], 0
                                        ; implicit-def: $sgpr10
	s_and_saveexec_b64 s[6:7], vcc
	s_xor_b64 s[6:7], exec, s[6:7]
	s_cbranch_execz .LBB2_8241
; %bb.44081:
	s_getpc_b64 s[14:15]
.Lpost_getpc25624:
	s_add_u32 s14, s14, (.LBB2_22577-.Lpost_getpc25624)&4294967295
	s_addc_u32 s15, s15, (.LBB2_22577-.Lpost_getpc25624)>>32
	s_setpc_b64 s[14:15]
.LBB2_8241:
	s_or_saveexec_b64 s[6:7], s[6:7]
	v_mov_b32_e32 v2, s10
	s_xor_b64 exec, exec, s[6:7]
	s_cbranch_execz .LBB2_8242
; %bb.44083:
	s_getpc_b64 s[14:15]
.Lpost_getpc25625:
	s_add_u32 s14, s14, (.LBB2_22580-.Lpost_getpc25625)&4294967295
	s_addc_u32 s15, s15, (.LBB2_22580-.Lpost_getpc25625)>>32
	s_setpc_b64 s[14:15]
.LBB2_8242:
	s_or_b64 exec, exec, s[6:7]
	s_and_saveexec_b64 s[6:7], s[4:5]
	s_cbranch_execz .LBB2_8244
.LBB2_8243:
	v_bfe_u32 v2, v7, 16, 3
	v_ffbh_u32_e32 v13, v2
	v_min_u32_e32 v13, 32, v13
	v_lshrrev_b32_e32 v6, 19, v7
	v_subrev_u32_e32 v14, 28, v13
	v_and_b32_e32 v6, 15, v6
	v_lshlrev_b32_sdwa v14, v14, v7 dst_sel:DWORD dst_unused:UNUSED_PAD src0_sel:DWORD src1_sel:WORD_1
	v_bfe_u32 v12, v7, 19, 4
	v_sub_u32_e32 v13, 29, v13
	v_and_b32_e32 v14, 7, v14
	v_cmp_eq_u16_e32 vcc, 0, v6
	v_cndmask_b32_e32 v2, v2, v14, vcc
	v_cndmask_b32_e32 v6, v12, v13, vcc
	v_lshlrev_b32_e32 v12, 8, v7
	v_mov_b32_e32 v13, 0x3b800000
	v_lshlrev_b32_e32 v2, 20, v2
	v_and_b32_e32 v12, 0x80000000, v12
	v_lshl_add_u32 v6, v6, 23, v13
	v_or3_b32 v2, v12, v6, v2
.LBB2_8244:
	s_or_b64 exec, exec, s[6:7]
	s_movk_i32 s4, 0xff
	v_and_b32_sdwa v6, v3, s4 dst_sel:DWORD dst_unused:UNUSED_PAD src0_sel:WORD_1 src1_sel:DWORD
	s_movk_i32 s4, 0x7f
	v_cmp_lt_i16_e32 vcc, s4, v6
	s_mov_b64 s[4:5], 0
                                        ; implicit-def: $sgpr10
	s_and_saveexec_b64 s[6:7], vcc
	s_xor_b64 s[6:7], exec, s[6:7]
	s_cbranch_execz .LBB2_8245
; %bb.44085:
	s_getpc_b64 s[14:15]
.Lpost_getpc25626:
	s_add_u32 s14, s14, (.LBB2_22581-.Lpost_getpc25626)&4294967295
	s_addc_u32 s15, s15, (.LBB2_22581-.Lpost_getpc25626)>>32
	s_setpc_b64 s[14:15]
.LBB2_8245:
	s_or_saveexec_b64 s[6:7], s[6:7]
	v_mov_b32_e32 v12, s10
	s_xor_b64 exec, exec, s[6:7]
	s_cbranch_execz .LBB2_8246
; %bb.44087:
	s_getpc_b64 s[14:15]
.Lpost_getpc25627:
	s_add_u32 s14, s14, (.LBB2_22584-.Lpost_getpc25627)&4294967295
	s_addc_u32 s15, s15, (.LBB2_22584-.Lpost_getpc25627)>>32
	s_setpc_b64 s[14:15]
.LBB2_8246:
	s_or_b64 exec, exec, s[6:7]
	s_and_saveexec_b64 s[6:7], s[4:5]
	s_cbranch_execz .LBB2_8248
.LBB2_8247:
	v_bfe_u32 v6, v3, 16, 3
	v_ffbh_u32_e32 v14, v6
	v_min_u32_e32 v14, 32, v14
	v_lshrrev_b32_e32 v12, 19, v3
	v_subrev_u32_e32 v15, 28, v14
	v_and_b32_e32 v12, 15, v12
	v_lshlrev_b32_sdwa v15, v15, v3 dst_sel:DWORD dst_unused:UNUSED_PAD src0_sel:DWORD src1_sel:WORD_1
	v_bfe_u32 v13, v3, 19, 4
	v_sub_u32_e32 v14, 29, v14
	v_and_b32_e32 v15, 7, v15
	v_cmp_eq_u16_e32 vcc, 0, v12
	v_cndmask_b32_e32 v6, v6, v15, vcc
	v_cndmask_b32_e32 v12, v13, v14, vcc
	v_lshlrev_b32_e32 v13, 8, v3
	v_mov_b32_e32 v14, 0x3b800000
	v_lshlrev_b32_e32 v6, 20, v6
	v_and_b32_e32 v13, 0x80000000, v13
	v_lshl_add_u32 v12, v12, 23, v14
	v_or3_b32 v12, v13, v12, v6
.LBB2_8248:
	s_or_b64 exec, exec, s[6:7]
	s_nop 0
	v_mfma_f32_16x16x4f32 a[0:3], v2, v12, a[0:3]
	s_movk_i32 s4, 0x7f
	v_cmp_gt_i16_sdwa s[6:7], v7, s4 src0_sel:BYTE_3 src1_sel:DWORD
	s_mov_b64 s[4:5], 0
                                        ; implicit-def: $sgpr10
	s_and_saveexec_b64 s[8:9], s[6:7]
	s_xor_b64 s[6:7], exec, s[8:9]
	s_cbranch_execz .LBB2_8249
; %bb.44089:
	s_getpc_b64 s[14:15]
.Lpost_getpc25628:
	s_add_u32 s14, s14, (.LBB2_22585-.Lpost_getpc25628)&4294967295
	s_addc_u32 s15, s15, (.LBB2_22585-.Lpost_getpc25628)>>32
	s_setpc_b64 s[14:15]
.LBB2_8249:
	s_or_saveexec_b64 s[6:7], s[6:7]
	v_mov_b32_e32 v2, s10
	s_xor_b64 exec, exec, s[6:7]
	s_cbranch_execz .LBB2_8250
; %bb.44091:
	s_getpc_b64 s[14:15]
.Lpost_getpc25629:
	s_add_u32 s14, s14, (.LBB2_22588-.Lpost_getpc25629)&4294967295
	s_addc_u32 s15, s15, (.LBB2_22588-.Lpost_getpc25629)>>32
	s_setpc_b64 s[14:15]
.LBB2_8250:
	s_or_b64 exec, exec, s[6:7]
	s_and_saveexec_b64 s[6:7], s[4:5]
	s_cbranch_execz .LBB2_8252
.LBB2_8251:
	v_bfe_u32 v2, v7, 24, 3
	v_ffbh_u32_e32 v14, v2
	v_min_u32_e32 v14, 32, v14
	v_lshrrev_b32_e32 v12, 27, v7
	v_subrev_u32_e32 v15, 28, v14
	v_and_b32_e32 v6, 0x80000000, v7
	v_and_b32_e32 v12, 15, v12
	v_bfe_u32 v13, v7, 27, 4
	v_lshlrev_b32_sdwa v7, v15, v7 dst_sel:DWORD dst_unused:UNUSED_PAD src0_sel:DWORD src1_sel:BYTE_3
	v_sub_u32_e32 v14, 29, v14
	v_and_b32_e32 v7, 7, v7
	v_cmp_eq_u16_e32 vcc, 0, v12
	v_cndmask_b32_e32 v2, v2, v7, vcc
	v_cndmask_b32_e32 v7, v13, v14, vcc
	v_mov_b32_e32 v12, 0x3b800000
	v_lshlrev_b32_e32 v2, 20, v2
	v_lshl_add_u32 v7, v7, 23, v12
	v_or3_b32 v2, v6, v7, v2
.LBB2_8252:
	s_or_b64 exec, exec, s[6:7]
	s_movk_i32 s4, 0x7f
	v_cmp_gt_i16_sdwa s[6:7], v3, s4 src0_sel:BYTE_3 src1_sel:DWORD
	s_mov_b64 s[4:5], 0
                                        ; implicit-def: $sgpr10
	s_and_saveexec_b64 s[8:9], s[6:7]
	s_xor_b64 s[6:7], exec, s[8:9]
	s_cbranch_execz .LBB2_8253
; %bb.44093:
	s_getpc_b64 s[14:15]
.Lpost_getpc25630:
	s_add_u32 s14, s14, (.LBB2_22589-.Lpost_getpc25630)&4294967295
	s_addc_u32 s15, s15, (.LBB2_22589-.Lpost_getpc25630)>>32
	s_setpc_b64 s[14:15]
.LBB2_8253:
	s_or_saveexec_b64 s[6:7], s[6:7]
	v_mov_b32_e32 v6, s10
	s_xor_b64 exec, exec, s[6:7]
	s_cbranch_execz .LBB2_8254
; %bb.44095:
	s_getpc_b64 s[14:15]
.Lpost_getpc25631:
	s_add_u32 s14, s14, (.LBB2_22592-.Lpost_getpc25631)&4294967295
	s_addc_u32 s15, s15, (.LBB2_22592-.Lpost_getpc25631)>>32
	s_setpc_b64 s[14:15]
.LBB2_8254:
	s_or_b64 exec, exec, s[6:7]
	s_and_saveexec_b64 s[6:7], s[4:5]
	s_cbranch_execz .LBB2_8256
.LBB2_8255:
	v_bfe_u32 v6, v3, 24, 3
	v_ffbh_u32_e32 v14, v6
	v_min_u32_e32 v14, 32, v14
	v_lshrrev_b32_e32 v12, 27, v3
	v_subrev_u32_e32 v15, 28, v14
	v_and_b32_e32 v7, 0x80000000, v3
	v_and_b32_e32 v12, 15, v12
	v_bfe_u32 v13, v3, 27, 4
	v_lshlrev_b32_sdwa v3, v15, v3 dst_sel:DWORD dst_unused:UNUSED_PAD src0_sel:DWORD src1_sel:BYTE_3
	v_sub_u32_e32 v14, 29, v14
	v_and_b32_e32 v3, 7, v3
	v_cmp_eq_u16_e32 vcc, 0, v12
	v_cndmask_b32_e32 v3, v6, v3, vcc
	v_cndmask_b32_e32 v6, v13, v14, vcc
	v_mov_b32_e32 v12, 0x3b800000
	v_lshlrev_b32_e32 v3, 20, v3
	v_lshl_add_u32 v6, v6, 23, v12
	v_or3_b32 v6, v7, v6, v3
.LBB2_8256:
	s_or_b64 exec, exec, s[6:7]
	s_nop 0
	v_mfma_f32_16x16x4f32 a[0:3], v2, v6, a[0:3]
	s_movk_i32 s4, 0x7f
	v_cmp_gt_i16_sdwa s[6:7], v8, s4 src0_sel:BYTE_0 src1_sel:DWORD
	s_mov_b64 s[4:5], 0
                                        ; implicit-def: $sgpr10
	s_and_saveexec_b64 s[8:9], s[6:7]
	s_xor_b64 s[6:7], exec, s[8:9]
	s_cbranch_execz .LBB2_8257
; %bb.44097:
	s_getpc_b64 s[14:15]
.Lpost_getpc25632:
	s_add_u32 s14, s14, (.LBB2_22593-.Lpost_getpc25632)&4294967295
	s_addc_u32 s15, s15, (.LBB2_22593-.Lpost_getpc25632)>>32
	s_setpc_b64 s[14:15]
.LBB2_8257:
	s_or_saveexec_b64 s[6:7], s[6:7]
	v_mov_b32_e32 v2, s10
	s_xor_b64 exec, exec, s[6:7]
	s_cbranch_execz .LBB2_8258
; %bb.44099:
	s_getpc_b64 s[14:15]
.Lpost_getpc25633:
	s_add_u32 s14, s14, (.LBB2_22596-.Lpost_getpc25633)&4294967295
	s_addc_u32 s15, s15, (.LBB2_22596-.Lpost_getpc25633)>>32
	s_setpc_b64 s[14:15]
.LBB2_8258:
	s_or_b64 exec, exec, s[6:7]
	s_and_saveexec_b64 s[6:7], s[4:5]
	s_cbranch_execz .LBB2_8260
.LBB2_8259:
	v_and_b32_e32 v2, 7, v8
	v_ffbh_u32_e32 v6, v2
	v_min_u32_e32 v6, 32, v6
	v_lshrrev_b16_e32 v3, 3, v8
	v_subrev_u32_e32 v7, 28, v6
	v_and_b32_e32 v3, 15, v3
	v_lshlrev_b32_e32 v7, v7, v8
	v_sub_u32_e32 v6, 29, v6
	v_and_b32_e32 v7, 7, v7
	v_cmp_eq_u16_e32 vcc, 0, v3
	v_cndmask_b32_e32 v2, v2, v7, vcc
	v_cndmask_b32_e32 v3, v3, v6, vcc
	v_lshlrev_b32_e32 v6, 24, v8
	v_mov_b32_e32 v7, 0x3b800000
	v_lshlrev_b32_e32 v2, 20, v2
	v_and_b32_e32 v6, 0x80000000, v6
	v_lshl_add_u32 v3, v3, 23, v7
	v_or3_b32 v2, v6, v3, v2
.LBB2_8260:
	s_or_b64 exec, exec, s[6:7]
	s_movk_i32 s4, 0x7f
	v_cmp_gt_i16_sdwa s[6:7], v4, s4 src0_sel:BYTE_0 src1_sel:DWORD
	s_mov_b64 s[4:5], 0
                                        ; implicit-def: $sgpr10
	s_and_saveexec_b64 s[8:9], s[6:7]
	s_xor_b64 s[6:7], exec, s[8:9]
	s_cbranch_execz .LBB2_8261
; %bb.44101:
	s_getpc_b64 s[14:15]
.Lpost_getpc25634:
	s_add_u32 s14, s14, (.LBB2_22597-.Lpost_getpc25634)&4294967295
	s_addc_u32 s15, s15, (.LBB2_22597-.Lpost_getpc25634)>>32
	s_setpc_b64 s[14:15]
.LBB2_8261:
	s_or_saveexec_b64 s[6:7], s[6:7]
	v_mov_b32_e32 v3, s10
	s_xor_b64 exec, exec, s[6:7]
	s_cbranch_execz .LBB2_8262
; %bb.44103:
	s_getpc_b64 s[14:15]
.Lpost_getpc25635:
	s_add_u32 s14, s14, (.LBB2_22600-.Lpost_getpc25635)&4294967295
	s_addc_u32 s15, s15, (.LBB2_22600-.Lpost_getpc25635)>>32
	s_setpc_b64 s[14:15]
.LBB2_8262:
	s_or_b64 exec, exec, s[6:7]
	s_and_saveexec_b64 s[6:7], s[4:5]
	s_cbranch_execz .LBB2_8264
.LBB2_8263:
	v_and_b32_e32 v3, 7, v4
	v_ffbh_u32_e32 v7, v3
	v_min_u32_e32 v7, 32, v7
	v_lshrrev_b16_e32 v6, 3, v4
	v_subrev_u32_e32 v12, 28, v7
	v_and_b32_e32 v6, 15, v6
	v_lshlrev_b32_e32 v12, v12, v4
	v_sub_u32_e32 v7, 29, v7
	v_and_b32_e32 v12, 7, v12
	v_cmp_eq_u16_e32 vcc, 0, v6
	v_cndmask_b32_e32 v3, v3, v12, vcc
	v_cndmask_b32_e32 v6, v6, v7, vcc
	v_lshlrev_b32_e32 v7, 24, v4
	v_mov_b32_e32 v12, 0x3b800000
	v_lshlrev_b32_e32 v3, 20, v3
	v_and_b32_e32 v7, 0x80000000, v7
	v_lshl_add_u32 v6, v6, 23, v12
	v_or3_b32 v3, v7, v6, v3
.LBB2_8264:
	s_or_b64 exec, exec, s[6:7]
	s_nop 0
	v_mfma_f32_16x16x4f32 a[0:3], v2, v3, a[0:3]
	v_lshrrev_b32_e32 v3, 8, v8
	s_movk_i32 s4, 0x7f
	v_cmp_gt_i16_sdwa s[6:7], v3, s4 src0_sel:BYTE_0 src1_sel:DWORD
	s_mov_b64 s[4:5], 0
                                        ; implicit-def: $sgpr10
	s_and_saveexec_b64 s[8:9], s[6:7]
	s_xor_b64 s[6:7], exec, s[8:9]
	s_cbranch_execz .LBB2_8265
; %bb.44105:
	s_getpc_b64 s[14:15]
.Lpost_getpc25636:
	s_add_u32 s14, s14, (.LBB2_22601-.Lpost_getpc25636)&4294967295
	s_addc_u32 s15, s15, (.LBB2_22601-.Lpost_getpc25636)>>32
	s_setpc_b64 s[14:15]
.LBB2_8265:
	s_or_saveexec_b64 s[6:7], s[6:7]
	v_mov_b32_e32 v2, s10
	s_xor_b64 exec, exec, s[6:7]
	s_cbranch_execz .LBB2_8266
; %bb.44107:
	s_getpc_b64 s[14:15]
.Lpost_getpc25637:
	s_add_u32 s14, s14, (.LBB2_22604-.Lpost_getpc25637)&4294967295
	s_addc_u32 s15, s15, (.LBB2_22604-.Lpost_getpc25637)>>32
	s_setpc_b64 s[14:15]
.LBB2_8266:
	s_or_b64 exec, exec, s[6:7]
	s_and_saveexec_b64 s[6:7], s[4:5]
	s_cbranch_execz .LBB2_8268
.LBB2_8267:
	v_bfe_u32 v2, v8, 8, 3
	v_ffbh_u32_e32 v7, v2
	v_min_u32_e32 v7, 32, v7
	v_lshrrev_b16_e32 v6, 3, v3
	v_subrev_u32_e32 v12, 28, v7
	v_and_b32_e32 v6, 15, v6
	v_lshlrev_b32_e32 v3, v12, v3
	v_sub_u32_e32 v7, 29, v7
	v_and_b32_e32 v3, 7, v3
	v_cmp_eq_u16_e32 vcc, 0, v6
	v_cndmask_b32_e32 v2, v2, v3, vcc
	v_cndmask_b32_e32 v3, v6, v7, vcc
	v_lshlrev_b32_e32 v6, 16, v8
	v_mov_b32_e32 v7, 0x3b800000
	v_lshlrev_b32_e32 v2, 20, v2
	v_and_b32_e32 v6, 0x80000000, v6
	v_lshl_add_u32 v3, v3, 23, v7
	v_or3_b32 v2, v6, v3, v2
.LBB2_8268:
	s_or_b64 exec, exec, s[6:7]
	v_lshrrev_b32_e32 v3, 8, v4
	s_movk_i32 s4, 0x7f
	v_cmp_gt_i16_sdwa s[6:7], v3, s4 src0_sel:BYTE_0 src1_sel:DWORD
	s_mov_b64 s[4:5], 0
                                        ; implicit-def: $sgpr10
	s_and_saveexec_b64 s[8:9], s[6:7]
	s_xor_b64 s[6:7], exec, s[8:9]
	s_cbranch_execz .LBB2_8269
; %bb.44109:
	s_getpc_b64 s[14:15]
.Lpost_getpc25638:
	s_add_u32 s14, s14, (.LBB2_22605-.Lpost_getpc25638)&4294967295
	s_addc_u32 s15, s15, (.LBB2_22605-.Lpost_getpc25638)>>32
	s_setpc_b64 s[14:15]
.LBB2_8269:
	s_or_saveexec_b64 s[6:7], s[6:7]
	v_mov_b32_e32 v6, s10
	s_xor_b64 exec, exec, s[6:7]
	s_cbranch_execz .LBB2_8270
; %bb.44111:
	s_getpc_b64 s[14:15]
.Lpost_getpc25639:
	s_add_u32 s14, s14, (.LBB2_22608-.Lpost_getpc25639)&4294967295
	s_addc_u32 s15, s15, (.LBB2_22608-.Lpost_getpc25639)>>32
	s_setpc_b64 s[14:15]
.LBB2_8270:
	s_or_b64 exec, exec, s[6:7]
	s_and_saveexec_b64 s[6:7], s[4:5]
	s_cbranch_execz .LBB2_8272
.LBB2_8271:
	v_bfe_u32 v6, v4, 8, 3
	v_ffbh_u32_e32 v12, v6
	v_min_u32_e32 v12, 32, v12
	v_lshrrev_b16_e32 v7, 3, v3
	v_subrev_u32_e32 v13, 28, v12
	v_and_b32_e32 v7, 15, v7
	v_lshlrev_b32_e32 v3, v13, v3
	v_sub_u32_e32 v12, 29, v12
	v_and_b32_e32 v3, 7, v3
	v_cmp_eq_u16_e32 vcc, 0, v7
	v_cndmask_b32_e32 v3, v6, v3, vcc
	v_cndmask_b32_e32 v6, v7, v12, vcc
	v_lshlrev_b32_e32 v7, 16, v4
	v_mov_b32_e32 v12, 0x3b800000
	v_lshlrev_b32_e32 v3, 20, v3
	v_and_b32_e32 v7, 0x80000000, v7
	v_lshl_add_u32 v6, v6, 23, v12
	v_or3_b32 v6, v7, v6, v3
.LBB2_8272:
	s_or_b64 exec, exec, s[6:7]
	s_nop 0
	v_mfma_f32_16x16x4f32 a[0:3], v2, v6, a[0:3]
	s_movk_i32 s4, 0xff
	v_and_b32_sdwa v3, v8, s4 dst_sel:DWORD dst_unused:UNUSED_PAD src0_sel:WORD_1 src1_sel:DWORD
	s_movk_i32 s4, 0x7f
	v_cmp_lt_i16_e32 vcc, s4, v3
	s_mov_b64 s[4:5], 0
                                        ; implicit-def: $sgpr10
	s_and_saveexec_b64 s[6:7], vcc
	s_xor_b64 s[6:7], exec, s[6:7]
	s_cbranch_execz .LBB2_8273
; %bb.44113:
	s_getpc_b64 s[14:15]
.Lpost_getpc25640:
	s_add_u32 s14, s14, (.LBB2_22609-.Lpost_getpc25640)&4294967295
	s_addc_u32 s15, s15, (.LBB2_22609-.Lpost_getpc25640)>>32
	s_setpc_b64 s[14:15]
.LBB2_8273:
	s_or_saveexec_b64 s[6:7], s[6:7]
	v_mov_b32_e32 v2, s10
	s_xor_b64 exec, exec, s[6:7]
	s_cbranch_execz .LBB2_8274
; %bb.44115:
	s_getpc_b64 s[14:15]
.Lpost_getpc25641:
	s_add_u32 s14, s14, (.LBB2_22612-.Lpost_getpc25641)&4294967295
	s_addc_u32 s15, s15, (.LBB2_22612-.Lpost_getpc25641)>>32
	s_setpc_b64 s[14:15]
.LBB2_8274:
	s_or_b64 exec, exec, s[6:7]
	s_and_saveexec_b64 s[6:7], s[4:5]
	s_cbranch_execz .LBB2_8276
.LBB2_8275:
	v_bfe_u32 v2, v8, 16, 3
	v_ffbh_u32_e32 v7, v2
	v_min_u32_e32 v7, 32, v7
	v_lshrrev_b32_e32 v3, 19, v8
	v_subrev_u32_e32 v12, 28, v7
	v_and_b32_e32 v3, 15, v3
	v_lshlrev_b32_sdwa v12, v12, v8 dst_sel:DWORD dst_unused:UNUSED_PAD src0_sel:DWORD src1_sel:WORD_1
	v_bfe_u32 v6, v8, 19, 4
	v_sub_u32_e32 v7, 29, v7
	v_and_b32_e32 v12, 7, v12
	v_cmp_eq_u16_e32 vcc, 0, v3
	v_cndmask_b32_e32 v2, v2, v12, vcc
	v_cndmask_b32_e32 v3, v6, v7, vcc
	v_lshlrev_b32_e32 v6, 8, v8
	v_mov_b32_e32 v7, 0x3b800000
	v_lshlrev_b32_e32 v2, 20, v2
	v_and_b32_e32 v6, 0x80000000, v6
	v_lshl_add_u32 v3, v3, 23, v7
	v_or3_b32 v2, v6, v3, v2
.LBB2_8276:
	s_or_b64 exec, exec, s[6:7]
	s_movk_i32 s4, 0xff
	v_and_b32_sdwa v3, v4, s4 dst_sel:DWORD dst_unused:UNUSED_PAD src0_sel:WORD_1 src1_sel:DWORD
	s_movk_i32 s4, 0x7f
	v_cmp_lt_i16_e32 vcc, s4, v3
	s_mov_b64 s[4:5], 0
                                        ; implicit-def: $sgpr10
	s_and_saveexec_b64 s[6:7], vcc
	s_xor_b64 s[6:7], exec, s[6:7]
	s_cbranch_execz .LBB2_8277
; %bb.44117:
	s_getpc_b64 s[14:15]
.Lpost_getpc25642:
	s_add_u32 s14, s14, (.LBB2_22613-.Lpost_getpc25642)&4294967295
	s_addc_u32 s15, s15, (.LBB2_22613-.Lpost_getpc25642)>>32
	s_setpc_b64 s[14:15]
.LBB2_8277:
	s_or_saveexec_b64 s[6:7], s[6:7]
	v_mov_b32_e32 v6, s10
	s_xor_b64 exec, exec, s[6:7]
	s_cbranch_execz .LBB2_8278
; %bb.44119:
	s_getpc_b64 s[14:15]
.Lpost_getpc25643:
	s_add_u32 s14, s14, (.LBB2_22616-.Lpost_getpc25643)&4294967295
	s_addc_u32 s15, s15, (.LBB2_22616-.Lpost_getpc25643)>>32
	s_setpc_b64 s[14:15]
.LBB2_8278:
	s_or_b64 exec, exec, s[6:7]
	s_and_saveexec_b64 s[6:7], s[4:5]
	s_cbranch_execz .LBB2_8280
.LBB2_8279:
	v_bfe_u32 v3, v4, 16, 3
	v_ffbh_u32_e32 v12, v3
	v_min_u32_e32 v12, 32, v12
	v_lshrrev_b32_e32 v6, 19, v4
	v_subrev_u32_e32 v13, 28, v12
	v_and_b32_e32 v6, 15, v6
	v_lshlrev_b32_sdwa v13, v13, v4 dst_sel:DWORD dst_unused:UNUSED_PAD src0_sel:DWORD src1_sel:WORD_1
	v_bfe_u32 v7, v4, 19, 4
	v_sub_u32_e32 v12, 29, v12
	v_and_b32_e32 v13, 7, v13
	v_cmp_eq_u16_e32 vcc, 0, v6
	v_cndmask_b32_e32 v3, v3, v13, vcc
	v_cndmask_b32_e32 v6, v7, v12, vcc
	v_lshlrev_b32_e32 v7, 8, v4
	v_mov_b32_e32 v12, 0x3b800000
	v_lshlrev_b32_e32 v3, 20, v3
	v_and_b32_e32 v7, 0x80000000, v7
	v_lshl_add_u32 v6, v6, 23, v12
	v_or3_b32 v6, v7, v6, v3
.LBB2_8280:
	s_or_b64 exec, exec, s[6:7]
	s_nop 0
	v_mfma_f32_16x16x4f32 a[0:3], v2, v6, a[0:3]
	s_movk_i32 s4, 0x7f
	v_cmp_gt_i16_sdwa s[6:7], v8, s4 src0_sel:BYTE_3 src1_sel:DWORD
	s_mov_b64 s[4:5], 0
                                        ; implicit-def: $sgpr10
	s_and_saveexec_b64 s[8:9], s[6:7]
	s_xor_b64 s[6:7], exec, s[8:9]
	s_cbranch_execz .LBB2_8281
; %bb.44121:
	s_getpc_b64 s[14:15]
.Lpost_getpc25644:
	s_add_u32 s14, s14, (.LBB2_22617-.Lpost_getpc25644)&4294967295
	s_addc_u32 s15, s15, (.LBB2_22617-.Lpost_getpc25644)>>32
	s_setpc_b64 s[14:15]
.LBB2_8281:
	s_or_saveexec_b64 s[6:7], s[6:7]
	v_mov_b32_e32 v2, s10
	s_xor_b64 exec, exec, s[6:7]
	s_cbranch_execz .LBB2_8282
; %bb.44123:
	s_getpc_b64 s[14:15]
.Lpost_getpc25645:
	s_add_u32 s14, s14, (.LBB2_22620-.Lpost_getpc25645)&4294967295
	s_addc_u32 s15, s15, (.LBB2_22620-.Lpost_getpc25645)>>32
	s_setpc_b64 s[14:15]
.LBB2_8282:
	s_or_b64 exec, exec, s[6:7]
	s_and_saveexec_b64 s[6:7], s[4:5]
	s_cbranch_execz .LBB2_8284
.LBB2_8283:
	v_bfe_u32 v2, v8, 24, 3
	v_ffbh_u32_e32 v12, v2
	v_min_u32_e32 v12, 32, v12
	v_lshrrev_b32_e32 v6, 27, v8
	v_subrev_u32_e32 v13, 28, v12
	v_and_b32_e32 v3, 0x80000000, v8
	v_and_b32_e32 v6, 15, v6
	v_bfe_u32 v7, v8, 27, 4
	v_lshlrev_b32_sdwa v8, v13, v8 dst_sel:DWORD dst_unused:UNUSED_PAD src0_sel:DWORD src1_sel:BYTE_3
	v_sub_u32_e32 v12, 29, v12
	v_and_b32_e32 v8, 7, v8
	v_cmp_eq_u16_e32 vcc, 0, v6
	v_cndmask_b32_e32 v2, v2, v8, vcc
	v_cndmask_b32_e32 v6, v7, v12, vcc
	v_mov_b32_e32 v7, 0x3b800000
	v_lshlrev_b32_e32 v2, 20, v2
	v_lshl_add_u32 v6, v6, 23, v7
	v_or3_b32 v2, v3, v6, v2
.LBB2_8284:
	s_or_b64 exec, exec, s[6:7]
	s_movk_i32 s4, 0x7f
	v_cmp_gt_i16_sdwa s[6:7], v4, s4 src0_sel:BYTE_3 src1_sel:DWORD
	s_mov_b64 s[4:5], 0
                                        ; implicit-def: $sgpr10
	s_and_saveexec_b64 s[8:9], s[6:7]
	s_xor_b64 s[6:7], exec, s[8:9]
	s_cbranch_execz .LBB2_8285
; %bb.44125:
	s_getpc_b64 s[14:15]
.Lpost_getpc25646:
	s_add_u32 s14, s14, (.LBB2_22621-.Lpost_getpc25646)&4294967295
	s_addc_u32 s15, s15, (.LBB2_22621-.Lpost_getpc25646)>>32
	s_setpc_b64 s[14:15]
.LBB2_8285:
	s_or_saveexec_b64 s[6:7], s[6:7]
	v_mov_b32_e32 v3, s10
	s_xor_b64 exec, exec, s[6:7]
	s_cbranch_execz .LBB2_8286
; %bb.44127:
	s_getpc_b64 s[14:15]
.Lpost_getpc25647:
	s_add_u32 s14, s14, (.LBB2_22624-.Lpost_getpc25647)&4294967295
	s_addc_u32 s15, s15, (.LBB2_22624-.Lpost_getpc25647)>>32
	s_setpc_b64 s[14:15]
.LBB2_8286:
	s_or_b64 exec, exec, s[6:7]
	s_and_saveexec_b64 s[6:7], s[4:5]
	s_cbranch_execz .LBB2_8288
.LBB2_8287:
	v_bfe_u32 v3, v4, 24, 3
	v_ffbh_u32_e32 v12, v3
	v_min_u32_e32 v12, 32, v12
	v_lshrrev_b32_e32 v7, 27, v4
	v_subrev_u32_e32 v13, 28, v12
	v_and_b32_e32 v6, 0x80000000, v4
	v_and_b32_e32 v7, 15, v7
	v_bfe_u32 v8, v4, 27, 4
	v_lshlrev_b32_sdwa v4, v13, v4 dst_sel:DWORD dst_unused:UNUSED_PAD src0_sel:DWORD src1_sel:BYTE_3
	v_sub_u32_e32 v12, 29, v12
	v_and_b32_e32 v4, 7, v4
	v_cmp_eq_u16_e32 vcc, 0, v7
	v_cndmask_b32_e32 v3, v3, v4, vcc
	v_cndmask_b32_e32 v4, v8, v12, vcc
	v_mov_b32_e32 v7, 0x3b800000
	v_lshlrev_b32_e32 v3, 20, v3
	v_lshl_add_u32 v4, v4, 23, v7
	v_or3_b32 v3, v6, v4, v3
.LBB2_8288:
	s_or_b64 exec, exec, s[6:7]
	s_nop 0
	v_mfma_f32_16x16x4f32 a[0:3], v2, v3, a[0:3]
	s_movk_i32 s4, 0x7f
	v_cmp_gt_i16_sdwa s[6:7], v9, s4 src0_sel:BYTE_0 src1_sel:DWORD
	s_mov_b64 s[4:5], 0
                                        ; implicit-def: $sgpr10
	s_and_saveexec_b64 s[8:9], s[6:7]
	s_xor_b64 s[6:7], exec, s[8:9]
	s_cbranch_execz .LBB2_8289
; %bb.44129:
	s_getpc_b64 s[14:15]
.Lpost_getpc25648:
	s_add_u32 s14, s14, (.LBB2_22625-.Lpost_getpc25648)&4294967295
	s_addc_u32 s15, s15, (.LBB2_22625-.Lpost_getpc25648)>>32
	s_setpc_b64 s[14:15]
.LBB2_8289:
	s_or_saveexec_b64 s[6:7], s[6:7]
	v_mov_b32_e32 v2, s10
	s_xor_b64 exec, exec, s[6:7]
	s_cbranch_execz .LBB2_8290
; %bb.44131:
	s_getpc_b64 s[14:15]
.Lpost_getpc25649:
	s_add_u32 s14, s14, (.LBB2_22628-.Lpost_getpc25649)&4294967295
	s_addc_u32 s15, s15, (.LBB2_22628-.Lpost_getpc25649)>>32
	s_setpc_b64 s[14:15]
.LBB2_8290:
	s_or_b64 exec, exec, s[6:7]
	s_and_saveexec_b64 s[6:7], s[4:5]
	s_cbranch_execz .LBB2_8292
.LBB2_8291:
	v_mov_b32_e32 v2, 8
	v_and_b32_e32 v3, 7, v9
	v_lshrrev_b32_sdwa v2, v2, v9 dst_sel:BYTE_1 dst_unused:UNUSED_PAD src0_sel:DWORD src1_sel:DWORD
	v_ffbh_u32_e32 v4, v3
	v_or_b32_sdwa v2, v9, v2 dst_sel:DWORD dst_unused:UNUSED_PAD src0_sel:BYTE_0 src1_sel:DWORD
	v_min_u32_e32 v4, 32, v4
	v_lshrrev_b16_e32 v2, 3, v2
	v_subrev_u32_e32 v6, 28, v4
	v_and_b32_e32 v2, 15, v2
	v_lshlrev_b32_e32 v6, v6, v9
	v_sub_u32_e32 v4, 29, v4
	v_and_b32_e32 v6, 7, v6
	v_cmp_eq_u16_e32 vcc, 0, v2
	v_cndmask_b32_e32 v3, v3, v6, vcc
	v_cndmask_b32_e32 v2, v2, v4, vcc
	v_lshlrev_b32_e32 v4, 24, v9
	v_mov_b32_e32 v6, 0x3b800000
	v_lshlrev_b32_e32 v3, 20, v3
	v_and_b32_e32 v4, 0x80000000, v4
	v_lshl_add_u32 v2, v2, 23, v6
	v_or3_b32 v2, v4, v2, v3
.LBB2_8292:
	s_or_b64 exec, exec, s[6:7]
	s_movk_i32 s4, 0x7f
	v_cmp_gt_i16_sdwa s[6:7], v5, s4 src0_sel:BYTE_0 src1_sel:DWORD
	s_mov_b64 s[4:5], 0
                                        ; implicit-def: $sgpr10
	s_and_saveexec_b64 s[8:9], s[6:7]
	s_xor_b64 s[6:7], exec, s[8:9]
	s_cbranch_execz .LBB2_8293
; %bb.44133:
	s_getpc_b64 s[14:15]
.Lpost_getpc25650:
	s_add_u32 s14, s14, (.LBB2_22629-.Lpost_getpc25650)&4294967295
	s_addc_u32 s15, s15, (.LBB2_22629-.Lpost_getpc25650)>>32
	s_setpc_b64 s[14:15]
.LBB2_8293:
	s_or_saveexec_b64 s[6:7], s[6:7]
	v_mov_b32_e32 v3, s10
	s_xor_b64 exec, exec, s[6:7]
	s_cbranch_execz .LBB2_8294
; %bb.44135:
	s_getpc_b64 s[14:15]
.Lpost_getpc25651:
	s_add_u32 s14, s14, (.LBB2_22632-.Lpost_getpc25651)&4294967295
	s_addc_u32 s15, s15, (.LBB2_22632-.Lpost_getpc25651)>>32
	s_setpc_b64 s[14:15]
.LBB2_8294:
	s_or_b64 exec, exec, s[6:7]
	s_and_saveexec_b64 s[6:7], s[4:5]
	s_cbranch_execz .LBB2_8296
.LBB2_8295:
	v_mov_b32_e32 v3, 8
	v_and_b32_e32 v4, 7, v5
	v_lshrrev_b32_sdwa v3, v3, v5 dst_sel:BYTE_1 dst_unused:UNUSED_PAD src0_sel:DWORD src1_sel:DWORD
	v_ffbh_u32_e32 v6, v4
	v_or_b32_sdwa v3, v5, v3 dst_sel:DWORD dst_unused:UNUSED_PAD src0_sel:BYTE_0 src1_sel:DWORD
	v_min_u32_e32 v6, 32, v6
	v_lshrrev_b16_e32 v3, 3, v3
	v_subrev_u32_e32 v7, 28, v6
	v_and_b32_e32 v3, 15, v3
	v_lshlrev_b32_e32 v7, v7, v5
	v_sub_u32_e32 v6, 29, v6
	v_and_b32_e32 v7, 7, v7
	v_cmp_eq_u16_e32 vcc, 0, v3
	v_cndmask_b32_e32 v4, v4, v7, vcc
	v_cndmask_b32_e32 v3, v3, v6, vcc
	v_lshlrev_b32_e32 v6, 24, v5
	v_mov_b32_e32 v7, 0x3b800000
	v_lshlrev_b32_e32 v4, 20, v4
	v_and_b32_e32 v6, 0x80000000, v6
	v_lshl_add_u32 v3, v3, 23, v7
	v_or3_b32 v3, v6, v3, v4
.LBB2_8296:
	s_or_b64 exec, exec, s[6:7]
	s_nop 0
	v_mfma_f32_16x16x4f32 a[0:3], v2, v3, a[0:3]
	v_lshrrev_b32_e32 v3, 8, v9
	s_movk_i32 s4, 0x7f
	v_cmp_gt_i16_sdwa s[6:7], v3, s4 src0_sel:BYTE_0 src1_sel:DWORD
	s_mov_b64 s[4:5], 0
                                        ; implicit-def: $sgpr10
	s_and_saveexec_b64 s[8:9], s[6:7]
	s_xor_b64 s[6:7], exec, s[8:9]
	s_cbranch_execz .LBB2_8297
; %bb.44137:
	s_getpc_b64 s[14:15]
.Lpost_getpc25652:
	s_add_u32 s14, s14, (.LBB2_22633-.Lpost_getpc25652)&4294967295
	s_addc_u32 s15, s15, (.LBB2_22633-.Lpost_getpc25652)>>32
	s_setpc_b64 s[14:15]
.LBB2_8297:
	s_or_saveexec_b64 s[6:7], s[6:7]
	v_mov_b32_e32 v2, s10
	s_xor_b64 exec, exec, s[6:7]
	s_cbranch_execz .LBB2_8298
; %bb.44139:
	s_getpc_b64 s[14:15]
.Lpost_getpc25653:
	s_add_u32 s14, s14, (.LBB2_22636-.Lpost_getpc25653)&4294967295
	s_addc_u32 s15, s15, (.LBB2_22636-.Lpost_getpc25653)>>32
	s_setpc_b64 s[14:15]
.LBB2_8298:
	s_or_b64 exec, exec, s[6:7]
	s_and_saveexec_b64 s[6:7], s[4:5]
	s_cbranch_execz .LBB2_8300
.LBB2_8299:
	v_bfe_u32 v2, v9, 8, 3
	v_ffbh_u32_e32 v6, v2
	v_min_u32_e32 v6, 32, v6
	v_lshrrev_b16_e32 v4, 3, v3
	v_subrev_u32_e32 v7, 28, v6
	v_and_b32_e32 v4, 15, v4
	v_lshlrev_b32_e32 v3, v7, v3
	v_sub_u32_e32 v6, 29, v6
	v_and_b32_e32 v3, 7, v3
	v_cmp_eq_u16_e32 vcc, 0, v4
	v_cndmask_b32_e32 v2, v2, v3, vcc
	v_cndmask_b32_e32 v3, v4, v6, vcc
	v_lshlrev_b32_e32 v4, 16, v9
	v_mov_b32_e32 v6, 0x3b800000
	v_lshlrev_b32_e32 v2, 20, v2
	v_and_b32_e32 v4, 0x80000000, v4
	v_lshl_add_u32 v3, v3, 23, v6
	v_or3_b32 v2, v4, v3, v2
.LBB2_8300:
	s_or_b64 exec, exec, s[6:7]
	v_lshrrev_b32_e32 v3, 8, v5
	s_movk_i32 s4, 0x7f
	v_cmp_gt_i16_sdwa s[6:7], v3, s4 src0_sel:BYTE_0 src1_sel:DWORD
	s_mov_b64 s[4:5], 0
                                        ; implicit-def: $sgpr10
	s_and_saveexec_b64 s[8:9], s[6:7]
	s_xor_b64 s[6:7], exec, s[8:9]
	s_cbranch_execz .LBB2_8301
; %bb.44141:
	s_getpc_b64 s[14:15]
.Lpost_getpc25654:
	s_add_u32 s14, s14, (.LBB2_22637-.Lpost_getpc25654)&4294967295
	s_addc_u32 s15, s15, (.LBB2_22637-.Lpost_getpc25654)>>32
	s_setpc_b64 s[14:15]
.LBB2_8301:
	s_or_saveexec_b64 s[6:7], s[6:7]
	v_mov_b32_e32 v4, s10
	s_xor_b64 exec, exec, s[6:7]
	s_cbranch_execz .LBB2_8302
; %bb.44143:
	s_getpc_b64 s[14:15]
.Lpost_getpc25655:
	s_add_u32 s14, s14, (.LBB2_22640-.Lpost_getpc25655)&4294967295
	s_addc_u32 s15, s15, (.LBB2_22640-.Lpost_getpc25655)>>32
	s_setpc_b64 s[14:15]
.LBB2_8302:
	s_or_b64 exec, exec, s[6:7]
	s_and_saveexec_b64 s[6:7], s[4:5]
	s_cbranch_execz .LBB2_8304
.LBB2_8303:
	v_bfe_u32 v4, v5, 8, 3
	v_ffbh_u32_e32 v7, v4
	v_min_u32_e32 v7, 32, v7
	v_lshrrev_b16_e32 v6, 3, v3
	v_subrev_u32_e32 v8, 28, v7
	v_and_b32_e32 v6, 15, v6
	v_lshlrev_b32_e32 v3, v8, v3
	v_sub_u32_e32 v7, 29, v7
	v_and_b32_e32 v3, 7, v3
	v_cmp_eq_u16_e32 vcc, 0, v6
	v_cndmask_b32_e32 v3, v4, v3, vcc
	v_cndmask_b32_e32 v4, v6, v7, vcc
	v_lshlrev_b32_e32 v6, 16, v5
	v_mov_b32_e32 v7, 0x3b800000
	v_lshlrev_b32_e32 v3, 20, v3
	v_and_b32_e32 v6, 0x80000000, v6
	v_lshl_add_u32 v4, v4, 23, v7
	v_or3_b32 v4, v6, v4, v3
.LBB2_8304:
	s_or_b64 exec, exec, s[6:7]
	s_nop 0
	v_mfma_f32_16x16x4f32 a[0:3], v2, v4, a[0:3]
	s_movk_i32 s4, 0xff
	v_and_b32_sdwa v3, v9, s4 dst_sel:DWORD dst_unused:UNUSED_PAD src0_sel:WORD_1 src1_sel:DWORD
	s_movk_i32 s4, 0x7f
	v_cmp_lt_i16_e32 vcc, s4, v3
	s_mov_b64 s[4:5], 0
                                        ; implicit-def: $sgpr10
	s_and_saveexec_b64 s[6:7], vcc
	s_xor_b64 s[6:7], exec, s[6:7]
	s_cbranch_execz .LBB2_8305
; %bb.44145:
	s_getpc_b64 s[14:15]
.Lpost_getpc25656:
	s_add_u32 s14, s14, (.LBB2_22641-.Lpost_getpc25656)&4294967295
	s_addc_u32 s15, s15, (.LBB2_22641-.Lpost_getpc25656)>>32
	s_setpc_b64 s[14:15]
.LBB2_8305:
	s_or_saveexec_b64 s[6:7], s[6:7]
	v_mov_b32_e32 v2, s10
	s_xor_b64 exec, exec, s[6:7]
	s_cbranch_execz .LBB2_8306
; %bb.44147:
	s_getpc_b64 s[14:15]
.Lpost_getpc25657:
	s_add_u32 s14, s14, (.LBB2_22644-.Lpost_getpc25657)&4294967295
	s_addc_u32 s15, s15, (.LBB2_22644-.Lpost_getpc25657)>>32
	s_setpc_b64 s[14:15]
.LBB2_8306:
	s_or_b64 exec, exec, s[6:7]
	s_and_saveexec_b64 s[6:7], s[4:5]
	s_cbranch_execz .LBB2_8308
.LBB2_8307:
	v_bfe_u32 v2, v9, 16, 3
	v_ffbh_u32_e32 v6, v2
	v_min_u32_e32 v6, 32, v6
	v_lshrrev_b32_e32 v3, 19, v9
	v_subrev_u32_e32 v7, 28, v6
	v_and_b32_e32 v3, 15, v3
	v_lshlrev_b32_sdwa v7, v7, v9 dst_sel:DWORD dst_unused:UNUSED_PAD src0_sel:DWORD src1_sel:WORD_1
	v_bfe_u32 v4, v9, 19, 4
	v_sub_u32_e32 v6, 29, v6
	v_and_b32_e32 v7, 7, v7
	v_cmp_eq_u16_e32 vcc, 0, v3
	v_cndmask_b32_e32 v2, v2, v7, vcc
	v_cndmask_b32_e32 v3, v4, v6, vcc
	v_lshlrev_b32_e32 v4, 8, v9
	v_mov_b32_e32 v6, 0x3b800000
	v_lshlrev_b32_e32 v2, 20, v2
	v_and_b32_e32 v4, 0x80000000, v4
	v_lshl_add_u32 v3, v3, 23, v6
	v_or3_b32 v2, v4, v3, v2
.LBB2_8308:
	s_or_b64 exec, exec, s[6:7]
	s_movk_i32 s4, 0xff
	v_and_b32_sdwa v3, v5, s4 dst_sel:DWORD dst_unused:UNUSED_PAD src0_sel:WORD_1 src1_sel:DWORD
	s_movk_i32 s4, 0x7f
	v_cmp_lt_i16_e32 vcc, s4, v3
	s_mov_b64 s[4:5], 0
                                        ; implicit-def: $sgpr10
	s_and_saveexec_b64 s[6:7], vcc
	s_xor_b64 s[6:7], exec, s[6:7]
	s_cbranch_execz .LBB2_8309
; %bb.44149:
	s_getpc_b64 s[14:15]
.Lpost_getpc25658:
	s_add_u32 s14, s14, (.LBB2_22645-.Lpost_getpc25658)&4294967295
	s_addc_u32 s15, s15, (.LBB2_22645-.Lpost_getpc25658)>>32
	s_setpc_b64 s[14:15]
.LBB2_8309:
	s_or_saveexec_b64 s[6:7], s[6:7]
	v_mov_b32_e32 v4, s10
	s_xor_b64 exec, exec, s[6:7]
	s_cbranch_execz .LBB2_8310
; %bb.44151:
	s_getpc_b64 s[14:15]
.Lpost_getpc25659:
	s_add_u32 s14, s14, (.LBB2_22648-.Lpost_getpc25659)&4294967295
	s_addc_u32 s15, s15, (.LBB2_22648-.Lpost_getpc25659)>>32
	s_setpc_b64 s[14:15]
.LBB2_8310:
	s_or_b64 exec, exec, s[6:7]
	s_and_saveexec_b64 s[6:7], s[4:5]
	s_cbranch_execz .LBB2_8312
.LBB2_8311:
	v_bfe_u32 v3, v5, 16, 3
	v_ffbh_u32_e32 v7, v3
	v_min_u32_e32 v7, 32, v7
	v_lshrrev_b32_e32 v4, 19, v5
	v_subrev_u32_e32 v8, 28, v7
	v_and_b32_e32 v4, 15, v4
	v_lshlrev_b32_sdwa v8, v8, v5 dst_sel:DWORD dst_unused:UNUSED_PAD src0_sel:DWORD src1_sel:WORD_1
	v_bfe_u32 v6, v5, 19, 4
	v_sub_u32_e32 v7, 29, v7
	v_and_b32_e32 v8, 7, v8
	v_cmp_eq_u16_e32 vcc, 0, v4
	v_cndmask_b32_e32 v3, v3, v8, vcc
	v_cndmask_b32_e32 v4, v6, v7, vcc
	v_lshlrev_b32_e32 v6, 8, v5
	v_mov_b32_e32 v7, 0x3b800000
	v_lshlrev_b32_e32 v3, 20, v3
	v_and_b32_e32 v6, 0x80000000, v6
	v_lshl_add_u32 v4, v4, 23, v7
	v_or3_b32 v4, v6, v4, v3
.LBB2_8312:
	s_or_b64 exec, exec, s[6:7]
	s_nop 0
	v_mfma_f32_16x16x4f32 a[0:3], v2, v4, a[0:3]
	s_movk_i32 s4, 0x7f
	v_cmp_gt_i16_sdwa s[6:7], v9, s4 src0_sel:BYTE_3 src1_sel:DWORD
	s_mov_b64 s[4:5], 0
                                        ; implicit-def: $sgpr10
	s_and_saveexec_b64 s[8:9], s[6:7]
	s_xor_b64 s[6:7], exec, s[8:9]
	s_cbranch_execz .LBB2_8313
; %bb.44153:
	s_getpc_b64 s[14:15]
.Lpost_getpc25660:
	s_add_u32 s14, s14, (.LBB2_22649-.Lpost_getpc25660)&4294967295
	s_addc_u32 s15, s15, (.LBB2_22649-.Lpost_getpc25660)>>32
	s_setpc_b64 s[14:15]
.LBB2_8313:
	s_or_saveexec_b64 s[6:7], s[6:7]
	v_mov_b32_e32 v2, s10
	s_xor_b64 exec, exec, s[6:7]
	s_cbranch_execz .LBB2_8314
; %bb.44155:
	s_getpc_b64 s[14:15]
.Lpost_getpc25661:
	s_add_u32 s14, s14, (.LBB2_22652-.Lpost_getpc25661)&4294967295
	s_addc_u32 s15, s15, (.LBB2_22652-.Lpost_getpc25661)>>32
	s_setpc_b64 s[14:15]
.LBB2_8314:
	s_or_b64 exec, exec, s[6:7]
	s_and_saveexec_b64 s[6:7], s[4:5]
	s_cbranch_execz .LBB2_8316
.LBB2_8315:
	v_bfe_u32 v2, v9, 24, 3
	v_ffbh_u32_e32 v7, v2
	v_min_u32_e32 v7, 32, v7
	v_lshrrev_b32_e32 v4, 27, v9
	v_subrev_u32_e32 v8, 28, v7
	v_and_b32_e32 v4, 15, v4
	v_lshlrev_b32_sdwa v8, v8, v9 dst_sel:DWORD dst_unused:UNUSED_PAD src0_sel:DWORD src1_sel:BYTE_3
	v_bfe_u32 v6, v9, 27, 4
	v_sub_u32_e32 v7, 29, v7
	v_and_b32_e32 v8, 7, v8
	v_cmp_eq_u16_e32 vcc, 0, v4
	v_cndmask_b32_e32 v2, v2, v8, vcc
	v_cndmask_b32_e32 v4, v6, v7, vcc
	v_mov_b32_e32 v6, 0x3b800000
	v_and_b32_e32 v3, 0x80000000, v9
	v_lshlrev_b32_e32 v2, 20, v2
	v_lshl_add_u32 v4, v4, 23, v6
	v_or3_b32 v2, v3, v4, v2
.LBB2_8316:
	s_or_b64 exec, exec, s[6:7]
	s_movk_i32 s4, 0x7f
	v_cmp_gt_i16_sdwa s[6:7], v5, s4 src0_sel:BYTE_3 src1_sel:DWORD
	s_mov_b64 s[4:5], 0
                                        ; implicit-def: $sgpr10
	s_and_saveexec_b64 s[8:9], s[6:7]
	s_xor_b64 s[6:7], exec, s[8:9]
	s_cbranch_execz .LBB2_8317
; %bb.44157:
	s_getpc_b64 s[14:15]
.Lpost_getpc25662:
	s_add_u32 s14, s14, (.LBB2_22653-.Lpost_getpc25662)&4294967295
	s_addc_u32 s15, s15, (.LBB2_22653-.Lpost_getpc25662)>>32
	s_setpc_b64 s[14:15]
.LBB2_8317:
	s_or_saveexec_b64 s[6:7], s[6:7]
	v_mov_b32_e32 v3, s10
	s_xor_b64 exec, exec, s[6:7]
	s_cbranch_execz .LBB2_8318
; %bb.44159:
	s_getpc_b64 s[14:15]
.Lpost_getpc25663:
	s_add_u32 s14, s14, (.LBB2_22656-.Lpost_getpc25663)&4294967295
	s_addc_u32 s15, s15, (.LBB2_22656-.Lpost_getpc25663)>>32
	s_setpc_b64 s[14:15]
.LBB2_8318:
	s_or_b64 exec, exec, s[6:7]
	s_and_saveexec_b64 s[6:7], s[4:5]
	s_cbranch_execz .LBB2_8320
.LBB2_8319:
	v_bfe_u32 v3, v5, 24, 3
	v_ffbh_u32_e32 v8, v3
	v_min_u32_e32 v8, 32, v8
	v_lshrrev_b32_e32 v6, 27, v5
	v_subrev_u32_e32 v9, 28, v8
	v_and_b32_e32 v4, 0x80000000, v5
	v_and_b32_e32 v6, 15, v6
	v_bfe_u32 v7, v5, 27, 4
	v_lshlrev_b32_sdwa v5, v9, v5 dst_sel:DWORD dst_unused:UNUSED_PAD src0_sel:DWORD src1_sel:BYTE_3
	v_sub_u32_e32 v8, 29, v8
	v_and_b32_e32 v5, 7, v5
	v_cmp_eq_u16_e32 vcc, 0, v6
	v_cndmask_b32_e32 v3, v3, v5, vcc
	v_cndmask_b32_e32 v5, v7, v8, vcc
	v_mov_b32_e32 v6, 0x3b800000
	v_lshlrev_b32_e32 v3, 20, v3
	v_lshl_add_u32 v5, v5, 23, v6
	v_or3_b32 v3, v4, v5, v3
.LBB2_8320:
	s_or_b64 exec, exec, s[6:7]
	s_nop 0
	v_mfma_f32_16x16x4f32 a[0:3], v2, v3, a[0:3]
	s_movk_i32 s4, 0x7f
                                        ; implicit-def: $sgpr10
	s_nop 7
	s_nop 1
	flat_store_dwordx4 v[10:11], a[0:3] offset:128
	flat_load_dwordx4 v[12:15], v[0:1]
	s_nop 0
	flat_load_dwordx2 v[10:11], v[0:1] offset:16
	s_waitcnt vmcnt(0) lgkmcnt(0)
	flat_load_dwordx4 v[6:9], v[12:13] offset:128
	flat_load_dwordx4 v[2:5], v[14:15] offset:144
	s_waitcnt vmcnt(0) lgkmcnt(0)
	v_cmp_gt_i16_sdwa s[6:7], v6, s4 src0_sel:BYTE_0 src1_sel:DWORD
	s_mov_b64 s[4:5], 0
	s_and_saveexec_b64 s[8:9], s[6:7]
	s_xor_b64 s[6:7], exec, s[8:9]
	s_cbranch_execz .LBB2_8321
; %bb.44161:
	s_getpc_b64 s[14:15]
.Lpost_getpc25664:
	s_add_u32 s14, s14, (.LBB2_22657-.Lpost_getpc25664)&4294967295
	s_addc_u32 s15, s15, (.LBB2_22657-.Lpost_getpc25664)>>32
	s_setpc_b64 s[14:15]
.LBB2_8321:
	s_or_saveexec_b64 s[6:7], s[6:7]
	v_mov_b32_e32 v12, s10
	s_xor_b64 exec, exec, s[6:7]
	s_cbranch_execz .LBB2_8322
; %bb.44163:
	s_getpc_b64 s[14:15]
.Lpost_getpc25665:
	s_add_u32 s14, s14, (.LBB2_22660-.Lpost_getpc25665)&4294967295
	s_addc_u32 s15, s15, (.LBB2_22660-.Lpost_getpc25665)>>32
	s_setpc_b64 s[14:15]
.LBB2_8322:
	s_or_b64 exec, exec, s[6:7]
	s_and_saveexec_b64 s[6:7], s[4:5]
	s_cbranch_execz .LBB2_8324
.LBB2_8323:
	v_and_b32_e32 v12, 7, v6
	v_ffbh_u32_e32 v14, v12
	v_min_u32_e32 v14, 32, v14
	v_lshrrev_b16_e32 v13, 3, v6
	v_subrev_u32_e32 v15, 28, v14
	v_and_b32_e32 v13, 15, v13
	v_lshlrev_b32_e32 v15, v15, v6
	v_sub_u32_e32 v14, 29, v14
	v_and_b32_e32 v15, 7, v15
	v_cmp_eq_u16_e32 vcc, 0, v13
	v_cndmask_b32_e32 v12, v12, v15, vcc
	v_cndmask_b32_e32 v13, v13, v14, vcc
	v_lshlrev_b32_e32 v14, 24, v6
	v_mov_b32_e32 v15, 0x3b800000
	v_lshlrev_b32_e32 v12, 20, v12
	v_and_b32_e32 v14, 0x80000000, v14
	v_lshl_add_u32 v13, v13, 23, v15
	v_or3_b32 v12, v14, v13, v12
.LBB2_8324:
	s_or_b64 exec, exec, s[6:7]
	s_movk_i32 s4, 0x7f
	v_cmp_gt_i16_sdwa s[6:7], v2, s4 src0_sel:BYTE_0 src1_sel:DWORD
	s_mov_b64 s[4:5], 0
                                        ; implicit-def: $sgpr10
	s_and_saveexec_b64 s[8:9], s[6:7]
	s_xor_b64 s[6:7], exec, s[8:9]
	s_cbranch_execz .LBB2_8325
; %bb.44165:
	s_getpc_b64 s[14:15]
.Lpost_getpc25666:
	s_add_u32 s14, s14, (.LBB2_22661-.Lpost_getpc25666)&4294967295
	s_addc_u32 s15, s15, (.LBB2_22661-.Lpost_getpc25666)>>32
	s_setpc_b64 s[14:15]
.LBB2_8325:
	s_or_saveexec_b64 s[6:7], s[6:7]
	v_mov_b32_e32 v13, s10
	s_xor_b64 exec, exec, s[6:7]
	s_cbranch_execz .LBB2_8326
; %bb.44167:
	s_getpc_b64 s[14:15]
.Lpost_getpc25667:
	s_add_u32 s14, s14, (.LBB2_22664-.Lpost_getpc25667)&4294967295
	s_addc_u32 s15, s15, (.LBB2_22664-.Lpost_getpc25667)>>32
	s_setpc_b64 s[14:15]
.LBB2_8326:
	s_or_b64 exec, exec, s[6:7]
	s_and_saveexec_b64 s[6:7], s[4:5]
	s_cbranch_execz .LBB2_8328
.LBB2_8327:
	v_and_b32_e32 v13, 7, v2
	v_ffbh_u32_e32 v15, v13
	v_min_u32_e32 v15, 32, v15
	v_lshrrev_b16_e32 v14, 3, v2
	v_subrev_u32_e32 v16, 28, v15
	v_and_b32_e32 v14, 15, v14
	v_lshlrev_b32_e32 v16, v16, v2
	v_sub_u32_e32 v15, 29, v15
	v_and_b32_e32 v16, 7, v16
	v_cmp_eq_u16_e32 vcc, 0, v14
	v_cndmask_b32_e32 v13, v13, v16, vcc
	v_cndmask_b32_e32 v14, v14, v15, vcc
	v_lshlrev_b32_e32 v15, 24, v2
	v_mov_b32_e32 v16, 0x3b800000
	v_lshlrev_b32_e32 v13, 20, v13
	v_and_b32_e32 v15, 0x80000000, v15
	v_lshl_add_u32 v14, v14, 23, v16
	v_or3_b32 v13, v15, v14, v13
.LBB2_8328:
	s_or_b64 exec, exec, s[6:7]
	flat_load_dwordx4 a[0:3], v[10:11] offset:144
	s_movk_i32 s4, 0x7f
                                        ; implicit-def: $sgpr10
	s_waitcnt vmcnt(0) lgkmcnt(0)
	v_mfma_f32_16x16x4f32 a[0:3], v12, v13, a[0:3]
	v_lshrrev_b32_e32 v13, 8, v6
	v_cmp_gt_i16_sdwa s[6:7], v13, s4 src0_sel:BYTE_0 src1_sel:DWORD
	s_mov_b64 s[4:5], 0
	s_and_saveexec_b64 s[8:9], s[6:7]
	s_xor_b64 s[6:7], exec, s[8:9]
	s_cbranch_execz .LBB2_8329
; %bb.44169:
	s_getpc_b64 s[14:15]
.Lpost_getpc25668:
	s_add_u32 s14, s14, (.LBB2_22665-.Lpost_getpc25668)&4294967295
	s_addc_u32 s15, s15, (.LBB2_22665-.Lpost_getpc25668)>>32
	s_setpc_b64 s[14:15]
.LBB2_8329:
	s_or_saveexec_b64 s[6:7], s[6:7]
	v_mov_b32_e32 v12, s10
	s_xor_b64 exec, exec, s[6:7]
	s_cbranch_execz .LBB2_8330
; %bb.44171:
	s_getpc_b64 s[14:15]
.Lpost_getpc25669:
	s_add_u32 s14, s14, (.LBB2_22668-.Lpost_getpc25669)&4294967295
	s_addc_u32 s15, s15, (.LBB2_22668-.Lpost_getpc25669)>>32
	s_setpc_b64 s[14:15]
.LBB2_8330:
	s_or_b64 exec, exec, s[6:7]
	s_and_saveexec_b64 s[6:7], s[4:5]
	s_cbranch_execz .LBB2_8332
.LBB2_8331:
	v_bfe_u32 v12, v6, 8, 3
	v_ffbh_u32_e32 v15, v12
	v_min_u32_e32 v15, 32, v15
	v_lshrrev_b16_e32 v14, 3, v13
	v_subrev_u32_e32 v16, 28, v15
	v_and_b32_e32 v14, 15, v14
	v_lshlrev_b32_e32 v13, v16, v13
	v_sub_u32_e32 v15, 29, v15
	v_and_b32_e32 v13, 7, v13
	v_cmp_eq_u16_e32 vcc, 0, v14
	v_cndmask_b32_e32 v12, v12, v13, vcc
	v_cndmask_b32_e32 v13, v14, v15, vcc
	v_lshlrev_b32_e32 v14, 16, v6
	v_mov_b32_e32 v15, 0x3b800000
	v_lshlrev_b32_e32 v12, 20, v12
	v_and_b32_e32 v14, 0x80000000, v14
	v_lshl_add_u32 v13, v13, 23, v15
	v_or3_b32 v12, v14, v13, v12
.LBB2_8332:
	s_or_b64 exec, exec, s[6:7]
	v_lshrrev_b32_e32 v13, 8, v2
	s_movk_i32 s4, 0x7f
	v_cmp_gt_i16_sdwa s[6:7], v13, s4 src0_sel:BYTE_0 src1_sel:DWORD
	s_mov_b64 s[4:5], 0
                                        ; implicit-def: $sgpr10
	s_and_saveexec_b64 s[8:9], s[6:7]
	s_xor_b64 s[6:7], exec, s[8:9]
	s_cbranch_execz .LBB2_8333
; %bb.44173:
	s_getpc_b64 s[14:15]
.Lpost_getpc25670:
	s_add_u32 s14, s14, (.LBB2_22669-.Lpost_getpc25670)&4294967295
	s_addc_u32 s15, s15, (.LBB2_22669-.Lpost_getpc25670)>>32
	s_setpc_b64 s[14:15]
.LBB2_8333:
	s_or_saveexec_b64 s[6:7], s[6:7]
	v_mov_b32_e32 v14, s10
	s_xor_b64 exec, exec, s[6:7]
	s_cbranch_execz .LBB2_8334
; %bb.44175:
	s_getpc_b64 s[14:15]
.Lpost_getpc25671:
	s_add_u32 s14, s14, (.LBB2_22672-.Lpost_getpc25671)&4294967295
	s_addc_u32 s15, s15, (.LBB2_22672-.Lpost_getpc25671)>>32
	s_setpc_b64 s[14:15]
.LBB2_8334:
	s_or_b64 exec, exec, s[6:7]
	s_and_saveexec_b64 s[6:7], s[4:5]
	s_cbranch_execz .LBB2_8336
.LBB2_8335:
	v_bfe_u32 v14, v2, 8, 3
	v_ffbh_u32_e32 v16, v14
	v_min_u32_e32 v16, 32, v16
	v_lshrrev_b16_e32 v15, 3, v13
	v_subrev_u32_e32 v17, 28, v16
	v_and_b32_e32 v15, 15, v15
	v_lshlrev_b32_e32 v13, v17, v13
	v_sub_u32_e32 v16, 29, v16
	v_and_b32_e32 v13, 7, v13
	v_cmp_eq_u16_e32 vcc, 0, v15
	v_cndmask_b32_e32 v13, v14, v13, vcc
	v_cndmask_b32_e32 v14, v15, v16, vcc
	v_lshlrev_b32_e32 v15, 16, v2
	v_mov_b32_e32 v16, 0x3b800000
	v_lshlrev_b32_e32 v13, 20, v13
	v_and_b32_e32 v15, 0x80000000, v15
	v_lshl_add_u32 v14, v14, 23, v16
	v_or3_b32 v14, v15, v14, v13
.LBB2_8336:
	s_or_b64 exec, exec, s[6:7]
	s_nop 0
	v_mfma_f32_16x16x4f32 a[0:3], v12, v14, a[0:3]
	s_movk_i32 s4, 0xff
	v_and_b32_sdwa v13, v6, s4 dst_sel:DWORD dst_unused:UNUSED_PAD src0_sel:WORD_1 src1_sel:DWORD
	s_movk_i32 s4, 0x7f
	v_cmp_lt_i16_e32 vcc, s4, v13
	s_mov_b64 s[4:5], 0
                                        ; implicit-def: $sgpr10
	s_and_saveexec_b64 s[6:7], vcc
	s_xor_b64 s[6:7], exec, s[6:7]
	s_cbranch_execz .LBB2_8337
; %bb.44177:
	s_getpc_b64 s[14:15]
.Lpost_getpc25672:
	s_add_u32 s14, s14, (.LBB2_22673-.Lpost_getpc25672)&4294967295
	s_addc_u32 s15, s15, (.LBB2_22673-.Lpost_getpc25672)>>32
	s_setpc_b64 s[14:15]
.LBB2_8337:
	s_or_saveexec_b64 s[6:7], s[6:7]
	v_mov_b32_e32 v12, s10
	s_xor_b64 exec, exec, s[6:7]
	s_cbranch_execz .LBB2_8338
; %bb.44179:
	s_getpc_b64 s[14:15]
.Lpost_getpc25673:
	s_add_u32 s14, s14, (.LBB2_22676-.Lpost_getpc25673)&4294967295
	s_addc_u32 s15, s15, (.LBB2_22676-.Lpost_getpc25673)>>32
	s_setpc_b64 s[14:15]
.LBB2_8338:
	s_or_b64 exec, exec, s[6:7]
	s_and_saveexec_b64 s[6:7], s[4:5]
	s_cbranch_execz .LBB2_8340
.LBB2_8339:
	v_bfe_u32 v12, v6, 16, 3
	v_ffbh_u32_e32 v15, v12
	v_min_u32_e32 v15, 32, v15
	v_lshrrev_b32_e32 v13, 19, v6
	v_subrev_u32_e32 v16, 28, v15
	v_and_b32_e32 v13, 15, v13
	v_lshlrev_b32_sdwa v16, v16, v6 dst_sel:DWORD dst_unused:UNUSED_PAD src0_sel:DWORD src1_sel:WORD_1
	v_bfe_u32 v14, v6, 19, 4
	v_sub_u32_e32 v15, 29, v15
	v_and_b32_e32 v16, 7, v16
	v_cmp_eq_u16_e32 vcc, 0, v13
	v_cndmask_b32_e32 v12, v12, v16, vcc
	v_cndmask_b32_e32 v13, v14, v15, vcc
	v_lshlrev_b32_e32 v14, 8, v6
	v_mov_b32_e32 v15, 0x3b800000
	v_lshlrev_b32_e32 v12, 20, v12
	v_and_b32_e32 v14, 0x80000000, v14
	v_lshl_add_u32 v13, v13, 23, v15
	v_or3_b32 v12, v14, v13, v12
.LBB2_8340:
	s_or_b64 exec, exec, s[6:7]
	s_movk_i32 s4, 0xff
	v_and_b32_sdwa v13, v2, s4 dst_sel:DWORD dst_unused:UNUSED_PAD src0_sel:WORD_1 src1_sel:DWORD
	s_movk_i32 s4, 0x7f
	v_cmp_lt_i16_e32 vcc, s4, v13
	s_mov_b64 s[4:5], 0
                                        ; implicit-def: $sgpr10
	s_and_saveexec_b64 s[6:7], vcc
	s_xor_b64 s[6:7], exec, s[6:7]
	s_cbranch_execz .LBB2_8341
; %bb.44181:
	s_getpc_b64 s[14:15]
.Lpost_getpc25674:
	s_add_u32 s14, s14, (.LBB2_22677-.Lpost_getpc25674)&4294967295
	s_addc_u32 s15, s15, (.LBB2_22677-.Lpost_getpc25674)>>32
	s_setpc_b64 s[14:15]
.LBB2_8341:
	s_or_saveexec_b64 s[6:7], s[6:7]
	v_mov_b32_e32 v14, s10
	s_xor_b64 exec, exec, s[6:7]
	s_cbranch_execz .LBB2_8342
; %bb.44183:
	s_getpc_b64 s[14:15]
.Lpost_getpc25675:
	s_add_u32 s14, s14, (.LBB2_22680-.Lpost_getpc25675)&4294967295
	s_addc_u32 s15, s15, (.LBB2_22680-.Lpost_getpc25675)>>32
	s_setpc_b64 s[14:15]
.LBB2_8342:
	s_or_b64 exec, exec, s[6:7]
	s_and_saveexec_b64 s[6:7], s[4:5]
	s_cbranch_execz .LBB2_8344
.LBB2_8343:
	v_bfe_u32 v13, v2, 16, 3
	v_ffbh_u32_e32 v16, v13
	v_min_u32_e32 v16, 32, v16
	v_lshrrev_b32_e32 v14, 19, v2
	v_subrev_u32_e32 v17, 28, v16
	v_and_b32_e32 v14, 15, v14
	v_lshlrev_b32_sdwa v17, v17, v2 dst_sel:DWORD dst_unused:UNUSED_PAD src0_sel:DWORD src1_sel:WORD_1
	v_bfe_u32 v15, v2, 19, 4
	v_sub_u32_e32 v16, 29, v16
	v_and_b32_e32 v17, 7, v17
	v_cmp_eq_u16_e32 vcc, 0, v14
	v_cndmask_b32_e32 v13, v13, v17, vcc
	v_cndmask_b32_e32 v14, v15, v16, vcc
	v_lshlrev_b32_e32 v15, 8, v2
	v_mov_b32_e32 v16, 0x3b800000
	v_lshlrev_b32_e32 v13, 20, v13
	v_and_b32_e32 v15, 0x80000000, v15
	v_lshl_add_u32 v14, v14, 23, v16
	v_or3_b32 v14, v15, v14, v13
.LBB2_8344:
	s_or_b64 exec, exec, s[6:7]
	s_nop 0
	v_mfma_f32_16x16x4f32 a[0:3], v12, v14, a[0:3]
	s_movk_i32 s4, 0x7f
	v_cmp_gt_i16_sdwa s[6:7], v6, s4 src0_sel:BYTE_3 src1_sel:DWORD
	s_mov_b64 s[4:5], 0
                                        ; implicit-def: $sgpr10
	s_and_saveexec_b64 s[8:9], s[6:7]
	s_xor_b64 s[6:7], exec, s[8:9]
	s_cbranch_execz .LBB2_8345
; %bb.44185:
	s_getpc_b64 s[14:15]
.Lpost_getpc25676:
	s_add_u32 s14, s14, (.LBB2_22681-.Lpost_getpc25676)&4294967295
	s_addc_u32 s15, s15, (.LBB2_22681-.Lpost_getpc25676)>>32
	s_setpc_b64 s[14:15]
.LBB2_8345:
	s_or_saveexec_b64 s[6:7], s[6:7]
	v_mov_b32_e32 v12, s10
	s_xor_b64 exec, exec, s[6:7]
	s_cbranch_execz .LBB2_8346
; %bb.44187:
	s_getpc_b64 s[14:15]
.Lpost_getpc25677:
	s_add_u32 s14, s14, (.LBB2_22684-.Lpost_getpc25677)&4294967295
	s_addc_u32 s15, s15, (.LBB2_22684-.Lpost_getpc25677)>>32
	s_setpc_b64 s[14:15]
.LBB2_8346:
	s_or_b64 exec, exec, s[6:7]
	s_and_saveexec_b64 s[6:7], s[4:5]
	s_cbranch_execz .LBB2_8348
.LBB2_8347:
	v_bfe_u32 v12, v6, 24, 3
	v_ffbh_u32_e32 v16, v12
	v_min_u32_e32 v16, 32, v16
	v_lshrrev_b32_e32 v14, 27, v6
	v_subrev_u32_e32 v17, 28, v16
	v_and_b32_e32 v13, 0x80000000, v6
	v_and_b32_e32 v14, 15, v14
	v_bfe_u32 v15, v6, 27, 4
	v_lshlrev_b32_sdwa v6, v17, v6 dst_sel:DWORD dst_unused:UNUSED_PAD src0_sel:DWORD src1_sel:BYTE_3
	v_sub_u32_e32 v16, 29, v16
	v_and_b32_e32 v6, 7, v6
	v_cmp_eq_u16_e32 vcc, 0, v14
	v_cndmask_b32_e32 v6, v12, v6, vcc
	v_cndmask_b32_e32 v12, v15, v16, vcc
	v_mov_b32_e32 v14, 0x3b800000
	v_lshlrev_b32_e32 v6, 20, v6
	v_lshl_add_u32 v12, v12, 23, v14
	v_or3_b32 v12, v13, v12, v6
.LBB2_8348:
	s_or_b64 exec, exec, s[6:7]
	s_movk_i32 s4, 0x7f
	v_cmp_gt_i16_sdwa s[6:7], v2, s4 src0_sel:BYTE_3 src1_sel:DWORD
	s_mov_b64 s[4:5], 0
                                        ; implicit-def: $sgpr10
	s_and_saveexec_b64 s[8:9], s[6:7]
	s_xor_b64 s[6:7], exec, s[8:9]
	s_cbranch_execz .LBB2_8349
; %bb.44189:
	s_getpc_b64 s[14:15]
.Lpost_getpc25678:
	s_add_u32 s14, s14, (.LBB2_22685-.Lpost_getpc25678)&4294967295
	s_addc_u32 s15, s15, (.LBB2_22685-.Lpost_getpc25678)>>32
	s_setpc_b64 s[14:15]
.LBB2_8349:
	s_or_saveexec_b64 s[6:7], s[6:7]
	v_mov_b32_e32 v6, s10
	s_xor_b64 exec, exec, s[6:7]
	s_cbranch_execz .LBB2_8350
; %bb.44191:
	s_getpc_b64 s[14:15]
.Lpost_getpc25679:
	s_add_u32 s14, s14, (.LBB2_22688-.Lpost_getpc25679)&4294967295
	s_addc_u32 s15, s15, (.LBB2_22688-.Lpost_getpc25679)>>32
	s_setpc_b64 s[14:15]
.LBB2_8350:
	s_or_b64 exec, exec, s[6:7]
	s_and_saveexec_b64 s[6:7], s[4:5]
	s_cbranch_execz .LBB2_8352
.LBB2_8351:
	v_bfe_u32 v6, v2, 24, 3
	v_ffbh_u32_e32 v16, v6
	v_min_u32_e32 v16, 32, v16
	v_lshrrev_b32_e32 v14, 27, v2
	v_subrev_u32_e32 v17, 28, v16
	v_and_b32_e32 v13, 0x80000000, v2
	v_and_b32_e32 v14, 15, v14
	v_bfe_u32 v15, v2, 27, 4
	v_lshlrev_b32_sdwa v2, v17, v2 dst_sel:DWORD dst_unused:UNUSED_PAD src0_sel:DWORD src1_sel:BYTE_3
	v_sub_u32_e32 v16, 29, v16
	v_and_b32_e32 v2, 7, v2
	v_cmp_eq_u16_e32 vcc, 0, v14
	v_cndmask_b32_e32 v2, v6, v2, vcc
	v_cndmask_b32_e32 v6, v15, v16, vcc
	v_mov_b32_e32 v14, 0x3b800000
	v_lshlrev_b32_e32 v2, 20, v2
	v_lshl_add_u32 v6, v6, 23, v14
	v_or3_b32 v6, v13, v6, v2
.LBB2_8352:
	s_or_b64 exec, exec, s[6:7]
	s_nop 0
	v_mfma_f32_16x16x4f32 a[0:3], v12, v6, a[0:3]
	s_movk_i32 s4, 0x7f
	v_cmp_gt_i16_sdwa s[6:7], v7, s4 src0_sel:BYTE_0 src1_sel:DWORD
	s_mov_b64 s[4:5], 0
                                        ; implicit-def: $sgpr10
	s_and_saveexec_b64 s[8:9], s[6:7]
	s_xor_b64 s[6:7], exec, s[8:9]
	s_cbranch_execz .LBB2_8353
; %bb.44193:
	s_getpc_b64 s[14:15]
.Lpost_getpc25680:
	s_add_u32 s14, s14, (.LBB2_22689-.Lpost_getpc25680)&4294967295
	s_addc_u32 s15, s15, (.LBB2_22689-.Lpost_getpc25680)>>32
	s_setpc_b64 s[14:15]
.LBB2_8353:
	s_or_saveexec_b64 s[6:7], s[6:7]
	v_mov_b32_e32 v2, s10
	s_xor_b64 exec, exec, s[6:7]
	s_cbranch_execz .LBB2_8354
; %bb.44195:
	s_getpc_b64 s[14:15]
.Lpost_getpc25681:
	s_add_u32 s14, s14, (.LBB2_22692-.Lpost_getpc25681)&4294967295
	s_addc_u32 s15, s15, (.LBB2_22692-.Lpost_getpc25681)>>32
	s_setpc_b64 s[14:15]
.LBB2_8354:
	s_or_b64 exec, exec, s[6:7]
	s_and_saveexec_b64 s[6:7], s[4:5]
	s_cbranch_execz .LBB2_8356
.LBB2_8355:
	v_and_b32_e32 v2, 7, v7
	v_ffbh_u32_e32 v12, v2
	v_min_u32_e32 v12, 32, v12
	v_lshrrev_b16_e32 v6, 3, v7
	v_subrev_u32_e32 v13, 28, v12
	v_and_b32_e32 v6, 15, v6
	v_lshlrev_b32_e32 v13, v13, v7
	v_sub_u32_e32 v12, 29, v12
	v_and_b32_e32 v13, 7, v13
	v_cmp_eq_u16_e32 vcc, 0, v6
	v_cndmask_b32_e32 v2, v2, v13, vcc
	v_cndmask_b32_e32 v6, v6, v12, vcc
	v_lshlrev_b32_e32 v12, 24, v7
	v_mov_b32_e32 v13, 0x3b800000
	v_lshlrev_b32_e32 v2, 20, v2
	v_and_b32_e32 v12, 0x80000000, v12
	v_lshl_add_u32 v6, v6, 23, v13
	v_or3_b32 v2, v12, v6, v2
.LBB2_8356:
	s_or_b64 exec, exec, s[6:7]
	s_movk_i32 s4, 0x7f
	v_cmp_gt_i16_sdwa s[6:7], v3, s4 src0_sel:BYTE_0 src1_sel:DWORD
	s_mov_b64 s[4:5], 0
                                        ; implicit-def: $sgpr10
	s_and_saveexec_b64 s[8:9], s[6:7]
	s_xor_b64 s[6:7], exec, s[8:9]
	s_cbranch_execz .LBB2_8357
; %bb.44197:
	s_getpc_b64 s[14:15]
.Lpost_getpc25682:
	s_add_u32 s14, s14, (.LBB2_22693-.Lpost_getpc25682)&4294967295
	s_addc_u32 s15, s15, (.LBB2_22693-.Lpost_getpc25682)>>32
	s_setpc_b64 s[14:15]
.LBB2_8357:
	s_or_saveexec_b64 s[6:7], s[6:7]
	v_mov_b32_e32 v6, s10
	s_xor_b64 exec, exec, s[6:7]
	s_cbranch_execz .LBB2_8358
; %bb.44199:
	s_getpc_b64 s[14:15]
.Lpost_getpc25683:
	s_add_u32 s14, s14, (.LBB2_22696-.Lpost_getpc25683)&4294967295
	s_addc_u32 s15, s15, (.LBB2_22696-.Lpost_getpc25683)>>32
	s_setpc_b64 s[14:15]
.LBB2_8358:
	s_or_b64 exec, exec, s[6:7]
	s_and_saveexec_b64 s[6:7], s[4:5]
	s_cbranch_execz .LBB2_8360
.LBB2_8359:
	v_and_b32_e32 v6, 7, v3
	v_ffbh_u32_e32 v13, v6
	v_min_u32_e32 v13, 32, v13
	v_lshrrev_b16_e32 v12, 3, v3
	v_subrev_u32_e32 v14, 28, v13
	v_and_b32_e32 v12, 15, v12
	v_lshlrev_b32_e32 v14, v14, v3
	v_sub_u32_e32 v13, 29, v13
	v_and_b32_e32 v14, 7, v14
	v_cmp_eq_u16_e32 vcc, 0, v12
	v_cndmask_b32_e32 v6, v6, v14, vcc
	v_cndmask_b32_e32 v12, v12, v13, vcc
	v_lshlrev_b32_e32 v13, 24, v3
	v_mov_b32_e32 v14, 0x3b800000
	v_lshlrev_b32_e32 v6, 20, v6
	v_and_b32_e32 v13, 0x80000000, v13
	v_lshl_add_u32 v12, v12, 23, v14
	v_or3_b32 v6, v13, v12, v6
.LBB2_8360:
	s_or_b64 exec, exec, s[6:7]
	s_nop 0
	v_mfma_f32_16x16x4f32 a[0:3], v2, v6, a[0:3]
	v_lshrrev_b32_e32 v6, 8, v7
	s_movk_i32 s4, 0x7f
	v_cmp_gt_i16_sdwa s[6:7], v6, s4 src0_sel:BYTE_0 src1_sel:DWORD
	s_mov_b64 s[4:5], 0
                                        ; implicit-def: $sgpr10
	s_and_saveexec_b64 s[8:9], s[6:7]
	s_xor_b64 s[6:7], exec, s[8:9]
	s_cbranch_execz .LBB2_8361
; %bb.44201:
	s_getpc_b64 s[14:15]
.Lpost_getpc25684:
	s_add_u32 s14, s14, (.LBB2_22697-.Lpost_getpc25684)&4294967295
	s_addc_u32 s15, s15, (.LBB2_22697-.Lpost_getpc25684)>>32
	s_setpc_b64 s[14:15]
.LBB2_8361:
	s_or_saveexec_b64 s[6:7], s[6:7]
	v_mov_b32_e32 v2, s10
	s_xor_b64 exec, exec, s[6:7]
	s_cbranch_execz .LBB2_8362
; %bb.44203:
	s_getpc_b64 s[14:15]
.Lpost_getpc25685:
	s_add_u32 s14, s14, (.LBB2_22700-.Lpost_getpc25685)&4294967295
	s_addc_u32 s15, s15, (.LBB2_22700-.Lpost_getpc25685)>>32
	s_setpc_b64 s[14:15]
.LBB2_8362:
	s_or_b64 exec, exec, s[6:7]
	s_and_saveexec_b64 s[6:7], s[4:5]
	s_cbranch_execz .LBB2_8364
.LBB2_8363:
	v_bfe_u32 v2, v7, 8, 3
	v_ffbh_u32_e32 v13, v2
	v_min_u32_e32 v13, 32, v13
	v_lshrrev_b16_e32 v12, 3, v6
	v_subrev_u32_e32 v14, 28, v13
	v_and_b32_e32 v12, 15, v12
	v_lshlrev_b32_e32 v6, v14, v6
	v_sub_u32_e32 v13, 29, v13
	v_and_b32_e32 v6, 7, v6
	v_cmp_eq_u16_e32 vcc, 0, v12
	v_cndmask_b32_e32 v2, v2, v6, vcc
	v_cndmask_b32_e32 v6, v12, v13, vcc
	v_lshlrev_b32_e32 v12, 16, v7
	v_mov_b32_e32 v13, 0x3b800000
	v_lshlrev_b32_e32 v2, 20, v2
	v_and_b32_e32 v12, 0x80000000, v12
	v_lshl_add_u32 v6, v6, 23, v13
	v_or3_b32 v2, v12, v6, v2
.LBB2_8364:
	s_or_b64 exec, exec, s[6:7]
	v_lshrrev_b32_e32 v6, 8, v3
	s_movk_i32 s4, 0x7f
	v_cmp_gt_i16_sdwa s[6:7], v6, s4 src0_sel:BYTE_0 src1_sel:DWORD
	s_mov_b64 s[4:5], 0
                                        ; implicit-def: $sgpr10
	s_and_saveexec_b64 s[8:9], s[6:7]
	s_xor_b64 s[6:7], exec, s[8:9]
	s_cbranch_execz .LBB2_8365
; %bb.44205:
	s_getpc_b64 s[14:15]
.Lpost_getpc25686:
	s_add_u32 s14, s14, (.LBB2_22701-.Lpost_getpc25686)&4294967295
	s_addc_u32 s15, s15, (.LBB2_22701-.Lpost_getpc25686)>>32
	s_setpc_b64 s[14:15]
.LBB2_8365:
	s_or_saveexec_b64 s[6:7], s[6:7]
	v_mov_b32_e32 v12, s10
	s_xor_b64 exec, exec, s[6:7]
	s_cbranch_execz .LBB2_8366
; %bb.44207:
	s_getpc_b64 s[14:15]
.Lpost_getpc25687:
	s_add_u32 s14, s14, (.LBB2_22704-.Lpost_getpc25687)&4294967295
	s_addc_u32 s15, s15, (.LBB2_22704-.Lpost_getpc25687)>>32
	s_setpc_b64 s[14:15]
.LBB2_8366:
	s_or_b64 exec, exec, s[6:7]
	s_and_saveexec_b64 s[6:7], s[4:5]
	s_cbranch_execz .LBB2_8368
.LBB2_8367:
	v_bfe_u32 v12, v3, 8, 3
	v_ffbh_u32_e32 v14, v12
	v_min_u32_e32 v14, 32, v14
	v_lshrrev_b16_e32 v13, 3, v6
	v_subrev_u32_e32 v15, 28, v14
	v_and_b32_e32 v13, 15, v13
	v_lshlrev_b32_e32 v6, v15, v6
	v_sub_u32_e32 v14, 29, v14
	v_and_b32_e32 v6, 7, v6
	v_cmp_eq_u16_e32 vcc, 0, v13
	v_cndmask_b32_e32 v6, v12, v6, vcc
	v_cndmask_b32_e32 v12, v13, v14, vcc
	v_lshlrev_b32_e32 v13, 16, v3
	v_mov_b32_e32 v14, 0x3b800000
	v_lshlrev_b32_e32 v6, 20, v6
	v_and_b32_e32 v13, 0x80000000, v13
	v_lshl_add_u32 v12, v12, 23, v14
	v_or3_b32 v12, v13, v12, v6
.LBB2_8368:
	s_or_b64 exec, exec, s[6:7]
	s_nop 0
	v_mfma_f32_16x16x4f32 a[0:3], v2, v12, a[0:3]
	s_movk_i32 s4, 0xff
	v_and_b32_sdwa v6, v7, s4 dst_sel:DWORD dst_unused:UNUSED_PAD src0_sel:WORD_1 src1_sel:DWORD
	s_movk_i32 s4, 0x7f
	v_cmp_lt_i16_e32 vcc, s4, v6
	s_mov_b64 s[4:5], 0
                                        ; implicit-def: $sgpr10
	s_and_saveexec_b64 s[6:7], vcc
	s_xor_b64 s[6:7], exec, s[6:7]
	s_cbranch_execz .LBB2_8369
; %bb.44209:
	s_getpc_b64 s[14:15]
.Lpost_getpc25688:
	s_add_u32 s14, s14, (.LBB2_22705-.Lpost_getpc25688)&4294967295
	s_addc_u32 s15, s15, (.LBB2_22705-.Lpost_getpc25688)>>32
	s_setpc_b64 s[14:15]
.LBB2_8369:
	s_or_saveexec_b64 s[6:7], s[6:7]
	v_mov_b32_e32 v2, s10
	s_xor_b64 exec, exec, s[6:7]
	s_cbranch_execz .LBB2_8370
; %bb.44211:
	s_getpc_b64 s[14:15]
.Lpost_getpc25689:
	s_add_u32 s14, s14, (.LBB2_22708-.Lpost_getpc25689)&4294967295
	s_addc_u32 s15, s15, (.LBB2_22708-.Lpost_getpc25689)>>32
	s_setpc_b64 s[14:15]
.LBB2_8370:
	s_or_b64 exec, exec, s[6:7]
	s_and_saveexec_b64 s[6:7], s[4:5]
	s_cbranch_execz .LBB2_8372
.LBB2_8371:
	v_bfe_u32 v2, v7, 16, 3
	v_ffbh_u32_e32 v13, v2
	v_min_u32_e32 v13, 32, v13
	v_lshrrev_b32_e32 v6, 19, v7
	v_subrev_u32_e32 v14, 28, v13
	v_and_b32_e32 v6, 15, v6
	v_lshlrev_b32_sdwa v14, v14, v7 dst_sel:DWORD dst_unused:UNUSED_PAD src0_sel:DWORD src1_sel:WORD_1
	v_bfe_u32 v12, v7, 19, 4
	v_sub_u32_e32 v13, 29, v13
	v_and_b32_e32 v14, 7, v14
	v_cmp_eq_u16_e32 vcc, 0, v6
	v_cndmask_b32_e32 v2, v2, v14, vcc
	v_cndmask_b32_e32 v6, v12, v13, vcc
	v_lshlrev_b32_e32 v12, 8, v7
	v_mov_b32_e32 v13, 0x3b800000
	v_lshlrev_b32_e32 v2, 20, v2
	v_and_b32_e32 v12, 0x80000000, v12
	v_lshl_add_u32 v6, v6, 23, v13
	v_or3_b32 v2, v12, v6, v2
.LBB2_8372:
	s_or_b64 exec, exec, s[6:7]
	s_movk_i32 s4, 0xff
	v_and_b32_sdwa v6, v3, s4 dst_sel:DWORD dst_unused:UNUSED_PAD src0_sel:WORD_1 src1_sel:DWORD
	s_movk_i32 s4, 0x7f
	v_cmp_lt_i16_e32 vcc, s4, v6
	s_mov_b64 s[4:5], 0
                                        ; implicit-def: $sgpr10
	s_and_saveexec_b64 s[6:7], vcc
	s_xor_b64 s[6:7], exec, s[6:7]
	s_cbranch_execz .LBB2_8373
; %bb.44213:
	s_getpc_b64 s[14:15]
.Lpost_getpc25690:
	s_add_u32 s14, s14, (.LBB2_22709-.Lpost_getpc25690)&4294967295
	s_addc_u32 s15, s15, (.LBB2_22709-.Lpost_getpc25690)>>32
	s_setpc_b64 s[14:15]
.LBB2_8373:
	s_or_saveexec_b64 s[6:7], s[6:7]
	v_mov_b32_e32 v12, s10
	s_xor_b64 exec, exec, s[6:7]
	s_cbranch_execz .LBB2_8374
; %bb.44215:
	s_getpc_b64 s[14:15]
.Lpost_getpc25691:
	s_add_u32 s14, s14, (.LBB2_22712-.Lpost_getpc25691)&4294967295
	s_addc_u32 s15, s15, (.LBB2_22712-.Lpost_getpc25691)>>32
	s_setpc_b64 s[14:15]
.LBB2_8374:
	s_or_b64 exec, exec, s[6:7]
	s_and_saveexec_b64 s[6:7], s[4:5]
	s_cbranch_execz .LBB2_8376
.LBB2_8375:
	v_bfe_u32 v6, v3, 16, 3
	v_ffbh_u32_e32 v14, v6
	v_min_u32_e32 v14, 32, v14
	v_lshrrev_b32_e32 v12, 19, v3
	v_subrev_u32_e32 v15, 28, v14
	v_and_b32_e32 v12, 15, v12
	v_lshlrev_b32_sdwa v15, v15, v3 dst_sel:DWORD dst_unused:UNUSED_PAD src0_sel:DWORD src1_sel:WORD_1
	v_bfe_u32 v13, v3, 19, 4
	v_sub_u32_e32 v14, 29, v14
	v_and_b32_e32 v15, 7, v15
	v_cmp_eq_u16_e32 vcc, 0, v12
	v_cndmask_b32_e32 v6, v6, v15, vcc
	v_cndmask_b32_e32 v12, v13, v14, vcc
	v_lshlrev_b32_e32 v13, 8, v3
	v_mov_b32_e32 v14, 0x3b800000
	v_lshlrev_b32_e32 v6, 20, v6
	v_and_b32_e32 v13, 0x80000000, v13
	v_lshl_add_u32 v12, v12, 23, v14
	v_or3_b32 v12, v13, v12, v6
.LBB2_8376:
	s_or_b64 exec, exec, s[6:7]
	s_nop 0
	v_mfma_f32_16x16x4f32 a[0:3], v2, v12, a[0:3]
	s_movk_i32 s4, 0x7f
	v_cmp_gt_i16_sdwa s[6:7], v7, s4 src0_sel:BYTE_3 src1_sel:DWORD
	s_mov_b64 s[4:5], 0
                                        ; implicit-def: $sgpr10
	s_and_saveexec_b64 s[8:9], s[6:7]
	s_xor_b64 s[6:7], exec, s[8:9]
	s_cbranch_execz .LBB2_8377
; %bb.44217:
	s_getpc_b64 s[14:15]
.Lpost_getpc25692:
	s_add_u32 s14, s14, (.LBB2_22713-.Lpost_getpc25692)&4294967295
	s_addc_u32 s15, s15, (.LBB2_22713-.Lpost_getpc25692)>>32
	s_setpc_b64 s[14:15]
.LBB2_8377:
	s_or_saveexec_b64 s[6:7], s[6:7]
	v_mov_b32_e32 v2, s10
	s_xor_b64 exec, exec, s[6:7]
	s_cbranch_execz .LBB2_8378
; %bb.44219:
	s_getpc_b64 s[14:15]
.Lpost_getpc25693:
	s_add_u32 s14, s14, (.LBB2_22716-.Lpost_getpc25693)&4294967295
	s_addc_u32 s15, s15, (.LBB2_22716-.Lpost_getpc25693)>>32
	s_setpc_b64 s[14:15]
.LBB2_8378:
	s_or_b64 exec, exec, s[6:7]
	s_and_saveexec_b64 s[6:7], s[4:5]
	s_cbranch_execz .LBB2_8380
.LBB2_8379:
	v_bfe_u32 v2, v7, 24, 3
	v_ffbh_u32_e32 v14, v2
	v_min_u32_e32 v14, 32, v14
	v_lshrrev_b32_e32 v12, 27, v7
	v_subrev_u32_e32 v15, 28, v14
	v_and_b32_e32 v6, 0x80000000, v7
	v_and_b32_e32 v12, 15, v12
	v_bfe_u32 v13, v7, 27, 4
	v_lshlrev_b32_sdwa v7, v15, v7 dst_sel:DWORD dst_unused:UNUSED_PAD src0_sel:DWORD src1_sel:BYTE_3
	v_sub_u32_e32 v14, 29, v14
	v_and_b32_e32 v7, 7, v7
	v_cmp_eq_u16_e32 vcc, 0, v12
	v_cndmask_b32_e32 v2, v2, v7, vcc
	v_cndmask_b32_e32 v7, v13, v14, vcc
	v_mov_b32_e32 v12, 0x3b800000
	v_lshlrev_b32_e32 v2, 20, v2
	v_lshl_add_u32 v7, v7, 23, v12
	v_or3_b32 v2, v6, v7, v2
.LBB2_8380:
	s_or_b64 exec, exec, s[6:7]
	s_movk_i32 s4, 0x7f
	v_cmp_gt_i16_sdwa s[6:7], v3, s4 src0_sel:BYTE_3 src1_sel:DWORD
	s_mov_b64 s[4:5], 0
                                        ; implicit-def: $sgpr10
	s_and_saveexec_b64 s[8:9], s[6:7]
	s_xor_b64 s[6:7], exec, s[8:9]
	s_cbranch_execz .LBB2_8381
; %bb.44221:
	s_getpc_b64 s[14:15]
.Lpost_getpc25694:
	s_add_u32 s14, s14, (.LBB2_22717-.Lpost_getpc25694)&4294967295
	s_addc_u32 s15, s15, (.LBB2_22717-.Lpost_getpc25694)>>32
	s_setpc_b64 s[14:15]
.LBB2_8381:
	s_or_saveexec_b64 s[6:7], s[6:7]
	v_mov_b32_e32 v6, s10
	s_xor_b64 exec, exec, s[6:7]
	s_cbranch_execz .LBB2_8382
; %bb.44223:
	s_getpc_b64 s[14:15]
.Lpost_getpc25695:
	s_add_u32 s14, s14, (.LBB2_22720-.Lpost_getpc25695)&4294967295
	s_addc_u32 s15, s15, (.LBB2_22720-.Lpost_getpc25695)>>32
	s_setpc_b64 s[14:15]
.LBB2_8382:
	s_or_b64 exec, exec, s[6:7]
	s_and_saveexec_b64 s[6:7], s[4:5]
	s_cbranch_execz .LBB2_8384
.LBB2_8383:
	v_bfe_u32 v6, v3, 24, 3
	v_ffbh_u32_e32 v14, v6
	v_min_u32_e32 v14, 32, v14
	v_lshrrev_b32_e32 v12, 27, v3
	v_subrev_u32_e32 v15, 28, v14
	v_and_b32_e32 v7, 0x80000000, v3
	v_and_b32_e32 v12, 15, v12
	v_bfe_u32 v13, v3, 27, 4
	v_lshlrev_b32_sdwa v3, v15, v3 dst_sel:DWORD dst_unused:UNUSED_PAD src0_sel:DWORD src1_sel:BYTE_3
	v_sub_u32_e32 v14, 29, v14
	v_and_b32_e32 v3, 7, v3
	v_cmp_eq_u16_e32 vcc, 0, v12
	v_cndmask_b32_e32 v3, v6, v3, vcc
	v_cndmask_b32_e32 v6, v13, v14, vcc
	v_mov_b32_e32 v12, 0x3b800000
	v_lshlrev_b32_e32 v3, 20, v3
	v_lshl_add_u32 v6, v6, 23, v12
	v_or3_b32 v6, v7, v6, v3
.LBB2_8384:
	s_or_b64 exec, exec, s[6:7]
	s_nop 0
	v_mfma_f32_16x16x4f32 a[0:3], v2, v6, a[0:3]
	s_movk_i32 s4, 0x7f
	v_cmp_gt_i16_sdwa s[6:7], v8, s4 src0_sel:BYTE_0 src1_sel:DWORD
	s_mov_b64 s[4:5], 0
                                        ; implicit-def: $sgpr10
	s_and_saveexec_b64 s[8:9], s[6:7]
	s_xor_b64 s[6:7], exec, s[8:9]
	s_cbranch_execz .LBB2_8385
; %bb.44225:
	s_getpc_b64 s[14:15]
.Lpost_getpc25696:
	s_add_u32 s14, s14, (.LBB2_22721-.Lpost_getpc25696)&4294967295
	s_addc_u32 s15, s15, (.LBB2_22721-.Lpost_getpc25696)>>32
	s_setpc_b64 s[14:15]
.LBB2_8385:
	s_or_saveexec_b64 s[6:7], s[6:7]
	v_mov_b32_e32 v2, s10
	s_xor_b64 exec, exec, s[6:7]
	s_cbranch_execz .LBB2_8386
; %bb.44227:
	s_getpc_b64 s[14:15]
.Lpost_getpc25697:
	s_add_u32 s14, s14, (.LBB2_22724-.Lpost_getpc25697)&4294967295
	s_addc_u32 s15, s15, (.LBB2_22724-.Lpost_getpc25697)>>32
	s_setpc_b64 s[14:15]
.LBB2_8386:
	s_or_b64 exec, exec, s[6:7]
	s_and_saveexec_b64 s[6:7], s[4:5]
	s_cbranch_execz .LBB2_8388
.LBB2_8387:
	v_and_b32_e32 v2, 7, v8
	v_ffbh_u32_e32 v6, v2
	v_min_u32_e32 v6, 32, v6
	v_lshrrev_b16_e32 v3, 3, v8
	v_subrev_u32_e32 v7, 28, v6
	v_and_b32_e32 v3, 15, v3
	v_lshlrev_b32_e32 v7, v7, v8
	v_sub_u32_e32 v6, 29, v6
	v_and_b32_e32 v7, 7, v7
	v_cmp_eq_u16_e32 vcc, 0, v3
	v_cndmask_b32_e32 v2, v2, v7, vcc
	v_cndmask_b32_e32 v3, v3, v6, vcc
	v_lshlrev_b32_e32 v6, 24, v8
	v_mov_b32_e32 v7, 0x3b800000
	v_lshlrev_b32_e32 v2, 20, v2
	v_and_b32_e32 v6, 0x80000000, v6
	v_lshl_add_u32 v3, v3, 23, v7
	v_or3_b32 v2, v6, v3, v2
.LBB2_8388:
	s_or_b64 exec, exec, s[6:7]
	s_movk_i32 s4, 0x7f
	v_cmp_gt_i16_sdwa s[6:7], v4, s4 src0_sel:BYTE_0 src1_sel:DWORD
	s_mov_b64 s[4:5], 0
                                        ; implicit-def: $sgpr10
	s_and_saveexec_b64 s[8:9], s[6:7]
	s_xor_b64 s[6:7], exec, s[8:9]
	s_cbranch_execz .LBB2_8389
; %bb.44229:
	s_getpc_b64 s[14:15]
.Lpost_getpc25698:
	s_add_u32 s14, s14, (.LBB2_22725-.Lpost_getpc25698)&4294967295
	s_addc_u32 s15, s15, (.LBB2_22725-.Lpost_getpc25698)>>32
	s_setpc_b64 s[14:15]
.LBB2_8389:
	s_or_saveexec_b64 s[6:7], s[6:7]
	v_mov_b32_e32 v3, s10
	s_xor_b64 exec, exec, s[6:7]
	s_cbranch_execz .LBB2_8390
; %bb.44231:
	s_getpc_b64 s[14:15]
.Lpost_getpc25699:
	s_add_u32 s14, s14, (.LBB2_22728-.Lpost_getpc25699)&4294967295
	s_addc_u32 s15, s15, (.LBB2_22728-.Lpost_getpc25699)>>32
	s_setpc_b64 s[14:15]
.LBB2_8390:
	s_or_b64 exec, exec, s[6:7]
	s_and_saveexec_b64 s[6:7], s[4:5]
	s_cbranch_execz .LBB2_8392
.LBB2_8391:
	v_and_b32_e32 v3, 7, v4
	v_ffbh_u32_e32 v7, v3
	v_min_u32_e32 v7, 32, v7
	v_lshrrev_b16_e32 v6, 3, v4
	v_subrev_u32_e32 v12, 28, v7
	v_and_b32_e32 v6, 15, v6
	v_lshlrev_b32_e32 v12, v12, v4
	v_sub_u32_e32 v7, 29, v7
	v_and_b32_e32 v12, 7, v12
	v_cmp_eq_u16_e32 vcc, 0, v6
	v_cndmask_b32_e32 v3, v3, v12, vcc
	v_cndmask_b32_e32 v6, v6, v7, vcc
	v_lshlrev_b32_e32 v7, 24, v4
	v_mov_b32_e32 v12, 0x3b800000
	v_lshlrev_b32_e32 v3, 20, v3
	v_and_b32_e32 v7, 0x80000000, v7
	v_lshl_add_u32 v6, v6, 23, v12
	v_or3_b32 v3, v7, v6, v3
.LBB2_8392:
	s_or_b64 exec, exec, s[6:7]
	s_nop 0
	v_mfma_f32_16x16x4f32 a[0:3], v2, v3, a[0:3]
	v_lshrrev_b32_e32 v3, 8, v8
	s_movk_i32 s4, 0x7f
	v_cmp_gt_i16_sdwa s[6:7], v3, s4 src0_sel:BYTE_0 src1_sel:DWORD
	s_mov_b64 s[4:5], 0
                                        ; implicit-def: $sgpr10
	s_and_saveexec_b64 s[8:9], s[6:7]
	s_xor_b64 s[6:7], exec, s[8:9]
	s_cbranch_execz .LBB2_8393
; %bb.44233:
	s_getpc_b64 s[14:15]
.Lpost_getpc25700:
	s_add_u32 s14, s14, (.LBB2_22729-.Lpost_getpc25700)&4294967295
	s_addc_u32 s15, s15, (.LBB2_22729-.Lpost_getpc25700)>>32
	s_setpc_b64 s[14:15]
.LBB2_8393:
	s_or_saveexec_b64 s[6:7], s[6:7]
	v_mov_b32_e32 v2, s10
	s_xor_b64 exec, exec, s[6:7]
	s_cbranch_execz .LBB2_8394
; %bb.44235:
	s_getpc_b64 s[14:15]
.Lpost_getpc25701:
	s_add_u32 s14, s14, (.LBB2_22732-.Lpost_getpc25701)&4294967295
	s_addc_u32 s15, s15, (.LBB2_22732-.Lpost_getpc25701)>>32
	s_setpc_b64 s[14:15]
.LBB2_8394:
	s_or_b64 exec, exec, s[6:7]
	s_and_saveexec_b64 s[6:7], s[4:5]
	s_cbranch_execz .LBB2_8396
.LBB2_8395:
	v_bfe_u32 v2, v8, 8, 3
	v_ffbh_u32_e32 v7, v2
	v_min_u32_e32 v7, 32, v7
	v_lshrrev_b16_e32 v6, 3, v3
	v_subrev_u32_e32 v12, 28, v7
	v_and_b32_e32 v6, 15, v6
	v_lshlrev_b32_e32 v3, v12, v3
	v_sub_u32_e32 v7, 29, v7
	v_and_b32_e32 v3, 7, v3
	v_cmp_eq_u16_e32 vcc, 0, v6
	v_cndmask_b32_e32 v2, v2, v3, vcc
	v_cndmask_b32_e32 v3, v6, v7, vcc
	v_lshlrev_b32_e32 v6, 16, v8
	v_mov_b32_e32 v7, 0x3b800000
	v_lshlrev_b32_e32 v2, 20, v2
	v_and_b32_e32 v6, 0x80000000, v6
	v_lshl_add_u32 v3, v3, 23, v7
	v_or3_b32 v2, v6, v3, v2
.LBB2_8396:
	s_or_b64 exec, exec, s[6:7]
	v_lshrrev_b32_e32 v3, 8, v4
	s_movk_i32 s4, 0x7f
	v_cmp_gt_i16_sdwa s[6:7], v3, s4 src0_sel:BYTE_0 src1_sel:DWORD
	s_mov_b64 s[4:5], 0
                                        ; implicit-def: $sgpr10
	s_and_saveexec_b64 s[8:9], s[6:7]
	s_xor_b64 s[6:7], exec, s[8:9]
	s_cbranch_execz .LBB2_8397
; %bb.44237:
	s_getpc_b64 s[14:15]
.Lpost_getpc25702:
	s_add_u32 s14, s14, (.LBB2_22733-.Lpost_getpc25702)&4294967295
	s_addc_u32 s15, s15, (.LBB2_22733-.Lpost_getpc25702)>>32
	s_setpc_b64 s[14:15]
.LBB2_8397:
	s_or_saveexec_b64 s[6:7], s[6:7]
	v_mov_b32_e32 v6, s10
	s_xor_b64 exec, exec, s[6:7]
	s_cbranch_execz .LBB2_8398
; %bb.44239:
	s_getpc_b64 s[14:15]
.Lpost_getpc25703:
	s_add_u32 s14, s14, (.LBB2_22736-.Lpost_getpc25703)&4294967295
	s_addc_u32 s15, s15, (.LBB2_22736-.Lpost_getpc25703)>>32
	s_setpc_b64 s[14:15]
.LBB2_8398:
	s_or_b64 exec, exec, s[6:7]
	s_and_saveexec_b64 s[6:7], s[4:5]
	s_cbranch_execz .LBB2_8400
.LBB2_8399:
	v_bfe_u32 v6, v4, 8, 3
	v_ffbh_u32_e32 v12, v6
	v_min_u32_e32 v12, 32, v12
	v_lshrrev_b16_e32 v7, 3, v3
	v_subrev_u32_e32 v13, 28, v12
	v_and_b32_e32 v7, 15, v7
	v_lshlrev_b32_e32 v3, v13, v3
	v_sub_u32_e32 v12, 29, v12
	v_and_b32_e32 v3, 7, v3
	v_cmp_eq_u16_e32 vcc, 0, v7
	v_cndmask_b32_e32 v3, v6, v3, vcc
	v_cndmask_b32_e32 v6, v7, v12, vcc
	v_lshlrev_b32_e32 v7, 16, v4
	v_mov_b32_e32 v12, 0x3b800000
	v_lshlrev_b32_e32 v3, 20, v3
	v_and_b32_e32 v7, 0x80000000, v7
	v_lshl_add_u32 v6, v6, 23, v12
	v_or3_b32 v6, v7, v6, v3
.LBB2_8400:
	s_or_b64 exec, exec, s[6:7]
	s_nop 0
	v_mfma_f32_16x16x4f32 a[0:3], v2, v6, a[0:3]
	s_movk_i32 s4, 0xff
	v_and_b32_sdwa v3, v8, s4 dst_sel:DWORD dst_unused:UNUSED_PAD src0_sel:WORD_1 src1_sel:DWORD
	s_movk_i32 s4, 0x7f
	v_cmp_lt_i16_e32 vcc, s4, v3
	s_mov_b64 s[4:5], 0
                                        ; implicit-def: $sgpr10
	s_and_saveexec_b64 s[6:7], vcc
	s_xor_b64 s[6:7], exec, s[6:7]
	s_cbranch_execz .LBB2_8401
; %bb.44241:
	s_getpc_b64 s[14:15]
.Lpost_getpc25704:
	s_add_u32 s14, s14, (.LBB2_22737-.Lpost_getpc25704)&4294967295
	s_addc_u32 s15, s15, (.LBB2_22737-.Lpost_getpc25704)>>32
	s_setpc_b64 s[14:15]
.LBB2_8401:
	s_or_saveexec_b64 s[6:7], s[6:7]
	v_mov_b32_e32 v2, s10
	s_xor_b64 exec, exec, s[6:7]
	s_cbranch_execz .LBB2_8402
; %bb.44243:
	s_getpc_b64 s[14:15]
.Lpost_getpc25705:
	s_add_u32 s14, s14, (.LBB2_22740-.Lpost_getpc25705)&4294967295
	s_addc_u32 s15, s15, (.LBB2_22740-.Lpost_getpc25705)>>32
	s_setpc_b64 s[14:15]
.LBB2_8402:
	s_or_b64 exec, exec, s[6:7]
	s_and_saveexec_b64 s[6:7], s[4:5]
	s_cbranch_execz .LBB2_8404
.LBB2_8403:
	v_bfe_u32 v2, v8, 16, 3
	v_ffbh_u32_e32 v7, v2
	v_min_u32_e32 v7, 32, v7
	v_lshrrev_b32_e32 v3, 19, v8
	v_subrev_u32_e32 v12, 28, v7
	v_and_b32_e32 v3, 15, v3
	v_lshlrev_b32_sdwa v12, v12, v8 dst_sel:DWORD dst_unused:UNUSED_PAD src0_sel:DWORD src1_sel:WORD_1
	v_bfe_u32 v6, v8, 19, 4
	v_sub_u32_e32 v7, 29, v7
	v_and_b32_e32 v12, 7, v12
	v_cmp_eq_u16_e32 vcc, 0, v3
	v_cndmask_b32_e32 v2, v2, v12, vcc
	v_cndmask_b32_e32 v3, v6, v7, vcc
	v_lshlrev_b32_e32 v6, 8, v8
	v_mov_b32_e32 v7, 0x3b800000
	v_lshlrev_b32_e32 v2, 20, v2
	v_and_b32_e32 v6, 0x80000000, v6
	v_lshl_add_u32 v3, v3, 23, v7
	v_or3_b32 v2, v6, v3, v2
.LBB2_8404:
	s_or_b64 exec, exec, s[6:7]
	s_movk_i32 s4, 0xff
	v_and_b32_sdwa v3, v4, s4 dst_sel:DWORD dst_unused:UNUSED_PAD src0_sel:WORD_1 src1_sel:DWORD
	s_movk_i32 s4, 0x7f
	v_cmp_lt_i16_e32 vcc, s4, v3
	s_mov_b64 s[4:5], 0
                                        ; implicit-def: $sgpr10
	s_and_saveexec_b64 s[6:7], vcc
	s_xor_b64 s[6:7], exec, s[6:7]
	s_cbranch_execz .LBB2_8405
; %bb.44245:
	s_getpc_b64 s[14:15]
.Lpost_getpc25706:
	s_add_u32 s14, s14, (.LBB2_22741-.Lpost_getpc25706)&4294967295
	s_addc_u32 s15, s15, (.LBB2_22741-.Lpost_getpc25706)>>32
	s_setpc_b64 s[14:15]
.LBB2_8405:
	s_or_saveexec_b64 s[6:7], s[6:7]
	v_mov_b32_e32 v6, s10
	s_xor_b64 exec, exec, s[6:7]
	s_cbranch_execz .LBB2_8406
; %bb.44247:
	s_getpc_b64 s[14:15]
.Lpost_getpc25707:
	s_add_u32 s14, s14, (.LBB2_22744-.Lpost_getpc25707)&4294967295
	s_addc_u32 s15, s15, (.LBB2_22744-.Lpost_getpc25707)>>32
	s_setpc_b64 s[14:15]
.LBB2_8406:
	s_or_b64 exec, exec, s[6:7]
	s_and_saveexec_b64 s[6:7], s[4:5]
	s_cbranch_execz .LBB2_8408
.LBB2_8407:
	v_bfe_u32 v3, v4, 16, 3
	v_ffbh_u32_e32 v12, v3
	v_min_u32_e32 v12, 32, v12
	v_lshrrev_b32_e32 v6, 19, v4
	v_subrev_u32_e32 v13, 28, v12
	v_and_b32_e32 v6, 15, v6
	v_lshlrev_b32_sdwa v13, v13, v4 dst_sel:DWORD dst_unused:UNUSED_PAD src0_sel:DWORD src1_sel:WORD_1
	v_bfe_u32 v7, v4, 19, 4
	v_sub_u32_e32 v12, 29, v12
	v_and_b32_e32 v13, 7, v13
	v_cmp_eq_u16_e32 vcc, 0, v6
	v_cndmask_b32_e32 v3, v3, v13, vcc
	v_cndmask_b32_e32 v6, v7, v12, vcc
	v_lshlrev_b32_e32 v7, 8, v4
	v_mov_b32_e32 v12, 0x3b800000
	v_lshlrev_b32_e32 v3, 20, v3
	v_and_b32_e32 v7, 0x80000000, v7
	v_lshl_add_u32 v6, v6, 23, v12
	v_or3_b32 v6, v7, v6, v3
.LBB2_8408:
	s_or_b64 exec, exec, s[6:7]
	s_nop 0
	v_mfma_f32_16x16x4f32 a[0:3], v2, v6, a[0:3]
	s_movk_i32 s4, 0x7f
	v_cmp_gt_i16_sdwa s[6:7], v8, s4 src0_sel:BYTE_3 src1_sel:DWORD
	s_mov_b64 s[4:5], 0
                                        ; implicit-def: $sgpr10
	s_and_saveexec_b64 s[8:9], s[6:7]
	s_xor_b64 s[6:7], exec, s[8:9]
	s_cbranch_execz .LBB2_8409
; %bb.44249:
	s_getpc_b64 s[14:15]
.Lpost_getpc25708:
	s_add_u32 s14, s14, (.LBB2_22745-.Lpost_getpc25708)&4294967295
	s_addc_u32 s15, s15, (.LBB2_22745-.Lpost_getpc25708)>>32
	s_setpc_b64 s[14:15]
.LBB2_8409:
	s_or_saveexec_b64 s[6:7], s[6:7]
	v_mov_b32_e32 v2, s10
	s_xor_b64 exec, exec, s[6:7]
	s_cbranch_execz .LBB2_8410
; %bb.44251:
	s_getpc_b64 s[14:15]
.Lpost_getpc25709:
	s_add_u32 s14, s14, (.LBB2_22748-.Lpost_getpc25709)&4294967295
	s_addc_u32 s15, s15, (.LBB2_22748-.Lpost_getpc25709)>>32
	s_setpc_b64 s[14:15]
.LBB2_8410:
	s_or_b64 exec, exec, s[6:7]
	s_and_saveexec_b64 s[6:7], s[4:5]
	s_cbranch_execz .LBB2_8412
.LBB2_8411:
	v_bfe_u32 v2, v8, 24, 3
	v_ffbh_u32_e32 v12, v2
	v_min_u32_e32 v12, 32, v12
	v_lshrrev_b32_e32 v6, 27, v8
	v_subrev_u32_e32 v13, 28, v12
	v_and_b32_e32 v3, 0x80000000, v8
	v_and_b32_e32 v6, 15, v6
	v_bfe_u32 v7, v8, 27, 4
	v_lshlrev_b32_sdwa v8, v13, v8 dst_sel:DWORD dst_unused:UNUSED_PAD src0_sel:DWORD src1_sel:BYTE_3
	v_sub_u32_e32 v12, 29, v12
	v_and_b32_e32 v8, 7, v8
	v_cmp_eq_u16_e32 vcc, 0, v6
	v_cndmask_b32_e32 v2, v2, v8, vcc
	v_cndmask_b32_e32 v6, v7, v12, vcc
	v_mov_b32_e32 v7, 0x3b800000
	v_lshlrev_b32_e32 v2, 20, v2
	v_lshl_add_u32 v6, v6, 23, v7
	v_or3_b32 v2, v3, v6, v2
.LBB2_8412:
	s_or_b64 exec, exec, s[6:7]
	s_movk_i32 s4, 0x7f
	v_cmp_gt_i16_sdwa s[6:7], v4, s4 src0_sel:BYTE_3 src1_sel:DWORD
	s_mov_b64 s[4:5], 0
                                        ; implicit-def: $sgpr10
	s_and_saveexec_b64 s[8:9], s[6:7]
	s_xor_b64 s[6:7], exec, s[8:9]
	s_cbranch_execz .LBB2_8413
; %bb.44253:
	s_getpc_b64 s[14:15]
.Lpost_getpc25710:
	s_add_u32 s14, s14, (.LBB2_22749-.Lpost_getpc25710)&4294967295
	s_addc_u32 s15, s15, (.LBB2_22749-.Lpost_getpc25710)>>32
	s_setpc_b64 s[14:15]
.LBB2_8413:
	s_or_saveexec_b64 s[6:7], s[6:7]
	v_mov_b32_e32 v3, s10
	s_xor_b64 exec, exec, s[6:7]
	s_cbranch_execz .LBB2_8414
; %bb.44255:
	s_getpc_b64 s[14:15]
.Lpost_getpc25711:
	s_add_u32 s14, s14, (.LBB2_22752-.Lpost_getpc25711)&4294967295
	s_addc_u32 s15, s15, (.LBB2_22752-.Lpost_getpc25711)>>32
	s_setpc_b64 s[14:15]
.LBB2_8414:
	s_or_b64 exec, exec, s[6:7]
	s_and_saveexec_b64 s[6:7], s[4:5]
	s_cbranch_execz .LBB2_8416
.LBB2_8415:
	v_bfe_u32 v3, v4, 24, 3
	v_ffbh_u32_e32 v12, v3
	v_min_u32_e32 v12, 32, v12
	v_lshrrev_b32_e32 v7, 27, v4
	v_subrev_u32_e32 v13, 28, v12
	v_and_b32_e32 v6, 0x80000000, v4
	v_and_b32_e32 v7, 15, v7
	v_bfe_u32 v8, v4, 27, 4
	v_lshlrev_b32_sdwa v4, v13, v4 dst_sel:DWORD dst_unused:UNUSED_PAD src0_sel:DWORD src1_sel:BYTE_3
	v_sub_u32_e32 v12, 29, v12
	v_and_b32_e32 v4, 7, v4
	v_cmp_eq_u16_e32 vcc, 0, v7
	v_cndmask_b32_e32 v3, v3, v4, vcc
	v_cndmask_b32_e32 v4, v8, v12, vcc
	v_mov_b32_e32 v7, 0x3b800000
	v_lshlrev_b32_e32 v3, 20, v3
	v_lshl_add_u32 v4, v4, 23, v7
	v_or3_b32 v3, v6, v4, v3
.LBB2_8416:
	s_or_b64 exec, exec, s[6:7]
	s_nop 0
	v_mfma_f32_16x16x4f32 a[0:3], v2, v3, a[0:3]
	s_movk_i32 s4, 0x7f
	v_cmp_gt_i16_sdwa s[6:7], v9, s4 src0_sel:BYTE_0 src1_sel:DWORD
	s_mov_b64 s[4:5], 0
                                        ; implicit-def: $sgpr10
	s_and_saveexec_b64 s[8:9], s[6:7]
	s_xor_b64 s[6:7], exec, s[8:9]
	s_cbranch_execz .LBB2_8417
; %bb.44257:
	s_getpc_b64 s[14:15]
.Lpost_getpc25712:
	s_add_u32 s14, s14, (.LBB2_22753-.Lpost_getpc25712)&4294967295
	s_addc_u32 s15, s15, (.LBB2_22753-.Lpost_getpc25712)>>32
	s_setpc_b64 s[14:15]
.LBB2_8417:
	s_or_saveexec_b64 s[6:7], s[6:7]
	v_mov_b32_e32 v2, s10
	s_xor_b64 exec, exec, s[6:7]
	s_cbranch_execz .LBB2_8418
; %bb.44259:
	s_getpc_b64 s[14:15]
.Lpost_getpc25713:
	s_add_u32 s14, s14, (.LBB2_22756-.Lpost_getpc25713)&4294967295
	s_addc_u32 s15, s15, (.LBB2_22756-.Lpost_getpc25713)>>32
	s_setpc_b64 s[14:15]
.LBB2_8418:
	s_or_b64 exec, exec, s[6:7]
	s_and_saveexec_b64 s[6:7], s[4:5]
	s_cbranch_execz .LBB2_8420
.LBB2_8419:
	v_mov_b32_e32 v2, 8
	v_and_b32_e32 v3, 7, v9
	v_lshrrev_b32_sdwa v2, v2, v9 dst_sel:BYTE_1 dst_unused:UNUSED_PAD src0_sel:DWORD src1_sel:DWORD
	v_ffbh_u32_e32 v4, v3
	v_or_b32_sdwa v2, v9, v2 dst_sel:DWORD dst_unused:UNUSED_PAD src0_sel:BYTE_0 src1_sel:DWORD
	v_min_u32_e32 v4, 32, v4
	v_lshrrev_b16_e32 v2, 3, v2
	v_subrev_u32_e32 v6, 28, v4
	v_and_b32_e32 v2, 15, v2
	v_lshlrev_b32_e32 v6, v6, v9
	v_sub_u32_e32 v4, 29, v4
	v_and_b32_e32 v6, 7, v6
	v_cmp_eq_u16_e32 vcc, 0, v2
	v_cndmask_b32_e32 v3, v3, v6, vcc
	v_cndmask_b32_e32 v2, v2, v4, vcc
	v_lshlrev_b32_e32 v4, 24, v9
	v_mov_b32_e32 v6, 0x3b800000
	v_lshlrev_b32_e32 v3, 20, v3
	v_and_b32_e32 v4, 0x80000000, v4
	v_lshl_add_u32 v2, v2, 23, v6
	v_or3_b32 v2, v4, v2, v3
.LBB2_8420:
	s_or_b64 exec, exec, s[6:7]
	s_movk_i32 s4, 0x7f
	v_cmp_gt_i16_sdwa s[6:7], v5, s4 src0_sel:BYTE_0 src1_sel:DWORD
	s_mov_b64 s[4:5], 0
                                        ; implicit-def: $sgpr10
	s_and_saveexec_b64 s[8:9], s[6:7]
	s_xor_b64 s[6:7], exec, s[8:9]
	s_cbranch_execz .LBB2_8421
; %bb.44261:
	s_getpc_b64 s[14:15]
.Lpost_getpc25714:
	s_add_u32 s14, s14, (.LBB2_22757-.Lpost_getpc25714)&4294967295
	s_addc_u32 s15, s15, (.LBB2_22757-.Lpost_getpc25714)>>32
	s_setpc_b64 s[14:15]
.LBB2_8421:
	s_or_saveexec_b64 s[6:7], s[6:7]
	v_mov_b32_e32 v3, s10
	s_xor_b64 exec, exec, s[6:7]
	s_cbranch_execz .LBB2_8422
; %bb.44263:
	s_getpc_b64 s[14:15]
.Lpost_getpc25715:
	s_add_u32 s14, s14, (.LBB2_22760-.Lpost_getpc25715)&4294967295
	s_addc_u32 s15, s15, (.LBB2_22760-.Lpost_getpc25715)>>32
	s_setpc_b64 s[14:15]
.LBB2_8422:
	s_or_b64 exec, exec, s[6:7]
	s_and_saveexec_b64 s[6:7], s[4:5]
	s_cbranch_execz .LBB2_8424
.LBB2_8423:
	v_mov_b32_e32 v3, 8
	v_and_b32_e32 v4, 7, v5
	v_lshrrev_b32_sdwa v3, v3, v5 dst_sel:BYTE_1 dst_unused:UNUSED_PAD src0_sel:DWORD src1_sel:DWORD
	v_ffbh_u32_e32 v6, v4
	v_or_b32_sdwa v3, v5, v3 dst_sel:DWORD dst_unused:UNUSED_PAD src0_sel:BYTE_0 src1_sel:DWORD
	v_min_u32_e32 v6, 32, v6
	v_lshrrev_b16_e32 v3, 3, v3
	v_subrev_u32_e32 v7, 28, v6
	v_and_b32_e32 v3, 15, v3
	v_lshlrev_b32_e32 v7, v7, v5
	v_sub_u32_e32 v6, 29, v6
	v_and_b32_e32 v7, 7, v7
	v_cmp_eq_u16_e32 vcc, 0, v3
	v_cndmask_b32_e32 v4, v4, v7, vcc
	v_cndmask_b32_e32 v3, v3, v6, vcc
	v_lshlrev_b32_e32 v6, 24, v5
	v_mov_b32_e32 v7, 0x3b800000
	v_lshlrev_b32_e32 v4, 20, v4
	v_and_b32_e32 v6, 0x80000000, v6
	v_lshl_add_u32 v3, v3, 23, v7
	v_or3_b32 v3, v6, v3, v4
.LBB2_8424:
	s_or_b64 exec, exec, s[6:7]
	s_nop 0
	v_mfma_f32_16x16x4f32 a[0:3], v2, v3, a[0:3]
	v_lshrrev_b32_e32 v3, 8, v9
	s_movk_i32 s4, 0x7f
	v_cmp_gt_i16_sdwa s[6:7], v3, s4 src0_sel:BYTE_0 src1_sel:DWORD
	s_mov_b64 s[4:5], 0
                                        ; implicit-def: $sgpr10
	s_and_saveexec_b64 s[8:9], s[6:7]
	s_xor_b64 s[6:7], exec, s[8:9]
	s_cbranch_execz .LBB2_8425
; %bb.44265:
	s_getpc_b64 s[14:15]
.Lpost_getpc25716:
	s_add_u32 s14, s14, (.LBB2_22761-.Lpost_getpc25716)&4294967295
	s_addc_u32 s15, s15, (.LBB2_22761-.Lpost_getpc25716)>>32
	s_setpc_b64 s[14:15]
.LBB2_8425:
	s_or_saveexec_b64 s[6:7], s[6:7]
	v_mov_b32_e32 v2, s10
	s_xor_b64 exec, exec, s[6:7]
	s_cbranch_execz .LBB2_8426
; %bb.44267:
	s_getpc_b64 s[14:15]
.Lpost_getpc25717:
	s_add_u32 s14, s14, (.LBB2_22764-.Lpost_getpc25717)&4294967295
	s_addc_u32 s15, s15, (.LBB2_22764-.Lpost_getpc25717)>>32
	s_setpc_b64 s[14:15]
.LBB2_8426:
	s_or_b64 exec, exec, s[6:7]
	s_and_saveexec_b64 s[6:7], s[4:5]
	s_cbranch_execz .LBB2_8428
.LBB2_8427:
	v_bfe_u32 v2, v9, 8, 3
	v_ffbh_u32_e32 v6, v2
	v_min_u32_e32 v6, 32, v6
	v_lshrrev_b16_e32 v4, 3, v3
	v_subrev_u32_e32 v7, 28, v6
	v_and_b32_e32 v4, 15, v4
	v_lshlrev_b32_e32 v3, v7, v3
	v_sub_u32_e32 v6, 29, v6
	v_and_b32_e32 v3, 7, v3
	v_cmp_eq_u16_e32 vcc, 0, v4
	v_cndmask_b32_e32 v2, v2, v3, vcc
	v_cndmask_b32_e32 v3, v4, v6, vcc
	v_lshlrev_b32_e32 v4, 16, v9
	v_mov_b32_e32 v6, 0x3b800000
	v_lshlrev_b32_e32 v2, 20, v2
	v_and_b32_e32 v4, 0x80000000, v4
	v_lshl_add_u32 v3, v3, 23, v6
	v_or3_b32 v2, v4, v3, v2
.LBB2_8428:
	s_or_b64 exec, exec, s[6:7]
	v_lshrrev_b32_e32 v3, 8, v5
	s_movk_i32 s4, 0x7f
	v_cmp_gt_i16_sdwa s[6:7], v3, s4 src0_sel:BYTE_0 src1_sel:DWORD
	s_mov_b64 s[4:5], 0
                                        ; implicit-def: $sgpr10
	s_and_saveexec_b64 s[8:9], s[6:7]
	s_xor_b64 s[6:7], exec, s[8:9]
	s_cbranch_execz .LBB2_8429
; %bb.44269:
	s_getpc_b64 s[14:15]
.Lpost_getpc25718:
	s_add_u32 s14, s14, (.LBB2_22765-.Lpost_getpc25718)&4294967295
	s_addc_u32 s15, s15, (.LBB2_22765-.Lpost_getpc25718)>>32
	s_setpc_b64 s[14:15]
.LBB2_8429:
	s_or_saveexec_b64 s[6:7], s[6:7]
	v_mov_b32_e32 v4, s10
	s_xor_b64 exec, exec, s[6:7]
	s_cbranch_execz .LBB2_8430
; %bb.44271:
	s_getpc_b64 s[14:15]
.Lpost_getpc25719:
	s_add_u32 s14, s14, (.LBB2_22768-.Lpost_getpc25719)&4294967295
	s_addc_u32 s15, s15, (.LBB2_22768-.Lpost_getpc25719)>>32
	s_setpc_b64 s[14:15]
.LBB2_8430:
	s_or_b64 exec, exec, s[6:7]
	s_and_saveexec_b64 s[6:7], s[4:5]
	s_cbranch_execz .LBB2_8432
.LBB2_8431:
	v_bfe_u32 v4, v5, 8, 3
	v_ffbh_u32_e32 v7, v4
	v_min_u32_e32 v7, 32, v7
	v_lshrrev_b16_e32 v6, 3, v3
	v_subrev_u32_e32 v8, 28, v7
	v_and_b32_e32 v6, 15, v6
	v_lshlrev_b32_e32 v3, v8, v3
	v_sub_u32_e32 v7, 29, v7
	v_and_b32_e32 v3, 7, v3
	v_cmp_eq_u16_e32 vcc, 0, v6
	v_cndmask_b32_e32 v3, v4, v3, vcc
	v_cndmask_b32_e32 v4, v6, v7, vcc
	v_lshlrev_b32_e32 v6, 16, v5
	v_mov_b32_e32 v7, 0x3b800000
	v_lshlrev_b32_e32 v3, 20, v3
	v_and_b32_e32 v6, 0x80000000, v6
	v_lshl_add_u32 v4, v4, 23, v7
	v_or3_b32 v4, v6, v4, v3
.LBB2_8432:
	s_or_b64 exec, exec, s[6:7]
	s_nop 0
	v_mfma_f32_16x16x4f32 a[0:3], v2, v4, a[0:3]
	s_movk_i32 s4, 0xff
	v_and_b32_sdwa v3, v9, s4 dst_sel:DWORD dst_unused:UNUSED_PAD src0_sel:WORD_1 src1_sel:DWORD
	s_movk_i32 s4, 0x7f
	v_cmp_lt_i16_e32 vcc, s4, v3
	s_mov_b64 s[4:5], 0
                                        ; implicit-def: $sgpr10
	s_and_saveexec_b64 s[6:7], vcc
	s_xor_b64 s[6:7], exec, s[6:7]
	s_cbranch_execz .LBB2_8433
; %bb.44273:
	s_getpc_b64 s[14:15]
.Lpost_getpc25720:
	s_add_u32 s14, s14, (.LBB2_22769-.Lpost_getpc25720)&4294967295
	s_addc_u32 s15, s15, (.LBB2_22769-.Lpost_getpc25720)>>32
	s_setpc_b64 s[14:15]
.LBB2_8433:
	s_or_saveexec_b64 s[6:7], s[6:7]
	v_mov_b32_e32 v2, s10
	s_xor_b64 exec, exec, s[6:7]
	s_cbranch_execz .LBB2_8434
; %bb.44275:
	s_getpc_b64 s[14:15]
.Lpost_getpc25721:
	s_add_u32 s14, s14, (.LBB2_22772-.Lpost_getpc25721)&4294967295
	s_addc_u32 s15, s15, (.LBB2_22772-.Lpost_getpc25721)>>32
	s_setpc_b64 s[14:15]
.LBB2_8434:
	s_or_b64 exec, exec, s[6:7]
	s_and_saveexec_b64 s[6:7], s[4:5]
	s_cbranch_execz .LBB2_8436
.LBB2_8435:
	v_bfe_u32 v2, v9, 16, 3
	v_ffbh_u32_e32 v6, v2
	v_min_u32_e32 v6, 32, v6
	v_lshrrev_b32_e32 v3, 19, v9
	v_subrev_u32_e32 v7, 28, v6
	v_and_b32_e32 v3, 15, v3
	v_lshlrev_b32_sdwa v7, v7, v9 dst_sel:DWORD dst_unused:UNUSED_PAD src0_sel:DWORD src1_sel:WORD_1
	v_bfe_u32 v4, v9, 19, 4
	v_sub_u32_e32 v6, 29, v6
	v_and_b32_e32 v7, 7, v7
	v_cmp_eq_u16_e32 vcc, 0, v3
	v_cndmask_b32_e32 v2, v2, v7, vcc
	v_cndmask_b32_e32 v3, v4, v6, vcc
	v_lshlrev_b32_e32 v4, 8, v9
	v_mov_b32_e32 v6, 0x3b800000
	v_lshlrev_b32_e32 v2, 20, v2
	v_and_b32_e32 v4, 0x80000000, v4
	v_lshl_add_u32 v3, v3, 23, v6
	v_or3_b32 v2, v4, v3, v2
.LBB2_8436:
	s_or_b64 exec, exec, s[6:7]
	s_movk_i32 s4, 0xff
	v_and_b32_sdwa v3, v5, s4 dst_sel:DWORD dst_unused:UNUSED_PAD src0_sel:WORD_1 src1_sel:DWORD
	s_movk_i32 s4, 0x7f
	v_cmp_lt_i16_e32 vcc, s4, v3
	s_mov_b64 s[4:5], 0
                                        ; implicit-def: $sgpr10
	s_and_saveexec_b64 s[6:7], vcc
	s_xor_b64 s[6:7], exec, s[6:7]
	s_cbranch_execz .LBB2_8437
; %bb.44277:
	s_getpc_b64 s[14:15]
.Lpost_getpc25722:
	s_add_u32 s14, s14, (.LBB2_22773-.Lpost_getpc25722)&4294967295
	s_addc_u32 s15, s15, (.LBB2_22773-.Lpost_getpc25722)>>32
	s_setpc_b64 s[14:15]
.LBB2_8437:
	s_or_saveexec_b64 s[6:7], s[6:7]
	v_mov_b32_e32 v4, s10
	s_xor_b64 exec, exec, s[6:7]
	s_cbranch_execz .LBB2_8438
; %bb.44279:
	s_getpc_b64 s[14:15]
.Lpost_getpc25723:
	s_add_u32 s14, s14, (.LBB2_22776-.Lpost_getpc25723)&4294967295
	s_addc_u32 s15, s15, (.LBB2_22776-.Lpost_getpc25723)>>32
	s_setpc_b64 s[14:15]
.LBB2_8438:
	s_or_b64 exec, exec, s[6:7]
	s_and_saveexec_b64 s[6:7], s[4:5]
	s_cbranch_execz .LBB2_8440
.LBB2_8439:
	v_bfe_u32 v3, v5, 16, 3
	v_ffbh_u32_e32 v7, v3
	v_min_u32_e32 v7, 32, v7
	v_lshrrev_b32_e32 v4, 19, v5
	v_subrev_u32_e32 v8, 28, v7
	v_and_b32_e32 v4, 15, v4
	v_lshlrev_b32_sdwa v8, v8, v5 dst_sel:DWORD dst_unused:UNUSED_PAD src0_sel:DWORD src1_sel:WORD_1
	v_bfe_u32 v6, v5, 19, 4
	v_sub_u32_e32 v7, 29, v7
	v_and_b32_e32 v8, 7, v8
	v_cmp_eq_u16_e32 vcc, 0, v4
	v_cndmask_b32_e32 v3, v3, v8, vcc
	v_cndmask_b32_e32 v4, v6, v7, vcc
	v_lshlrev_b32_e32 v6, 8, v5
	v_mov_b32_e32 v7, 0x3b800000
	v_lshlrev_b32_e32 v3, 20, v3
	v_and_b32_e32 v6, 0x80000000, v6
	v_lshl_add_u32 v4, v4, 23, v7
	v_or3_b32 v4, v6, v4, v3
.LBB2_8440:
	s_or_b64 exec, exec, s[6:7]
	s_nop 0
	v_mfma_f32_16x16x4f32 a[0:3], v2, v4, a[0:3]
	s_movk_i32 s4, 0x7f
	v_cmp_gt_i16_sdwa s[6:7], v9, s4 src0_sel:BYTE_3 src1_sel:DWORD
	s_mov_b64 s[4:5], 0
                                        ; implicit-def: $sgpr10
	s_and_saveexec_b64 s[8:9], s[6:7]
	s_xor_b64 s[6:7], exec, s[8:9]
	s_cbranch_execz .LBB2_8441
; %bb.44281:
	s_getpc_b64 s[14:15]
.Lpost_getpc25724:
	s_add_u32 s14, s14, (.LBB2_22777-.Lpost_getpc25724)&4294967295
	s_addc_u32 s15, s15, (.LBB2_22777-.Lpost_getpc25724)>>32
	s_setpc_b64 s[14:15]
.LBB2_8441:
	s_or_saveexec_b64 s[6:7], s[6:7]
	v_mov_b32_e32 v2, s10
	s_xor_b64 exec, exec, s[6:7]
	s_cbranch_execz .LBB2_8442
; %bb.44283:
	s_getpc_b64 s[14:15]
.Lpost_getpc25725:
	s_add_u32 s14, s14, (.LBB2_22780-.Lpost_getpc25725)&4294967295
	s_addc_u32 s15, s15, (.LBB2_22780-.Lpost_getpc25725)>>32
	s_setpc_b64 s[14:15]
.LBB2_8442:
	s_or_b64 exec, exec, s[6:7]
	s_and_saveexec_b64 s[6:7], s[4:5]
	s_cbranch_execz .LBB2_8444
.LBB2_8443:
	v_bfe_u32 v2, v9, 24, 3
	v_ffbh_u32_e32 v7, v2
	v_min_u32_e32 v7, 32, v7
	v_lshrrev_b32_e32 v4, 27, v9
	v_subrev_u32_e32 v8, 28, v7
	v_and_b32_e32 v4, 15, v4
	v_lshlrev_b32_sdwa v8, v8, v9 dst_sel:DWORD dst_unused:UNUSED_PAD src0_sel:DWORD src1_sel:BYTE_3
	v_bfe_u32 v6, v9, 27, 4
	v_sub_u32_e32 v7, 29, v7
	v_and_b32_e32 v8, 7, v8
	v_cmp_eq_u16_e32 vcc, 0, v4
	v_cndmask_b32_e32 v2, v2, v8, vcc
	v_cndmask_b32_e32 v4, v6, v7, vcc
	v_mov_b32_e32 v6, 0x3b800000
	v_and_b32_e32 v3, 0x80000000, v9
	v_lshlrev_b32_e32 v2, 20, v2
	v_lshl_add_u32 v4, v4, 23, v6
	v_or3_b32 v2, v3, v4, v2
.LBB2_8444:
	s_or_b64 exec, exec, s[6:7]
	s_movk_i32 s4, 0x7f
	v_cmp_gt_i16_sdwa s[6:7], v5, s4 src0_sel:BYTE_3 src1_sel:DWORD
	s_mov_b64 s[4:5], 0
                                        ; implicit-def: $sgpr10
	s_and_saveexec_b64 s[8:9], s[6:7]
	s_xor_b64 s[6:7], exec, s[8:9]
	s_cbranch_execz .LBB2_8445
; %bb.44285:
	s_getpc_b64 s[14:15]
.Lpost_getpc25726:
	s_add_u32 s14, s14, (.LBB2_22781-.Lpost_getpc25726)&4294967295
	s_addc_u32 s15, s15, (.LBB2_22781-.Lpost_getpc25726)>>32
	s_setpc_b64 s[14:15]
.LBB2_8445:
	s_or_saveexec_b64 s[6:7], s[6:7]
	v_mov_b32_e32 v3, s10
	s_xor_b64 exec, exec, s[6:7]
	s_cbranch_execz .LBB2_8446
; %bb.44287:
	s_getpc_b64 s[14:15]
.Lpost_getpc25727:
	s_add_u32 s14, s14, (.LBB2_22784-.Lpost_getpc25727)&4294967295
	s_addc_u32 s15, s15, (.LBB2_22784-.Lpost_getpc25727)>>32
	s_setpc_b64 s[14:15]
.LBB2_8446:
	s_or_b64 exec, exec, s[6:7]
	s_and_saveexec_b64 s[6:7], s[4:5]
	s_cbranch_execz .LBB2_8448
.LBB2_8447:
	v_bfe_u32 v3, v5, 24, 3
	v_ffbh_u32_e32 v8, v3
	v_min_u32_e32 v8, 32, v8
	v_lshrrev_b32_e32 v6, 27, v5
	v_subrev_u32_e32 v9, 28, v8
	v_and_b32_e32 v4, 0x80000000, v5
	v_and_b32_e32 v6, 15, v6
	v_bfe_u32 v7, v5, 27, 4
	v_lshlrev_b32_sdwa v5, v9, v5 dst_sel:DWORD dst_unused:UNUSED_PAD src0_sel:DWORD src1_sel:BYTE_3
	v_sub_u32_e32 v8, 29, v8
	v_and_b32_e32 v5, 7, v5
	v_cmp_eq_u16_e32 vcc, 0, v6
	v_cndmask_b32_e32 v3, v3, v5, vcc
	v_cndmask_b32_e32 v5, v7, v8, vcc
	v_mov_b32_e32 v6, 0x3b800000
	v_lshlrev_b32_e32 v3, 20, v3
	v_lshl_add_u32 v5, v5, 23, v6
	v_or3_b32 v3, v4, v5, v3
.LBB2_8448:
	s_or_b64 exec, exec, s[6:7]
	s_nop 0
	v_mfma_f32_16x16x4f32 a[0:3], v2, v3, a[0:3]
	s_movk_i32 s4, 0x7f
                                        ; implicit-def: $sgpr10
	s_nop 7
	s_nop 1
	flat_store_dwordx4 v[10:11], a[0:3] offset:144
	flat_load_dwordx4 v[12:15], v[0:1]
	s_nop 0
	flat_load_dwordx2 v[10:11], v[0:1] offset:16
	s_waitcnt vmcnt(0) lgkmcnt(0)
	flat_load_dwordx4 v[6:9], v[12:13] offset:128
	flat_load_dwordx4 v[2:5], v[14:15] offset:160
	s_waitcnt vmcnt(0) lgkmcnt(0)
	v_cmp_gt_i16_sdwa s[6:7], v6, s4 src0_sel:BYTE_0 src1_sel:DWORD
	s_mov_b64 s[4:5], 0
	s_and_saveexec_b64 s[8:9], s[6:7]
	s_xor_b64 s[6:7], exec, s[8:9]
	s_cbranch_execz .LBB2_8449
; %bb.44289:
	s_getpc_b64 s[14:15]
.Lpost_getpc25728:
	s_add_u32 s14, s14, (.LBB2_22785-.Lpost_getpc25728)&4294967295
	s_addc_u32 s15, s15, (.LBB2_22785-.Lpost_getpc25728)>>32
	s_setpc_b64 s[14:15]
.LBB2_8449:
	s_or_saveexec_b64 s[6:7], s[6:7]
	v_mov_b32_e32 v12, s10
	s_xor_b64 exec, exec, s[6:7]
	s_cbranch_execz .LBB2_8450
; %bb.44291:
	s_getpc_b64 s[14:15]
.Lpost_getpc25729:
	s_add_u32 s14, s14, (.LBB2_22788-.Lpost_getpc25729)&4294967295
	s_addc_u32 s15, s15, (.LBB2_22788-.Lpost_getpc25729)>>32
	s_setpc_b64 s[14:15]
.LBB2_8450:
	s_or_b64 exec, exec, s[6:7]
	s_and_saveexec_b64 s[6:7], s[4:5]
	s_cbranch_execz .LBB2_8452
.LBB2_8451:
	v_and_b32_e32 v12, 7, v6
	v_ffbh_u32_e32 v14, v12
	v_min_u32_e32 v14, 32, v14
	v_lshrrev_b16_e32 v13, 3, v6
	v_subrev_u32_e32 v15, 28, v14
	v_and_b32_e32 v13, 15, v13
	v_lshlrev_b32_e32 v15, v15, v6
	v_sub_u32_e32 v14, 29, v14
	v_and_b32_e32 v15, 7, v15
	v_cmp_eq_u16_e32 vcc, 0, v13
	v_cndmask_b32_e32 v12, v12, v15, vcc
	v_cndmask_b32_e32 v13, v13, v14, vcc
	v_lshlrev_b32_e32 v14, 24, v6
	v_mov_b32_e32 v15, 0x3b800000
	v_lshlrev_b32_e32 v12, 20, v12
	v_and_b32_e32 v14, 0x80000000, v14
	v_lshl_add_u32 v13, v13, 23, v15
	v_or3_b32 v12, v14, v13, v12
.LBB2_8452:
	s_or_b64 exec, exec, s[6:7]
	s_movk_i32 s4, 0x7f
	v_cmp_gt_i16_sdwa s[6:7], v2, s4 src0_sel:BYTE_0 src1_sel:DWORD
	s_mov_b64 s[4:5], 0
                                        ; implicit-def: $sgpr10
	s_and_saveexec_b64 s[8:9], s[6:7]
	s_xor_b64 s[6:7], exec, s[8:9]
	s_cbranch_execz .LBB2_8453
; %bb.44293:
	s_getpc_b64 s[14:15]
.Lpost_getpc25730:
	s_add_u32 s14, s14, (.LBB2_22789-.Lpost_getpc25730)&4294967295
	s_addc_u32 s15, s15, (.LBB2_22789-.Lpost_getpc25730)>>32
	s_setpc_b64 s[14:15]
.LBB2_8453:
	s_or_saveexec_b64 s[6:7], s[6:7]
	v_mov_b32_e32 v13, s10
	s_xor_b64 exec, exec, s[6:7]
	s_cbranch_execz .LBB2_8454
; %bb.44295:
	s_getpc_b64 s[14:15]
.Lpost_getpc25731:
	s_add_u32 s14, s14, (.LBB2_22792-.Lpost_getpc25731)&4294967295
	s_addc_u32 s15, s15, (.LBB2_22792-.Lpost_getpc25731)>>32
	s_setpc_b64 s[14:15]
.LBB2_8454:
	s_or_b64 exec, exec, s[6:7]
	s_and_saveexec_b64 s[6:7], s[4:5]
	s_cbranch_execz .LBB2_8456
.LBB2_8455:
	v_and_b32_e32 v13, 7, v2
	v_ffbh_u32_e32 v15, v13
	v_min_u32_e32 v15, 32, v15
	v_lshrrev_b16_e32 v14, 3, v2
	v_subrev_u32_e32 v16, 28, v15
	v_and_b32_e32 v14, 15, v14
	v_lshlrev_b32_e32 v16, v16, v2
	v_sub_u32_e32 v15, 29, v15
	v_and_b32_e32 v16, 7, v16
	v_cmp_eq_u16_e32 vcc, 0, v14
	v_cndmask_b32_e32 v13, v13, v16, vcc
	v_cndmask_b32_e32 v14, v14, v15, vcc
	v_lshlrev_b32_e32 v15, 24, v2
	v_mov_b32_e32 v16, 0x3b800000
	v_lshlrev_b32_e32 v13, 20, v13
	v_and_b32_e32 v15, 0x80000000, v15
	v_lshl_add_u32 v14, v14, 23, v16
	v_or3_b32 v13, v15, v14, v13
.LBB2_8456:
	s_or_b64 exec, exec, s[6:7]
	flat_load_dwordx4 a[0:3], v[10:11] offset:160
	s_movk_i32 s4, 0x7f
                                        ; implicit-def: $sgpr10
	s_waitcnt vmcnt(0) lgkmcnt(0)
	v_mfma_f32_16x16x4f32 a[0:3], v12, v13, a[0:3]
	v_lshrrev_b32_e32 v13, 8, v6
	v_cmp_gt_i16_sdwa s[6:7], v13, s4 src0_sel:BYTE_0 src1_sel:DWORD
	s_mov_b64 s[4:5], 0
	s_and_saveexec_b64 s[8:9], s[6:7]
	s_xor_b64 s[6:7], exec, s[8:9]
	s_cbranch_execz .LBB2_8457
; %bb.44297:
	s_getpc_b64 s[14:15]
.Lpost_getpc25732:
	s_add_u32 s14, s14, (.LBB2_22793-.Lpost_getpc25732)&4294967295
	s_addc_u32 s15, s15, (.LBB2_22793-.Lpost_getpc25732)>>32
	s_setpc_b64 s[14:15]
.LBB2_8457:
	s_or_saveexec_b64 s[6:7], s[6:7]
	v_mov_b32_e32 v12, s10
	s_xor_b64 exec, exec, s[6:7]
	s_cbranch_execz .LBB2_8458
; %bb.44299:
	s_getpc_b64 s[14:15]
.Lpost_getpc25733:
	s_add_u32 s14, s14, (.LBB2_22796-.Lpost_getpc25733)&4294967295
	s_addc_u32 s15, s15, (.LBB2_22796-.Lpost_getpc25733)>>32
	s_setpc_b64 s[14:15]
.LBB2_8458:
	s_or_b64 exec, exec, s[6:7]
	s_and_saveexec_b64 s[6:7], s[4:5]
	s_cbranch_execz .LBB2_8460
.LBB2_8459:
	v_bfe_u32 v12, v6, 8, 3
	v_ffbh_u32_e32 v15, v12
	v_min_u32_e32 v15, 32, v15
	v_lshrrev_b16_e32 v14, 3, v13
	v_subrev_u32_e32 v16, 28, v15
	v_and_b32_e32 v14, 15, v14
	v_lshlrev_b32_e32 v13, v16, v13
	v_sub_u32_e32 v15, 29, v15
	v_and_b32_e32 v13, 7, v13
	v_cmp_eq_u16_e32 vcc, 0, v14
	v_cndmask_b32_e32 v12, v12, v13, vcc
	v_cndmask_b32_e32 v13, v14, v15, vcc
	v_lshlrev_b32_e32 v14, 16, v6
	v_mov_b32_e32 v15, 0x3b800000
	v_lshlrev_b32_e32 v12, 20, v12
	v_and_b32_e32 v14, 0x80000000, v14
	v_lshl_add_u32 v13, v13, 23, v15
	v_or3_b32 v12, v14, v13, v12
.LBB2_8460:
	s_or_b64 exec, exec, s[6:7]
	v_lshrrev_b32_e32 v13, 8, v2
	s_movk_i32 s4, 0x7f
	v_cmp_gt_i16_sdwa s[6:7], v13, s4 src0_sel:BYTE_0 src1_sel:DWORD
	s_mov_b64 s[4:5], 0
                                        ; implicit-def: $sgpr10
	s_and_saveexec_b64 s[8:9], s[6:7]
	s_xor_b64 s[6:7], exec, s[8:9]
	s_cbranch_execz .LBB2_8461
; %bb.44301:
	s_getpc_b64 s[14:15]
.Lpost_getpc25734:
	s_add_u32 s14, s14, (.LBB2_22797-.Lpost_getpc25734)&4294967295
	s_addc_u32 s15, s15, (.LBB2_22797-.Lpost_getpc25734)>>32
	s_setpc_b64 s[14:15]
.LBB2_8461:
	s_or_saveexec_b64 s[6:7], s[6:7]
	v_mov_b32_e32 v14, s10
	s_xor_b64 exec, exec, s[6:7]
	s_cbranch_execz .LBB2_8462
; %bb.44303:
	s_getpc_b64 s[14:15]
.Lpost_getpc25735:
	s_add_u32 s14, s14, (.LBB2_22800-.Lpost_getpc25735)&4294967295
	s_addc_u32 s15, s15, (.LBB2_22800-.Lpost_getpc25735)>>32
	s_setpc_b64 s[14:15]
.LBB2_8462:
	s_or_b64 exec, exec, s[6:7]
	s_and_saveexec_b64 s[6:7], s[4:5]
	s_cbranch_execz .LBB2_8464
.LBB2_8463:
	v_bfe_u32 v14, v2, 8, 3
	v_ffbh_u32_e32 v16, v14
	v_min_u32_e32 v16, 32, v16
	v_lshrrev_b16_e32 v15, 3, v13
	v_subrev_u32_e32 v17, 28, v16
	v_and_b32_e32 v15, 15, v15
	v_lshlrev_b32_e32 v13, v17, v13
	v_sub_u32_e32 v16, 29, v16
	v_and_b32_e32 v13, 7, v13
	v_cmp_eq_u16_e32 vcc, 0, v15
	v_cndmask_b32_e32 v13, v14, v13, vcc
	v_cndmask_b32_e32 v14, v15, v16, vcc
	v_lshlrev_b32_e32 v15, 16, v2
	v_mov_b32_e32 v16, 0x3b800000
	v_lshlrev_b32_e32 v13, 20, v13
	v_and_b32_e32 v15, 0x80000000, v15
	v_lshl_add_u32 v14, v14, 23, v16
	v_or3_b32 v14, v15, v14, v13
.LBB2_8464:
	s_or_b64 exec, exec, s[6:7]
	s_nop 0
	v_mfma_f32_16x16x4f32 a[0:3], v12, v14, a[0:3]
	s_movk_i32 s4, 0xff
	v_and_b32_sdwa v13, v6, s4 dst_sel:DWORD dst_unused:UNUSED_PAD src0_sel:WORD_1 src1_sel:DWORD
	s_movk_i32 s4, 0x7f
	v_cmp_lt_i16_e32 vcc, s4, v13
	s_mov_b64 s[4:5], 0
                                        ; implicit-def: $sgpr10
	s_and_saveexec_b64 s[6:7], vcc
	s_xor_b64 s[6:7], exec, s[6:7]
	s_cbranch_execz .LBB2_8465
; %bb.44305:
	s_getpc_b64 s[14:15]
.Lpost_getpc25736:
	s_add_u32 s14, s14, (.LBB2_22801-.Lpost_getpc25736)&4294967295
	s_addc_u32 s15, s15, (.LBB2_22801-.Lpost_getpc25736)>>32
	s_setpc_b64 s[14:15]
.LBB2_8465:
	s_or_saveexec_b64 s[6:7], s[6:7]
	v_mov_b32_e32 v12, s10
	s_xor_b64 exec, exec, s[6:7]
	s_cbranch_execz .LBB2_8466
; %bb.44307:
	s_getpc_b64 s[14:15]
.Lpost_getpc25737:
	s_add_u32 s14, s14, (.LBB2_22804-.Lpost_getpc25737)&4294967295
	s_addc_u32 s15, s15, (.LBB2_22804-.Lpost_getpc25737)>>32
	s_setpc_b64 s[14:15]
.LBB2_8466:
	s_or_b64 exec, exec, s[6:7]
	s_and_saveexec_b64 s[6:7], s[4:5]
	s_cbranch_execz .LBB2_8468
.LBB2_8467:
	v_bfe_u32 v12, v6, 16, 3
	v_ffbh_u32_e32 v15, v12
	v_min_u32_e32 v15, 32, v15
	v_lshrrev_b32_e32 v13, 19, v6
	v_subrev_u32_e32 v16, 28, v15
	v_and_b32_e32 v13, 15, v13
	v_lshlrev_b32_sdwa v16, v16, v6 dst_sel:DWORD dst_unused:UNUSED_PAD src0_sel:DWORD src1_sel:WORD_1
	v_bfe_u32 v14, v6, 19, 4
	v_sub_u32_e32 v15, 29, v15
	v_and_b32_e32 v16, 7, v16
	v_cmp_eq_u16_e32 vcc, 0, v13
	v_cndmask_b32_e32 v12, v12, v16, vcc
	v_cndmask_b32_e32 v13, v14, v15, vcc
	v_lshlrev_b32_e32 v14, 8, v6
	v_mov_b32_e32 v15, 0x3b800000
	v_lshlrev_b32_e32 v12, 20, v12
	v_and_b32_e32 v14, 0x80000000, v14
	v_lshl_add_u32 v13, v13, 23, v15
	v_or3_b32 v12, v14, v13, v12
.LBB2_8468:
	s_or_b64 exec, exec, s[6:7]
	s_movk_i32 s4, 0xff
	v_and_b32_sdwa v13, v2, s4 dst_sel:DWORD dst_unused:UNUSED_PAD src0_sel:WORD_1 src1_sel:DWORD
	s_movk_i32 s4, 0x7f
	v_cmp_lt_i16_e32 vcc, s4, v13
	s_mov_b64 s[4:5], 0
                                        ; implicit-def: $sgpr10
	s_and_saveexec_b64 s[6:7], vcc
	s_xor_b64 s[6:7], exec, s[6:7]
	s_cbranch_execz .LBB2_8469
; %bb.44309:
	s_getpc_b64 s[14:15]
.Lpost_getpc25738:
	s_add_u32 s14, s14, (.LBB2_22805-.Lpost_getpc25738)&4294967295
	s_addc_u32 s15, s15, (.LBB2_22805-.Lpost_getpc25738)>>32
	s_setpc_b64 s[14:15]
.LBB2_8469:
	s_or_saveexec_b64 s[6:7], s[6:7]
	v_mov_b32_e32 v14, s10
	s_xor_b64 exec, exec, s[6:7]
	s_cbranch_execz .LBB2_8470
; %bb.44311:
	s_getpc_b64 s[14:15]
.Lpost_getpc25739:
	s_add_u32 s14, s14, (.LBB2_22808-.Lpost_getpc25739)&4294967295
	s_addc_u32 s15, s15, (.LBB2_22808-.Lpost_getpc25739)>>32
	s_setpc_b64 s[14:15]
.LBB2_8470:
	s_or_b64 exec, exec, s[6:7]
	s_and_saveexec_b64 s[6:7], s[4:5]
	s_cbranch_execz .LBB2_8472
.LBB2_8471:
	v_bfe_u32 v13, v2, 16, 3
	v_ffbh_u32_e32 v16, v13
	v_min_u32_e32 v16, 32, v16
	v_lshrrev_b32_e32 v14, 19, v2
	v_subrev_u32_e32 v17, 28, v16
	v_and_b32_e32 v14, 15, v14
	v_lshlrev_b32_sdwa v17, v17, v2 dst_sel:DWORD dst_unused:UNUSED_PAD src0_sel:DWORD src1_sel:WORD_1
	v_bfe_u32 v15, v2, 19, 4
	v_sub_u32_e32 v16, 29, v16
	v_and_b32_e32 v17, 7, v17
	v_cmp_eq_u16_e32 vcc, 0, v14
	v_cndmask_b32_e32 v13, v13, v17, vcc
	v_cndmask_b32_e32 v14, v15, v16, vcc
	v_lshlrev_b32_e32 v15, 8, v2
	v_mov_b32_e32 v16, 0x3b800000
	v_lshlrev_b32_e32 v13, 20, v13
	v_and_b32_e32 v15, 0x80000000, v15
	v_lshl_add_u32 v14, v14, 23, v16
	v_or3_b32 v14, v15, v14, v13
.LBB2_8472:
	s_or_b64 exec, exec, s[6:7]
	s_nop 0
	v_mfma_f32_16x16x4f32 a[0:3], v12, v14, a[0:3]
	s_movk_i32 s4, 0x7f
	v_cmp_gt_i16_sdwa s[6:7], v6, s4 src0_sel:BYTE_3 src1_sel:DWORD
	s_mov_b64 s[4:5], 0
                                        ; implicit-def: $sgpr10
	s_and_saveexec_b64 s[8:9], s[6:7]
	s_xor_b64 s[6:7], exec, s[8:9]
	s_cbranch_execz .LBB2_8473
; %bb.44313:
	s_getpc_b64 s[14:15]
.Lpost_getpc25740:
	s_add_u32 s14, s14, (.LBB2_22809-.Lpost_getpc25740)&4294967295
	s_addc_u32 s15, s15, (.LBB2_22809-.Lpost_getpc25740)>>32
	s_setpc_b64 s[14:15]
.LBB2_8473:
	s_or_saveexec_b64 s[6:7], s[6:7]
	v_mov_b32_e32 v12, s10
	s_xor_b64 exec, exec, s[6:7]
	s_cbranch_execz .LBB2_8474
; %bb.44315:
	s_getpc_b64 s[14:15]
.Lpost_getpc25741:
	s_add_u32 s14, s14, (.LBB2_22812-.Lpost_getpc25741)&4294967295
	s_addc_u32 s15, s15, (.LBB2_22812-.Lpost_getpc25741)>>32
	s_setpc_b64 s[14:15]
.LBB2_8474:
	s_or_b64 exec, exec, s[6:7]
	s_and_saveexec_b64 s[6:7], s[4:5]
	s_cbranch_execz .LBB2_8476
.LBB2_8475:
	v_bfe_u32 v12, v6, 24, 3
	v_ffbh_u32_e32 v16, v12
	v_min_u32_e32 v16, 32, v16
	v_lshrrev_b32_e32 v14, 27, v6
	v_subrev_u32_e32 v17, 28, v16
	v_and_b32_e32 v13, 0x80000000, v6
	v_and_b32_e32 v14, 15, v14
	v_bfe_u32 v15, v6, 27, 4
	v_lshlrev_b32_sdwa v6, v17, v6 dst_sel:DWORD dst_unused:UNUSED_PAD src0_sel:DWORD src1_sel:BYTE_3
	v_sub_u32_e32 v16, 29, v16
	v_and_b32_e32 v6, 7, v6
	v_cmp_eq_u16_e32 vcc, 0, v14
	v_cndmask_b32_e32 v6, v12, v6, vcc
	v_cndmask_b32_e32 v12, v15, v16, vcc
	v_mov_b32_e32 v14, 0x3b800000
	v_lshlrev_b32_e32 v6, 20, v6
	v_lshl_add_u32 v12, v12, 23, v14
	v_or3_b32 v12, v13, v12, v6
.LBB2_8476:
	s_or_b64 exec, exec, s[6:7]
	s_movk_i32 s4, 0x7f
	v_cmp_gt_i16_sdwa s[6:7], v2, s4 src0_sel:BYTE_3 src1_sel:DWORD
	s_mov_b64 s[4:5], 0
                                        ; implicit-def: $sgpr10
	s_and_saveexec_b64 s[8:9], s[6:7]
	s_xor_b64 s[6:7], exec, s[8:9]
	s_cbranch_execz .LBB2_8477
; %bb.44317:
	s_getpc_b64 s[14:15]
.Lpost_getpc25742:
	s_add_u32 s14, s14, (.LBB2_22813-.Lpost_getpc25742)&4294967295
	s_addc_u32 s15, s15, (.LBB2_22813-.Lpost_getpc25742)>>32
	s_setpc_b64 s[14:15]
.LBB2_8477:
	s_or_saveexec_b64 s[6:7], s[6:7]
	v_mov_b32_e32 v6, s10
	s_xor_b64 exec, exec, s[6:7]
	s_cbranch_execz .LBB2_8478
; %bb.44319:
	s_getpc_b64 s[14:15]
.Lpost_getpc25743:
	s_add_u32 s14, s14, (.LBB2_22816-.Lpost_getpc25743)&4294967295
	s_addc_u32 s15, s15, (.LBB2_22816-.Lpost_getpc25743)>>32
	s_setpc_b64 s[14:15]
.LBB2_8478:
	s_or_b64 exec, exec, s[6:7]
	s_and_saveexec_b64 s[6:7], s[4:5]
	s_cbranch_execz .LBB2_8480
.LBB2_8479:
	v_bfe_u32 v6, v2, 24, 3
	v_ffbh_u32_e32 v16, v6
	v_min_u32_e32 v16, 32, v16
	v_lshrrev_b32_e32 v14, 27, v2
	v_subrev_u32_e32 v17, 28, v16
	v_and_b32_e32 v13, 0x80000000, v2
	v_and_b32_e32 v14, 15, v14
	v_bfe_u32 v15, v2, 27, 4
	v_lshlrev_b32_sdwa v2, v17, v2 dst_sel:DWORD dst_unused:UNUSED_PAD src0_sel:DWORD src1_sel:BYTE_3
	v_sub_u32_e32 v16, 29, v16
	v_and_b32_e32 v2, 7, v2
	v_cmp_eq_u16_e32 vcc, 0, v14
	v_cndmask_b32_e32 v2, v6, v2, vcc
	v_cndmask_b32_e32 v6, v15, v16, vcc
	v_mov_b32_e32 v14, 0x3b800000
	v_lshlrev_b32_e32 v2, 20, v2
	v_lshl_add_u32 v6, v6, 23, v14
	v_or3_b32 v6, v13, v6, v2
.LBB2_8480:
	s_or_b64 exec, exec, s[6:7]
	s_nop 0
	v_mfma_f32_16x16x4f32 a[0:3], v12, v6, a[0:3]
	s_movk_i32 s4, 0x7f
	v_cmp_gt_i16_sdwa s[6:7], v7, s4 src0_sel:BYTE_0 src1_sel:DWORD
	s_mov_b64 s[4:5], 0
                                        ; implicit-def: $sgpr10
	s_and_saveexec_b64 s[8:9], s[6:7]
	s_xor_b64 s[6:7], exec, s[8:9]
	s_cbranch_execz .LBB2_8481
; %bb.44321:
	s_getpc_b64 s[14:15]
.Lpost_getpc25744:
	s_add_u32 s14, s14, (.LBB2_22817-.Lpost_getpc25744)&4294967295
	s_addc_u32 s15, s15, (.LBB2_22817-.Lpost_getpc25744)>>32
	s_setpc_b64 s[14:15]
.LBB2_8481:
	s_or_saveexec_b64 s[6:7], s[6:7]
	v_mov_b32_e32 v2, s10
	s_xor_b64 exec, exec, s[6:7]
	s_cbranch_execz .LBB2_8482
; %bb.44323:
	s_getpc_b64 s[14:15]
.Lpost_getpc25745:
	s_add_u32 s14, s14, (.LBB2_22820-.Lpost_getpc25745)&4294967295
	s_addc_u32 s15, s15, (.LBB2_22820-.Lpost_getpc25745)>>32
	s_setpc_b64 s[14:15]
.LBB2_8482:
	s_or_b64 exec, exec, s[6:7]
	s_and_saveexec_b64 s[6:7], s[4:5]
	s_cbranch_execz .LBB2_8484
.LBB2_8483:
	v_and_b32_e32 v2, 7, v7
	v_ffbh_u32_e32 v12, v2
	v_min_u32_e32 v12, 32, v12
	v_lshrrev_b16_e32 v6, 3, v7
	v_subrev_u32_e32 v13, 28, v12
	v_and_b32_e32 v6, 15, v6
	v_lshlrev_b32_e32 v13, v13, v7
	v_sub_u32_e32 v12, 29, v12
	v_and_b32_e32 v13, 7, v13
	v_cmp_eq_u16_e32 vcc, 0, v6
	v_cndmask_b32_e32 v2, v2, v13, vcc
	v_cndmask_b32_e32 v6, v6, v12, vcc
	v_lshlrev_b32_e32 v12, 24, v7
	v_mov_b32_e32 v13, 0x3b800000
	v_lshlrev_b32_e32 v2, 20, v2
	v_and_b32_e32 v12, 0x80000000, v12
	v_lshl_add_u32 v6, v6, 23, v13
	v_or3_b32 v2, v12, v6, v2
.LBB2_8484:
	s_or_b64 exec, exec, s[6:7]
	s_movk_i32 s4, 0x7f
	v_cmp_gt_i16_sdwa s[6:7], v3, s4 src0_sel:BYTE_0 src1_sel:DWORD
	s_mov_b64 s[4:5], 0
                                        ; implicit-def: $sgpr10
	s_and_saveexec_b64 s[8:9], s[6:7]
	s_xor_b64 s[6:7], exec, s[8:9]
	s_cbranch_execz .LBB2_8485
; %bb.44325:
	s_getpc_b64 s[14:15]
.Lpost_getpc25746:
	s_add_u32 s14, s14, (.LBB2_22821-.Lpost_getpc25746)&4294967295
	s_addc_u32 s15, s15, (.LBB2_22821-.Lpost_getpc25746)>>32
	s_setpc_b64 s[14:15]
.LBB2_8485:
	s_or_saveexec_b64 s[6:7], s[6:7]
	v_mov_b32_e32 v6, s10
	s_xor_b64 exec, exec, s[6:7]
	s_cbranch_execz .LBB2_8486
; %bb.44327:
	s_getpc_b64 s[14:15]
.Lpost_getpc25747:
	s_add_u32 s14, s14, (.LBB2_22824-.Lpost_getpc25747)&4294967295
	s_addc_u32 s15, s15, (.LBB2_22824-.Lpost_getpc25747)>>32
	s_setpc_b64 s[14:15]
.LBB2_8486:
	s_or_b64 exec, exec, s[6:7]
	s_and_saveexec_b64 s[6:7], s[4:5]
	s_cbranch_execz .LBB2_8488
.LBB2_8487:
	v_and_b32_e32 v6, 7, v3
	v_ffbh_u32_e32 v13, v6
	v_min_u32_e32 v13, 32, v13
	v_lshrrev_b16_e32 v12, 3, v3
	v_subrev_u32_e32 v14, 28, v13
	v_and_b32_e32 v12, 15, v12
	v_lshlrev_b32_e32 v14, v14, v3
	v_sub_u32_e32 v13, 29, v13
	v_and_b32_e32 v14, 7, v14
	v_cmp_eq_u16_e32 vcc, 0, v12
	v_cndmask_b32_e32 v6, v6, v14, vcc
	v_cndmask_b32_e32 v12, v12, v13, vcc
	v_lshlrev_b32_e32 v13, 24, v3
	v_mov_b32_e32 v14, 0x3b800000
	v_lshlrev_b32_e32 v6, 20, v6
	v_and_b32_e32 v13, 0x80000000, v13
	v_lshl_add_u32 v12, v12, 23, v14
	v_or3_b32 v6, v13, v12, v6
.LBB2_8488:
	s_or_b64 exec, exec, s[6:7]
	s_nop 0
	v_mfma_f32_16x16x4f32 a[0:3], v2, v6, a[0:3]
	v_lshrrev_b32_e32 v6, 8, v7
	s_movk_i32 s4, 0x7f
	v_cmp_gt_i16_sdwa s[6:7], v6, s4 src0_sel:BYTE_0 src1_sel:DWORD
	s_mov_b64 s[4:5], 0
                                        ; implicit-def: $sgpr10
	s_and_saveexec_b64 s[8:9], s[6:7]
	s_xor_b64 s[6:7], exec, s[8:9]
	s_cbranch_execz .LBB2_8489
; %bb.44329:
	s_getpc_b64 s[14:15]
.Lpost_getpc25748:
	s_add_u32 s14, s14, (.LBB2_22825-.Lpost_getpc25748)&4294967295
	s_addc_u32 s15, s15, (.LBB2_22825-.Lpost_getpc25748)>>32
	s_setpc_b64 s[14:15]
.LBB2_8489:
	s_or_saveexec_b64 s[6:7], s[6:7]
	v_mov_b32_e32 v2, s10
	s_xor_b64 exec, exec, s[6:7]
	s_cbranch_execz .LBB2_8490
; %bb.44331:
	s_getpc_b64 s[14:15]
.Lpost_getpc25749:
	s_add_u32 s14, s14, (.LBB2_22828-.Lpost_getpc25749)&4294967295
	s_addc_u32 s15, s15, (.LBB2_22828-.Lpost_getpc25749)>>32
	s_setpc_b64 s[14:15]
.LBB2_8490:
	s_or_b64 exec, exec, s[6:7]
	s_and_saveexec_b64 s[6:7], s[4:5]
	s_cbranch_execz .LBB2_8492
.LBB2_8491:
	v_bfe_u32 v2, v7, 8, 3
	v_ffbh_u32_e32 v13, v2
	v_min_u32_e32 v13, 32, v13
	v_lshrrev_b16_e32 v12, 3, v6
	v_subrev_u32_e32 v14, 28, v13
	v_and_b32_e32 v12, 15, v12
	v_lshlrev_b32_e32 v6, v14, v6
	v_sub_u32_e32 v13, 29, v13
	v_and_b32_e32 v6, 7, v6
	v_cmp_eq_u16_e32 vcc, 0, v12
	v_cndmask_b32_e32 v2, v2, v6, vcc
	v_cndmask_b32_e32 v6, v12, v13, vcc
	v_lshlrev_b32_e32 v12, 16, v7
	v_mov_b32_e32 v13, 0x3b800000
	v_lshlrev_b32_e32 v2, 20, v2
	v_and_b32_e32 v12, 0x80000000, v12
	v_lshl_add_u32 v6, v6, 23, v13
	v_or3_b32 v2, v12, v6, v2
.LBB2_8492:
	s_or_b64 exec, exec, s[6:7]
	v_lshrrev_b32_e32 v6, 8, v3
	s_movk_i32 s4, 0x7f
	v_cmp_gt_i16_sdwa s[6:7], v6, s4 src0_sel:BYTE_0 src1_sel:DWORD
	s_mov_b64 s[4:5], 0
                                        ; implicit-def: $sgpr10
	s_and_saveexec_b64 s[8:9], s[6:7]
	s_xor_b64 s[6:7], exec, s[8:9]
	s_cbranch_execz .LBB2_8493
; %bb.44333:
	s_getpc_b64 s[14:15]
.Lpost_getpc25750:
	s_add_u32 s14, s14, (.LBB2_22829-.Lpost_getpc25750)&4294967295
	s_addc_u32 s15, s15, (.LBB2_22829-.Lpost_getpc25750)>>32
	s_setpc_b64 s[14:15]
.LBB2_8493:
	s_or_saveexec_b64 s[6:7], s[6:7]
	v_mov_b32_e32 v12, s10
	s_xor_b64 exec, exec, s[6:7]
	s_cbranch_execz .LBB2_8494
; %bb.44335:
	s_getpc_b64 s[14:15]
.Lpost_getpc25751:
	s_add_u32 s14, s14, (.LBB2_22832-.Lpost_getpc25751)&4294967295
	s_addc_u32 s15, s15, (.LBB2_22832-.Lpost_getpc25751)>>32
	s_setpc_b64 s[14:15]
.LBB2_8494:
	s_or_b64 exec, exec, s[6:7]
	s_and_saveexec_b64 s[6:7], s[4:5]
	s_cbranch_execz .LBB2_8496
.LBB2_8495:
	v_bfe_u32 v12, v3, 8, 3
	v_ffbh_u32_e32 v14, v12
	v_min_u32_e32 v14, 32, v14
	v_lshrrev_b16_e32 v13, 3, v6
	v_subrev_u32_e32 v15, 28, v14
	v_and_b32_e32 v13, 15, v13
	v_lshlrev_b32_e32 v6, v15, v6
	v_sub_u32_e32 v14, 29, v14
	v_and_b32_e32 v6, 7, v6
	v_cmp_eq_u16_e32 vcc, 0, v13
	v_cndmask_b32_e32 v6, v12, v6, vcc
	v_cndmask_b32_e32 v12, v13, v14, vcc
	v_lshlrev_b32_e32 v13, 16, v3
	v_mov_b32_e32 v14, 0x3b800000
	v_lshlrev_b32_e32 v6, 20, v6
	v_and_b32_e32 v13, 0x80000000, v13
	v_lshl_add_u32 v12, v12, 23, v14
	v_or3_b32 v12, v13, v12, v6
.LBB2_8496:
	s_or_b64 exec, exec, s[6:7]
	s_nop 0
	v_mfma_f32_16x16x4f32 a[0:3], v2, v12, a[0:3]
	s_movk_i32 s4, 0xff
	v_and_b32_sdwa v6, v7, s4 dst_sel:DWORD dst_unused:UNUSED_PAD src0_sel:WORD_1 src1_sel:DWORD
	s_movk_i32 s4, 0x7f
	v_cmp_lt_i16_e32 vcc, s4, v6
	s_mov_b64 s[4:5], 0
                                        ; implicit-def: $sgpr10
	s_and_saveexec_b64 s[6:7], vcc
	s_xor_b64 s[6:7], exec, s[6:7]
	s_cbranch_execz .LBB2_8497
; %bb.44337:
	s_getpc_b64 s[14:15]
.Lpost_getpc25752:
	s_add_u32 s14, s14, (.LBB2_22833-.Lpost_getpc25752)&4294967295
	s_addc_u32 s15, s15, (.LBB2_22833-.Lpost_getpc25752)>>32
	s_setpc_b64 s[14:15]
.LBB2_8497:
	s_or_saveexec_b64 s[6:7], s[6:7]
	v_mov_b32_e32 v2, s10
	s_xor_b64 exec, exec, s[6:7]
	s_cbranch_execz .LBB2_8498
; %bb.44339:
	s_getpc_b64 s[14:15]
.Lpost_getpc25753:
	s_add_u32 s14, s14, (.LBB2_22836-.Lpost_getpc25753)&4294967295
	s_addc_u32 s15, s15, (.LBB2_22836-.Lpost_getpc25753)>>32
	s_setpc_b64 s[14:15]
.LBB2_8498:
	s_or_b64 exec, exec, s[6:7]
	s_and_saveexec_b64 s[6:7], s[4:5]
	s_cbranch_execz .LBB2_8500
.LBB2_8499:
	v_bfe_u32 v2, v7, 16, 3
	v_ffbh_u32_e32 v13, v2
	v_min_u32_e32 v13, 32, v13
	v_lshrrev_b32_e32 v6, 19, v7
	v_subrev_u32_e32 v14, 28, v13
	v_and_b32_e32 v6, 15, v6
	v_lshlrev_b32_sdwa v14, v14, v7 dst_sel:DWORD dst_unused:UNUSED_PAD src0_sel:DWORD src1_sel:WORD_1
	v_bfe_u32 v12, v7, 19, 4
	v_sub_u32_e32 v13, 29, v13
	v_and_b32_e32 v14, 7, v14
	v_cmp_eq_u16_e32 vcc, 0, v6
	v_cndmask_b32_e32 v2, v2, v14, vcc
	v_cndmask_b32_e32 v6, v12, v13, vcc
	v_lshlrev_b32_e32 v12, 8, v7
	v_mov_b32_e32 v13, 0x3b800000
	v_lshlrev_b32_e32 v2, 20, v2
	v_and_b32_e32 v12, 0x80000000, v12
	v_lshl_add_u32 v6, v6, 23, v13
	v_or3_b32 v2, v12, v6, v2
.LBB2_8500:
	s_or_b64 exec, exec, s[6:7]
	s_movk_i32 s4, 0xff
	v_and_b32_sdwa v6, v3, s4 dst_sel:DWORD dst_unused:UNUSED_PAD src0_sel:WORD_1 src1_sel:DWORD
	s_movk_i32 s4, 0x7f
	v_cmp_lt_i16_e32 vcc, s4, v6
	s_mov_b64 s[4:5], 0
                                        ; implicit-def: $sgpr10
	s_and_saveexec_b64 s[6:7], vcc
	s_xor_b64 s[6:7], exec, s[6:7]
	s_cbranch_execz .LBB2_8501
; %bb.44341:
	s_getpc_b64 s[14:15]
.Lpost_getpc25754:
	s_add_u32 s14, s14, (.LBB2_22837-.Lpost_getpc25754)&4294967295
	s_addc_u32 s15, s15, (.LBB2_22837-.Lpost_getpc25754)>>32
	s_setpc_b64 s[14:15]
.LBB2_8501:
	s_or_saveexec_b64 s[6:7], s[6:7]
	v_mov_b32_e32 v12, s10
	s_xor_b64 exec, exec, s[6:7]
	s_cbranch_execz .LBB2_8502
; %bb.44343:
	s_getpc_b64 s[14:15]
.Lpost_getpc25755:
	s_add_u32 s14, s14, (.LBB2_22840-.Lpost_getpc25755)&4294967295
	s_addc_u32 s15, s15, (.LBB2_22840-.Lpost_getpc25755)>>32
	s_setpc_b64 s[14:15]
.LBB2_8502:
	s_or_b64 exec, exec, s[6:7]
	s_and_saveexec_b64 s[6:7], s[4:5]
	s_cbranch_execz .LBB2_8504
.LBB2_8503:
	v_bfe_u32 v6, v3, 16, 3
	v_ffbh_u32_e32 v14, v6
	v_min_u32_e32 v14, 32, v14
	v_lshrrev_b32_e32 v12, 19, v3
	v_subrev_u32_e32 v15, 28, v14
	v_and_b32_e32 v12, 15, v12
	v_lshlrev_b32_sdwa v15, v15, v3 dst_sel:DWORD dst_unused:UNUSED_PAD src0_sel:DWORD src1_sel:WORD_1
	v_bfe_u32 v13, v3, 19, 4
	v_sub_u32_e32 v14, 29, v14
	v_and_b32_e32 v15, 7, v15
	v_cmp_eq_u16_e32 vcc, 0, v12
	v_cndmask_b32_e32 v6, v6, v15, vcc
	v_cndmask_b32_e32 v12, v13, v14, vcc
	v_lshlrev_b32_e32 v13, 8, v3
	v_mov_b32_e32 v14, 0x3b800000
	v_lshlrev_b32_e32 v6, 20, v6
	v_and_b32_e32 v13, 0x80000000, v13
	v_lshl_add_u32 v12, v12, 23, v14
	v_or3_b32 v12, v13, v12, v6
.LBB2_8504:
	s_or_b64 exec, exec, s[6:7]
	s_nop 0
	v_mfma_f32_16x16x4f32 a[0:3], v2, v12, a[0:3]
	s_movk_i32 s4, 0x7f
	v_cmp_gt_i16_sdwa s[6:7], v7, s4 src0_sel:BYTE_3 src1_sel:DWORD
	s_mov_b64 s[4:5], 0
                                        ; implicit-def: $sgpr10
	s_and_saveexec_b64 s[8:9], s[6:7]
	s_xor_b64 s[6:7], exec, s[8:9]
	s_cbranch_execz .LBB2_8505
; %bb.44345:
	s_getpc_b64 s[14:15]
.Lpost_getpc25756:
	s_add_u32 s14, s14, (.LBB2_22841-.Lpost_getpc25756)&4294967295
	s_addc_u32 s15, s15, (.LBB2_22841-.Lpost_getpc25756)>>32
	s_setpc_b64 s[14:15]
.LBB2_8505:
	s_or_saveexec_b64 s[6:7], s[6:7]
	v_mov_b32_e32 v2, s10
	s_xor_b64 exec, exec, s[6:7]
	s_cbranch_execz .LBB2_8506
; %bb.44347:
	s_getpc_b64 s[14:15]
.Lpost_getpc25757:
	s_add_u32 s14, s14, (.LBB2_22844-.Lpost_getpc25757)&4294967295
	s_addc_u32 s15, s15, (.LBB2_22844-.Lpost_getpc25757)>>32
	s_setpc_b64 s[14:15]
.LBB2_8506:
	s_or_b64 exec, exec, s[6:7]
	s_and_saveexec_b64 s[6:7], s[4:5]
	s_cbranch_execz .LBB2_8508
.LBB2_8507:
	v_bfe_u32 v2, v7, 24, 3
	v_ffbh_u32_e32 v14, v2
	v_min_u32_e32 v14, 32, v14
	v_lshrrev_b32_e32 v12, 27, v7
	v_subrev_u32_e32 v15, 28, v14
	v_and_b32_e32 v6, 0x80000000, v7
	v_and_b32_e32 v12, 15, v12
	v_bfe_u32 v13, v7, 27, 4
	v_lshlrev_b32_sdwa v7, v15, v7 dst_sel:DWORD dst_unused:UNUSED_PAD src0_sel:DWORD src1_sel:BYTE_3
	v_sub_u32_e32 v14, 29, v14
	v_and_b32_e32 v7, 7, v7
	v_cmp_eq_u16_e32 vcc, 0, v12
	v_cndmask_b32_e32 v2, v2, v7, vcc
	v_cndmask_b32_e32 v7, v13, v14, vcc
	v_mov_b32_e32 v12, 0x3b800000
	v_lshlrev_b32_e32 v2, 20, v2
	v_lshl_add_u32 v7, v7, 23, v12
	v_or3_b32 v2, v6, v7, v2
.LBB2_8508:
	s_or_b64 exec, exec, s[6:7]
	s_movk_i32 s4, 0x7f
	v_cmp_gt_i16_sdwa s[6:7], v3, s4 src0_sel:BYTE_3 src1_sel:DWORD
	s_mov_b64 s[4:5], 0
                                        ; implicit-def: $sgpr10
	s_and_saveexec_b64 s[8:9], s[6:7]
	s_xor_b64 s[6:7], exec, s[8:9]
	s_cbranch_execz .LBB2_8509
; %bb.44349:
	s_getpc_b64 s[14:15]
.Lpost_getpc25758:
	s_add_u32 s14, s14, (.LBB2_22845-.Lpost_getpc25758)&4294967295
	s_addc_u32 s15, s15, (.LBB2_22845-.Lpost_getpc25758)>>32
	s_setpc_b64 s[14:15]
.LBB2_8509:
	s_or_saveexec_b64 s[6:7], s[6:7]
	v_mov_b32_e32 v6, s10
	s_xor_b64 exec, exec, s[6:7]
	s_cbranch_execz .LBB2_8510
; %bb.44351:
	s_getpc_b64 s[14:15]
.Lpost_getpc25759:
	s_add_u32 s14, s14, (.LBB2_22848-.Lpost_getpc25759)&4294967295
	s_addc_u32 s15, s15, (.LBB2_22848-.Lpost_getpc25759)>>32
	s_setpc_b64 s[14:15]
.LBB2_8510:
	s_or_b64 exec, exec, s[6:7]
	s_and_saveexec_b64 s[6:7], s[4:5]
	s_cbranch_execz .LBB2_8512
.LBB2_8511:
	v_bfe_u32 v6, v3, 24, 3
	v_ffbh_u32_e32 v14, v6
	v_min_u32_e32 v14, 32, v14
	v_lshrrev_b32_e32 v12, 27, v3
	v_subrev_u32_e32 v15, 28, v14
	v_and_b32_e32 v7, 0x80000000, v3
	v_and_b32_e32 v12, 15, v12
	v_bfe_u32 v13, v3, 27, 4
	v_lshlrev_b32_sdwa v3, v15, v3 dst_sel:DWORD dst_unused:UNUSED_PAD src0_sel:DWORD src1_sel:BYTE_3
	v_sub_u32_e32 v14, 29, v14
	v_and_b32_e32 v3, 7, v3
	v_cmp_eq_u16_e32 vcc, 0, v12
	v_cndmask_b32_e32 v3, v6, v3, vcc
	v_cndmask_b32_e32 v6, v13, v14, vcc
	v_mov_b32_e32 v12, 0x3b800000
	v_lshlrev_b32_e32 v3, 20, v3
	v_lshl_add_u32 v6, v6, 23, v12
	v_or3_b32 v6, v7, v6, v3
.LBB2_8512:
	s_or_b64 exec, exec, s[6:7]
	s_nop 0
	v_mfma_f32_16x16x4f32 a[0:3], v2, v6, a[0:3]
	s_movk_i32 s4, 0x7f
	v_cmp_gt_i16_sdwa s[6:7], v8, s4 src0_sel:BYTE_0 src1_sel:DWORD
	s_mov_b64 s[4:5], 0
                                        ; implicit-def: $sgpr10
	s_and_saveexec_b64 s[8:9], s[6:7]
	s_xor_b64 s[6:7], exec, s[8:9]
	s_cbranch_execz .LBB2_8513
; %bb.44353:
	s_getpc_b64 s[14:15]
.Lpost_getpc25760:
	s_add_u32 s14, s14, (.LBB2_22849-.Lpost_getpc25760)&4294967295
	s_addc_u32 s15, s15, (.LBB2_22849-.Lpost_getpc25760)>>32
	s_setpc_b64 s[14:15]
.LBB2_8513:
	s_or_saveexec_b64 s[6:7], s[6:7]
	v_mov_b32_e32 v2, s10
	s_xor_b64 exec, exec, s[6:7]
	s_cbranch_execz .LBB2_8514
; %bb.44355:
	s_getpc_b64 s[14:15]
.Lpost_getpc25761:
	s_add_u32 s14, s14, (.LBB2_22852-.Lpost_getpc25761)&4294967295
	s_addc_u32 s15, s15, (.LBB2_22852-.Lpost_getpc25761)>>32
	s_setpc_b64 s[14:15]
.LBB2_8514:
	s_or_b64 exec, exec, s[6:7]
	s_and_saveexec_b64 s[6:7], s[4:5]
	s_cbranch_execz .LBB2_8516
.LBB2_8515:
	v_and_b32_e32 v2, 7, v8
	v_ffbh_u32_e32 v6, v2
	v_min_u32_e32 v6, 32, v6
	v_lshrrev_b16_e32 v3, 3, v8
	v_subrev_u32_e32 v7, 28, v6
	v_and_b32_e32 v3, 15, v3
	v_lshlrev_b32_e32 v7, v7, v8
	v_sub_u32_e32 v6, 29, v6
	v_and_b32_e32 v7, 7, v7
	v_cmp_eq_u16_e32 vcc, 0, v3
	v_cndmask_b32_e32 v2, v2, v7, vcc
	v_cndmask_b32_e32 v3, v3, v6, vcc
	v_lshlrev_b32_e32 v6, 24, v8
	v_mov_b32_e32 v7, 0x3b800000
	v_lshlrev_b32_e32 v2, 20, v2
	v_and_b32_e32 v6, 0x80000000, v6
	v_lshl_add_u32 v3, v3, 23, v7
	v_or3_b32 v2, v6, v3, v2
.LBB2_8516:
	s_or_b64 exec, exec, s[6:7]
	s_movk_i32 s4, 0x7f
	v_cmp_gt_i16_sdwa s[6:7], v4, s4 src0_sel:BYTE_0 src1_sel:DWORD
	s_mov_b64 s[4:5], 0
                                        ; implicit-def: $sgpr10
	s_and_saveexec_b64 s[8:9], s[6:7]
	s_xor_b64 s[6:7], exec, s[8:9]
	s_cbranch_execz .LBB2_8517
; %bb.44357:
	s_getpc_b64 s[14:15]
.Lpost_getpc25762:
	s_add_u32 s14, s14, (.LBB2_22853-.Lpost_getpc25762)&4294967295
	s_addc_u32 s15, s15, (.LBB2_22853-.Lpost_getpc25762)>>32
	s_setpc_b64 s[14:15]
.LBB2_8517:
	s_or_saveexec_b64 s[6:7], s[6:7]
	v_mov_b32_e32 v3, s10
	s_xor_b64 exec, exec, s[6:7]
	s_cbranch_execz .LBB2_8518
; %bb.44359:
	s_getpc_b64 s[14:15]
.Lpost_getpc25763:
	s_add_u32 s14, s14, (.LBB2_22856-.Lpost_getpc25763)&4294967295
	s_addc_u32 s15, s15, (.LBB2_22856-.Lpost_getpc25763)>>32
	s_setpc_b64 s[14:15]
.LBB2_8518:
	s_or_b64 exec, exec, s[6:7]
	s_and_saveexec_b64 s[6:7], s[4:5]
	s_cbranch_execz .LBB2_8520
.LBB2_8519:
	v_and_b32_e32 v3, 7, v4
	v_ffbh_u32_e32 v7, v3
	v_min_u32_e32 v7, 32, v7
	v_lshrrev_b16_e32 v6, 3, v4
	v_subrev_u32_e32 v12, 28, v7
	v_and_b32_e32 v6, 15, v6
	v_lshlrev_b32_e32 v12, v12, v4
	v_sub_u32_e32 v7, 29, v7
	v_and_b32_e32 v12, 7, v12
	v_cmp_eq_u16_e32 vcc, 0, v6
	v_cndmask_b32_e32 v3, v3, v12, vcc
	v_cndmask_b32_e32 v6, v6, v7, vcc
	v_lshlrev_b32_e32 v7, 24, v4
	v_mov_b32_e32 v12, 0x3b800000
	v_lshlrev_b32_e32 v3, 20, v3
	v_and_b32_e32 v7, 0x80000000, v7
	v_lshl_add_u32 v6, v6, 23, v12
	v_or3_b32 v3, v7, v6, v3
.LBB2_8520:
	s_or_b64 exec, exec, s[6:7]
	s_nop 0
	v_mfma_f32_16x16x4f32 a[0:3], v2, v3, a[0:3]
	v_lshrrev_b32_e32 v3, 8, v8
	s_movk_i32 s4, 0x7f
	v_cmp_gt_i16_sdwa s[6:7], v3, s4 src0_sel:BYTE_0 src1_sel:DWORD
	s_mov_b64 s[4:5], 0
                                        ; implicit-def: $sgpr10
	s_and_saveexec_b64 s[8:9], s[6:7]
	s_xor_b64 s[6:7], exec, s[8:9]
	s_cbranch_execz .LBB2_8521
; %bb.44361:
	s_getpc_b64 s[14:15]
.Lpost_getpc25764:
	s_add_u32 s14, s14, (.LBB2_22857-.Lpost_getpc25764)&4294967295
	s_addc_u32 s15, s15, (.LBB2_22857-.Lpost_getpc25764)>>32
	s_setpc_b64 s[14:15]
.LBB2_8521:
	s_or_saveexec_b64 s[6:7], s[6:7]
	v_mov_b32_e32 v2, s10
	s_xor_b64 exec, exec, s[6:7]
	s_cbranch_execz .LBB2_8522
; %bb.44363:
	s_getpc_b64 s[14:15]
.Lpost_getpc25765:
	s_add_u32 s14, s14, (.LBB2_22860-.Lpost_getpc25765)&4294967295
	s_addc_u32 s15, s15, (.LBB2_22860-.Lpost_getpc25765)>>32
	s_setpc_b64 s[14:15]
.LBB2_8522:
	s_or_b64 exec, exec, s[6:7]
	s_and_saveexec_b64 s[6:7], s[4:5]
	s_cbranch_execz .LBB2_8524
.LBB2_8523:
	v_bfe_u32 v2, v8, 8, 3
	v_ffbh_u32_e32 v7, v2
	v_min_u32_e32 v7, 32, v7
	v_lshrrev_b16_e32 v6, 3, v3
	v_subrev_u32_e32 v12, 28, v7
	v_and_b32_e32 v6, 15, v6
	v_lshlrev_b32_e32 v3, v12, v3
	v_sub_u32_e32 v7, 29, v7
	v_and_b32_e32 v3, 7, v3
	v_cmp_eq_u16_e32 vcc, 0, v6
	v_cndmask_b32_e32 v2, v2, v3, vcc
	v_cndmask_b32_e32 v3, v6, v7, vcc
	v_lshlrev_b32_e32 v6, 16, v8
	v_mov_b32_e32 v7, 0x3b800000
	v_lshlrev_b32_e32 v2, 20, v2
	v_and_b32_e32 v6, 0x80000000, v6
	v_lshl_add_u32 v3, v3, 23, v7
	v_or3_b32 v2, v6, v3, v2
.LBB2_8524:
	s_or_b64 exec, exec, s[6:7]
	v_lshrrev_b32_e32 v3, 8, v4
	s_movk_i32 s4, 0x7f
	v_cmp_gt_i16_sdwa s[6:7], v3, s4 src0_sel:BYTE_0 src1_sel:DWORD
	s_mov_b64 s[4:5], 0
                                        ; implicit-def: $sgpr10
	s_and_saveexec_b64 s[8:9], s[6:7]
	s_xor_b64 s[6:7], exec, s[8:9]
	s_cbranch_execz .LBB2_8525
; %bb.44365:
	s_getpc_b64 s[14:15]
.Lpost_getpc25766:
	s_add_u32 s14, s14, (.LBB2_22861-.Lpost_getpc25766)&4294967295
	s_addc_u32 s15, s15, (.LBB2_22861-.Lpost_getpc25766)>>32
	s_setpc_b64 s[14:15]
.LBB2_8525:
	s_or_saveexec_b64 s[6:7], s[6:7]
	v_mov_b32_e32 v6, s10
	s_xor_b64 exec, exec, s[6:7]
	s_cbranch_execz .LBB2_8526
; %bb.44367:
	s_getpc_b64 s[14:15]
.Lpost_getpc25767:
	s_add_u32 s14, s14, (.LBB2_22864-.Lpost_getpc25767)&4294967295
	s_addc_u32 s15, s15, (.LBB2_22864-.Lpost_getpc25767)>>32
	s_setpc_b64 s[14:15]
.LBB2_8526:
	s_or_b64 exec, exec, s[6:7]
	s_and_saveexec_b64 s[6:7], s[4:5]
	s_cbranch_execz .LBB2_8528
.LBB2_8527:
	v_bfe_u32 v6, v4, 8, 3
	v_ffbh_u32_e32 v12, v6
	v_min_u32_e32 v12, 32, v12
	v_lshrrev_b16_e32 v7, 3, v3
	v_subrev_u32_e32 v13, 28, v12
	v_and_b32_e32 v7, 15, v7
	v_lshlrev_b32_e32 v3, v13, v3
	v_sub_u32_e32 v12, 29, v12
	v_and_b32_e32 v3, 7, v3
	v_cmp_eq_u16_e32 vcc, 0, v7
	v_cndmask_b32_e32 v3, v6, v3, vcc
	v_cndmask_b32_e32 v6, v7, v12, vcc
	v_lshlrev_b32_e32 v7, 16, v4
	v_mov_b32_e32 v12, 0x3b800000
	v_lshlrev_b32_e32 v3, 20, v3
	v_and_b32_e32 v7, 0x80000000, v7
	v_lshl_add_u32 v6, v6, 23, v12
	v_or3_b32 v6, v7, v6, v3
.LBB2_8528:
	s_or_b64 exec, exec, s[6:7]
	s_nop 0
	v_mfma_f32_16x16x4f32 a[0:3], v2, v6, a[0:3]
	s_movk_i32 s4, 0xff
	v_and_b32_sdwa v3, v8, s4 dst_sel:DWORD dst_unused:UNUSED_PAD src0_sel:WORD_1 src1_sel:DWORD
	s_movk_i32 s4, 0x7f
	v_cmp_lt_i16_e32 vcc, s4, v3
	s_mov_b64 s[4:5], 0
                                        ; implicit-def: $sgpr10
	s_and_saveexec_b64 s[6:7], vcc
	s_xor_b64 s[6:7], exec, s[6:7]
	s_cbranch_execz .LBB2_8529
; %bb.44369:
	s_getpc_b64 s[14:15]
.Lpost_getpc25768:
	s_add_u32 s14, s14, (.LBB2_22865-.Lpost_getpc25768)&4294967295
	s_addc_u32 s15, s15, (.LBB2_22865-.Lpost_getpc25768)>>32
	s_setpc_b64 s[14:15]
.LBB2_8529:
	s_or_saveexec_b64 s[6:7], s[6:7]
	v_mov_b32_e32 v2, s10
	s_xor_b64 exec, exec, s[6:7]
	s_cbranch_execz .LBB2_8530
; %bb.44371:
	s_getpc_b64 s[14:15]
.Lpost_getpc25769:
	s_add_u32 s14, s14, (.LBB2_22868-.Lpost_getpc25769)&4294967295
	s_addc_u32 s15, s15, (.LBB2_22868-.Lpost_getpc25769)>>32
	s_setpc_b64 s[14:15]
.LBB2_8530:
	s_or_b64 exec, exec, s[6:7]
	s_and_saveexec_b64 s[6:7], s[4:5]
	s_cbranch_execz .LBB2_8532
.LBB2_8531:
	v_bfe_u32 v2, v8, 16, 3
	v_ffbh_u32_e32 v7, v2
	v_min_u32_e32 v7, 32, v7
	v_lshrrev_b32_e32 v3, 19, v8
	v_subrev_u32_e32 v12, 28, v7
	v_and_b32_e32 v3, 15, v3
	v_lshlrev_b32_sdwa v12, v12, v8 dst_sel:DWORD dst_unused:UNUSED_PAD src0_sel:DWORD src1_sel:WORD_1
	v_bfe_u32 v6, v8, 19, 4
	v_sub_u32_e32 v7, 29, v7
	v_and_b32_e32 v12, 7, v12
	v_cmp_eq_u16_e32 vcc, 0, v3
	v_cndmask_b32_e32 v2, v2, v12, vcc
	v_cndmask_b32_e32 v3, v6, v7, vcc
	v_lshlrev_b32_e32 v6, 8, v8
	v_mov_b32_e32 v7, 0x3b800000
	v_lshlrev_b32_e32 v2, 20, v2
	v_and_b32_e32 v6, 0x80000000, v6
	v_lshl_add_u32 v3, v3, 23, v7
	v_or3_b32 v2, v6, v3, v2
.LBB2_8532:
	s_or_b64 exec, exec, s[6:7]
	s_movk_i32 s4, 0xff
	v_and_b32_sdwa v3, v4, s4 dst_sel:DWORD dst_unused:UNUSED_PAD src0_sel:WORD_1 src1_sel:DWORD
	s_movk_i32 s4, 0x7f
	v_cmp_lt_i16_e32 vcc, s4, v3
	s_mov_b64 s[4:5], 0
                                        ; implicit-def: $sgpr10
	s_and_saveexec_b64 s[6:7], vcc
	s_xor_b64 s[6:7], exec, s[6:7]
	s_cbranch_execz .LBB2_8533
; %bb.44373:
	s_getpc_b64 s[14:15]
.Lpost_getpc25770:
	s_add_u32 s14, s14, (.LBB2_22869-.Lpost_getpc25770)&4294967295
	s_addc_u32 s15, s15, (.LBB2_22869-.Lpost_getpc25770)>>32
	s_setpc_b64 s[14:15]
.LBB2_8533:
	s_or_saveexec_b64 s[6:7], s[6:7]
	v_mov_b32_e32 v6, s10
	s_xor_b64 exec, exec, s[6:7]
	s_cbranch_execz .LBB2_8534
; %bb.44375:
	s_getpc_b64 s[14:15]
.Lpost_getpc25771:
	s_add_u32 s14, s14, (.LBB2_22872-.Lpost_getpc25771)&4294967295
	s_addc_u32 s15, s15, (.LBB2_22872-.Lpost_getpc25771)>>32
	s_setpc_b64 s[14:15]
.LBB2_8534:
	s_or_b64 exec, exec, s[6:7]
	s_and_saveexec_b64 s[6:7], s[4:5]
	s_cbranch_execz .LBB2_8536
.LBB2_8535:
	v_bfe_u32 v3, v4, 16, 3
	v_ffbh_u32_e32 v12, v3
	v_min_u32_e32 v12, 32, v12
	v_lshrrev_b32_e32 v6, 19, v4
	v_subrev_u32_e32 v13, 28, v12
	v_and_b32_e32 v6, 15, v6
	v_lshlrev_b32_sdwa v13, v13, v4 dst_sel:DWORD dst_unused:UNUSED_PAD src0_sel:DWORD src1_sel:WORD_1
	v_bfe_u32 v7, v4, 19, 4
	v_sub_u32_e32 v12, 29, v12
	v_and_b32_e32 v13, 7, v13
	v_cmp_eq_u16_e32 vcc, 0, v6
	v_cndmask_b32_e32 v3, v3, v13, vcc
	v_cndmask_b32_e32 v6, v7, v12, vcc
	v_lshlrev_b32_e32 v7, 8, v4
	v_mov_b32_e32 v12, 0x3b800000
	v_lshlrev_b32_e32 v3, 20, v3
	v_and_b32_e32 v7, 0x80000000, v7
	v_lshl_add_u32 v6, v6, 23, v12
	v_or3_b32 v6, v7, v6, v3
.LBB2_8536:
	s_or_b64 exec, exec, s[6:7]
	s_nop 0
	v_mfma_f32_16x16x4f32 a[0:3], v2, v6, a[0:3]
	s_movk_i32 s4, 0x7f
	v_cmp_gt_i16_sdwa s[6:7], v8, s4 src0_sel:BYTE_3 src1_sel:DWORD
	s_mov_b64 s[4:5], 0
                                        ; implicit-def: $sgpr10
	s_and_saveexec_b64 s[8:9], s[6:7]
	s_xor_b64 s[6:7], exec, s[8:9]
	s_cbranch_execz .LBB2_8537
; %bb.44377:
	s_getpc_b64 s[14:15]
.Lpost_getpc25772:
	s_add_u32 s14, s14, (.LBB2_22873-.Lpost_getpc25772)&4294967295
	s_addc_u32 s15, s15, (.LBB2_22873-.Lpost_getpc25772)>>32
	s_setpc_b64 s[14:15]
.LBB2_8537:
	s_or_saveexec_b64 s[6:7], s[6:7]
	v_mov_b32_e32 v2, s10
	s_xor_b64 exec, exec, s[6:7]
	s_cbranch_execz .LBB2_8538
; %bb.44379:
	s_getpc_b64 s[14:15]
.Lpost_getpc25773:
	s_add_u32 s14, s14, (.LBB2_22876-.Lpost_getpc25773)&4294967295
	s_addc_u32 s15, s15, (.LBB2_22876-.Lpost_getpc25773)>>32
	s_setpc_b64 s[14:15]
.LBB2_8538:
	s_or_b64 exec, exec, s[6:7]
	s_and_saveexec_b64 s[6:7], s[4:5]
	s_cbranch_execz .LBB2_8540
.LBB2_8539:
	v_bfe_u32 v2, v8, 24, 3
	v_ffbh_u32_e32 v12, v2
	v_min_u32_e32 v12, 32, v12
	v_lshrrev_b32_e32 v6, 27, v8
	v_subrev_u32_e32 v13, 28, v12
	v_and_b32_e32 v3, 0x80000000, v8
	v_and_b32_e32 v6, 15, v6
	v_bfe_u32 v7, v8, 27, 4
	v_lshlrev_b32_sdwa v8, v13, v8 dst_sel:DWORD dst_unused:UNUSED_PAD src0_sel:DWORD src1_sel:BYTE_3
	v_sub_u32_e32 v12, 29, v12
	v_and_b32_e32 v8, 7, v8
	v_cmp_eq_u16_e32 vcc, 0, v6
	v_cndmask_b32_e32 v2, v2, v8, vcc
	v_cndmask_b32_e32 v6, v7, v12, vcc
	v_mov_b32_e32 v7, 0x3b800000
	v_lshlrev_b32_e32 v2, 20, v2
	v_lshl_add_u32 v6, v6, 23, v7
	v_or3_b32 v2, v3, v6, v2
.LBB2_8540:
	s_or_b64 exec, exec, s[6:7]
	s_movk_i32 s4, 0x7f
	v_cmp_gt_i16_sdwa s[6:7], v4, s4 src0_sel:BYTE_3 src1_sel:DWORD
	s_mov_b64 s[4:5], 0
                                        ; implicit-def: $sgpr10
	s_and_saveexec_b64 s[8:9], s[6:7]
	s_xor_b64 s[6:7], exec, s[8:9]
	s_cbranch_execz .LBB2_8541
; %bb.44381:
	s_getpc_b64 s[14:15]
.Lpost_getpc25774:
	s_add_u32 s14, s14, (.LBB2_22877-.Lpost_getpc25774)&4294967295
	s_addc_u32 s15, s15, (.LBB2_22877-.Lpost_getpc25774)>>32
	s_setpc_b64 s[14:15]
.LBB2_8541:
	s_or_saveexec_b64 s[6:7], s[6:7]
	v_mov_b32_e32 v3, s10
	s_xor_b64 exec, exec, s[6:7]
	s_cbranch_execz .LBB2_8542
; %bb.44383:
	s_getpc_b64 s[14:15]
.Lpost_getpc25775:
	s_add_u32 s14, s14, (.LBB2_22880-.Lpost_getpc25775)&4294967295
	s_addc_u32 s15, s15, (.LBB2_22880-.Lpost_getpc25775)>>32
	s_setpc_b64 s[14:15]
.LBB2_8542:
	s_or_b64 exec, exec, s[6:7]
	s_and_saveexec_b64 s[6:7], s[4:5]
	s_cbranch_execz .LBB2_8544
.LBB2_8543:
	v_bfe_u32 v3, v4, 24, 3
	v_ffbh_u32_e32 v12, v3
	v_min_u32_e32 v12, 32, v12
	v_lshrrev_b32_e32 v7, 27, v4
	v_subrev_u32_e32 v13, 28, v12
	v_and_b32_e32 v6, 0x80000000, v4
	v_and_b32_e32 v7, 15, v7
	v_bfe_u32 v8, v4, 27, 4
	v_lshlrev_b32_sdwa v4, v13, v4 dst_sel:DWORD dst_unused:UNUSED_PAD src0_sel:DWORD src1_sel:BYTE_3
	v_sub_u32_e32 v12, 29, v12
	v_and_b32_e32 v4, 7, v4
	v_cmp_eq_u16_e32 vcc, 0, v7
	v_cndmask_b32_e32 v3, v3, v4, vcc
	v_cndmask_b32_e32 v4, v8, v12, vcc
	v_mov_b32_e32 v7, 0x3b800000
	v_lshlrev_b32_e32 v3, 20, v3
	v_lshl_add_u32 v4, v4, 23, v7
	v_or3_b32 v3, v6, v4, v3
.LBB2_8544:
	s_or_b64 exec, exec, s[6:7]
	s_nop 0
	v_mfma_f32_16x16x4f32 a[0:3], v2, v3, a[0:3]
	s_movk_i32 s4, 0x7f
	v_cmp_gt_i16_sdwa s[6:7], v9, s4 src0_sel:BYTE_0 src1_sel:DWORD
	s_mov_b64 s[4:5], 0
                                        ; implicit-def: $sgpr10
	s_and_saveexec_b64 s[8:9], s[6:7]
	s_xor_b64 s[6:7], exec, s[8:9]
	s_cbranch_execz .LBB2_8545
; %bb.44385:
	s_getpc_b64 s[14:15]
.Lpost_getpc25776:
	s_add_u32 s14, s14, (.LBB2_22881-.Lpost_getpc25776)&4294967295
	s_addc_u32 s15, s15, (.LBB2_22881-.Lpost_getpc25776)>>32
	s_setpc_b64 s[14:15]
.LBB2_8545:
	s_or_saveexec_b64 s[6:7], s[6:7]
	v_mov_b32_e32 v2, s10
	s_xor_b64 exec, exec, s[6:7]
	s_cbranch_execz .LBB2_8546
; %bb.44387:
	s_getpc_b64 s[14:15]
.Lpost_getpc25777:
	s_add_u32 s14, s14, (.LBB2_22884-.Lpost_getpc25777)&4294967295
	s_addc_u32 s15, s15, (.LBB2_22884-.Lpost_getpc25777)>>32
	s_setpc_b64 s[14:15]
.LBB2_8546:
	s_or_b64 exec, exec, s[6:7]
	s_and_saveexec_b64 s[6:7], s[4:5]
	s_cbranch_execz .LBB2_8548
.LBB2_8547:
	v_mov_b32_e32 v2, 8
	v_and_b32_e32 v3, 7, v9
	v_lshrrev_b32_sdwa v2, v2, v9 dst_sel:BYTE_1 dst_unused:UNUSED_PAD src0_sel:DWORD src1_sel:DWORD
	v_ffbh_u32_e32 v4, v3
	v_or_b32_sdwa v2, v9, v2 dst_sel:DWORD dst_unused:UNUSED_PAD src0_sel:BYTE_0 src1_sel:DWORD
	v_min_u32_e32 v4, 32, v4
	v_lshrrev_b16_e32 v2, 3, v2
	v_subrev_u32_e32 v6, 28, v4
	v_and_b32_e32 v2, 15, v2
	v_lshlrev_b32_e32 v6, v6, v9
	v_sub_u32_e32 v4, 29, v4
	v_and_b32_e32 v6, 7, v6
	v_cmp_eq_u16_e32 vcc, 0, v2
	v_cndmask_b32_e32 v3, v3, v6, vcc
	v_cndmask_b32_e32 v2, v2, v4, vcc
	v_lshlrev_b32_e32 v4, 24, v9
	v_mov_b32_e32 v6, 0x3b800000
	v_lshlrev_b32_e32 v3, 20, v3
	v_and_b32_e32 v4, 0x80000000, v4
	v_lshl_add_u32 v2, v2, 23, v6
	v_or3_b32 v2, v4, v2, v3
.LBB2_8548:
	s_or_b64 exec, exec, s[6:7]
	s_movk_i32 s4, 0x7f
	v_cmp_gt_i16_sdwa s[6:7], v5, s4 src0_sel:BYTE_0 src1_sel:DWORD
	s_mov_b64 s[4:5], 0
                                        ; implicit-def: $sgpr10
	s_and_saveexec_b64 s[8:9], s[6:7]
	s_xor_b64 s[6:7], exec, s[8:9]
	s_cbranch_execz .LBB2_8549
; %bb.44389:
	s_getpc_b64 s[14:15]
.Lpost_getpc25778:
	s_add_u32 s14, s14, (.LBB2_22885-.Lpost_getpc25778)&4294967295
	s_addc_u32 s15, s15, (.LBB2_22885-.Lpost_getpc25778)>>32
	s_setpc_b64 s[14:15]
.LBB2_8549:
	s_or_saveexec_b64 s[6:7], s[6:7]
	v_mov_b32_e32 v3, s10
	s_xor_b64 exec, exec, s[6:7]
	s_cbranch_execz .LBB2_8550
; %bb.44391:
	s_getpc_b64 s[14:15]
.Lpost_getpc25779:
	s_add_u32 s14, s14, (.LBB2_22888-.Lpost_getpc25779)&4294967295
	s_addc_u32 s15, s15, (.LBB2_22888-.Lpost_getpc25779)>>32
	s_setpc_b64 s[14:15]
.LBB2_8550:
	s_or_b64 exec, exec, s[6:7]
	s_and_saveexec_b64 s[6:7], s[4:5]
	s_cbranch_execz .LBB2_8552
.LBB2_8551:
	v_mov_b32_e32 v3, 8
	v_and_b32_e32 v4, 7, v5
	v_lshrrev_b32_sdwa v3, v3, v5 dst_sel:BYTE_1 dst_unused:UNUSED_PAD src0_sel:DWORD src1_sel:DWORD
	v_ffbh_u32_e32 v6, v4
	v_or_b32_sdwa v3, v5, v3 dst_sel:DWORD dst_unused:UNUSED_PAD src0_sel:BYTE_0 src1_sel:DWORD
	v_min_u32_e32 v6, 32, v6
	v_lshrrev_b16_e32 v3, 3, v3
	v_subrev_u32_e32 v7, 28, v6
	v_and_b32_e32 v3, 15, v3
	v_lshlrev_b32_e32 v7, v7, v5
	v_sub_u32_e32 v6, 29, v6
	v_and_b32_e32 v7, 7, v7
	v_cmp_eq_u16_e32 vcc, 0, v3
	v_cndmask_b32_e32 v4, v4, v7, vcc
	v_cndmask_b32_e32 v3, v3, v6, vcc
	v_lshlrev_b32_e32 v6, 24, v5
	v_mov_b32_e32 v7, 0x3b800000
	v_lshlrev_b32_e32 v4, 20, v4
	v_and_b32_e32 v6, 0x80000000, v6
	v_lshl_add_u32 v3, v3, 23, v7
	v_or3_b32 v3, v6, v3, v4
.LBB2_8552:
	s_or_b64 exec, exec, s[6:7]
	s_nop 0
	v_mfma_f32_16x16x4f32 a[0:3], v2, v3, a[0:3]
	v_lshrrev_b32_e32 v3, 8, v9
	s_movk_i32 s4, 0x7f
	v_cmp_gt_i16_sdwa s[6:7], v3, s4 src0_sel:BYTE_0 src1_sel:DWORD
	s_mov_b64 s[4:5], 0
                                        ; implicit-def: $sgpr10
	s_and_saveexec_b64 s[8:9], s[6:7]
	s_xor_b64 s[6:7], exec, s[8:9]
	s_cbranch_execz .LBB2_8553
; %bb.44393:
	s_getpc_b64 s[14:15]
.Lpost_getpc25780:
	s_add_u32 s14, s14, (.LBB2_22889-.Lpost_getpc25780)&4294967295
	s_addc_u32 s15, s15, (.LBB2_22889-.Lpost_getpc25780)>>32
	s_setpc_b64 s[14:15]
.LBB2_8553:
	s_or_saveexec_b64 s[6:7], s[6:7]
	v_mov_b32_e32 v2, s10
	s_xor_b64 exec, exec, s[6:7]
	s_cbranch_execz .LBB2_8554
; %bb.44395:
	s_getpc_b64 s[14:15]
.Lpost_getpc25781:
	s_add_u32 s14, s14, (.LBB2_22892-.Lpost_getpc25781)&4294967295
	s_addc_u32 s15, s15, (.LBB2_22892-.Lpost_getpc25781)>>32
	s_setpc_b64 s[14:15]
.LBB2_8554:
	s_or_b64 exec, exec, s[6:7]
	s_and_saveexec_b64 s[6:7], s[4:5]
	s_cbranch_execz .LBB2_8556
.LBB2_8555:
	v_bfe_u32 v2, v9, 8, 3
	v_ffbh_u32_e32 v6, v2
	v_min_u32_e32 v6, 32, v6
	v_lshrrev_b16_e32 v4, 3, v3
	v_subrev_u32_e32 v7, 28, v6
	v_and_b32_e32 v4, 15, v4
	v_lshlrev_b32_e32 v3, v7, v3
	v_sub_u32_e32 v6, 29, v6
	v_and_b32_e32 v3, 7, v3
	v_cmp_eq_u16_e32 vcc, 0, v4
	v_cndmask_b32_e32 v2, v2, v3, vcc
	v_cndmask_b32_e32 v3, v4, v6, vcc
	v_lshlrev_b32_e32 v4, 16, v9
	v_mov_b32_e32 v6, 0x3b800000
	v_lshlrev_b32_e32 v2, 20, v2
	v_and_b32_e32 v4, 0x80000000, v4
	v_lshl_add_u32 v3, v3, 23, v6
	v_or3_b32 v2, v4, v3, v2
.LBB2_8556:
	s_or_b64 exec, exec, s[6:7]
	v_lshrrev_b32_e32 v3, 8, v5
	s_movk_i32 s4, 0x7f
	v_cmp_gt_i16_sdwa s[6:7], v3, s4 src0_sel:BYTE_0 src1_sel:DWORD
	s_mov_b64 s[4:5], 0
                                        ; implicit-def: $sgpr10
	s_and_saveexec_b64 s[8:9], s[6:7]
	s_xor_b64 s[6:7], exec, s[8:9]
	s_cbranch_execz .LBB2_8557
; %bb.44397:
	s_getpc_b64 s[14:15]
.Lpost_getpc25782:
	s_add_u32 s14, s14, (.LBB2_22893-.Lpost_getpc25782)&4294967295
	s_addc_u32 s15, s15, (.LBB2_22893-.Lpost_getpc25782)>>32
	s_setpc_b64 s[14:15]
.LBB2_8557:
	s_or_saveexec_b64 s[6:7], s[6:7]
	v_mov_b32_e32 v4, s10
	s_xor_b64 exec, exec, s[6:7]
	s_cbranch_execz .LBB2_8558
; %bb.44399:
	s_getpc_b64 s[14:15]
.Lpost_getpc25783:
	s_add_u32 s14, s14, (.LBB2_22896-.Lpost_getpc25783)&4294967295
	s_addc_u32 s15, s15, (.LBB2_22896-.Lpost_getpc25783)>>32
	s_setpc_b64 s[14:15]
.LBB2_8558:
	s_or_b64 exec, exec, s[6:7]
	s_and_saveexec_b64 s[6:7], s[4:5]
	s_cbranch_execz .LBB2_8560
.LBB2_8559:
	v_bfe_u32 v4, v5, 8, 3
	v_ffbh_u32_e32 v7, v4
	v_min_u32_e32 v7, 32, v7
	v_lshrrev_b16_e32 v6, 3, v3
	v_subrev_u32_e32 v8, 28, v7
	v_and_b32_e32 v6, 15, v6
	v_lshlrev_b32_e32 v3, v8, v3
	v_sub_u32_e32 v7, 29, v7
	v_and_b32_e32 v3, 7, v3
	v_cmp_eq_u16_e32 vcc, 0, v6
	v_cndmask_b32_e32 v3, v4, v3, vcc
	v_cndmask_b32_e32 v4, v6, v7, vcc
	v_lshlrev_b32_e32 v6, 16, v5
	v_mov_b32_e32 v7, 0x3b800000
	v_lshlrev_b32_e32 v3, 20, v3
	v_and_b32_e32 v6, 0x80000000, v6
	v_lshl_add_u32 v4, v4, 23, v7
	v_or3_b32 v4, v6, v4, v3
.LBB2_8560:
	s_or_b64 exec, exec, s[6:7]
	s_nop 0
	v_mfma_f32_16x16x4f32 a[0:3], v2, v4, a[0:3]
	s_movk_i32 s4, 0xff
	v_and_b32_sdwa v3, v9, s4 dst_sel:DWORD dst_unused:UNUSED_PAD src0_sel:WORD_1 src1_sel:DWORD
	s_movk_i32 s4, 0x7f
	v_cmp_lt_i16_e32 vcc, s4, v3
	s_mov_b64 s[4:5], 0
                                        ; implicit-def: $sgpr10
	s_and_saveexec_b64 s[6:7], vcc
	s_xor_b64 s[6:7], exec, s[6:7]
	s_cbranch_execz .LBB2_8561
; %bb.44401:
	s_getpc_b64 s[14:15]
.Lpost_getpc25784:
	s_add_u32 s14, s14, (.LBB2_22897-.Lpost_getpc25784)&4294967295
	s_addc_u32 s15, s15, (.LBB2_22897-.Lpost_getpc25784)>>32
	s_setpc_b64 s[14:15]
.LBB2_8561:
	s_or_saveexec_b64 s[6:7], s[6:7]
	v_mov_b32_e32 v2, s10
	s_xor_b64 exec, exec, s[6:7]
	s_cbranch_execz .LBB2_8562
; %bb.44403:
	s_getpc_b64 s[14:15]
.Lpost_getpc25785:
	s_add_u32 s14, s14, (.LBB2_22900-.Lpost_getpc25785)&4294967295
	s_addc_u32 s15, s15, (.LBB2_22900-.Lpost_getpc25785)>>32
	s_setpc_b64 s[14:15]
.LBB2_8562:
	s_or_b64 exec, exec, s[6:7]
	s_and_saveexec_b64 s[6:7], s[4:5]
	s_cbranch_execz .LBB2_8564
.LBB2_8563:
	v_bfe_u32 v2, v9, 16, 3
	v_ffbh_u32_e32 v6, v2
	v_min_u32_e32 v6, 32, v6
	v_lshrrev_b32_e32 v3, 19, v9
	v_subrev_u32_e32 v7, 28, v6
	v_and_b32_e32 v3, 15, v3
	v_lshlrev_b32_sdwa v7, v7, v9 dst_sel:DWORD dst_unused:UNUSED_PAD src0_sel:DWORD src1_sel:WORD_1
	v_bfe_u32 v4, v9, 19, 4
	v_sub_u32_e32 v6, 29, v6
	v_and_b32_e32 v7, 7, v7
	v_cmp_eq_u16_e32 vcc, 0, v3
	v_cndmask_b32_e32 v2, v2, v7, vcc
	v_cndmask_b32_e32 v3, v4, v6, vcc
	v_lshlrev_b32_e32 v4, 8, v9
	v_mov_b32_e32 v6, 0x3b800000
	v_lshlrev_b32_e32 v2, 20, v2
	v_and_b32_e32 v4, 0x80000000, v4
	v_lshl_add_u32 v3, v3, 23, v6
	v_or3_b32 v2, v4, v3, v2
.LBB2_8564:
	s_or_b64 exec, exec, s[6:7]
	s_movk_i32 s4, 0xff
	v_and_b32_sdwa v3, v5, s4 dst_sel:DWORD dst_unused:UNUSED_PAD src0_sel:WORD_1 src1_sel:DWORD
	s_movk_i32 s4, 0x7f
	v_cmp_lt_i16_e32 vcc, s4, v3
	s_mov_b64 s[4:5], 0
                                        ; implicit-def: $sgpr10
	s_and_saveexec_b64 s[6:7], vcc
	s_xor_b64 s[6:7], exec, s[6:7]
	s_cbranch_execz .LBB2_8565
; %bb.44405:
	s_getpc_b64 s[14:15]
.Lpost_getpc25786:
	s_add_u32 s14, s14, (.LBB2_22901-.Lpost_getpc25786)&4294967295
	s_addc_u32 s15, s15, (.LBB2_22901-.Lpost_getpc25786)>>32
	s_setpc_b64 s[14:15]
.LBB2_8565:
	s_or_saveexec_b64 s[6:7], s[6:7]
	v_mov_b32_e32 v4, s10
	s_xor_b64 exec, exec, s[6:7]
	s_cbranch_execz .LBB2_8566
; %bb.44407:
	s_getpc_b64 s[14:15]
.Lpost_getpc25787:
	s_add_u32 s14, s14, (.LBB2_22904-.Lpost_getpc25787)&4294967295
	s_addc_u32 s15, s15, (.LBB2_22904-.Lpost_getpc25787)>>32
	s_setpc_b64 s[14:15]
.LBB2_8566:
	s_or_b64 exec, exec, s[6:7]
	s_and_saveexec_b64 s[6:7], s[4:5]
	s_cbranch_execz .LBB2_8568
.LBB2_8567:
	v_bfe_u32 v3, v5, 16, 3
	v_ffbh_u32_e32 v7, v3
	v_min_u32_e32 v7, 32, v7
	v_lshrrev_b32_e32 v4, 19, v5
	v_subrev_u32_e32 v8, 28, v7
	v_and_b32_e32 v4, 15, v4
	v_lshlrev_b32_sdwa v8, v8, v5 dst_sel:DWORD dst_unused:UNUSED_PAD src0_sel:DWORD src1_sel:WORD_1
	v_bfe_u32 v6, v5, 19, 4
	v_sub_u32_e32 v7, 29, v7
	v_and_b32_e32 v8, 7, v8
	v_cmp_eq_u16_e32 vcc, 0, v4
	v_cndmask_b32_e32 v3, v3, v8, vcc
	v_cndmask_b32_e32 v4, v6, v7, vcc
	v_lshlrev_b32_e32 v6, 8, v5
	v_mov_b32_e32 v7, 0x3b800000
	v_lshlrev_b32_e32 v3, 20, v3
	v_and_b32_e32 v6, 0x80000000, v6
	v_lshl_add_u32 v4, v4, 23, v7
	v_or3_b32 v4, v6, v4, v3
.LBB2_8568:
	s_or_b64 exec, exec, s[6:7]
	s_nop 0
	v_mfma_f32_16x16x4f32 a[0:3], v2, v4, a[0:3]
	s_movk_i32 s4, 0x7f
	v_cmp_gt_i16_sdwa s[6:7], v9, s4 src0_sel:BYTE_3 src1_sel:DWORD
	s_mov_b64 s[4:5], 0
                                        ; implicit-def: $sgpr10
	s_and_saveexec_b64 s[8:9], s[6:7]
	s_xor_b64 s[6:7], exec, s[8:9]
	s_cbranch_execz .LBB2_8569
; %bb.44409:
	s_getpc_b64 s[14:15]
.Lpost_getpc25788:
	s_add_u32 s14, s14, (.LBB2_22905-.Lpost_getpc25788)&4294967295
	s_addc_u32 s15, s15, (.LBB2_22905-.Lpost_getpc25788)>>32
	s_setpc_b64 s[14:15]
.LBB2_8569:
	s_or_saveexec_b64 s[6:7], s[6:7]
	v_mov_b32_e32 v2, s10
	s_xor_b64 exec, exec, s[6:7]
	s_cbranch_execz .LBB2_8570
; %bb.44411:
	s_getpc_b64 s[14:15]
.Lpost_getpc25789:
	s_add_u32 s14, s14, (.LBB2_22908-.Lpost_getpc25789)&4294967295
	s_addc_u32 s15, s15, (.LBB2_22908-.Lpost_getpc25789)>>32
	s_setpc_b64 s[14:15]
.LBB2_8570:
	s_or_b64 exec, exec, s[6:7]
	s_and_saveexec_b64 s[6:7], s[4:5]
	s_cbranch_execz .LBB2_8572
.LBB2_8571:
	v_bfe_u32 v2, v9, 24, 3
	v_ffbh_u32_e32 v7, v2
	v_min_u32_e32 v7, 32, v7
	v_lshrrev_b32_e32 v4, 27, v9
	v_subrev_u32_e32 v8, 28, v7
	v_and_b32_e32 v4, 15, v4
	v_lshlrev_b32_sdwa v8, v8, v9 dst_sel:DWORD dst_unused:UNUSED_PAD src0_sel:DWORD src1_sel:BYTE_3
	v_bfe_u32 v6, v9, 27, 4
	v_sub_u32_e32 v7, 29, v7
	v_and_b32_e32 v8, 7, v8
	v_cmp_eq_u16_e32 vcc, 0, v4
	v_cndmask_b32_e32 v2, v2, v8, vcc
	v_cndmask_b32_e32 v4, v6, v7, vcc
	v_mov_b32_e32 v6, 0x3b800000
	v_and_b32_e32 v3, 0x80000000, v9
	v_lshlrev_b32_e32 v2, 20, v2
	v_lshl_add_u32 v4, v4, 23, v6
	v_or3_b32 v2, v3, v4, v2
.LBB2_8572:
	s_or_b64 exec, exec, s[6:7]
	s_movk_i32 s4, 0x7f
	v_cmp_gt_i16_sdwa s[6:7], v5, s4 src0_sel:BYTE_3 src1_sel:DWORD
	s_mov_b64 s[4:5], 0
                                        ; implicit-def: $sgpr10
	s_and_saveexec_b64 s[8:9], s[6:7]
	s_xor_b64 s[6:7], exec, s[8:9]
	s_cbranch_execz .LBB2_8573
; %bb.44413:
	s_getpc_b64 s[14:15]
.Lpost_getpc25790:
	s_add_u32 s14, s14, (.LBB2_22909-.Lpost_getpc25790)&4294967295
	s_addc_u32 s15, s15, (.LBB2_22909-.Lpost_getpc25790)>>32
	s_setpc_b64 s[14:15]
.LBB2_8573:
	s_or_saveexec_b64 s[6:7], s[6:7]
	v_mov_b32_e32 v3, s10
	s_xor_b64 exec, exec, s[6:7]
	s_cbranch_execz .LBB2_8574
; %bb.44415:
	s_getpc_b64 s[14:15]
.Lpost_getpc25791:
	s_add_u32 s14, s14, (.LBB2_22912-.Lpost_getpc25791)&4294967295
	s_addc_u32 s15, s15, (.LBB2_22912-.Lpost_getpc25791)>>32
	s_setpc_b64 s[14:15]
.LBB2_8574:
	s_or_b64 exec, exec, s[6:7]
	s_and_saveexec_b64 s[6:7], s[4:5]
	s_cbranch_execz .LBB2_8576
.LBB2_8575:
	v_bfe_u32 v3, v5, 24, 3
	v_ffbh_u32_e32 v8, v3
	v_min_u32_e32 v8, 32, v8
	v_lshrrev_b32_e32 v6, 27, v5
	v_subrev_u32_e32 v9, 28, v8
	v_and_b32_e32 v4, 0x80000000, v5
	v_and_b32_e32 v6, 15, v6
	v_bfe_u32 v7, v5, 27, 4
	v_lshlrev_b32_sdwa v5, v9, v5 dst_sel:DWORD dst_unused:UNUSED_PAD src0_sel:DWORD src1_sel:BYTE_3
	v_sub_u32_e32 v8, 29, v8
	v_and_b32_e32 v5, 7, v5
	v_cmp_eq_u16_e32 vcc, 0, v6
	v_cndmask_b32_e32 v3, v3, v5, vcc
	v_cndmask_b32_e32 v5, v7, v8, vcc
	v_mov_b32_e32 v6, 0x3b800000
	v_lshlrev_b32_e32 v3, 20, v3
	v_lshl_add_u32 v5, v5, 23, v6
	v_or3_b32 v3, v4, v5, v3
.LBB2_8576:
	s_or_b64 exec, exec, s[6:7]
	s_nop 0
	v_mfma_f32_16x16x4f32 a[0:3], v2, v3, a[0:3]
	s_movk_i32 s4, 0x7f
                                        ; implicit-def: $sgpr10
	s_nop 7
	s_nop 1
	flat_store_dwordx4 v[10:11], a[0:3] offset:160
	flat_load_dwordx4 v[12:15], v[0:1]
	s_nop 0
	flat_load_dwordx2 v[10:11], v[0:1] offset:16
	s_waitcnt vmcnt(0) lgkmcnt(0)
	flat_load_dwordx4 v[6:9], v[12:13] offset:128
	flat_load_dwordx4 v[2:5], v[14:15] offset:176
	s_waitcnt vmcnt(0) lgkmcnt(0)
	v_cmp_gt_i16_sdwa s[6:7], v6, s4 src0_sel:BYTE_0 src1_sel:DWORD
	s_mov_b64 s[4:5], 0
	s_and_saveexec_b64 s[8:9], s[6:7]
	s_xor_b64 s[6:7], exec, s[8:9]
	s_cbranch_execz .LBB2_8577
; %bb.44417:
	s_getpc_b64 s[14:15]
.Lpost_getpc25792:
	s_add_u32 s14, s14, (.LBB2_22913-.Lpost_getpc25792)&4294967295
	s_addc_u32 s15, s15, (.LBB2_22913-.Lpost_getpc25792)>>32
	s_setpc_b64 s[14:15]
.LBB2_8577:
	s_or_saveexec_b64 s[6:7], s[6:7]
	v_mov_b32_e32 v12, s10
	s_xor_b64 exec, exec, s[6:7]
	s_cbranch_execz .LBB2_8578
; %bb.44419:
	s_getpc_b64 s[14:15]
.Lpost_getpc25793:
	s_add_u32 s14, s14, (.LBB2_22916-.Lpost_getpc25793)&4294967295
	s_addc_u32 s15, s15, (.LBB2_22916-.Lpost_getpc25793)>>32
	s_setpc_b64 s[14:15]
.LBB2_8578:
	s_or_b64 exec, exec, s[6:7]
	s_and_saveexec_b64 s[6:7], s[4:5]
	s_cbranch_execz .LBB2_8580
.LBB2_8579:
	v_and_b32_e32 v12, 7, v6
	v_ffbh_u32_e32 v14, v12
	v_min_u32_e32 v14, 32, v14
	v_lshrrev_b16_e32 v13, 3, v6
	v_subrev_u32_e32 v15, 28, v14
	v_and_b32_e32 v13, 15, v13
	v_lshlrev_b32_e32 v15, v15, v6
	v_sub_u32_e32 v14, 29, v14
	v_and_b32_e32 v15, 7, v15
	v_cmp_eq_u16_e32 vcc, 0, v13
	v_cndmask_b32_e32 v12, v12, v15, vcc
	v_cndmask_b32_e32 v13, v13, v14, vcc
	v_lshlrev_b32_e32 v14, 24, v6
	v_mov_b32_e32 v15, 0x3b800000
	v_lshlrev_b32_e32 v12, 20, v12
	v_and_b32_e32 v14, 0x80000000, v14
	v_lshl_add_u32 v13, v13, 23, v15
	v_or3_b32 v12, v14, v13, v12
.LBB2_8580:
	s_or_b64 exec, exec, s[6:7]
	s_movk_i32 s4, 0x7f
	v_cmp_gt_i16_sdwa s[6:7], v2, s4 src0_sel:BYTE_0 src1_sel:DWORD
	s_mov_b64 s[4:5], 0
                                        ; implicit-def: $sgpr10
	s_and_saveexec_b64 s[8:9], s[6:7]
	s_xor_b64 s[6:7], exec, s[8:9]
	s_cbranch_execz .LBB2_8581
; %bb.44421:
	s_getpc_b64 s[14:15]
.Lpost_getpc25794:
	s_add_u32 s14, s14, (.LBB2_22917-.Lpost_getpc25794)&4294967295
	s_addc_u32 s15, s15, (.LBB2_22917-.Lpost_getpc25794)>>32
	s_setpc_b64 s[14:15]
.LBB2_8581:
	s_or_saveexec_b64 s[6:7], s[6:7]
	v_mov_b32_e32 v13, s10
	s_xor_b64 exec, exec, s[6:7]
	s_cbranch_execz .LBB2_8582
; %bb.44423:
	s_getpc_b64 s[14:15]
.Lpost_getpc25795:
	s_add_u32 s14, s14, (.LBB2_22920-.Lpost_getpc25795)&4294967295
	s_addc_u32 s15, s15, (.LBB2_22920-.Lpost_getpc25795)>>32
	s_setpc_b64 s[14:15]
.LBB2_8582:
	s_or_b64 exec, exec, s[6:7]
	s_and_saveexec_b64 s[6:7], s[4:5]
	s_cbranch_execz .LBB2_8584
.LBB2_8583:
	v_and_b32_e32 v13, 7, v2
	v_ffbh_u32_e32 v15, v13
	v_min_u32_e32 v15, 32, v15
	v_lshrrev_b16_e32 v14, 3, v2
	v_subrev_u32_e32 v16, 28, v15
	v_and_b32_e32 v14, 15, v14
	v_lshlrev_b32_e32 v16, v16, v2
	v_sub_u32_e32 v15, 29, v15
	v_and_b32_e32 v16, 7, v16
	v_cmp_eq_u16_e32 vcc, 0, v14
	v_cndmask_b32_e32 v13, v13, v16, vcc
	v_cndmask_b32_e32 v14, v14, v15, vcc
	v_lshlrev_b32_e32 v15, 24, v2
	v_mov_b32_e32 v16, 0x3b800000
	v_lshlrev_b32_e32 v13, 20, v13
	v_and_b32_e32 v15, 0x80000000, v15
	v_lshl_add_u32 v14, v14, 23, v16
	v_or3_b32 v13, v15, v14, v13
.LBB2_8584:
	s_or_b64 exec, exec, s[6:7]
	flat_load_dwordx4 a[0:3], v[10:11] offset:176
	s_movk_i32 s4, 0x7f
                                        ; implicit-def: $sgpr10
	s_waitcnt vmcnt(0) lgkmcnt(0)
	v_mfma_f32_16x16x4f32 a[0:3], v12, v13, a[0:3]
	v_lshrrev_b32_e32 v13, 8, v6
	v_cmp_gt_i16_sdwa s[6:7], v13, s4 src0_sel:BYTE_0 src1_sel:DWORD
	s_mov_b64 s[4:5], 0
	s_and_saveexec_b64 s[8:9], s[6:7]
	s_xor_b64 s[6:7], exec, s[8:9]
	s_cbranch_execz .LBB2_8585
; %bb.44425:
	s_getpc_b64 s[14:15]
.Lpost_getpc25796:
	s_add_u32 s14, s14, (.LBB2_22921-.Lpost_getpc25796)&4294967295
	s_addc_u32 s15, s15, (.LBB2_22921-.Lpost_getpc25796)>>32
	s_setpc_b64 s[14:15]
.LBB2_8585:
	s_or_saveexec_b64 s[6:7], s[6:7]
	v_mov_b32_e32 v12, s10
	s_xor_b64 exec, exec, s[6:7]
	s_cbranch_execz .LBB2_8586
; %bb.44427:
	s_getpc_b64 s[14:15]
.Lpost_getpc25797:
	s_add_u32 s14, s14, (.LBB2_22924-.Lpost_getpc25797)&4294967295
	s_addc_u32 s15, s15, (.LBB2_22924-.Lpost_getpc25797)>>32
	s_setpc_b64 s[14:15]
.LBB2_8586:
	s_or_b64 exec, exec, s[6:7]
	s_and_saveexec_b64 s[6:7], s[4:5]
	s_cbranch_execz .LBB2_8588
.LBB2_8587:
	v_bfe_u32 v12, v6, 8, 3
	v_ffbh_u32_e32 v15, v12
	v_min_u32_e32 v15, 32, v15
	v_lshrrev_b16_e32 v14, 3, v13
	v_subrev_u32_e32 v16, 28, v15
	v_and_b32_e32 v14, 15, v14
	v_lshlrev_b32_e32 v13, v16, v13
	v_sub_u32_e32 v15, 29, v15
	v_and_b32_e32 v13, 7, v13
	v_cmp_eq_u16_e32 vcc, 0, v14
	v_cndmask_b32_e32 v12, v12, v13, vcc
	v_cndmask_b32_e32 v13, v14, v15, vcc
	v_lshlrev_b32_e32 v14, 16, v6
	v_mov_b32_e32 v15, 0x3b800000
	v_lshlrev_b32_e32 v12, 20, v12
	v_and_b32_e32 v14, 0x80000000, v14
	v_lshl_add_u32 v13, v13, 23, v15
	v_or3_b32 v12, v14, v13, v12
.LBB2_8588:
	s_or_b64 exec, exec, s[6:7]
	v_lshrrev_b32_e32 v13, 8, v2
	s_movk_i32 s4, 0x7f
	v_cmp_gt_i16_sdwa s[6:7], v13, s4 src0_sel:BYTE_0 src1_sel:DWORD
	s_mov_b64 s[4:5], 0
                                        ; implicit-def: $sgpr10
	s_and_saveexec_b64 s[8:9], s[6:7]
	s_xor_b64 s[6:7], exec, s[8:9]
	s_cbranch_execz .LBB2_8589
; %bb.44429:
	s_getpc_b64 s[14:15]
.Lpost_getpc25798:
	s_add_u32 s14, s14, (.LBB2_22925-.Lpost_getpc25798)&4294967295
	s_addc_u32 s15, s15, (.LBB2_22925-.Lpost_getpc25798)>>32
	s_setpc_b64 s[14:15]
.LBB2_8589:
	s_or_saveexec_b64 s[6:7], s[6:7]
	v_mov_b32_e32 v14, s10
	s_xor_b64 exec, exec, s[6:7]
	s_cbranch_execz .LBB2_8590
; %bb.44431:
	s_getpc_b64 s[14:15]
.Lpost_getpc25799:
	s_add_u32 s14, s14, (.LBB2_22928-.Lpost_getpc25799)&4294967295
	s_addc_u32 s15, s15, (.LBB2_22928-.Lpost_getpc25799)>>32
	s_setpc_b64 s[14:15]
.LBB2_8590:
	s_or_b64 exec, exec, s[6:7]
	s_and_saveexec_b64 s[6:7], s[4:5]
	s_cbranch_execz .LBB2_8592
.LBB2_8591:
	v_bfe_u32 v14, v2, 8, 3
	v_ffbh_u32_e32 v16, v14
	v_min_u32_e32 v16, 32, v16
	v_lshrrev_b16_e32 v15, 3, v13
	v_subrev_u32_e32 v17, 28, v16
	v_and_b32_e32 v15, 15, v15
	v_lshlrev_b32_e32 v13, v17, v13
	v_sub_u32_e32 v16, 29, v16
	v_and_b32_e32 v13, 7, v13
	v_cmp_eq_u16_e32 vcc, 0, v15
	v_cndmask_b32_e32 v13, v14, v13, vcc
	v_cndmask_b32_e32 v14, v15, v16, vcc
	v_lshlrev_b32_e32 v15, 16, v2
	v_mov_b32_e32 v16, 0x3b800000
	v_lshlrev_b32_e32 v13, 20, v13
	v_and_b32_e32 v15, 0x80000000, v15
	v_lshl_add_u32 v14, v14, 23, v16
	v_or3_b32 v14, v15, v14, v13
.LBB2_8592:
	s_or_b64 exec, exec, s[6:7]
	s_nop 0
	v_mfma_f32_16x16x4f32 a[0:3], v12, v14, a[0:3]
	s_movk_i32 s4, 0xff
	v_and_b32_sdwa v13, v6, s4 dst_sel:DWORD dst_unused:UNUSED_PAD src0_sel:WORD_1 src1_sel:DWORD
	s_movk_i32 s4, 0x7f
	v_cmp_lt_i16_e32 vcc, s4, v13
	s_mov_b64 s[4:5], 0
                                        ; implicit-def: $sgpr10
	s_and_saveexec_b64 s[6:7], vcc
	s_xor_b64 s[6:7], exec, s[6:7]
	s_cbranch_execz .LBB2_8593
; %bb.44433:
	s_getpc_b64 s[14:15]
.Lpost_getpc25800:
	s_add_u32 s14, s14, (.LBB2_22929-.Lpost_getpc25800)&4294967295
	s_addc_u32 s15, s15, (.LBB2_22929-.Lpost_getpc25800)>>32
	s_setpc_b64 s[14:15]
.LBB2_8593:
	s_or_saveexec_b64 s[6:7], s[6:7]
	v_mov_b32_e32 v12, s10
	s_xor_b64 exec, exec, s[6:7]
	s_cbranch_execz .LBB2_8594
; %bb.44435:
	s_getpc_b64 s[14:15]
.Lpost_getpc25801:
	s_add_u32 s14, s14, (.LBB2_22932-.Lpost_getpc25801)&4294967295
	s_addc_u32 s15, s15, (.LBB2_22932-.Lpost_getpc25801)>>32
	s_setpc_b64 s[14:15]
.LBB2_8594:
	s_or_b64 exec, exec, s[6:7]
	s_and_saveexec_b64 s[6:7], s[4:5]
	s_cbranch_execz .LBB2_8596
.LBB2_8595:
	v_bfe_u32 v12, v6, 16, 3
	v_ffbh_u32_e32 v15, v12
	v_min_u32_e32 v15, 32, v15
	v_lshrrev_b32_e32 v13, 19, v6
	v_subrev_u32_e32 v16, 28, v15
	v_and_b32_e32 v13, 15, v13
	v_lshlrev_b32_sdwa v16, v16, v6 dst_sel:DWORD dst_unused:UNUSED_PAD src0_sel:DWORD src1_sel:WORD_1
	v_bfe_u32 v14, v6, 19, 4
	v_sub_u32_e32 v15, 29, v15
	v_and_b32_e32 v16, 7, v16
	v_cmp_eq_u16_e32 vcc, 0, v13
	v_cndmask_b32_e32 v12, v12, v16, vcc
	v_cndmask_b32_e32 v13, v14, v15, vcc
	v_lshlrev_b32_e32 v14, 8, v6
	v_mov_b32_e32 v15, 0x3b800000
	v_lshlrev_b32_e32 v12, 20, v12
	v_and_b32_e32 v14, 0x80000000, v14
	v_lshl_add_u32 v13, v13, 23, v15
	v_or3_b32 v12, v14, v13, v12
.LBB2_8596:
	s_or_b64 exec, exec, s[6:7]
	s_movk_i32 s4, 0xff
	v_and_b32_sdwa v13, v2, s4 dst_sel:DWORD dst_unused:UNUSED_PAD src0_sel:WORD_1 src1_sel:DWORD
	s_movk_i32 s4, 0x7f
	v_cmp_lt_i16_e32 vcc, s4, v13
	s_mov_b64 s[4:5], 0
                                        ; implicit-def: $sgpr10
	s_and_saveexec_b64 s[6:7], vcc
	s_xor_b64 s[6:7], exec, s[6:7]
	s_cbranch_execz .LBB2_8597
; %bb.44437:
	s_getpc_b64 s[14:15]
.Lpost_getpc25802:
	s_add_u32 s14, s14, (.LBB2_22933-.Lpost_getpc25802)&4294967295
	s_addc_u32 s15, s15, (.LBB2_22933-.Lpost_getpc25802)>>32
	s_setpc_b64 s[14:15]
.LBB2_8597:
	s_or_saveexec_b64 s[6:7], s[6:7]
	v_mov_b32_e32 v14, s10
	s_xor_b64 exec, exec, s[6:7]
	s_cbranch_execz .LBB2_8598
; %bb.44439:
	s_getpc_b64 s[14:15]
.Lpost_getpc25803:
	s_add_u32 s14, s14, (.LBB2_22936-.Lpost_getpc25803)&4294967295
	s_addc_u32 s15, s15, (.LBB2_22936-.Lpost_getpc25803)>>32
	s_setpc_b64 s[14:15]
.LBB2_8598:
	s_or_b64 exec, exec, s[6:7]
	s_and_saveexec_b64 s[6:7], s[4:5]
	s_cbranch_execz .LBB2_8600
.LBB2_8599:
	v_bfe_u32 v13, v2, 16, 3
	v_ffbh_u32_e32 v16, v13
	v_min_u32_e32 v16, 32, v16
	v_lshrrev_b32_e32 v14, 19, v2
	v_subrev_u32_e32 v17, 28, v16
	v_and_b32_e32 v14, 15, v14
	v_lshlrev_b32_sdwa v17, v17, v2 dst_sel:DWORD dst_unused:UNUSED_PAD src0_sel:DWORD src1_sel:WORD_1
	v_bfe_u32 v15, v2, 19, 4
	v_sub_u32_e32 v16, 29, v16
	v_and_b32_e32 v17, 7, v17
	v_cmp_eq_u16_e32 vcc, 0, v14
	v_cndmask_b32_e32 v13, v13, v17, vcc
	v_cndmask_b32_e32 v14, v15, v16, vcc
	v_lshlrev_b32_e32 v15, 8, v2
	v_mov_b32_e32 v16, 0x3b800000
	v_lshlrev_b32_e32 v13, 20, v13
	v_and_b32_e32 v15, 0x80000000, v15
	v_lshl_add_u32 v14, v14, 23, v16
	v_or3_b32 v14, v15, v14, v13
.LBB2_8600:
	s_or_b64 exec, exec, s[6:7]
	s_nop 0
	v_mfma_f32_16x16x4f32 a[0:3], v12, v14, a[0:3]
	s_movk_i32 s4, 0x7f
	v_cmp_gt_i16_sdwa s[6:7], v6, s4 src0_sel:BYTE_3 src1_sel:DWORD
	s_mov_b64 s[4:5], 0
                                        ; implicit-def: $sgpr10
	s_and_saveexec_b64 s[8:9], s[6:7]
	s_xor_b64 s[6:7], exec, s[8:9]
	s_cbranch_execz .LBB2_8601
; %bb.44441:
	s_getpc_b64 s[14:15]
.Lpost_getpc25804:
	s_add_u32 s14, s14, (.LBB2_22937-.Lpost_getpc25804)&4294967295
	s_addc_u32 s15, s15, (.LBB2_22937-.Lpost_getpc25804)>>32
	s_setpc_b64 s[14:15]
.LBB2_8601:
	s_or_saveexec_b64 s[6:7], s[6:7]
	v_mov_b32_e32 v12, s10
	s_xor_b64 exec, exec, s[6:7]
	s_cbranch_execz .LBB2_8602
; %bb.44443:
	s_getpc_b64 s[14:15]
.Lpost_getpc25805:
	s_add_u32 s14, s14, (.LBB2_22940-.Lpost_getpc25805)&4294967295
	s_addc_u32 s15, s15, (.LBB2_22940-.Lpost_getpc25805)>>32
	s_setpc_b64 s[14:15]
.LBB2_8602:
	s_or_b64 exec, exec, s[6:7]
	s_and_saveexec_b64 s[6:7], s[4:5]
	s_cbranch_execz .LBB2_8604
.LBB2_8603:
	v_bfe_u32 v12, v6, 24, 3
	v_ffbh_u32_e32 v16, v12
	v_min_u32_e32 v16, 32, v16
	v_lshrrev_b32_e32 v14, 27, v6
	v_subrev_u32_e32 v17, 28, v16
	v_and_b32_e32 v13, 0x80000000, v6
	v_and_b32_e32 v14, 15, v14
	v_bfe_u32 v15, v6, 27, 4
	v_lshlrev_b32_sdwa v6, v17, v6 dst_sel:DWORD dst_unused:UNUSED_PAD src0_sel:DWORD src1_sel:BYTE_3
	v_sub_u32_e32 v16, 29, v16
	v_and_b32_e32 v6, 7, v6
	v_cmp_eq_u16_e32 vcc, 0, v14
	v_cndmask_b32_e32 v6, v12, v6, vcc
	v_cndmask_b32_e32 v12, v15, v16, vcc
	v_mov_b32_e32 v14, 0x3b800000
	v_lshlrev_b32_e32 v6, 20, v6
	v_lshl_add_u32 v12, v12, 23, v14
	v_or3_b32 v12, v13, v12, v6
.LBB2_8604:
	s_or_b64 exec, exec, s[6:7]
	s_movk_i32 s4, 0x7f
	v_cmp_gt_i16_sdwa s[6:7], v2, s4 src0_sel:BYTE_3 src1_sel:DWORD
	s_mov_b64 s[4:5], 0
                                        ; implicit-def: $sgpr10
	s_and_saveexec_b64 s[8:9], s[6:7]
	s_xor_b64 s[6:7], exec, s[8:9]
	s_cbranch_execz .LBB2_8605
; %bb.44445:
	s_getpc_b64 s[14:15]
.Lpost_getpc25806:
	s_add_u32 s14, s14, (.LBB2_22941-.Lpost_getpc25806)&4294967295
	s_addc_u32 s15, s15, (.LBB2_22941-.Lpost_getpc25806)>>32
	s_setpc_b64 s[14:15]
.LBB2_8605:
	s_or_saveexec_b64 s[6:7], s[6:7]
	v_mov_b32_e32 v6, s10
	s_xor_b64 exec, exec, s[6:7]
	s_cbranch_execz .LBB2_8606
; %bb.44447:
	s_getpc_b64 s[14:15]
.Lpost_getpc25807:
	s_add_u32 s14, s14, (.LBB2_22944-.Lpost_getpc25807)&4294967295
	s_addc_u32 s15, s15, (.LBB2_22944-.Lpost_getpc25807)>>32
	s_setpc_b64 s[14:15]
.LBB2_8606:
	s_or_b64 exec, exec, s[6:7]
	s_and_saveexec_b64 s[6:7], s[4:5]
	s_cbranch_execz .LBB2_8608
.LBB2_8607:
	v_bfe_u32 v6, v2, 24, 3
	v_ffbh_u32_e32 v16, v6
	v_min_u32_e32 v16, 32, v16
	v_lshrrev_b32_e32 v14, 27, v2
	v_subrev_u32_e32 v17, 28, v16
	v_and_b32_e32 v13, 0x80000000, v2
	v_and_b32_e32 v14, 15, v14
	v_bfe_u32 v15, v2, 27, 4
	v_lshlrev_b32_sdwa v2, v17, v2 dst_sel:DWORD dst_unused:UNUSED_PAD src0_sel:DWORD src1_sel:BYTE_3
	v_sub_u32_e32 v16, 29, v16
	v_and_b32_e32 v2, 7, v2
	v_cmp_eq_u16_e32 vcc, 0, v14
	v_cndmask_b32_e32 v2, v6, v2, vcc
	v_cndmask_b32_e32 v6, v15, v16, vcc
	v_mov_b32_e32 v14, 0x3b800000
	v_lshlrev_b32_e32 v2, 20, v2
	v_lshl_add_u32 v6, v6, 23, v14
	v_or3_b32 v6, v13, v6, v2
.LBB2_8608:
	s_or_b64 exec, exec, s[6:7]
	s_nop 0
	v_mfma_f32_16x16x4f32 a[0:3], v12, v6, a[0:3]
	s_movk_i32 s4, 0x7f
	v_cmp_gt_i16_sdwa s[6:7], v7, s4 src0_sel:BYTE_0 src1_sel:DWORD
	s_mov_b64 s[4:5], 0
                                        ; implicit-def: $sgpr10
	s_and_saveexec_b64 s[8:9], s[6:7]
	s_xor_b64 s[6:7], exec, s[8:9]
	s_cbranch_execz .LBB2_8609
; %bb.44449:
	s_getpc_b64 s[14:15]
.Lpost_getpc25808:
	s_add_u32 s14, s14, (.LBB2_22945-.Lpost_getpc25808)&4294967295
	s_addc_u32 s15, s15, (.LBB2_22945-.Lpost_getpc25808)>>32
	s_setpc_b64 s[14:15]
.LBB2_8609:
	s_or_saveexec_b64 s[6:7], s[6:7]
	v_mov_b32_e32 v2, s10
	s_xor_b64 exec, exec, s[6:7]
	s_cbranch_execz .LBB2_8610
; %bb.44451:
	s_getpc_b64 s[14:15]
.Lpost_getpc25809:
	s_add_u32 s14, s14, (.LBB2_22948-.Lpost_getpc25809)&4294967295
	s_addc_u32 s15, s15, (.LBB2_22948-.Lpost_getpc25809)>>32
	s_setpc_b64 s[14:15]
.LBB2_8610:
	s_or_b64 exec, exec, s[6:7]
	s_and_saveexec_b64 s[6:7], s[4:5]
	s_cbranch_execz .LBB2_8612
.LBB2_8611:
	v_and_b32_e32 v2, 7, v7
	v_ffbh_u32_e32 v12, v2
	v_min_u32_e32 v12, 32, v12
	v_lshrrev_b16_e32 v6, 3, v7
	v_subrev_u32_e32 v13, 28, v12
	v_and_b32_e32 v6, 15, v6
	v_lshlrev_b32_e32 v13, v13, v7
	v_sub_u32_e32 v12, 29, v12
	v_and_b32_e32 v13, 7, v13
	v_cmp_eq_u16_e32 vcc, 0, v6
	v_cndmask_b32_e32 v2, v2, v13, vcc
	v_cndmask_b32_e32 v6, v6, v12, vcc
	v_lshlrev_b32_e32 v12, 24, v7
	v_mov_b32_e32 v13, 0x3b800000
	v_lshlrev_b32_e32 v2, 20, v2
	v_and_b32_e32 v12, 0x80000000, v12
	v_lshl_add_u32 v6, v6, 23, v13
	v_or3_b32 v2, v12, v6, v2
.LBB2_8612:
	s_or_b64 exec, exec, s[6:7]
	s_movk_i32 s4, 0x7f
	v_cmp_gt_i16_sdwa s[6:7], v3, s4 src0_sel:BYTE_0 src1_sel:DWORD
	s_mov_b64 s[4:5], 0
                                        ; implicit-def: $sgpr10
	s_and_saveexec_b64 s[8:9], s[6:7]
	s_xor_b64 s[6:7], exec, s[8:9]
	s_cbranch_execz .LBB2_8613
; %bb.44453:
	s_getpc_b64 s[14:15]
.Lpost_getpc25810:
	s_add_u32 s14, s14, (.LBB2_22949-.Lpost_getpc25810)&4294967295
	s_addc_u32 s15, s15, (.LBB2_22949-.Lpost_getpc25810)>>32
	s_setpc_b64 s[14:15]
.LBB2_8613:
	s_or_saveexec_b64 s[6:7], s[6:7]
	v_mov_b32_e32 v6, s10
	s_xor_b64 exec, exec, s[6:7]
	s_cbranch_execz .LBB2_8614
; %bb.44455:
	s_getpc_b64 s[14:15]
.Lpost_getpc25811:
	s_add_u32 s14, s14, (.LBB2_22952-.Lpost_getpc25811)&4294967295
	s_addc_u32 s15, s15, (.LBB2_22952-.Lpost_getpc25811)>>32
	s_setpc_b64 s[14:15]
.LBB2_8614:
	s_or_b64 exec, exec, s[6:7]
	s_and_saveexec_b64 s[6:7], s[4:5]
	s_cbranch_execz .LBB2_8616
.LBB2_8615:
	v_and_b32_e32 v6, 7, v3
	v_ffbh_u32_e32 v13, v6
	v_min_u32_e32 v13, 32, v13
	v_lshrrev_b16_e32 v12, 3, v3
	v_subrev_u32_e32 v14, 28, v13
	v_and_b32_e32 v12, 15, v12
	v_lshlrev_b32_e32 v14, v14, v3
	v_sub_u32_e32 v13, 29, v13
	v_and_b32_e32 v14, 7, v14
	v_cmp_eq_u16_e32 vcc, 0, v12
	v_cndmask_b32_e32 v6, v6, v14, vcc
	v_cndmask_b32_e32 v12, v12, v13, vcc
	v_lshlrev_b32_e32 v13, 24, v3
	v_mov_b32_e32 v14, 0x3b800000
	v_lshlrev_b32_e32 v6, 20, v6
	v_and_b32_e32 v13, 0x80000000, v13
	v_lshl_add_u32 v12, v12, 23, v14
	v_or3_b32 v6, v13, v12, v6
.LBB2_8616:
	s_or_b64 exec, exec, s[6:7]
	s_nop 0
	v_mfma_f32_16x16x4f32 a[0:3], v2, v6, a[0:3]
	v_lshrrev_b32_e32 v6, 8, v7
	s_movk_i32 s4, 0x7f
	v_cmp_gt_i16_sdwa s[6:7], v6, s4 src0_sel:BYTE_0 src1_sel:DWORD
	s_mov_b64 s[4:5], 0
                                        ; implicit-def: $sgpr10
	s_and_saveexec_b64 s[8:9], s[6:7]
	s_xor_b64 s[6:7], exec, s[8:9]
	s_cbranch_execz .LBB2_8617
; %bb.44457:
	s_getpc_b64 s[14:15]
.Lpost_getpc25812:
	s_add_u32 s14, s14, (.LBB2_22953-.Lpost_getpc25812)&4294967295
	s_addc_u32 s15, s15, (.LBB2_22953-.Lpost_getpc25812)>>32
	s_setpc_b64 s[14:15]
.LBB2_8617:
	s_or_saveexec_b64 s[6:7], s[6:7]
	v_mov_b32_e32 v2, s10
	s_xor_b64 exec, exec, s[6:7]
	s_cbranch_execz .LBB2_8618
; %bb.44459:
	s_getpc_b64 s[14:15]
.Lpost_getpc25813:
	s_add_u32 s14, s14, (.LBB2_22956-.Lpost_getpc25813)&4294967295
	s_addc_u32 s15, s15, (.LBB2_22956-.Lpost_getpc25813)>>32
	s_setpc_b64 s[14:15]
.LBB2_8618:
	s_or_b64 exec, exec, s[6:7]
	s_and_saveexec_b64 s[6:7], s[4:5]
	s_cbranch_execz .LBB2_8620
.LBB2_8619:
	v_bfe_u32 v2, v7, 8, 3
	v_ffbh_u32_e32 v13, v2
	v_min_u32_e32 v13, 32, v13
	v_lshrrev_b16_e32 v12, 3, v6
	v_subrev_u32_e32 v14, 28, v13
	v_and_b32_e32 v12, 15, v12
	v_lshlrev_b32_e32 v6, v14, v6
	v_sub_u32_e32 v13, 29, v13
	v_and_b32_e32 v6, 7, v6
	v_cmp_eq_u16_e32 vcc, 0, v12
	v_cndmask_b32_e32 v2, v2, v6, vcc
	v_cndmask_b32_e32 v6, v12, v13, vcc
	v_lshlrev_b32_e32 v12, 16, v7
	v_mov_b32_e32 v13, 0x3b800000
	v_lshlrev_b32_e32 v2, 20, v2
	v_and_b32_e32 v12, 0x80000000, v12
	v_lshl_add_u32 v6, v6, 23, v13
	v_or3_b32 v2, v12, v6, v2
.LBB2_8620:
	s_or_b64 exec, exec, s[6:7]
	v_lshrrev_b32_e32 v6, 8, v3
	s_movk_i32 s4, 0x7f
	v_cmp_gt_i16_sdwa s[6:7], v6, s4 src0_sel:BYTE_0 src1_sel:DWORD
	s_mov_b64 s[4:5], 0
                                        ; implicit-def: $sgpr10
	s_and_saveexec_b64 s[8:9], s[6:7]
	s_xor_b64 s[6:7], exec, s[8:9]
	s_cbranch_execz .LBB2_8621
; %bb.44461:
	s_getpc_b64 s[14:15]
.Lpost_getpc25814:
	s_add_u32 s14, s14, (.LBB2_22957-.Lpost_getpc25814)&4294967295
	s_addc_u32 s15, s15, (.LBB2_22957-.Lpost_getpc25814)>>32
	s_setpc_b64 s[14:15]
.LBB2_8621:
	s_or_saveexec_b64 s[6:7], s[6:7]
	v_mov_b32_e32 v12, s10
	s_xor_b64 exec, exec, s[6:7]
	s_cbranch_execz .LBB2_8622
; %bb.44463:
	s_getpc_b64 s[14:15]
.Lpost_getpc25815:
	s_add_u32 s14, s14, (.LBB2_22960-.Lpost_getpc25815)&4294967295
	s_addc_u32 s15, s15, (.LBB2_22960-.Lpost_getpc25815)>>32
	s_setpc_b64 s[14:15]
.LBB2_8622:
	s_or_b64 exec, exec, s[6:7]
	s_and_saveexec_b64 s[6:7], s[4:5]
	s_cbranch_execz .LBB2_8624
.LBB2_8623:
	v_bfe_u32 v12, v3, 8, 3
	v_ffbh_u32_e32 v14, v12
	v_min_u32_e32 v14, 32, v14
	v_lshrrev_b16_e32 v13, 3, v6
	v_subrev_u32_e32 v15, 28, v14
	v_and_b32_e32 v13, 15, v13
	v_lshlrev_b32_e32 v6, v15, v6
	v_sub_u32_e32 v14, 29, v14
	v_and_b32_e32 v6, 7, v6
	v_cmp_eq_u16_e32 vcc, 0, v13
	v_cndmask_b32_e32 v6, v12, v6, vcc
	v_cndmask_b32_e32 v12, v13, v14, vcc
	v_lshlrev_b32_e32 v13, 16, v3
	v_mov_b32_e32 v14, 0x3b800000
	v_lshlrev_b32_e32 v6, 20, v6
	v_and_b32_e32 v13, 0x80000000, v13
	v_lshl_add_u32 v12, v12, 23, v14
	v_or3_b32 v12, v13, v12, v6
.LBB2_8624:
	s_or_b64 exec, exec, s[6:7]
	s_nop 0
	v_mfma_f32_16x16x4f32 a[0:3], v2, v12, a[0:3]
	s_movk_i32 s4, 0xff
	v_and_b32_sdwa v6, v7, s4 dst_sel:DWORD dst_unused:UNUSED_PAD src0_sel:WORD_1 src1_sel:DWORD
	s_movk_i32 s4, 0x7f
	v_cmp_lt_i16_e32 vcc, s4, v6
	s_mov_b64 s[4:5], 0
                                        ; implicit-def: $sgpr10
	s_and_saveexec_b64 s[6:7], vcc
	s_xor_b64 s[6:7], exec, s[6:7]
	s_cbranch_execz .LBB2_8625
; %bb.44465:
	s_getpc_b64 s[14:15]
.Lpost_getpc25816:
	s_add_u32 s14, s14, (.LBB2_22961-.Lpost_getpc25816)&4294967295
	s_addc_u32 s15, s15, (.LBB2_22961-.Lpost_getpc25816)>>32
	s_setpc_b64 s[14:15]
.LBB2_8625:
	s_or_saveexec_b64 s[6:7], s[6:7]
	v_mov_b32_e32 v2, s10
	s_xor_b64 exec, exec, s[6:7]
	s_cbranch_execz .LBB2_8626
; %bb.44467:
	s_getpc_b64 s[14:15]
.Lpost_getpc25817:
	s_add_u32 s14, s14, (.LBB2_22964-.Lpost_getpc25817)&4294967295
	s_addc_u32 s15, s15, (.LBB2_22964-.Lpost_getpc25817)>>32
	s_setpc_b64 s[14:15]
.LBB2_8626:
	s_or_b64 exec, exec, s[6:7]
	s_and_saveexec_b64 s[6:7], s[4:5]
	s_cbranch_execz .LBB2_8628
.LBB2_8627:
	v_bfe_u32 v2, v7, 16, 3
	v_ffbh_u32_e32 v13, v2
	v_min_u32_e32 v13, 32, v13
	v_lshrrev_b32_e32 v6, 19, v7
	v_subrev_u32_e32 v14, 28, v13
	v_and_b32_e32 v6, 15, v6
	v_lshlrev_b32_sdwa v14, v14, v7 dst_sel:DWORD dst_unused:UNUSED_PAD src0_sel:DWORD src1_sel:WORD_1
	v_bfe_u32 v12, v7, 19, 4
	v_sub_u32_e32 v13, 29, v13
	v_and_b32_e32 v14, 7, v14
	v_cmp_eq_u16_e32 vcc, 0, v6
	v_cndmask_b32_e32 v2, v2, v14, vcc
	v_cndmask_b32_e32 v6, v12, v13, vcc
	v_lshlrev_b32_e32 v12, 8, v7
	v_mov_b32_e32 v13, 0x3b800000
	v_lshlrev_b32_e32 v2, 20, v2
	v_and_b32_e32 v12, 0x80000000, v12
	v_lshl_add_u32 v6, v6, 23, v13
	v_or3_b32 v2, v12, v6, v2
.LBB2_8628:
	s_or_b64 exec, exec, s[6:7]
	s_movk_i32 s4, 0xff
	v_and_b32_sdwa v6, v3, s4 dst_sel:DWORD dst_unused:UNUSED_PAD src0_sel:WORD_1 src1_sel:DWORD
	s_movk_i32 s4, 0x7f
	v_cmp_lt_i16_e32 vcc, s4, v6
	s_mov_b64 s[4:5], 0
                                        ; implicit-def: $sgpr10
	s_and_saveexec_b64 s[6:7], vcc
	s_xor_b64 s[6:7], exec, s[6:7]
	s_cbranch_execz .LBB2_8629
; %bb.44469:
	s_getpc_b64 s[14:15]
.Lpost_getpc25818:
	s_add_u32 s14, s14, (.LBB2_22965-.Lpost_getpc25818)&4294967295
	s_addc_u32 s15, s15, (.LBB2_22965-.Lpost_getpc25818)>>32
	s_setpc_b64 s[14:15]
.LBB2_8629:
	s_or_saveexec_b64 s[6:7], s[6:7]
	v_mov_b32_e32 v12, s10
	s_xor_b64 exec, exec, s[6:7]
	s_cbranch_execz .LBB2_8630
; %bb.44471:
	s_getpc_b64 s[14:15]
.Lpost_getpc25819:
	s_add_u32 s14, s14, (.LBB2_22968-.Lpost_getpc25819)&4294967295
	s_addc_u32 s15, s15, (.LBB2_22968-.Lpost_getpc25819)>>32
	s_setpc_b64 s[14:15]
.LBB2_8630:
	s_or_b64 exec, exec, s[6:7]
	s_and_saveexec_b64 s[6:7], s[4:5]
	s_cbranch_execz .LBB2_8632
.LBB2_8631:
	v_bfe_u32 v6, v3, 16, 3
	v_ffbh_u32_e32 v14, v6
	v_min_u32_e32 v14, 32, v14
	v_lshrrev_b32_e32 v12, 19, v3
	v_subrev_u32_e32 v15, 28, v14
	v_and_b32_e32 v12, 15, v12
	v_lshlrev_b32_sdwa v15, v15, v3 dst_sel:DWORD dst_unused:UNUSED_PAD src0_sel:DWORD src1_sel:WORD_1
	v_bfe_u32 v13, v3, 19, 4
	v_sub_u32_e32 v14, 29, v14
	v_and_b32_e32 v15, 7, v15
	v_cmp_eq_u16_e32 vcc, 0, v12
	v_cndmask_b32_e32 v6, v6, v15, vcc
	v_cndmask_b32_e32 v12, v13, v14, vcc
	v_lshlrev_b32_e32 v13, 8, v3
	v_mov_b32_e32 v14, 0x3b800000
	v_lshlrev_b32_e32 v6, 20, v6
	v_and_b32_e32 v13, 0x80000000, v13
	v_lshl_add_u32 v12, v12, 23, v14
	v_or3_b32 v12, v13, v12, v6
.LBB2_8632:
	s_or_b64 exec, exec, s[6:7]
	s_nop 0
	v_mfma_f32_16x16x4f32 a[0:3], v2, v12, a[0:3]
	s_movk_i32 s4, 0x7f
	v_cmp_gt_i16_sdwa s[6:7], v7, s4 src0_sel:BYTE_3 src1_sel:DWORD
	s_mov_b64 s[4:5], 0
                                        ; implicit-def: $sgpr10
	s_and_saveexec_b64 s[8:9], s[6:7]
	s_xor_b64 s[6:7], exec, s[8:9]
	s_cbranch_execz .LBB2_8633
; %bb.44473:
	s_getpc_b64 s[14:15]
.Lpost_getpc25820:
	s_add_u32 s14, s14, (.LBB2_22969-.Lpost_getpc25820)&4294967295
	s_addc_u32 s15, s15, (.LBB2_22969-.Lpost_getpc25820)>>32
	s_setpc_b64 s[14:15]
.LBB2_8633:
	s_or_saveexec_b64 s[6:7], s[6:7]
	v_mov_b32_e32 v2, s10
	s_xor_b64 exec, exec, s[6:7]
	s_cbranch_execz .LBB2_8634
; %bb.44475:
	s_getpc_b64 s[14:15]
.Lpost_getpc25821:
	s_add_u32 s14, s14, (.LBB2_22972-.Lpost_getpc25821)&4294967295
	s_addc_u32 s15, s15, (.LBB2_22972-.Lpost_getpc25821)>>32
	s_setpc_b64 s[14:15]
.LBB2_8634:
	s_or_b64 exec, exec, s[6:7]
	s_and_saveexec_b64 s[6:7], s[4:5]
	s_cbranch_execz .LBB2_8636
.LBB2_8635:
	v_bfe_u32 v2, v7, 24, 3
	v_ffbh_u32_e32 v14, v2
	v_min_u32_e32 v14, 32, v14
	v_lshrrev_b32_e32 v12, 27, v7
	v_subrev_u32_e32 v15, 28, v14
	v_and_b32_e32 v6, 0x80000000, v7
	v_and_b32_e32 v12, 15, v12
	v_bfe_u32 v13, v7, 27, 4
	v_lshlrev_b32_sdwa v7, v15, v7 dst_sel:DWORD dst_unused:UNUSED_PAD src0_sel:DWORD src1_sel:BYTE_3
	v_sub_u32_e32 v14, 29, v14
	v_and_b32_e32 v7, 7, v7
	v_cmp_eq_u16_e32 vcc, 0, v12
	v_cndmask_b32_e32 v2, v2, v7, vcc
	v_cndmask_b32_e32 v7, v13, v14, vcc
	v_mov_b32_e32 v12, 0x3b800000
	v_lshlrev_b32_e32 v2, 20, v2
	v_lshl_add_u32 v7, v7, 23, v12
	v_or3_b32 v2, v6, v7, v2
.LBB2_8636:
	s_or_b64 exec, exec, s[6:7]
	s_movk_i32 s4, 0x7f
	v_cmp_gt_i16_sdwa s[6:7], v3, s4 src0_sel:BYTE_3 src1_sel:DWORD
	s_mov_b64 s[4:5], 0
                                        ; implicit-def: $sgpr10
	s_and_saveexec_b64 s[8:9], s[6:7]
	s_xor_b64 s[6:7], exec, s[8:9]
	s_cbranch_execz .LBB2_8637
; %bb.44477:
	s_getpc_b64 s[14:15]
.Lpost_getpc25822:
	s_add_u32 s14, s14, (.LBB2_22973-.Lpost_getpc25822)&4294967295
	s_addc_u32 s15, s15, (.LBB2_22973-.Lpost_getpc25822)>>32
	s_setpc_b64 s[14:15]
.LBB2_8637:
	s_or_saveexec_b64 s[6:7], s[6:7]
	v_mov_b32_e32 v6, s10
	s_xor_b64 exec, exec, s[6:7]
	s_cbranch_execz .LBB2_8638
; %bb.44479:
	s_getpc_b64 s[14:15]
.Lpost_getpc25823:
	s_add_u32 s14, s14, (.LBB2_22976-.Lpost_getpc25823)&4294967295
	s_addc_u32 s15, s15, (.LBB2_22976-.Lpost_getpc25823)>>32
	s_setpc_b64 s[14:15]
.LBB2_8638:
	s_or_b64 exec, exec, s[6:7]
	s_and_saveexec_b64 s[6:7], s[4:5]
	s_cbranch_execz .LBB2_8640
.LBB2_8639:
	v_bfe_u32 v6, v3, 24, 3
	v_ffbh_u32_e32 v14, v6
	v_min_u32_e32 v14, 32, v14
	v_lshrrev_b32_e32 v12, 27, v3
	v_subrev_u32_e32 v15, 28, v14
	v_and_b32_e32 v7, 0x80000000, v3
	v_and_b32_e32 v12, 15, v12
	v_bfe_u32 v13, v3, 27, 4
	v_lshlrev_b32_sdwa v3, v15, v3 dst_sel:DWORD dst_unused:UNUSED_PAD src0_sel:DWORD src1_sel:BYTE_3
	v_sub_u32_e32 v14, 29, v14
	v_and_b32_e32 v3, 7, v3
	v_cmp_eq_u16_e32 vcc, 0, v12
	v_cndmask_b32_e32 v3, v6, v3, vcc
	v_cndmask_b32_e32 v6, v13, v14, vcc
	v_mov_b32_e32 v12, 0x3b800000
	v_lshlrev_b32_e32 v3, 20, v3
	v_lshl_add_u32 v6, v6, 23, v12
	v_or3_b32 v6, v7, v6, v3
.LBB2_8640:
	s_or_b64 exec, exec, s[6:7]
	s_nop 0
	v_mfma_f32_16x16x4f32 a[0:3], v2, v6, a[0:3]
	s_movk_i32 s4, 0x7f
	v_cmp_gt_i16_sdwa s[6:7], v8, s4 src0_sel:BYTE_0 src1_sel:DWORD
	s_mov_b64 s[4:5], 0
                                        ; implicit-def: $sgpr10
	s_and_saveexec_b64 s[8:9], s[6:7]
	s_xor_b64 s[6:7], exec, s[8:9]
	s_cbranch_execz .LBB2_8641
; %bb.44481:
	s_getpc_b64 s[14:15]
.Lpost_getpc25824:
	s_add_u32 s14, s14, (.LBB2_22977-.Lpost_getpc25824)&4294967295
	s_addc_u32 s15, s15, (.LBB2_22977-.Lpost_getpc25824)>>32
	s_setpc_b64 s[14:15]
.LBB2_8641:
	s_or_saveexec_b64 s[6:7], s[6:7]
	v_mov_b32_e32 v2, s10
	s_xor_b64 exec, exec, s[6:7]
	s_cbranch_execz .LBB2_8642
; %bb.44483:
	s_getpc_b64 s[14:15]
.Lpost_getpc25825:
	s_add_u32 s14, s14, (.LBB2_22980-.Lpost_getpc25825)&4294967295
	s_addc_u32 s15, s15, (.LBB2_22980-.Lpost_getpc25825)>>32
	s_setpc_b64 s[14:15]
.LBB2_8642:
	s_or_b64 exec, exec, s[6:7]
	s_and_saveexec_b64 s[6:7], s[4:5]
	s_cbranch_execz .LBB2_8644
.LBB2_8643:
	v_and_b32_e32 v2, 7, v8
	v_ffbh_u32_e32 v6, v2
	v_min_u32_e32 v6, 32, v6
	v_lshrrev_b16_e32 v3, 3, v8
	v_subrev_u32_e32 v7, 28, v6
	v_and_b32_e32 v3, 15, v3
	v_lshlrev_b32_e32 v7, v7, v8
	v_sub_u32_e32 v6, 29, v6
	v_and_b32_e32 v7, 7, v7
	v_cmp_eq_u16_e32 vcc, 0, v3
	v_cndmask_b32_e32 v2, v2, v7, vcc
	v_cndmask_b32_e32 v3, v3, v6, vcc
	v_lshlrev_b32_e32 v6, 24, v8
	v_mov_b32_e32 v7, 0x3b800000
	v_lshlrev_b32_e32 v2, 20, v2
	v_and_b32_e32 v6, 0x80000000, v6
	v_lshl_add_u32 v3, v3, 23, v7
	v_or3_b32 v2, v6, v3, v2
.LBB2_8644:
	s_or_b64 exec, exec, s[6:7]
	s_movk_i32 s4, 0x7f
	v_cmp_gt_i16_sdwa s[6:7], v4, s4 src0_sel:BYTE_0 src1_sel:DWORD
	s_mov_b64 s[4:5], 0
                                        ; implicit-def: $sgpr10
	s_and_saveexec_b64 s[8:9], s[6:7]
	s_xor_b64 s[6:7], exec, s[8:9]
	s_cbranch_execz .LBB2_8645
; %bb.44485:
	s_getpc_b64 s[14:15]
.Lpost_getpc25826:
	s_add_u32 s14, s14, (.LBB2_22981-.Lpost_getpc25826)&4294967295
	s_addc_u32 s15, s15, (.LBB2_22981-.Lpost_getpc25826)>>32
	s_setpc_b64 s[14:15]
.LBB2_8645:
	s_or_saveexec_b64 s[6:7], s[6:7]
	v_mov_b32_e32 v3, s10
	s_xor_b64 exec, exec, s[6:7]
	s_cbranch_execz .LBB2_8646
; %bb.44487:
	s_getpc_b64 s[14:15]
.Lpost_getpc25827:
	s_add_u32 s14, s14, (.LBB2_22984-.Lpost_getpc25827)&4294967295
	s_addc_u32 s15, s15, (.LBB2_22984-.Lpost_getpc25827)>>32
	s_setpc_b64 s[14:15]
.LBB2_8646:
	s_or_b64 exec, exec, s[6:7]
	s_and_saveexec_b64 s[6:7], s[4:5]
	s_cbranch_execz .LBB2_8648
.LBB2_8647:
	v_and_b32_e32 v3, 7, v4
	v_ffbh_u32_e32 v7, v3
	v_min_u32_e32 v7, 32, v7
	v_lshrrev_b16_e32 v6, 3, v4
	v_subrev_u32_e32 v12, 28, v7
	v_and_b32_e32 v6, 15, v6
	v_lshlrev_b32_e32 v12, v12, v4
	v_sub_u32_e32 v7, 29, v7
	v_and_b32_e32 v12, 7, v12
	v_cmp_eq_u16_e32 vcc, 0, v6
	v_cndmask_b32_e32 v3, v3, v12, vcc
	v_cndmask_b32_e32 v6, v6, v7, vcc
	v_lshlrev_b32_e32 v7, 24, v4
	v_mov_b32_e32 v12, 0x3b800000
	v_lshlrev_b32_e32 v3, 20, v3
	v_and_b32_e32 v7, 0x80000000, v7
	v_lshl_add_u32 v6, v6, 23, v12
	v_or3_b32 v3, v7, v6, v3
.LBB2_8648:
	s_or_b64 exec, exec, s[6:7]
	s_nop 0
	v_mfma_f32_16x16x4f32 a[0:3], v2, v3, a[0:3]
	v_lshrrev_b32_e32 v3, 8, v8
	s_movk_i32 s4, 0x7f
	v_cmp_gt_i16_sdwa s[6:7], v3, s4 src0_sel:BYTE_0 src1_sel:DWORD
	s_mov_b64 s[4:5], 0
                                        ; implicit-def: $sgpr10
	s_and_saveexec_b64 s[8:9], s[6:7]
	s_xor_b64 s[6:7], exec, s[8:9]
	s_cbranch_execz .LBB2_8649
; %bb.44489:
	s_getpc_b64 s[14:15]
.Lpost_getpc25828:
	s_add_u32 s14, s14, (.LBB2_22985-.Lpost_getpc25828)&4294967295
	s_addc_u32 s15, s15, (.LBB2_22985-.Lpost_getpc25828)>>32
	s_setpc_b64 s[14:15]
.LBB2_8649:
	s_or_saveexec_b64 s[6:7], s[6:7]
	v_mov_b32_e32 v2, s10
	s_xor_b64 exec, exec, s[6:7]
	s_cbranch_execz .LBB2_8650
; %bb.44491:
	s_getpc_b64 s[14:15]
.Lpost_getpc25829:
	s_add_u32 s14, s14, (.LBB2_22988-.Lpost_getpc25829)&4294967295
	s_addc_u32 s15, s15, (.LBB2_22988-.Lpost_getpc25829)>>32
	s_setpc_b64 s[14:15]
.LBB2_8650:
	s_or_b64 exec, exec, s[6:7]
	s_and_saveexec_b64 s[6:7], s[4:5]
	s_cbranch_execz .LBB2_8652
.LBB2_8651:
	v_bfe_u32 v2, v8, 8, 3
	v_ffbh_u32_e32 v7, v2
	v_min_u32_e32 v7, 32, v7
	v_lshrrev_b16_e32 v6, 3, v3
	v_subrev_u32_e32 v12, 28, v7
	v_and_b32_e32 v6, 15, v6
	v_lshlrev_b32_e32 v3, v12, v3
	v_sub_u32_e32 v7, 29, v7
	v_and_b32_e32 v3, 7, v3
	v_cmp_eq_u16_e32 vcc, 0, v6
	v_cndmask_b32_e32 v2, v2, v3, vcc
	v_cndmask_b32_e32 v3, v6, v7, vcc
	v_lshlrev_b32_e32 v6, 16, v8
	v_mov_b32_e32 v7, 0x3b800000
	v_lshlrev_b32_e32 v2, 20, v2
	v_and_b32_e32 v6, 0x80000000, v6
	v_lshl_add_u32 v3, v3, 23, v7
	v_or3_b32 v2, v6, v3, v2
.LBB2_8652:
	s_or_b64 exec, exec, s[6:7]
	v_lshrrev_b32_e32 v3, 8, v4
	s_movk_i32 s4, 0x7f
	v_cmp_gt_i16_sdwa s[6:7], v3, s4 src0_sel:BYTE_0 src1_sel:DWORD
	s_mov_b64 s[4:5], 0
                                        ; implicit-def: $sgpr10
	s_and_saveexec_b64 s[8:9], s[6:7]
	s_xor_b64 s[6:7], exec, s[8:9]
	s_cbranch_execz .LBB2_8653
; %bb.44493:
	s_getpc_b64 s[14:15]
.Lpost_getpc25830:
	s_add_u32 s14, s14, (.LBB2_22989-.Lpost_getpc25830)&4294967295
	s_addc_u32 s15, s15, (.LBB2_22989-.Lpost_getpc25830)>>32
	s_setpc_b64 s[14:15]
.LBB2_8653:
	s_or_saveexec_b64 s[6:7], s[6:7]
	v_mov_b32_e32 v6, s10
	s_xor_b64 exec, exec, s[6:7]
	s_cbranch_execz .LBB2_8654
; %bb.44495:
	s_getpc_b64 s[14:15]
.Lpost_getpc25831:
	s_add_u32 s14, s14, (.LBB2_22992-.Lpost_getpc25831)&4294967295
	s_addc_u32 s15, s15, (.LBB2_22992-.Lpost_getpc25831)>>32
	s_setpc_b64 s[14:15]
.LBB2_8654:
	s_or_b64 exec, exec, s[6:7]
	s_and_saveexec_b64 s[6:7], s[4:5]
	s_cbranch_execz .LBB2_8656
.LBB2_8655:
	v_bfe_u32 v6, v4, 8, 3
	v_ffbh_u32_e32 v12, v6
	v_min_u32_e32 v12, 32, v12
	v_lshrrev_b16_e32 v7, 3, v3
	v_subrev_u32_e32 v13, 28, v12
	v_and_b32_e32 v7, 15, v7
	v_lshlrev_b32_e32 v3, v13, v3
	v_sub_u32_e32 v12, 29, v12
	v_and_b32_e32 v3, 7, v3
	v_cmp_eq_u16_e32 vcc, 0, v7
	v_cndmask_b32_e32 v3, v6, v3, vcc
	v_cndmask_b32_e32 v6, v7, v12, vcc
	v_lshlrev_b32_e32 v7, 16, v4
	v_mov_b32_e32 v12, 0x3b800000
	v_lshlrev_b32_e32 v3, 20, v3
	v_and_b32_e32 v7, 0x80000000, v7
	v_lshl_add_u32 v6, v6, 23, v12
	v_or3_b32 v6, v7, v6, v3
.LBB2_8656:
	s_or_b64 exec, exec, s[6:7]
	s_nop 0
	v_mfma_f32_16x16x4f32 a[0:3], v2, v6, a[0:3]
	s_movk_i32 s4, 0xff
	v_and_b32_sdwa v3, v8, s4 dst_sel:DWORD dst_unused:UNUSED_PAD src0_sel:WORD_1 src1_sel:DWORD
	s_movk_i32 s4, 0x7f
	v_cmp_lt_i16_e32 vcc, s4, v3
	s_mov_b64 s[4:5], 0
                                        ; implicit-def: $sgpr10
	s_and_saveexec_b64 s[6:7], vcc
	s_xor_b64 s[6:7], exec, s[6:7]
	s_cbranch_execz .LBB2_8657
; %bb.44497:
	s_getpc_b64 s[14:15]
.Lpost_getpc25832:
	s_add_u32 s14, s14, (.LBB2_22993-.Lpost_getpc25832)&4294967295
	s_addc_u32 s15, s15, (.LBB2_22993-.Lpost_getpc25832)>>32
	s_setpc_b64 s[14:15]
.LBB2_8657:
	s_or_saveexec_b64 s[6:7], s[6:7]
	v_mov_b32_e32 v2, s10
	s_xor_b64 exec, exec, s[6:7]
	s_cbranch_execz .LBB2_8658
; %bb.44499:
	s_getpc_b64 s[14:15]
.Lpost_getpc25833:
	s_add_u32 s14, s14, (.LBB2_22996-.Lpost_getpc25833)&4294967295
	s_addc_u32 s15, s15, (.LBB2_22996-.Lpost_getpc25833)>>32
	s_setpc_b64 s[14:15]
.LBB2_8658:
	s_or_b64 exec, exec, s[6:7]
	s_and_saveexec_b64 s[6:7], s[4:5]
	s_cbranch_execz .LBB2_8660
.LBB2_8659:
	v_bfe_u32 v2, v8, 16, 3
	v_ffbh_u32_e32 v7, v2
	v_min_u32_e32 v7, 32, v7
	v_lshrrev_b32_e32 v3, 19, v8
	v_subrev_u32_e32 v12, 28, v7
	v_and_b32_e32 v3, 15, v3
	v_lshlrev_b32_sdwa v12, v12, v8 dst_sel:DWORD dst_unused:UNUSED_PAD src0_sel:DWORD src1_sel:WORD_1
	v_bfe_u32 v6, v8, 19, 4
	v_sub_u32_e32 v7, 29, v7
	v_and_b32_e32 v12, 7, v12
	v_cmp_eq_u16_e32 vcc, 0, v3
	v_cndmask_b32_e32 v2, v2, v12, vcc
	v_cndmask_b32_e32 v3, v6, v7, vcc
	v_lshlrev_b32_e32 v6, 8, v8
	v_mov_b32_e32 v7, 0x3b800000
	v_lshlrev_b32_e32 v2, 20, v2
	v_and_b32_e32 v6, 0x80000000, v6
	v_lshl_add_u32 v3, v3, 23, v7
	v_or3_b32 v2, v6, v3, v2
.LBB2_8660:
	s_or_b64 exec, exec, s[6:7]
	s_movk_i32 s4, 0xff
	v_and_b32_sdwa v3, v4, s4 dst_sel:DWORD dst_unused:UNUSED_PAD src0_sel:WORD_1 src1_sel:DWORD
	s_movk_i32 s4, 0x7f
	v_cmp_lt_i16_e32 vcc, s4, v3
	s_mov_b64 s[4:5], 0
                                        ; implicit-def: $sgpr10
	s_and_saveexec_b64 s[6:7], vcc
	s_xor_b64 s[6:7], exec, s[6:7]
	s_cbranch_execz .LBB2_8661
; %bb.44501:
	s_getpc_b64 s[14:15]
.Lpost_getpc25834:
	s_add_u32 s14, s14, (.LBB2_22997-.Lpost_getpc25834)&4294967295
	s_addc_u32 s15, s15, (.LBB2_22997-.Lpost_getpc25834)>>32
	s_setpc_b64 s[14:15]
.LBB2_8661:
	s_or_saveexec_b64 s[6:7], s[6:7]
	v_mov_b32_e32 v6, s10
	s_xor_b64 exec, exec, s[6:7]
	s_cbranch_execz .LBB2_8662
; %bb.44503:
	s_getpc_b64 s[14:15]
.Lpost_getpc25835:
	s_add_u32 s14, s14, (.LBB2_23000-.Lpost_getpc25835)&4294967295
	s_addc_u32 s15, s15, (.LBB2_23000-.Lpost_getpc25835)>>32
	s_setpc_b64 s[14:15]
.LBB2_8662:
	s_or_b64 exec, exec, s[6:7]
	s_and_saveexec_b64 s[6:7], s[4:5]
	s_cbranch_execz .LBB2_8664
.LBB2_8663:
	v_bfe_u32 v3, v4, 16, 3
	v_ffbh_u32_e32 v12, v3
	v_min_u32_e32 v12, 32, v12
	v_lshrrev_b32_e32 v6, 19, v4
	v_subrev_u32_e32 v13, 28, v12
	v_and_b32_e32 v6, 15, v6
	v_lshlrev_b32_sdwa v13, v13, v4 dst_sel:DWORD dst_unused:UNUSED_PAD src0_sel:DWORD src1_sel:WORD_1
	v_bfe_u32 v7, v4, 19, 4
	v_sub_u32_e32 v12, 29, v12
	v_and_b32_e32 v13, 7, v13
	v_cmp_eq_u16_e32 vcc, 0, v6
	v_cndmask_b32_e32 v3, v3, v13, vcc
	v_cndmask_b32_e32 v6, v7, v12, vcc
	v_lshlrev_b32_e32 v7, 8, v4
	v_mov_b32_e32 v12, 0x3b800000
	v_lshlrev_b32_e32 v3, 20, v3
	v_and_b32_e32 v7, 0x80000000, v7
	v_lshl_add_u32 v6, v6, 23, v12
	v_or3_b32 v6, v7, v6, v3
.LBB2_8664:
	s_or_b64 exec, exec, s[6:7]
	s_nop 0
	v_mfma_f32_16x16x4f32 a[0:3], v2, v6, a[0:3]
	s_movk_i32 s4, 0x7f
	v_cmp_gt_i16_sdwa s[6:7], v8, s4 src0_sel:BYTE_3 src1_sel:DWORD
	s_mov_b64 s[4:5], 0
                                        ; implicit-def: $sgpr10
	s_and_saveexec_b64 s[8:9], s[6:7]
	s_xor_b64 s[6:7], exec, s[8:9]
	s_cbranch_execz .LBB2_8665
; %bb.44505:
	s_getpc_b64 s[14:15]
.Lpost_getpc25836:
	s_add_u32 s14, s14, (.LBB2_23001-.Lpost_getpc25836)&4294967295
	s_addc_u32 s15, s15, (.LBB2_23001-.Lpost_getpc25836)>>32
	s_setpc_b64 s[14:15]
.LBB2_8665:
	s_or_saveexec_b64 s[6:7], s[6:7]
	v_mov_b32_e32 v2, s10
	s_xor_b64 exec, exec, s[6:7]
	s_cbranch_execz .LBB2_8666
; %bb.44507:
	s_getpc_b64 s[14:15]
.Lpost_getpc25837:
	s_add_u32 s14, s14, (.LBB2_23004-.Lpost_getpc25837)&4294967295
	s_addc_u32 s15, s15, (.LBB2_23004-.Lpost_getpc25837)>>32
	s_setpc_b64 s[14:15]
.LBB2_8666:
	s_or_b64 exec, exec, s[6:7]
	s_and_saveexec_b64 s[6:7], s[4:5]
	s_cbranch_execz .LBB2_8668
.LBB2_8667:
	v_bfe_u32 v2, v8, 24, 3
	v_ffbh_u32_e32 v12, v2
	v_min_u32_e32 v12, 32, v12
	v_lshrrev_b32_e32 v6, 27, v8
	v_subrev_u32_e32 v13, 28, v12
	v_and_b32_e32 v3, 0x80000000, v8
	v_and_b32_e32 v6, 15, v6
	v_bfe_u32 v7, v8, 27, 4
	v_lshlrev_b32_sdwa v8, v13, v8 dst_sel:DWORD dst_unused:UNUSED_PAD src0_sel:DWORD src1_sel:BYTE_3
	v_sub_u32_e32 v12, 29, v12
	v_and_b32_e32 v8, 7, v8
	v_cmp_eq_u16_e32 vcc, 0, v6
	v_cndmask_b32_e32 v2, v2, v8, vcc
	v_cndmask_b32_e32 v6, v7, v12, vcc
	v_mov_b32_e32 v7, 0x3b800000
	v_lshlrev_b32_e32 v2, 20, v2
	v_lshl_add_u32 v6, v6, 23, v7
	v_or3_b32 v2, v3, v6, v2
.LBB2_8668:
	s_or_b64 exec, exec, s[6:7]
	s_movk_i32 s4, 0x7f
	v_cmp_gt_i16_sdwa s[6:7], v4, s4 src0_sel:BYTE_3 src1_sel:DWORD
	s_mov_b64 s[4:5], 0
                                        ; implicit-def: $sgpr10
	s_and_saveexec_b64 s[8:9], s[6:7]
	s_xor_b64 s[6:7], exec, s[8:9]
	s_cbranch_execz .LBB2_8669
; %bb.44509:
	s_getpc_b64 s[14:15]
.Lpost_getpc25838:
	s_add_u32 s14, s14, (.LBB2_23005-.Lpost_getpc25838)&4294967295
	s_addc_u32 s15, s15, (.LBB2_23005-.Lpost_getpc25838)>>32
	s_setpc_b64 s[14:15]
.LBB2_8669:
	s_or_saveexec_b64 s[6:7], s[6:7]
	v_mov_b32_e32 v3, s10
	s_xor_b64 exec, exec, s[6:7]
	s_cbranch_execz .LBB2_8670
; %bb.44511:
	s_getpc_b64 s[14:15]
.Lpost_getpc25839:
	s_add_u32 s14, s14, (.LBB2_23008-.Lpost_getpc25839)&4294967295
	s_addc_u32 s15, s15, (.LBB2_23008-.Lpost_getpc25839)>>32
	s_setpc_b64 s[14:15]
.LBB2_8670:
	s_or_b64 exec, exec, s[6:7]
	s_and_saveexec_b64 s[6:7], s[4:5]
	s_cbranch_execz .LBB2_8672
.LBB2_8671:
	v_bfe_u32 v3, v4, 24, 3
	v_ffbh_u32_e32 v12, v3
	v_min_u32_e32 v12, 32, v12
	v_lshrrev_b32_e32 v7, 27, v4
	v_subrev_u32_e32 v13, 28, v12
	v_and_b32_e32 v6, 0x80000000, v4
	v_and_b32_e32 v7, 15, v7
	v_bfe_u32 v8, v4, 27, 4
	v_lshlrev_b32_sdwa v4, v13, v4 dst_sel:DWORD dst_unused:UNUSED_PAD src0_sel:DWORD src1_sel:BYTE_3
	v_sub_u32_e32 v12, 29, v12
	v_and_b32_e32 v4, 7, v4
	v_cmp_eq_u16_e32 vcc, 0, v7
	v_cndmask_b32_e32 v3, v3, v4, vcc
	v_cndmask_b32_e32 v4, v8, v12, vcc
	v_mov_b32_e32 v7, 0x3b800000
	v_lshlrev_b32_e32 v3, 20, v3
	v_lshl_add_u32 v4, v4, 23, v7
	v_or3_b32 v3, v6, v4, v3
.LBB2_8672:
	s_or_b64 exec, exec, s[6:7]
	s_nop 0
	v_mfma_f32_16x16x4f32 a[0:3], v2, v3, a[0:3]
	s_movk_i32 s4, 0x7f
	v_cmp_gt_i16_sdwa s[6:7], v9, s4 src0_sel:BYTE_0 src1_sel:DWORD
	s_mov_b64 s[4:5], 0
                                        ; implicit-def: $sgpr10
	s_and_saveexec_b64 s[8:9], s[6:7]
	s_xor_b64 s[6:7], exec, s[8:9]
	s_cbranch_execz .LBB2_8673
; %bb.44513:
	s_getpc_b64 s[14:15]
.Lpost_getpc25840:
	s_add_u32 s14, s14, (.LBB2_23009-.Lpost_getpc25840)&4294967295
	s_addc_u32 s15, s15, (.LBB2_23009-.Lpost_getpc25840)>>32
	s_setpc_b64 s[14:15]
.LBB2_8673:
	s_or_saveexec_b64 s[6:7], s[6:7]
	v_mov_b32_e32 v2, s10
	s_xor_b64 exec, exec, s[6:7]
	s_cbranch_execz .LBB2_8674
; %bb.44515:
	s_getpc_b64 s[14:15]
.Lpost_getpc25841:
	s_add_u32 s14, s14, (.LBB2_23012-.Lpost_getpc25841)&4294967295
	s_addc_u32 s15, s15, (.LBB2_23012-.Lpost_getpc25841)>>32
	s_setpc_b64 s[14:15]
.LBB2_8674:
	s_or_b64 exec, exec, s[6:7]
	s_and_saveexec_b64 s[6:7], s[4:5]
	s_cbranch_execz .LBB2_8676
.LBB2_8675:
	v_mov_b32_e32 v2, 8
	v_and_b32_e32 v3, 7, v9
	v_lshrrev_b32_sdwa v2, v2, v9 dst_sel:BYTE_1 dst_unused:UNUSED_PAD src0_sel:DWORD src1_sel:DWORD
	v_ffbh_u32_e32 v4, v3
	v_or_b32_sdwa v2, v9, v2 dst_sel:DWORD dst_unused:UNUSED_PAD src0_sel:BYTE_0 src1_sel:DWORD
	v_min_u32_e32 v4, 32, v4
	v_lshrrev_b16_e32 v2, 3, v2
	v_subrev_u32_e32 v6, 28, v4
	v_and_b32_e32 v2, 15, v2
	v_lshlrev_b32_e32 v6, v6, v9
	v_sub_u32_e32 v4, 29, v4
	v_and_b32_e32 v6, 7, v6
	v_cmp_eq_u16_e32 vcc, 0, v2
	v_cndmask_b32_e32 v3, v3, v6, vcc
	v_cndmask_b32_e32 v2, v2, v4, vcc
	v_lshlrev_b32_e32 v4, 24, v9
	v_mov_b32_e32 v6, 0x3b800000
	v_lshlrev_b32_e32 v3, 20, v3
	v_and_b32_e32 v4, 0x80000000, v4
	v_lshl_add_u32 v2, v2, 23, v6
	v_or3_b32 v2, v4, v2, v3
.LBB2_8676:
	s_or_b64 exec, exec, s[6:7]
	s_movk_i32 s4, 0x7f
	v_cmp_gt_i16_sdwa s[6:7], v5, s4 src0_sel:BYTE_0 src1_sel:DWORD
	s_mov_b64 s[4:5], 0
                                        ; implicit-def: $sgpr10
	s_and_saveexec_b64 s[8:9], s[6:7]
	s_xor_b64 s[6:7], exec, s[8:9]
	s_cbranch_execz .LBB2_8677
; %bb.44517:
	s_getpc_b64 s[14:15]
.Lpost_getpc25842:
	s_add_u32 s14, s14, (.LBB2_23013-.Lpost_getpc25842)&4294967295
	s_addc_u32 s15, s15, (.LBB2_23013-.Lpost_getpc25842)>>32
	s_setpc_b64 s[14:15]
.LBB2_8677:
	s_or_saveexec_b64 s[6:7], s[6:7]
	v_mov_b32_e32 v3, s10
	s_xor_b64 exec, exec, s[6:7]
	s_cbranch_execz .LBB2_8678
; %bb.44519:
	s_getpc_b64 s[14:15]
.Lpost_getpc25843:
	s_add_u32 s14, s14, (.LBB2_23016-.Lpost_getpc25843)&4294967295
	s_addc_u32 s15, s15, (.LBB2_23016-.Lpost_getpc25843)>>32
	s_setpc_b64 s[14:15]
.LBB2_8678:
	s_or_b64 exec, exec, s[6:7]
	s_and_saveexec_b64 s[6:7], s[4:5]
	s_cbranch_execz .LBB2_8680
.LBB2_8679:
	v_mov_b32_e32 v3, 8
	v_and_b32_e32 v4, 7, v5
	v_lshrrev_b32_sdwa v3, v3, v5 dst_sel:BYTE_1 dst_unused:UNUSED_PAD src0_sel:DWORD src1_sel:DWORD
	v_ffbh_u32_e32 v6, v4
	v_or_b32_sdwa v3, v5, v3 dst_sel:DWORD dst_unused:UNUSED_PAD src0_sel:BYTE_0 src1_sel:DWORD
	v_min_u32_e32 v6, 32, v6
	v_lshrrev_b16_e32 v3, 3, v3
	v_subrev_u32_e32 v7, 28, v6
	v_and_b32_e32 v3, 15, v3
	v_lshlrev_b32_e32 v7, v7, v5
	v_sub_u32_e32 v6, 29, v6
	v_and_b32_e32 v7, 7, v7
	v_cmp_eq_u16_e32 vcc, 0, v3
	v_cndmask_b32_e32 v4, v4, v7, vcc
	v_cndmask_b32_e32 v3, v3, v6, vcc
	v_lshlrev_b32_e32 v6, 24, v5
	v_mov_b32_e32 v7, 0x3b800000
	v_lshlrev_b32_e32 v4, 20, v4
	v_and_b32_e32 v6, 0x80000000, v6
	v_lshl_add_u32 v3, v3, 23, v7
	v_or3_b32 v3, v6, v3, v4
.LBB2_8680:
	s_or_b64 exec, exec, s[6:7]
	s_nop 0
	v_mfma_f32_16x16x4f32 a[0:3], v2, v3, a[0:3]
	v_lshrrev_b32_e32 v3, 8, v9
	s_movk_i32 s4, 0x7f
	v_cmp_gt_i16_sdwa s[6:7], v3, s4 src0_sel:BYTE_0 src1_sel:DWORD
	s_mov_b64 s[4:5], 0
                                        ; implicit-def: $sgpr10
	s_and_saveexec_b64 s[8:9], s[6:7]
	s_xor_b64 s[6:7], exec, s[8:9]
	s_cbranch_execz .LBB2_8681
; %bb.44521:
	s_getpc_b64 s[14:15]
.Lpost_getpc25844:
	s_add_u32 s14, s14, (.LBB2_23017-.Lpost_getpc25844)&4294967295
	s_addc_u32 s15, s15, (.LBB2_23017-.Lpost_getpc25844)>>32
	s_setpc_b64 s[14:15]
.LBB2_8681:
	s_or_saveexec_b64 s[6:7], s[6:7]
	v_mov_b32_e32 v2, s10
	s_xor_b64 exec, exec, s[6:7]
	s_cbranch_execz .LBB2_8682
; %bb.44523:
	s_getpc_b64 s[14:15]
.Lpost_getpc25845:
	s_add_u32 s14, s14, (.LBB2_23020-.Lpost_getpc25845)&4294967295
	s_addc_u32 s15, s15, (.LBB2_23020-.Lpost_getpc25845)>>32
	s_setpc_b64 s[14:15]
.LBB2_8682:
	s_or_b64 exec, exec, s[6:7]
	s_and_saveexec_b64 s[6:7], s[4:5]
	s_cbranch_execz .LBB2_8684
.LBB2_8683:
	v_bfe_u32 v2, v9, 8, 3
	v_ffbh_u32_e32 v6, v2
	v_min_u32_e32 v6, 32, v6
	v_lshrrev_b16_e32 v4, 3, v3
	v_subrev_u32_e32 v7, 28, v6
	v_and_b32_e32 v4, 15, v4
	v_lshlrev_b32_e32 v3, v7, v3
	v_sub_u32_e32 v6, 29, v6
	v_and_b32_e32 v3, 7, v3
	v_cmp_eq_u16_e32 vcc, 0, v4
	v_cndmask_b32_e32 v2, v2, v3, vcc
	v_cndmask_b32_e32 v3, v4, v6, vcc
	v_lshlrev_b32_e32 v4, 16, v9
	v_mov_b32_e32 v6, 0x3b800000
	v_lshlrev_b32_e32 v2, 20, v2
	v_and_b32_e32 v4, 0x80000000, v4
	v_lshl_add_u32 v3, v3, 23, v6
	v_or3_b32 v2, v4, v3, v2
.LBB2_8684:
	s_or_b64 exec, exec, s[6:7]
	v_lshrrev_b32_e32 v3, 8, v5
	s_movk_i32 s4, 0x7f
	v_cmp_gt_i16_sdwa s[6:7], v3, s4 src0_sel:BYTE_0 src1_sel:DWORD
	s_mov_b64 s[4:5], 0
                                        ; implicit-def: $sgpr10
	s_and_saveexec_b64 s[8:9], s[6:7]
	s_xor_b64 s[6:7], exec, s[8:9]
	s_cbranch_execz .LBB2_8685
; %bb.44525:
	s_getpc_b64 s[14:15]
.Lpost_getpc25846:
	s_add_u32 s14, s14, (.LBB2_23021-.Lpost_getpc25846)&4294967295
	s_addc_u32 s15, s15, (.LBB2_23021-.Lpost_getpc25846)>>32
	s_setpc_b64 s[14:15]
.LBB2_8685:
	s_or_saveexec_b64 s[6:7], s[6:7]
	v_mov_b32_e32 v4, s10
	s_xor_b64 exec, exec, s[6:7]
	s_cbranch_execz .LBB2_8686
; %bb.44527:
	s_getpc_b64 s[14:15]
.Lpost_getpc25847:
	s_add_u32 s14, s14, (.LBB2_23024-.Lpost_getpc25847)&4294967295
	s_addc_u32 s15, s15, (.LBB2_23024-.Lpost_getpc25847)>>32
	s_setpc_b64 s[14:15]
.LBB2_8686:
	s_or_b64 exec, exec, s[6:7]
	s_and_saveexec_b64 s[6:7], s[4:5]
	s_cbranch_execz .LBB2_8688
.LBB2_8687:
	v_bfe_u32 v4, v5, 8, 3
	v_ffbh_u32_e32 v7, v4
	v_min_u32_e32 v7, 32, v7
	v_lshrrev_b16_e32 v6, 3, v3
	v_subrev_u32_e32 v8, 28, v7
	v_and_b32_e32 v6, 15, v6
	v_lshlrev_b32_e32 v3, v8, v3
	v_sub_u32_e32 v7, 29, v7
	v_and_b32_e32 v3, 7, v3
	v_cmp_eq_u16_e32 vcc, 0, v6
	v_cndmask_b32_e32 v3, v4, v3, vcc
	v_cndmask_b32_e32 v4, v6, v7, vcc
	v_lshlrev_b32_e32 v6, 16, v5
	v_mov_b32_e32 v7, 0x3b800000
	v_lshlrev_b32_e32 v3, 20, v3
	v_and_b32_e32 v6, 0x80000000, v6
	v_lshl_add_u32 v4, v4, 23, v7
	v_or3_b32 v4, v6, v4, v3
.LBB2_8688:
	s_or_b64 exec, exec, s[6:7]
	s_nop 0
	v_mfma_f32_16x16x4f32 a[0:3], v2, v4, a[0:3]
	s_movk_i32 s4, 0xff
	v_and_b32_sdwa v3, v9, s4 dst_sel:DWORD dst_unused:UNUSED_PAD src0_sel:WORD_1 src1_sel:DWORD
	s_movk_i32 s4, 0x7f
	v_cmp_lt_i16_e32 vcc, s4, v3
	s_mov_b64 s[4:5], 0
                                        ; implicit-def: $sgpr10
	s_and_saveexec_b64 s[6:7], vcc
	s_xor_b64 s[6:7], exec, s[6:7]
	s_cbranch_execz .LBB2_8689
; %bb.44529:
	s_getpc_b64 s[14:15]
.Lpost_getpc25848:
	s_add_u32 s14, s14, (.LBB2_23025-.Lpost_getpc25848)&4294967295
	s_addc_u32 s15, s15, (.LBB2_23025-.Lpost_getpc25848)>>32
	s_setpc_b64 s[14:15]
.LBB2_8689:
	s_or_saveexec_b64 s[6:7], s[6:7]
	v_mov_b32_e32 v2, s10
	s_xor_b64 exec, exec, s[6:7]
	s_cbranch_execz .LBB2_8690
; %bb.44531:
	s_getpc_b64 s[14:15]
.Lpost_getpc25849:
	s_add_u32 s14, s14, (.LBB2_23028-.Lpost_getpc25849)&4294967295
	s_addc_u32 s15, s15, (.LBB2_23028-.Lpost_getpc25849)>>32
	s_setpc_b64 s[14:15]
.LBB2_8690:
	s_or_b64 exec, exec, s[6:7]
	s_and_saveexec_b64 s[6:7], s[4:5]
	s_cbranch_execz .LBB2_8692
.LBB2_8691:
	v_bfe_u32 v2, v9, 16, 3
	v_ffbh_u32_e32 v6, v2
	v_min_u32_e32 v6, 32, v6
	v_lshrrev_b32_e32 v3, 19, v9
	v_subrev_u32_e32 v7, 28, v6
	v_and_b32_e32 v3, 15, v3
	v_lshlrev_b32_sdwa v7, v7, v9 dst_sel:DWORD dst_unused:UNUSED_PAD src0_sel:DWORD src1_sel:WORD_1
	v_bfe_u32 v4, v9, 19, 4
	v_sub_u32_e32 v6, 29, v6
	v_and_b32_e32 v7, 7, v7
	v_cmp_eq_u16_e32 vcc, 0, v3
	v_cndmask_b32_e32 v2, v2, v7, vcc
	v_cndmask_b32_e32 v3, v4, v6, vcc
	v_lshlrev_b32_e32 v4, 8, v9
	v_mov_b32_e32 v6, 0x3b800000
	v_lshlrev_b32_e32 v2, 20, v2
	v_and_b32_e32 v4, 0x80000000, v4
	v_lshl_add_u32 v3, v3, 23, v6
	v_or3_b32 v2, v4, v3, v2
.LBB2_8692:
	s_or_b64 exec, exec, s[6:7]
	s_movk_i32 s4, 0xff
	v_and_b32_sdwa v3, v5, s4 dst_sel:DWORD dst_unused:UNUSED_PAD src0_sel:WORD_1 src1_sel:DWORD
	s_movk_i32 s4, 0x7f
	v_cmp_lt_i16_e32 vcc, s4, v3
	s_mov_b64 s[4:5], 0
                                        ; implicit-def: $sgpr10
	s_and_saveexec_b64 s[6:7], vcc
	s_xor_b64 s[6:7], exec, s[6:7]
	s_cbranch_execz .LBB2_8693
; %bb.44533:
	s_getpc_b64 s[14:15]
.Lpost_getpc25850:
	s_add_u32 s14, s14, (.LBB2_23029-.Lpost_getpc25850)&4294967295
	s_addc_u32 s15, s15, (.LBB2_23029-.Lpost_getpc25850)>>32
	s_setpc_b64 s[14:15]
.LBB2_8693:
	s_or_saveexec_b64 s[6:7], s[6:7]
	v_mov_b32_e32 v4, s10
	s_xor_b64 exec, exec, s[6:7]
	s_cbranch_execz .LBB2_8694
; %bb.44535:
	s_getpc_b64 s[14:15]
.Lpost_getpc25851:
	s_add_u32 s14, s14, (.LBB2_23032-.Lpost_getpc25851)&4294967295
	s_addc_u32 s15, s15, (.LBB2_23032-.Lpost_getpc25851)>>32
	s_setpc_b64 s[14:15]
.LBB2_8694:
	s_or_b64 exec, exec, s[6:7]
	s_and_saveexec_b64 s[6:7], s[4:5]
	s_cbranch_execz .LBB2_8696
.LBB2_8695:
	v_bfe_u32 v3, v5, 16, 3
	v_ffbh_u32_e32 v7, v3
	v_min_u32_e32 v7, 32, v7
	v_lshrrev_b32_e32 v4, 19, v5
	v_subrev_u32_e32 v8, 28, v7
	v_and_b32_e32 v4, 15, v4
	v_lshlrev_b32_sdwa v8, v8, v5 dst_sel:DWORD dst_unused:UNUSED_PAD src0_sel:DWORD src1_sel:WORD_1
	v_bfe_u32 v6, v5, 19, 4
	v_sub_u32_e32 v7, 29, v7
	v_and_b32_e32 v8, 7, v8
	v_cmp_eq_u16_e32 vcc, 0, v4
	v_cndmask_b32_e32 v3, v3, v8, vcc
	v_cndmask_b32_e32 v4, v6, v7, vcc
	v_lshlrev_b32_e32 v6, 8, v5
	v_mov_b32_e32 v7, 0x3b800000
	v_lshlrev_b32_e32 v3, 20, v3
	v_and_b32_e32 v6, 0x80000000, v6
	v_lshl_add_u32 v4, v4, 23, v7
	v_or3_b32 v4, v6, v4, v3
.LBB2_8696:
	s_or_b64 exec, exec, s[6:7]
	s_nop 0
	v_mfma_f32_16x16x4f32 a[0:3], v2, v4, a[0:3]
	s_movk_i32 s4, 0x7f
	v_cmp_gt_i16_sdwa s[6:7], v9, s4 src0_sel:BYTE_3 src1_sel:DWORD
	s_mov_b64 s[4:5], 0
                                        ; implicit-def: $sgpr10
	s_and_saveexec_b64 s[8:9], s[6:7]
	s_xor_b64 s[6:7], exec, s[8:9]
	s_cbranch_execz .LBB2_8697
; %bb.44537:
	s_getpc_b64 s[14:15]
.Lpost_getpc25852:
	s_add_u32 s14, s14, (.LBB2_23033-.Lpost_getpc25852)&4294967295
	s_addc_u32 s15, s15, (.LBB2_23033-.Lpost_getpc25852)>>32
	s_setpc_b64 s[14:15]
.LBB2_8697:
	s_or_saveexec_b64 s[6:7], s[6:7]
	v_mov_b32_e32 v2, s10
	s_xor_b64 exec, exec, s[6:7]
	s_cbranch_execz .LBB2_8698
; %bb.44539:
	s_getpc_b64 s[14:15]
.Lpost_getpc25853:
	s_add_u32 s14, s14, (.LBB2_23036-.Lpost_getpc25853)&4294967295
	s_addc_u32 s15, s15, (.LBB2_23036-.Lpost_getpc25853)>>32
	s_setpc_b64 s[14:15]
.LBB2_8698:
	s_or_b64 exec, exec, s[6:7]
	s_and_saveexec_b64 s[6:7], s[4:5]
	s_cbranch_execz .LBB2_8700
.LBB2_8699:
	v_bfe_u32 v2, v9, 24, 3
	v_ffbh_u32_e32 v7, v2
	v_min_u32_e32 v7, 32, v7
	v_lshrrev_b32_e32 v4, 27, v9
	v_subrev_u32_e32 v8, 28, v7
	v_and_b32_e32 v4, 15, v4
	v_lshlrev_b32_sdwa v8, v8, v9 dst_sel:DWORD dst_unused:UNUSED_PAD src0_sel:DWORD src1_sel:BYTE_3
	v_bfe_u32 v6, v9, 27, 4
	v_sub_u32_e32 v7, 29, v7
	v_and_b32_e32 v8, 7, v8
	v_cmp_eq_u16_e32 vcc, 0, v4
	v_cndmask_b32_e32 v2, v2, v8, vcc
	v_cndmask_b32_e32 v4, v6, v7, vcc
	v_mov_b32_e32 v6, 0x3b800000
	v_and_b32_e32 v3, 0x80000000, v9
	v_lshlrev_b32_e32 v2, 20, v2
	v_lshl_add_u32 v4, v4, 23, v6
	v_or3_b32 v2, v3, v4, v2
.LBB2_8700:
	s_or_b64 exec, exec, s[6:7]
	s_movk_i32 s4, 0x7f
	v_cmp_gt_i16_sdwa s[6:7], v5, s4 src0_sel:BYTE_3 src1_sel:DWORD
	s_mov_b64 s[4:5], 0
                                        ; implicit-def: $sgpr10
	s_and_saveexec_b64 s[8:9], s[6:7]
	s_xor_b64 s[6:7], exec, s[8:9]
	s_cbranch_execz .LBB2_8701
; %bb.44541:
	s_getpc_b64 s[14:15]
.Lpost_getpc25854:
	s_add_u32 s14, s14, (.LBB2_23037-.Lpost_getpc25854)&4294967295
	s_addc_u32 s15, s15, (.LBB2_23037-.Lpost_getpc25854)>>32
	s_setpc_b64 s[14:15]
.LBB2_8701:
	s_or_saveexec_b64 s[6:7], s[6:7]
	v_mov_b32_e32 v3, s10
	s_xor_b64 exec, exec, s[6:7]
	s_cbranch_execz .LBB2_8702
; %bb.44543:
	s_getpc_b64 s[14:15]
.Lpost_getpc25855:
	s_add_u32 s14, s14, (.LBB2_23040-.Lpost_getpc25855)&4294967295
	s_addc_u32 s15, s15, (.LBB2_23040-.Lpost_getpc25855)>>32
	s_setpc_b64 s[14:15]
.LBB2_8702:
	s_or_b64 exec, exec, s[6:7]
	s_and_saveexec_b64 s[6:7], s[4:5]
	s_cbranch_execz .LBB2_8704
.LBB2_8703:
	v_bfe_u32 v3, v5, 24, 3
	v_ffbh_u32_e32 v8, v3
	v_min_u32_e32 v8, 32, v8
	v_lshrrev_b32_e32 v6, 27, v5
	v_subrev_u32_e32 v9, 28, v8
	v_and_b32_e32 v4, 0x80000000, v5
	v_and_b32_e32 v6, 15, v6
	v_bfe_u32 v7, v5, 27, 4
	v_lshlrev_b32_sdwa v5, v9, v5 dst_sel:DWORD dst_unused:UNUSED_PAD src0_sel:DWORD src1_sel:BYTE_3
	v_sub_u32_e32 v8, 29, v8
	v_and_b32_e32 v5, 7, v5
	v_cmp_eq_u16_e32 vcc, 0, v6
	v_cndmask_b32_e32 v3, v3, v5, vcc
	v_cndmask_b32_e32 v5, v7, v8, vcc
	v_mov_b32_e32 v6, 0x3b800000
	v_lshlrev_b32_e32 v3, 20, v3
	v_lshl_add_u32 v5, v5, 23, v6
	v_or3_b32 v3, v4, v5, v3
.LBB2_8704:
	s_or_b64 exec, exec, s[6:7]
	s_nop 0
	v_mfma_f32_16x16x4f32 a[0:3], v2, v3, a[0:3]
	s_movk_i32 s4, 0x7f
                                        ; implicit-def: $sgpr10
	s_nop 7
	s_nop 1
	flat_store_dwordx4 v[10:11], a[0:3] offset:176
	flat_load_dwordx4 v[12:15], v[0:1]
	s_nop 0
	flat_load_dwordx2 v[10:11], v[0:1] offset:16
	s_waitcnt vmcnt(0) lgkmcnt(0)
	flat_load_dwordx4 v[6:9], v[12:13] offset:128
	flat_load_dwordx4 v[2:5], v[14:15] offset:192
	s_waitcnt vmcnt(0) lgkmcnt(0)
	v_cmp_gt_i16_sdwa s[6:7], v6, s4 src0_sel:BYTE_0 src1_sel:DWORD
	s_mov_b64 s[4:5], 0
	s_and_saveexec_b64 s[8:9], s[6:7]
	s_xor_b64 s[6:7], exec, s[8:9]
	s_cbranch_execz .LBB2_8705
; %bb.44545:
	s_getpc_b64 s[14:15]
.Lpost_getpc25856:
	s_add_u32 s14, s14, (.LBB2_23041-.Lpost_getpc25856)&4294967295
	s_addc_u32 s15, s15, (.LBB2_23041-.Lpost_getpc25856)>>32
	s_setpc_b64 s[14:15]
.LBB2_8705:
	s_or_saveexec_b64 s[6:7], s[6:7]
	v_mov_b32_e32 v12, s10
	s_xor_b64 exec, exec, s[6:7]
	s_cbranch_execz .LBB2_8706
; %bb.44547:
	s_getpc_b64 s[14:15]
.Lpost_getpc25857:
	s_add_u32 s14, s14, (.LBB2_23044-.Lpost_getpc25857)&4294967295
	s_addc_u32 s15, s15, (.LBB2_23044-.Lpost_getpc25857)>>32
	s_setpc_b64 s[14:15]
.LBB2_8706:
	s_or_b64 exec, exec, s[6:7]
	s_and_saveexec_b64 s[6:7], s[4:5]
	s_cbranch_execz .LBB2_8708
.LBB2_8707:
	v_and_b32_e32 v12, 7, v6
	v_ffbh_u32_e32 v14, v12
	v_min_u32_e32 v14, 32, v14
	v_lshrrev_b16_e32 v13, 3, v6
	v_subrev_u32_e32 v15, 28, v14
	v_and_b32_e32 v13, 15, v13
	v_lshlrev_b32_e32 v15, v15, v6
	v_sub_u32_e32 v14, 29, v14
	v_and_b32_e32 v15, 7, v15
	v_cmp_eq_u16_e32 vcc, 0, v13
	v_cndmask_b32_e32 v12, v12, v15, vcc
	v_cndmask_b32_e32 v13, v13, v14, vcc
	v_lshlrev_b32_e32 v14, 24, v6
	v_mov_b32_e32 v15, 0x3b800000
	v_lshlrev_b32_e32 v12, 20, v12
	v_and_b32_e32 v14, 0x80000000, v14
	v_lshl_add_u32 v13, v13, 23, v15
	v_or3_b32 v12, v14, v13, v12
.LBB2_8708:
	s_or_b64 exec, exec, s[6:7]
	s_movk_i32 s4, 0x7f
	v_cmp_gt_i16_sdwa s[6:7], v2, s4 src0_sel:BYTE_0 src1_sel:DWORD
	s_mov_b64 s[4:5], 0
                                        ; implicit-def: $sgpr10
	s_and_saveexec_b64 s[8:9], s[6:7]
	s_xor_b64 s[6:7], exec, s[8:9]
	s_cbranch_execz .LBB2_8709
; %bb.44549:
	s_getpc_b64 s[14:15]
.Lpost_getpc25858:
	s_add_u32 s14, s14, (.LBB2_23045-.Lpost_getpc25858)&4294967295
	s_addc_u32 s15, s15, (.LBB2_23045-.Lpost_getpc25858)>>32
	s_setpc_b64 s[14:15]
.LBB2_8709:
	s_or_saveexec_b64 s[6:7], s[6:7]
	v_mov_b32_e32 v13, s10
	s_xor_b64 exec, exec, s[6:7]
	s_cbranch_execz .LBB2_8710
; %bb.44551:
	s_getpc_b64 s[14:15]
.Lpost_getpc25859:
	s_add_u32 s14, s14, (.LBB2_23048-.Lpost_getpc25859)&4294967295
	s_addc_u32 s15, s15, (.LBB2_23048-.Lpost_getpc25859)>>32
	s_setpc_b64 s[14:15]
.LBB2_8710:
	s_or_b64 exec, exec, s[6:7]
	s_and_saveexec_b64 s[6:7], s[4:5]
	s_cbranch_execz .LBB2_8712
.LBB2_8711:
	v_and_b32_e32 v13, 7, v2
	v_ffbh_u32_e32 v15, v13
	v_min_u32_e32 v15, 32, v15
	v_lshrrev_b16_e32 v14, 3, v2
	v_subrev_u32_e32 v16, 28, v15
	v_and_b32_e32 v14, 15, v14
	v_lshlrev_b32_e32 v16, v16, v2
	v_sub_u32_e32 v15, 29, v15
	v_and_b32_e32 v16, 7, v16
	v_cmp_eq_u16_e32 vcc, 0, v14
	v_cndmask_b32_e32 v13, v13, v16, vcc
	v_cndmask_b32_e32 v14, v14, v15, vcc
	v_lshlrev_b32_e32 v15, 24, v2
	v_mov_b32_e32 v16, 0x3b800000
	v_lshlrev_b32_e32 v13, 20, v13
	v_and_b32_e32 v15, 0x80000000, v15
	v_lshl_add_u32 v14, v14, 23, v16
	v_or3_b32 v13, v15, v14, v13
.LBB2_8712:
	s_or_b64 exec, exec, s[6:7]
	flat_load_dwordx4 a[0:3], v[10:11] offset:192
	s_movk_i32 s4, 0x7f
                                        ; implicit-def: $sgpr10
	s_waitcnt vmcnt(0) lgkmcnt(0)
	v_mfma_f32_16x16x4f32 a[0:3], v12, v13, a[0:3]
	v_lshrrev_b32_e32 v13, 8, v6
	v_cmp_gt_i16_sdwa s[6:7], v13, s4 src0_sel:BYTE_0 src1_sel:DWORD
	s_mov_b64 s[4:5], 0
	s_and_saveexec_b64 s[8:9], s[6:7]
	s_xor_b64 s[6:7], exec, s[8:9]
	s_cbranch_execz .LBB2_8713
; %bb.44553:
	s_getpc_b64 s[14:15]
.Lpost_getpc25860:
	s_add_u32 s14, s14, (.LBB2_23049-.Lpost_getpc25860)&4294967295
	s_addc_u32 s15, s15, (.LBB2_23049-.Lpost_getpc25860)>>32
	s_setpc_b64 s[14:15]
.LBB2_8713:
	s_or_saveexec_b64 s[6:7], s[6:7]
	v_mov_b32_e32 v12, s10
	s_xor_b64 exec, exec, s[6:7]
	s_cbranch_execz .LBB2_8714
; %bb.44555:
	s_getpc_b64 s[14:15]
.Lpost_getpc25861:
	s_add_u32 s14, s14, (.LBB2_23052-.Lpost_getpc25861)&4294967295
	s_addc_u32 s15, s15, (.LBB2_23052-.Lpost_getpc25861)>>32
	s_setpc_b64 s[14:15]
.LBB2_8714:
	s_or_b64 exec, exec, s[6:7]
	s_and_saveexec_b64 s[6:7], s[4:5]
	s_cbranch_execz .LBB2_8716
.LBB2_8715:
	v_bfe_u32 v12, v6, 8, 3
	v_ffbh_u32_e32 v15, v12
	v_min_u32_e32 v15, 32, v15
	v_lshrrev_b16_e32 v14, 3, v13
	v_subrev_u32_e32 v16, 28, v15
	v_and_b32_e32 v14, 15, v14
	v_lshlrev_b32_e32 v13, v16, v13
	v_sub_u32_e32 v15, 29, v15
	v_and_b32_e32 v13, 7, v13
	v_cmp_eq_u16_e32 vcc, 0, v14
	v_cndmask_b32_e32 v12, v12, v13, vcc
	v_cndmask_b32_e32 v13, v14, v15, vcc
	v_lshlrev_b32_e32 v14, 16, v6
	v_mov_b32_e32 v15, 0x3b800000
	v_lshlrev_b32_e32 v12, 20, v12
	v_and_b32_e32 v14, 0x80000000, v14
	v_lshl_add_u32 v13, v13, 23, v15
	v_or3_b32 v12, v14, v13, v12
.LBB2_8716:
	s_or_b64 exec, exec, s[6:7]
	v_lshrrev_b32_e32 v13, 8, v2
	s_movk_i32 s4, 0x7f
	v_cmp_gt_i16_sdwa s[6:7], v13, s4 src0_sel:BYTE_0 src1_sel:DWORD
	s_mov_b64 s[4:5], 0
                                        ; implicit-def: $sgpr10
	s_and_saveexec_b64 s[8:9], s[6:7]
	s_xor_b64 s[6:7], exec, s[8:9]
	s_cbranch_execz .LBB2_8717
; %bb.44557:
	s_getpc_b64 s[14:15]
.Lpost_getpc25862:
	s_add_u32 s14, s14, (.LBB2_23053-.Lpost_getpc25862)&4294967295
	s_addc_u32 s15, s15, (.LBB2_23053-.Lpost_getpc25862)>>32
	s_setpc_b64 s[14:15]
.LBB2_8717:
	s_or_saveexec_b64 s[6:7], s[6:7]
	v_mov_b32_e32 v14, s10
	s_xor_b64 exec, exec, s[6:7]
	s_cbranch_execz .LBB2_8718
; %bb.44559:
	s_getpc_b64 s[14:15]
.Lpost_getpc25863:
	s_add_u32 s14, s14, (.LBB2_23056-.Lpost_getpc25863)&4294967295
	s_addc_u32 s15, s15, (.LBB2_23056-.Lpost_getpc25863)>>32
	s_setpc_b64 s[14:15]
.LBB2_8718:
	s_or_b64 exec, exec, s[6:7]
	s_and_saveexec_b64 s[6:7], s[4:5]
	s_cbranch_execz .LBB2_8720
.LBB2_8719:
	v_bfe_u32 v14, v2, 8, 3
	v_ffbh_u32_e32 v16, v14
	v_min_u32_e32 v16, 32, v16
	v_lshrrev_b16_e32 v15, 3, v13
	v_subrev_u32_e32 v17, 28, v16
	v_and_b32_e32 v15, 15, v15
	v_lshlrev_b32_e32 v13, v17, v13
	v_sub_u32_e32 v16, 29, v16
	v_and_b32_e32 v13, 7, v13
	v_cmp_eq_u16_e32 vcc, 0, v15
	v_cndmask_b32_e32 v13, v14, v13, vcc
	v_cndmask_b32_e32 v14, v15, v16, vcc
	v_lshlrev_b32_e32 v15, 16, v2
	v_mov_b32_e32 v16, 0x3b800000
	v_lshlrev_b32_e32 v13, 20, v13
	v_and_b32_e32 v15, 0x80000000, v15
	v_lshl_add_u32 v14, v14, 23, v16
	v_or3_b32 v14, v15, v14, v13
.LBB2_8720:
	s_or_b64 exec, exec, s[6:7]
	s_nop 0
	v_mfma_f32_16x16x4f32 a[0:3], v12, v14, a[0:3]
	s_movk_i32 s4, 0xff
	v_and_b32_sdwa v13, v6, s4 dst_sel:DWORD dst_unused:UNUSED_PAD src0_sel:WORD_1 src1_sel:DWORD
	s_movk_i32 s4, 0x7f
	v_cmp_lt_i16_e32 vcc, s4, v13
	s_mov_b64 s[4:5], 0
                                        ; implicit-def: $sgpr10
	s_and_saveexec_b64 s[6:7], vcc
	s_xor_b64 s[6:7], exec, s[6:7]
	s_cbranch_execz .LBB2_8721
; %bb.44561:
	s_getpc_b64 s[14:15]
.Lpost_getpc25864:
	s_add_u32 s14, s14, (.LBB2_23057-.Lpost_getpc25864)&4294967295
	s_addc_u32 s15, s15, (.LBB2_23057-.Lpost_getpc25864)>>32
	s_setpc_b64 s[14:15]
.LBB2_8721:
	s_or_saveexec_b64 s[6:7], s[6:7]
	v_mov_b32_e32 v12, s10
	s_xor_b64 exec, exec, s[6:7]
	s_cbranch_execz .LBB2_8722
; %bb.44563:
	s_getpc_b64 s[14:15]
.Lpost_getpc25865:
	s_add_u32 s14, s14, (.LBB2_23060-.Lpost_getpc25865)&4294967295
	s_addc_u32 s15, s15, (.LBB2_23060-.Lpost_getpc25865)>>32
	s_setpc_b64 s[14:15]
.LBB2_8722:
	s_or_b64 exec, exec, s[6:7]
	s_and_saveexec_b64 s[6:7], s[4:5]
	s_cbranch_execz .LBB2_8724
.LBB2_8723:
	v_bfe_u32 v12, v6, 16, 3
	v_ffbh_u32_e32 v15, v12
	v_min_u32_e32 v15, 32, v15
	v_lshrrev_b32_e32 v13, 19, v6
	v_subrev_u32_e32 v16, 28, v15
	v_and_b32_e32 v13, 15, v13
	v_lshlrev_b32_sdwa v16, v16, v6 dst_sel:DWORD dst_unused:UNUSED_PAD src0_sel:DWORD src1_sel:WORD_1
	v_bfe_u32 v14, v6, 19, 4
	v_sub_u32_e32 v15, 29, v15
	v_and_b32_e32 v16, 7, v16
	v_cmp_eq_u16_e32 vcc, 0, v13
	v_cndmask_b32_e32 v12, v12, v16, vcc
	v_cndmask_b32_e32 v13, v14, v15, vcc
	v_lshlrev_b32_e32 v14, 8, v6
	v_mov_b32_e32 v15, 0x3b800000
	v_lshlrev_b32_e32 v12, 20, v12
	v_and_b32_e32 v14, 0x80000000, v14
	v_lshl_add_u32 v13, v13, 23, v15
	v_or3_b32 v12, v14, v13, v12
.LBB2_8724:
	s_or_b64 exec, exec, s[6:7]
	s_movk_i32 s4, 0xff
	v_and_b32_sdwa v13, v2, s4 dst_sel:DWORD dst_unused:UNUSED_PAD src0_sel:WORD_1 src1_sel:DWORD
	s_movk_i32 s4, 0x7f
	v_cmp_lt_i16_e32 vcc, s4, v13
	s_mov_b64 s[4:5], 0
                                        ; implicit-def: $sgpr10
	s_and_saveexec_b64 s[6:7], vcc
	s_xor_b64 s[6:7], exec, s[6:7]
	s_cbranch_execz .LBB2_8725
; %bb.44565:
	s_getpc_b64 s[14:15]
.Lpost_getpc25866:
	s_add_u32 s14, s14, (.LBB2_23061-.Lpost_getpc25866)&4294967295
	s_addc_u32 s15, s15, (.LBB2_23061-.Lpost_getpc25866)>>32
	s_setpc_b64 s[14:15]
.LBB2_8725:
	s_or_saveexec_b64 s[6:7], s[6:7]
	v_mov_b32_e32 v14, s10
	s_xor_b64 exec, exec, s[6:7]
	s_cbranch_execz .LBB2_8726
; %bb.44567:
	s_getpc_b64 s[14:15]
.Lpost_getpc25867:
	s_add_u32 s14, s14, (.LBB2_23064-.Lpost_getpc25867)&4294967295
	s_addc_u32 s15, s15, (.LBB2_23064-.Lpost_getpc25867)>>32
	s_setpc_b64 s[14:15]
.LBB2_8726:
	s_or_b64 exec, exec, s[6:7]
	s_and_saveexec_b64 s[6:7], s[4:5]
	s_cbranch_execz .LBB2_8728
.LBB2_8727:
	v_bfe_u32 v13, v2, 16, 3
	v_ffbh_u32_e32 v16, v13
	v_min_u32_e32 v16, 32, v16
	v_lshrrev_b32_e32 v14, 19, v2
	v_subrev_u32_e32 v17, 28, v16
	v_and_b32_e32 v14, 15, v14
	v_lshlrev_b32_sdwa v17, v17, v2 dst_sel:DWORD dst_unused:UNUSED_PAD src0_sel:DWORD src1_sel:WORD_1
	v_bfe_u32 v15, v2, 19, 4
	v_sub_u32_e32 v16, 29, v16
	v_and_b32_e32 v17, 7, v17
	v_cmp_eq_u16_e32 vcc, 0, v14
	v_cndmask_b32_e32 v13, v13, v17, vcc
	v_cndmask_b32_e32 v14, v15, v16, vcc
	v_lshlrev_b32_e32 v15, 8, v2
	v_mov_b32_e32 v16, 0x3b800000
	v_lshlrev_b32_e32 v13, 20, v13
	v_and_b32_e32 v15, 0x80000000, v15
	v_lshl_add_u32 v14, v14, 23, v16
	v_or3_b32 v14, v15, v14, v13
.LBB2_8728:
	s_or_b64 exec, exec, s[6:7]
	s_nop 0
	v_mfma_f32_16x16x4f32 a[0:3], v12, v14, a[0:3]
	s_movk_i32 s4, 0x7f
	v_cmp_gt_i16_sdwa s[6:7], v6, s4 src0_sel:BYTE_3 src1_sel:DWORD
	s_mov_b64 s[4:5], 0
                                        ; implicit-def: $sgpr10
	s_and_saveexec_b64 s[8:9], s[6:7]
	s_xor_b64 s[6:7], exec, s[8:9]
	s_cbranch_execz .LBB2_8729
; %bb.44569:
	s_getpc_b64 s[14:15]
.Lpost_getpc25868:
	s_add_u32 s14, s14, (.LBB2_23065-.Lpost_getpc25868)&4294967295
	s_addc_u32 s15, s15, (.LBB2_23065-.Lpost_getpc25868)>>32
	s_setpc_b64 s[14:15]
.LBB2_8729:
	s_or_saveexec_b64 s[6:7], s[6:7]
	v_mov_b32_e32 v12, s10
	s_xor_b64 exec, exec, s[6:7]
	s_cbranch_execz .LBB2_8730
; %bb.44571:
	s_getpc_b64 s[14:15]
.Lpost_getpc25869:
	s_add_u32 s14, s14, (.LBB2_23068-.Lpost_getpc25869)&4294967295
	s_addc_u32 s15, s15, (.LBB2_23068-.Lpost_getpc25869)>>32
	s_setpc_b64 s[14:15]
.LBB2_8730:
	s_or_b64 exec, exec, s[6:7]
	s_and_saveexec_b64 s[6:7], s[4:5]
	s_cbranch_execz .LBB2_8732
.LBB2_8731:
	v_bfe_u32 v12, v6, 24, 3
	v_ffbh_u32_e32 v16, v12
	v_min_u32_e32 v16, 32, v16
	v_lshrrev_b32_e32 v14, 27, v6
	v_subrev_u32_e32 v17, 28, v16
	v_and_b32_e32 v13, 0x80000000, v6
	v_and_b32_e32 v14, 15, v14
	v_bfe_u32 v15, v6, 27, 4
	v_lshlrev_b32_sdwa v6, v17, v6 dst_sel:DWORD dst_unused:UNUSED_PAD src0_sel:DWORD src1_sel:BYTE_3
	v_sub_u32_e32 v16, 29, v16
	v_and_b32_e32 v6, 7, v6
	v_cmp_eq_u16_e32 vcc, 0, v14
	v_cndmask_b32_e32 v6, v12, v6, vcc
	v_cndmask_b32_e32 v12, v15, v16, vcc
	v_mov_b32_e32 v14, 0x3b800000
	v_lshlrev_b32_e32 v6, 20, v6
	v_lshl_add_u32 v12, v12, 23, v14
	v_or3_b32 v12, v13, v12, v6
.LBB2_8732:
	s_or_b64 exec, exec, s[6:7]
	s_movk_i32 s4, 0x7f
	v_cmp_gt_i16_sdwa s[6:7], v2, s4 src0_sel:BYTE_3 src1_sel:DWORD
	s_mov_b64 s[4:5], 0
                                        ; implicit-def: $sgpr10
	s_and_saveexec_b64 s[8:9], s[6:7]
	s_xor_b64 s[6:7], exec, s[8:9]
	s_cbranch_execz .LBB2_8733
; %bb.44573:
	s_getpc_b64 s[14:15]
.Lpost_getpc25870:
	s_add_u32 s14, s14, (.LBB2_23069-.Lpost_getpc25870)&4294967295
	s_addc_u32 s15, s15, (.LBB2_23069-.Lpost_getpc25870)>>32
	s_setpc_b64 s[14:15]
.LBB2_8733:
	s_or_saveexec_b64 s[6:7], s[6:7]
	v_mov_b32_e32 v6, s10
	s_xor_b64 exec, exec, s[6:7]
	s_cbranch_execz .LBB2_8734
; %bb.44575:
	s_getpc_b64 s[14:15]
.Lpost_getpc25871:
	s_add_u32 s14, s14, (.LBB2_23072-.Lpost_getpc25871)&4294967295
	s_addc_u32 s15, s15, (.LBB2_23072-.Lpost_getpc25871)>>32
	s_setpc_b64 s[14:15]
.LBB2_8734:
	s_or_b64 exec, exec, s[6:7]
	s_and_saveexec_b64 s[6:7], s[4:5]
	s_cbranch_execz .LBB2_8736
.LBB2_8735:
	v_bfe_u32 v6, v2, 24, 3
	v_ffbh_u32_e32 v16, v6
	v_min_u32_e32 v16, 32, v16
	v_lshrrev_b32_e32 v14, 27, v2
	v_subrev_u32_e32 v17, 28, v16
	v_and_b32_e32 v13, 0x80000000, v2
	v_and_b32_e32 v14, 15, v14
	v_bfe_u32 v15, v2, 27, 4
	v_lshlrev_b32_sdwa v2, v17, v2 dst_sel:DWORD dst_unused:UNUSED_PAD src0_sel:DWORD src1_sel:BYTE_3
	v_sub_u32_e32 v16, 29, v16
	v_and_b32_e32 v2, 7, v2
	v_cmp_eq_u16_e32 vcc, 0, v14
	v_cndmask_b32_e32 v2, v6, v2, vcc
	v_cndmask_b32_e32 v6, v15, v16, vcc
	v_mov_b32_e32 v14, 0x3b800000
	v_lshlrev_b32_e32 v2, 20, v2
	v_lshl_add_u32 v6, v6, 23, v14
	v_or3_b32 v6, v13, v6, v2
.LBB2_8736:
	s_or_b64 exec, exec, s[6:7]
	s_nop 0
	v_mfma_f32_16x16x4f32 a[0:3], v12, v6, a[0:3]
	s_movk_i32 s4, 0x7f
	v_cmp_gt_i16_sdwa s[6:7], v7, s4 src0_sel:BYTE_0 src1_sel:DWORD
	s_mov_b64 s[4:5], 0
                                        ; implicit-def: $sgpr10
	s_and_saveexec_b64 s[8:9], s[6:7]
	s_xor_b64 s[6:7], exec, s[8:9]
	s_cbranch_execz .LBB2_8737
; %bb.44577:
	s_getpc_b64 s[14:15]
.Lpost_getpc25872:
	s_add_u32 s14, s14, (.LBB2_23073-.Lpost_getpc25872)&4294967295
	s_addc_u32 s15, s15, (.LBB2_23073-.Lpost_getpc25872)>>32
	s_setpc_b64 s[14:15]
.LBB2_8737:
	s_or_saveexec_b64 s[6:7], s[6:7]
	v_mov_b32_e32 v2, s10
	s_xor_b64 exec, exec, s[6:7]
	s_cbranch_execz .LBB2_8738
; %bb.44579:
	s_getpc_b64 s[14:15]
.Lpost_getpc25873:
	s_add_u32 s14, s14, (.LBB2_23076-.Lpost_getpc25873)&4294967295
	s_addc_u32 s15, s15, (.LBB2_23076-.Lpost_getpc25873)>>32
	s_setpc_b64 s[14:15]
.LBB2_8738:
	s_or_b64 exec, exec, s[6:7]
	s_and_saveexec_b64 s[6:7], s[4:5]
	s_cbranch_execz .LBB2_8740
.LBB2_8739:
	v_and_b32_e32 v2, 7, v7
	v_ffbh_u32_e32 v12, v2
	v_min_u32_e32 v12, 32, v12
	v_lshrrev_b16_e32 v6, 3, v7
	v_subrev_u32_e32 v13, 28, v12
	v_and_b32_e32 v6, 15, v6
	v_lshlrev_b32_e32 v13, v13, v7
	v_sub_u32_e32 v12, 29, v12
	v_and_b32_e32 v13, 7, v13
	v_cmp_eq_u16_e32 vcc, 0, v6
	v_cndmask_b32_e32 v2, v2, v13, vcc
	v_cndmask_b32_e32 v6, v6, v12, vcc
	v_lshlrev_b32_e32 v12, 24, v7
	v_mov_b32_e32 v13, 0x3b800000
	v_lshlrev_b32_e32 v2, 20, v2
	v_and_b32_e32 v12, 0x80000000, v12
	v_lshl_add_u32 v6, v6, 23, v13
	v_or3_b32 v2, v12, v6, v2
.LBB2_8740:
	s_or_b64 exec, exec, s[6:7]
	s_movk_i32 s4, 0x7f
	v_cmp_gt_i16_sdwa s[6:7], v3, s4 src0_sel:BYTE_0 src1_sel:DWORD
	s_mov_b64 s[4:5], 0
                                        ; implicit-def: $sgpr10
	s_and_saveexec_b64 s[8:9], s[6:7]
	s_xor_b64 s[6:7], exec, s[8:9]
	s_cbranch_execz .LBB2_8741
; %bb.44581:
	s_getpc_b64 s[14:15]
.Lpost_getpc25874:
	s_add_u32 s14, s14, (.LBB2_23077-.Lpost_getpc25874)&4294967295
	s_addc_u32 s15, s15, (.LBB2_23077-.Lpost_getpc25874)>>32
	s_setpc_b64 s[14:15]
.LBB2_8741:
	s_or_saveexec_b64 s[6:7], s[6:7]
	v_mov_b32_e32 v6, s10
	s_xor_b64 exec, exec, s[6:7]
	s_cbranch_execz .LBB2_8742
; %bb.44583:
	s_getpc_b64 s[14:15]
.Lpost_getpc25875:
	s_add_u32 s14, s14, (.LBB2_23080-.Lpost_getpc25875)&4294967295
	s_addc_u32 s15, s15, (.LBB2_23080-.Lpost_getpc25875)>>32
	s_setpc_b64 s[14:15]
.LBB2_8742:
	s_or_b64 exec, exec, s[6:7]
	s_and_saveexec_b64 s[6:7], s[4:5]
	s_cbranch_execz .LBB2_8744
.LBB2_8743:
	v_and_b32_e32 v6, 7, v3
	v_ffbh_u32_e32 v13, v6
	v_min_u32_e32 v13, 32, v13
	v_lshrrev_b16_e32 v12, 3, v3
	v_subrev_u32_e32 v14, 28, v13
	v_and_b32_e32 v12, 15, v12
	v_lshlrev_b32_e32 v14, v14, v3
	v_sub_u32_e32 v13, 29, v13
	v_and_b32_e32 v14, 7, v14
	v_cmp_eq_u16_e32 vcc, 0, v12
	v_cndmask_b32_e32 v6, v6, v14, vcc
	v_cndmask_b32_e32 v12, v12, v13, vcc
	v_lshlrev_b32_e32 v13, 24, v3
	v_mov_b32_e32 v14, 0x3b800000
	v_lshlrev_b32_e32 v6, 20, v6
	v_and_b32_e32 v13, 0x80000000, v13
	v_lshl_add_u32 v12, v12, 23, v14
	v_or3_b32 v6, v13, v12, v6
.LBB2_8744:
	s_or_b64 exec, exec, s[6:7]
	s_nop 0
	v_mfma_f32_16x16x4f32 a[0:3], v2, v6, a[0:3]
	v_lshrrev_b32_e32 v6, 8, v7
	s_movk_i32 s4, 0x7f
	v_cmp_gt_i16_sdwa s[6:7], v6, s4 src0_sel:BYTE_0 src1_sel:DWORD
	s_mov_b64 s[4:5], 0
                                        ; implicit-def: $sgpr10
	s_and_saveexec_b64 s[8:9], s[6:7]
	s_xor_b64 s[6:7], exec, s[8:9]
	s_cbranch_execz .LBB2_8745
; %bb.44585:
	s_getpc_b64 s[14:15]
.Lpost_getpc25876:
	s_add_u32 s14, s14, (.LBB2_23081-.Lpost_getpc25876)&4294967295
	s_addc_u32 s15, s15, (.LBB2_23081-.Lpost_getpc25876)>>32
	s_setpc_b64 s[14:15]
.LBB2_8745:
	s_or_saveexec_b64 s[6:7], s[6:7]
	v_mov_b32_e32 v2, s10
	s_xor_b64 exec, exec, s[6:7]
	s_cbranch_execz .LBB2_8746
; %bb.44587:
	s_getpc_b64 s[14:15]
.Lpost_getpc25877:
	s_add_u32 s14, s14, (.LBB2_23084-.Lpost_getpc25877)&4294967295
	s_addc_u32 s15, s15, (.LBB2_23084-.Lpost_getpc25877)>>32
	s_setpc_b64 s[14:15]
.LBB2_8746:
	s_or_b64 exec, exec, s[6:7]
	s_and_saveexec_b64 s[6:7], s[4:5]
	s_cbranch_execz .LBB2_8748
.LBB2_8747:
	v_bfe_u32 v2, v7, 8, 3
	v_ffbh_u32_e32 v13, v2
	v_min_u32_e32 v13, 32, v13
	v_lshrrev_b16_e32 v12, 3, v6
	v_subrev_u32_e32 v14, 28, v13
	v_and_b32_e32 v12, 15, v12
	v_lshlrev_b32_e32 v6, v14, v6
	v_sub_u32_e32 v13, 29, v13
	v_and_b32_e32 v6, 7, v6
	v_cmp_eq_u16_e32 vcc, 0, v12
	v_cndmask_b32_e32 v2, v2, v6, vcc
	v_cndmask_b32_e32 v6, v12, v13, vcc
	v_lshlrev_b32_e32 v12, 16, v7
	v_mov_b32_e32 v13, 0x3b800000
	v_lshlrev_b32_e32 v2, 20, v2
	v_and_b32_e32 v12, 0x80000000, v12
	v_lshl_add_u32 v6, v6, 23, v13
	v_or3_b32 v2, v12, v6, v2
.LBB2_8748:
	s_or_b64 exec, exec, s[6:7]
	v_lshrrev_b32_e32 v6, 8, v3
	s_movk_i32 s4, 0x7f
	v_cmp_gt_i16_sdwa s[6:7], v6, s4 src0_sel:BYTE_0 src1_sel:DWORD
	s_mov_b64 s[4:5], 0
                                        ; implicit-def: $sgpr10
	s_and_saveexec_b64 s[8:9], s[6:7]
	s_xor_b64 s[6:7], exec, s[8:9]
	s_cbranch_execz .LBB2_8749
; %bb.44589:
	s_getpc_b64 s[14:15]
.Lpost_getpc25878:
	s_add_u32 s14, s14, (.LBB2_23085-.Lpost_getpc25878)&4294967295
	s_addc_u32 s15, s15, (.LBB2_23085-.Lpost_getpc25878)>>32
	s_setpc_b64 s[14:15]
.LBB2_8749:
	s_or_saveexec_b64 s[6:7], s[6:7]
	v_mov_b32_e32 v12, s10
	s_xor_b64 exec, exec, s[6:7]
	s_cbranch_execz .LBB2_8750
; %bb.44591:
	s_getpc_b64 s[14:15]
.Lpost_getpc25879:
	s_add_u32 s14, s14, (.LBB2_23088-.Lpost_getpc25879)&4294967295
	s_addc_u32 s15, s15, (.LBB2_23088-.Lpost_getpc25879)>>32
	s_setpc_b64 s[14:15]
.LBB2_8750:
	s_or_b64 exec, exec, s[6:7]
	s_and_saveexec_b64 s[6:7], s[4:5]
	s_cbranch_execz .LBB2_8752
.LBB2_8751:
	v_bfe_u32 v12, v3, 8, 3
	v_ffbh_u32_e32 v14, v12
	v_min_u32_e32 v14, 32, v14
	v_lshrrev_b16_e32 v13, 3, v6
	v_subrev_u32_e32 v15, 28, v14
	v_and_b32_e32 v13, 15, v13
	v_lshlrev_b32_e32 v6, v15, v6
	v_sub_u32_e32 v14, 29, v14
	v_and_b32_e32 v6, 7, v6
	v_cmp_eq_u16_e32 vcc, 0, v13
	v_cndmask_b32_e32 v6, v12, v6, vcc
	v_cndmask_b32_e32 v12, v13, v14, vcc
	v_lshlrev_b32_e32 v13, 16, v3
	v_mov_b32_e32 v14, 0x3b800000
	v_lshlrev_b32_e32 v6, 20, v6
	v_and_b32_e32 v13, 0x80000000, v13
	v_lshl_add_u32 v12, v12, 23, v14
	v_or3_b32 v12, v13, v12, v6
.LBB2_8752:
	s_or_b64 exec, exec, s[6:7]
	s_nop 0
	v_mfma_f32_16x16x4f32 a[0:3], v2, v12, a[0:3]
	s_movk_i32 s4, 0xff
	v_and_b32_sdwa v6, v7, s4 dst_sel:DWORD dst_unused:UNUSED_PAD src0_sel:WORD_1 src1_sel:DWORD
	s_movk_i32 s4, 0x7f
	v_cmp_lt_i16_e32 vcc, s4, v6
	s_mov_b64 s[4:5], 0
                                        ; implicit-def: $sgpr10
	s_and_saveexec_b64 s[6:7], vcc
	s_xor_b64 s[6:7], exec, s[6:7]
	s_cbranch_execz .LBB2_8753
; %bb.44593:
	s_getpc_b64 s[14:15]
.Lpost_getpc25880:
	s_add_u32 s14, s14, (.LBB2_23089-.Lpost_getpc25880)&4294967295
	s_addc_u32 s15, s15, (.LBB2_23089-.Lpost_getpc25880)>>32
	s_setpc_b64 s[14:15]
.LBB2_8753:
	s_or_saveexec_b64 s[6:7], s[6:7]
	v_mov_b32_e32 v2, s10
	s_xor_b64 exec, exec, s[6:7]
	s_cbranch_execz .LBB2_8754
; %bb.44595:
	s_getpc_b64 s[14:15]
.Lpost_getpc25881:
	s_add_u32 s14, s14, (.LBB2_23092-.Lpost_getpc25881)&4294967295
	s_addc_u32 s15, s15, (.LBB2_23092-.Lpost_getpc25881)>>32
	s_setpc_b64 s[14:15]
.LBB2_8754:
	s_or_b64 exec, exec, s[6:7]
	s_and_saveexec_b64 s[6:7], s[4:5]
	s_cbranch_execz .LBB2_8756
.LBB2_8755:
	v_bfe_u32 v2, v7, 16, 3
	v_ffbh_u32_e32 v13, v2
	v_min_u32_e32 v13, 32, v13
	v_lshrrev_b32_e32 v6, 19, v7
	v_subrev_u32_e32 v14, 28, v13
	v_and_b32_e32 v6, 15, v6
	v_lshlrev_b32_sdwa v14, v14, v7 dst_sel:DWORD dst_unused:UNUSED_PAD src0_sel:DWORD src1_sel:WORD_1
	v_bfe_u32 v12, v7, 19, 4
	v_sub_u32_e32 v13, 29, v13
	v_and_b32_e32 v14, 7, v14
	v_cmp_eq_u16_e32 vcc, 0, v6
	v_cndmask_b32_e32 v2, v2, v14, vcc
	v_cndmask_b32_e32 v6, v12, v13, vcc
	v_lshlrev_b32_e32 v12, 8, v7
	v_mov_b32_e32 v13, 0x3b800000
	v_lshlrev_b32_e32 v2, 20, v2
	v_and_b32_e32 v12, 0x80000000, v12
	v_lshl_add_u32 v6, v6, 23, v13
	v_or3_b32 v2, v12, v6, v2
.LBB2_8756:
	s_or_b64 exec, exec, s[6:7]
	s_movk_i32 s4, 0xff
	v_and_b32_sdwa v6, v3, s4 dst_sel:DWORD dst_unused:UNUSED_PAD src0_sel:WORD_1 src1_sel:DWORD
	s_movk_i32 s4, 0x7f
	v_cmp_lt_i16_e32 vcc, s4, v6
	s_mov_b64 s[4:5], 0
                                        ; implicit-def: $sgpr10
	s_and_saveexec_b64 s[6:7], vcc
	s_xor_b64 s[6:7], exec, s[6:7]
	s_cbranch_execz .LBB2_8757
; %bb.44597:
	s_getpc_b64 s[14:15]
.Lpost_getpc25882:
	s_add_u32 s14, s14, (.LBB2_23093-.Lpost_getpc25882)&4294967295
	s_addc_u32 s15, s15, (.LBB2_23093-.Lpost_getpc25882)>>32
	s_setpc_b64 s[14:15]
.LBB2_8757:
	s_or_saveexec_b64 s[6:7], s[6:7]
	v_mov_b32_e32 v12, s10
	s_xor_b64 exec, exec, s[6:7]
	s_cbranch_execz .LBB2_8758
; %bb.44599:
	s_getpc_b64 s[14:15]
.Lpost_getpc25883:
	s_add_u32 s14, s14, (.LBB2_23096-.Lpost_getpc25883)&4294967295
	s_addc_u32 s15, s15, (.LBB2_23096-.Lpost_getpc25883)>>32
	s_setpc_b64 s[14:15]
.LBB2_8758:
	s_or_b64 exec, exec, s[6:7]
	s_and_saveexec_b64 s[6:7], s[4:5]
	s_cbranch_execz .LBB2_8760
.LBB2_8759:
	v_bfe_u32 v6, v3, 16, 3
	v_ffbh_u32_e32 v14, v6
	v_min_u32_e32 v14, 32, v14
	v_lshrrev_b32_e32 v12, 19, v3
	v_subrev_u32_e32 v15, 28, v14
	v_and_b32_e32 v12, 15, v12
	v_lshlrev_b32_sdwa v15, v15, v3 dst_sel:DWORD dst_unused:UNUSED_PAD src0_sel:DWORD src1_sel:WORD_1
	v_bfe_u32 v13, v3, 19, 4
	v_sub_u32_e32 v14, 29, v14
	v_and_b32_e32 v15, 7, v15
	v_cmp_eq_u16_e32 vcc, 0, v12
	v_cndmask_b32_e32 v6, v6, v15, vcc
	v_cndmask_b32_e32 v12, v13, v14, vcc
	v_lshlrev_b32_e32 v13, 8, v3
	v_mov_b32_e32 v14, 0x3b800000
	v_lshlrev_b32_e32 v6, 20, v6
	v_and_b32_e32 v13, 0x80000000, v13
	v_lshl_add_u32 v12, v12, 23, v14
	v_or3_b32 v12, v13, v12, v6
.LBB2_8760:
	s_or_b64 exec, exec, s[6:7]
	s_nop 0
	v_mfma_f32_16x16x4f32 a[0:3], v2, v12, a[0:3]
	s_movk_i32 s4, 0x7f
	v_cmp_gt_i16_sdwa s[6:7], v7, s4 src0_sel:BYTE_3 src1_sel:DWORD
	s_mov_b64 s[4:5], 0
                                        ; implicit-def: $sgpr10
	s_and_saveexec_b64 s[8:9], s[6:7]
	s_xor_b64 s[6:7], exec, s[8:9]
	s_cbranch_execz .LBB2_8761
; %bb.44601:
	s_getpc_b64 s[14:15]
.Lpost_getpc25884:
	s_add_u32 s14, s14, (.LBB2_23097-.Lpost_getpc25884)&4294967295
	s_addc_u32 s15, s15, (.LBB2_23097-.Lpost_getpc25884)>>32
	s_setpc_b64 s[14:15]
.LBB2_8761:
	s_or_saveexec_b64 s[6:7], s[6:7]
	v_mov_b32_e32 v2, s10
	s_xor_b64 exec, exec, s[6:7]
	s_cbranch_execz .LBB2_8762
; %bb.44603:
	s_getpc_b64 s[14:15]
.Lpost_getpc25885:
	s_add_u32 s14, s14, (.LBB2_23100-.Lpost_getpc25885)&4294967295
	s_addc_u32 s15, s15, (.LBB2_23100-.Lpost_getpc25885)>>32
	s_setpc_b64 s[14:15]
.LBB2_8762:
	s_or_b64 exec, exec, s[6:7]
	s_and_saveexec_b64 s[6:7], s[4:5]
	s_cbranch_execz .LBB2_8764
.LBB2_8763:
	v_bfe_u32 v2, v7, 24, 3
	v_ffbh_u32_e32 v14, v2
	v_min_u32_e32 v14, 32, v14
	v_lshrrev_b32_e32 v12, 27, v7
	v_subrev_u32_e32 v15, 28, v14
	v_and_b32_e32 v6, 0x80000000, v7
	v_and_b32_e32 v12, 15, v12
	v_bfe_u32 v13, v7, 27, 4
	v_lshlrev_b32_sdwa v7, v15, v7 dst_sel:DWORD dst_unused:UNUSED_PAD src0_sel:DWORD src1_sel:BYTE_3
	v_sub_u32_e32 v14, 29, v14
	v_and_b32_e32 v7, 7, v7
	v_cmp_eq_u16_e32 vcc, 0, v12
	v_cndmask_b32_e32 v2, v2, v7, vcc
	v_cndmask_b32_e32 v7, v13, v14, vcc
	v_mov_b32_e32 v12, 0x3b800000
	v_lshlrev_b32_e32 v2, 20, v2
	v_lshl_add_u32 v7, v7, 23, v12
	v_or3_b32 v2, v6, v7, v2
.LBB2_8764:
	s_or_b64 exec, exec, s[6:7]
	s_movk_i32 s4, 0x7f
	v_cmp_gt_i16_sdwa s[6:7], v3, s4 src0_sel:BYTE_3 src1_sel:DWORD
	s_mov_b64 s[4:5], 0
                                        ; implicit-def: $sgpr10
	s_and_saveexec_b64 s[8:9], s[6:7]
	s_xor_b64 s[6:7], exec, s[8:9]
	s_cbranch_execz .LBB2_8765
; %bb.44605:
	s_getpc_b64 s[14:15]
.Lpost_getpc25886:
	s_add_u32 s14, s14, (.LBB2_23101-.Lpost_getpc25886)&4294967295
	s_addc_u32 s15, s15, (.LBB2_23101-.Lpost_getpc25886)>>32
	s_setpc_b64 s[14:15]
.LBB2_8765:
	s_or_saveexec_b64 s[6:7], s[6:7]
	v_mov_b32_e32 v6, s10
	s_xor_b64 exec, exec, s[6:7]
	s_cbranch_execz .LBB2_8766
; %bb.44607:
	s_getpc_b64 s[14:15]
.Lpost_getpc25887:
	s_add_u32 s14, s14, (.LBB2_23104-.Lpost_getpc25887)&4294967295
	s_addc_u32 s15, s15, (.LBB2_23104-.Lpost_getpc25887)>>32
	s_setpc_b64 s[14:15]
.LBB2_8766:
	s_or_b64 exec, exec, s[6:7]
	s_and_saveexec_b64 s[6:7], s[4:5]
	s_cbranch_execz .LBB2_8768
.LBB2_8767:
	v_bfe_u32 v6, v3, 24, 3
	v_ffbh_u32_e32 v14, v6
	v_min_u32_e32 v14, 32, v14
	v_lshrrev_b32_e32 v12, 27, v3
	v_subrev_u32_e32 v15, 28, v14
	v_and_b32_e32 v7, 0x80000000, v3
	v_and_b32_e32 v12, 15, v12
	v_bfe_u32 v13, v3, 27, 4
	v_lshlrev_b32_sdwa v3, v15, v3 dst_sel:DWORD dst_unused:UNUSED_PAD src0_sel:DWORD src1_sel:BYTE_3
	v_sub_u32_e32 v14, 29, v14
	v_and_b32_e32 v3, 7, v3
	v_cmp_eq_u16_e32 vcc, 0, v12
	v_cndmask_b32_e32 v3, v6, v3, vcc
	v_cndmask_b32_e32 v6, v13, v14, vcc
	v_mov_b32_e32 v12, 0x3b800000
	v_lshlrev_b32_e32 v3, 20, v3
	v_lshl_add_u32 v6, v6, 23, v12
	v_or3_b32 v6, v7, v6, v3
.LBB2_8768:
	s_or_b64 exec, exec, s[6:7]
	s_nop 0
	v_mfma_f32_16x16x4f32 a[0:3], v2, v6, a[0:3]
	s_movk_i32 s4, 0x7f
	v_cmp_gt_i16_sdwa s[6:7], v8, s4 src0_sel:BYTE_0 src1_sel:DWORD
	s_mov_b64 s[4:5], 0
                                        ; implicit-def: $sgpr10
	s_and_saveexec_b64 s[8:9], s[6:7]
	s_xor_b64 s[6:7], exec, s[8:9]
	s_cbranch_execz .LBB2_8769
; %bb.44609:
	s_getpc_b64 s[14:15]
.Lpost_getpc25888:
	s_add_u32 s14, s14, (.LBB2_23105-.Lpost_getpc25888)&4294967295
	s_addc_u32 s15, s15, (.LBB2_23105-.Lpost_getpc25888)>>32
	s_setpc_b64 s[14:15]
.LBB2_8769:
	s_or_saveexec_b64 s[6:7], s[6:7]
	v_mov_b32_e32 v2, s10
	s_xor_b64 exec, exec, s[6:7]
	s_cbranch_execz .LBB2_8770
; %bb.44611:
	s_getpc_b64 s[14:15]
.Lpost_getpc25889:
	s_add_u32 s14, s14, (.LBB2_23108-.Lpost_getpc25889)&4294967295
	s_addc_u32 s15, s15, (.LBB2_23108-.Lpost_getpc25889)>>32
	s_setpc_b64 s[14:15]
.LBB2_8770:
	s_or_b64 exec, exec, s[6:7]
	s_and_saveexec_b64 s[6:7], s[4:5]
	s_cbranch_execz .LBB2_8772
.LBB2_8771:
	v_and_b32_e32 v2, 7, v8
	v_ffbh_u32_e32 v6, v2
	v_min_u32_e32 v6, 32, v6
	v_lshrrev_b16_e32 v3, 3, v8
	v_subrev_u32_e32 v7, 28, v6
	v_and_b32_e32 v3, 15, v3
	v_lshlrev_b32_e32 v7, v7, v8
	v_sub_u32_e32 v6, 29, v6
	v_and_b32_e32 v7, 7, v7
	v_cmp_eq_u16_e32 vcc, 0, v3
	v_cndmask_b32_e32 v2, v2, v7, vcc
	v_cndmask_b32_e32 v3, v3, v6, vcc
	v_lshlrev_b32_e32 v6, 24, v8
	v_mov_b32_e32 v7, 0x3b800000
	v_lshlrev_b32_e32 v2, 20, v2
	v_and_b32_e32 v6, 0x80000000, v6
	v_lshl_add_u32 v3, v3, 23, v7
	v_or3_b32 v2, v6, v3, v2
.LBB2_8772:
	s_or_b64 exec, exec, s[6:7]
	s_movk_i32 s4, 0x7f
	v_cmp_gt_i16_sdwa s[6:7], v4, s4 src0_sel:BYTE_0 src1_sel:DWORD
	s_mov_b64 s[4:5], 0
                                        ; implicit-def: $sgpr10
	s_and_saveexec_b64 s[8:9], s[6:7]
	s_xor_b64 s[6:7], exec, s[8:9]
	s_cbranch_execz .LBB2_8773
; %bb.44613:
	s_getpc_b64 s[14:15]
.Lpost_getpc25890:
	s_add_u32 s14, s14, (.LBB2_23109-.Lpost_getpc25890)&4294967295
	s_addc_u32 s15, s15, (.LBB2_23109-.Lpost_getpc25890)>>32
	s_setpc_b64 s[14:15]
.LBB2_8773:
	s_or_saveexec_b64 s[6:7], s[6:7]
	v_mov_b32_e32 v3, s10
	s_xor_b64 exec, exec, s[6:7]
	s_cbranch_execz .LBB2_8774
; %bb.44615:
	s_getpc_b64 s[14:15]
.Lpost_getpc25891:
	s_add_u32 s14, s14, (.LBB2_23112-.Lpost_getpc25891)&4294967295
	s_addc_u32 s15, s15, (.LBB2_23112-.Lpost_getpc25891)>>32
	s_setpc_b64 s[14:15]
.LBB2_8774:
	s_or_b64 exec, exec, s[6:7]
	s_and_saveexec_b64 s[6:7], s[4:5]
	s_cbranch_execz .LBB2_8776
.LBB2_8775:
	v_and_b32_e32 v3, 7, v4
	v_ffbh_u32_e32 v7, v3
	v_min_u32_e32 v7, 32, v7
	v_lshrrev_b16_e32 v6, 3, v4
	v_subrev_u32_e32 v12, 28, v7
	v_and_b32_e32 v6, 15, v6
	v_lshlrev_b32_e32 v12, v12, v4
	v_sub_u32_e32 v7, 29, v7
	v_and_b32_e32 v12, 7, v12
	v_cmp_eq_u16_e32 vcc, 0, v6
	v_cndmask_b32_e32 v3, v3, v12, vcc
	v_cndmask_b32_e32 v6, v6, v7, vcc
	v_lshlrev_b32_e32 v7, 24, v4
	v_mov_b32_e32 v12, 0x3b800000
	v_lshlrev_b32_e32 v3, 20, v3
	v_and_b32_e32 v7, 0x80000000, v7
	v_lshl_add_u32 v6, v6, 23, v12
	v_or3_b32 v3, v7, v6, v3
.LBB2_8776:
	s_or_b64 exec, exec, s[6:7]
	s_nop 0
	v_mfma_f32_16x16x4f32 a[0:3], v2, v3, a[0:3]
	v_lshrrev_b32_e32 v3, 8, v8
	s_movk_i32 s4, 0x7f
	v_cmp_gt_i16_sdwa s[6:7], v3, s4 src0_sel:BYTE_0 src1_sel:DWORD
	s_mov_b64 s[4:5], 0
                                        ; implicit-def: $sgpr10
	s_and_saveexec_b64 s[8:9], s[6:7]
	s_xor_b64 s[6:7], exec, s[8:9]
	s_cbranch_execz .LBB2_8777
; %bb.44617:
	s_getpc_b64 s[14:15]
.Lpost_getpc25892:
	s_add_u32 s14, s14, (.LBB2_23113-.Lpost_getpc25892)&4294967295
	s_addc_u32 s15, s15, (.LBB2_23113-.Lpost_getpc25892)>>32
	s_setpc_b64 s[14:15]
.LBB2_8777:
	s_or_saveexec_b64 s[6:7], s[6:7]
	v_mov_b32_e32 v2, s10
	s_xor_b64 exec, exec, s[6:7]
	s_cbranch_execz .LBB2_8778
; %bb.44619:
	s_getpc_b64 s[14:15]
.Lpost_getpc25893:
	s_add_u32 s14, s14, (.LBB2_23116-.Lpost_getpc25893)&4294967295
	s_addc_u32 s15, s15, (.LBB2_23116-.Lpost_getpc25893)>>32
	s_setpc_b64 s[14:15]
.LBB2_8778:
	s_or_b64 exec, exec, s[6:7]
	s_and_saveexec_b64 s[6:7], s[4:5]
	s_cbranch_execz .LBB2_8780
.LBB2_8779:
	v_bfe_u32 v2, v8, 8, 3
	v_ffbh_u32_e32 v7, v2
	v_min_u32_e32 v7, 32, v7
	v_lshrrev_b16_e32 v6, 3, v3
	v_subrev_u32_e32 v12, 28, v7
	v_and_b32_e32 v6, 15, v6
	v_lshlrev_b32_e32 v3, v12, v3
	v_sub_u32_e32 v7, 29, v7
	v_and_b32_e32 v3, 7, v3
	v_cmp_eq_u16_e32 vcc, 0, v6
	v_cndmask_b32_e32 v2, v2, v3, vcc
	v_cndmask_b32_e32 v3, v6, v7, vcc
	v_lshlrev_b32_e32 v6, 16, v8
	v_mov_b32_e32 v7, 0x3b800000
	v_lshlrev_b32_e32 v2, 20, v2
	v_and_b32_e32 v6, 0x80000000, v6
	v_lshl_add_u32 v3, v3, 23, v7
	v_or3_b32 v2, v6, v3, v2
.LBB2_8780:
	s_or_b64 exec, exec, s[6:7]
	v_lshrrev_b32_e32 v3, 8, v4
	s_movk_i32 s4, 0x7f
	v_cmp_gt_i16_sdwa s[6:7], v3, s4 src0_sel:BYTE_0 src1_sel:DWORD
	s_mov_b64 s[4:5], 0
                                        ; implicit-def: $sgpr10
	s_and_saveexec_b64 s[8:9], s[6:7]
	s_xor_b64 s[6:7], exec, s[8:9]
	s_cbranch_execz .LBB2_8781
; %bb.44621:
	s_getpc_b64 s[14:15]
.Lpost_getpc25894:
	s_add_u32 s14, s14, (.LBB2_23117-.Lpost_getpc25894)&4294967295
	s_addc_u32 s15, s15, (.LBB2_23117-.Lpost_getpc25894)>>32
	s_setpc_b64 s[14:15]
.LBB2_8781:
	s_or_saveexec_b64 s[6:7], s[6:7]
	v_mov_b32_e32 v6, s10
	s_xor_b64 exec, exec, s[6:7]
	s_cbranch_execz .LBB2_8782
; %bb.44623:
	s_getpc_b64 s[14:15]
.Lpost_getpc25895:
	s_add_u32 s14, s14, (.LBB2_23120-.Lpost_getpc25895)&4294967295
	s_addc_u32 s15, s15, (.LBB2_23120-.Lpost_getpc25895)>>32
	s_setpc_b64 s[14:15]
.LBB2_8782:
	s_or_b64 exec, exec, s[6:7]
	s_and_saveexec_b64 s[6:7], s[4:5]
	s_cbranch_execz .LBB2_8784
.LBB2_8783:
	v_bfe_u32 v6, v4, 8, 3
	v_ffbh_u32_e32 v12, v6
	v_min_u32_e32 v12, 32, v12
	v_lshrrev_b16_e32 v7, 3, v3
	v_subrev_u32_e32 v13, 28, v12
	v_and_b32_e32 v7, 15, v7
	v_lshlrev_b32_e32 v3, v13, v3
	v_sub_u32_e32 v12, 29, v12
	v_and_b32_e32 v3, 7, v3
	v_cmp_eq_u16_e32 vcc, 0, v7
	v_cndmask_b32_e32 v3, v6, v3, vcc
	v_cndmask_b32_e32 v6, v7, v12, vcc
	v_lshlrev_b32_e32 v7, 16, v4
	v_mov_b32_e32 v12, 0x3b800000
	v_lshlrev_b32_e32 v3, 20, v3
	v_and_b32_e32 v7, 0x80000000, v7
	v_lshl_add_u32 v6, v6, 23, v12
	v_or3_b32 v6, v7, v6, v3
.LBB2_8784:
	s_or_b64 exec, exec, s[6:7]
	s_nop 0
	v_mfma_f32_16x16x4f32 a[0:3], v2, v6, a[0:3]
	s_movk_i32 s4, 0xff
	v_and_b32_sdwa v3, v8, s4 dst_sel:DWORD dst_unused:UNUSED_PAD src0_sel:WORD_1 src1_sel:DWORD
	s_movk_i32 s4, 0x7f
	v_cmp_lt_i16_e32 vcc, s4, v3
	s_mov_b64 s[4:5], 0
                                        ; implicit-def: $sgpr10
	s_and_saveexec_b64 s[6:7], vcc
	s_xor_b64 s[6:7], exec, s[6:7]
	s_cbranch_execz .LBB2_8785
; %bb.44625:
	s_getpc_b64 s[14:15]
.Lpost_getpc25896:
	s_add_u32 s14, s14, (.LBB2_23121-.Lpost_getpc25896)&4294967295
	s_addc_u32 s15, s15, (.LBB2_23121-.Lpost_getpc25896)>>32
	s_setpc_b64 s[14:15]
.LBB2_8785:
	s_or_saveexec_b64 s[6:7], s[6:7]
	v_mov_b32_e32 v2, s10
	s_xor_b64 exec, exec, s[6:7]
	s_cbranch_execz .LBB2_8786
; %bb.44627:
	s_getpc_b64 s[14:15]
.Lpost_getpc25897:
	s_add_u32 s14, s14, (.LBB2_23124-.Lpost_getpc25897)&4294967295
	s_addc_u32 s15, s15, (.LBB2_23124-.Lpost_getpc25897)>>32
	s_setpc_b64 s[14:15]
.LBB2_8786:
	s_or_b64 exec, exec, s[6:7]
	s_and_saveexec_b64 s[6:7], s[4:5]
	s_cbranch_execz .LBB2_8788
.LBB2_8787:
	v_bfe_u32 v2, v8, 16, 3
	v_ffbh_u32_e32 v7, v2
	v_min_u32_e32 v7, 32, v7
	v_lshrrev_b32_e32 v3, 19, v8
	v_subrev_u32_e32 v12, 28, v7
	v_and_b32_e32 v3, 15, v3
	v_lshlrev_b32_sdwa v12, v12, v8 dst_sel:DWORD dst_unused:UNUSED_PAD src0_sel:DWORD src1_sel:WORD_1
	v_bfe_u32 v6, v8, 19, 4
	v_sub_u32_e32 v7, 29, v7
	v_and_b32_e32 v12, 7, v12
	v_cmp_eq_u16_e32 vcc, 0, v3
	v_cndmask_b32_e32 v2, v2, v12, vcc
	v_cndmask_b32_e32 v3, v6, v7, vcc
	v_lshlrev_b32_e32 v6, 8, v8
	v_mov_b32_e32 v7, 0x3b800000
	v_lshlrev_b32_e32 v2, 20, v2
	v_and_b32_e32 v6, 0x80000000, v6
	v_lshl_add_u32 v3, v3, 23, v7
	v_or3_b32 v2, v6, v3, v2
.LBB2_8788:
	s_or_b64 exec, exec, s[6:7]
	s_movk_i32 s4, 0xff
	v_and_b32_sdwa v3, v4, s4 dst_sel:DWORD dst_unused:UNUSED_PAD src0_sel:WORD_1 src1_sel:DWORD
	s_movk_i32 s4, 0x7f
	v_cmp_lt_i16_e32 vcc, s4, v3
	s_mov_b64 s[4:5], 0
                                        ; implicit-def: $sgpr10
	s_and_saveexec_b64 s[6:7], vcc
	s_xor_b64 s[6:7], exec, s[6:7]
	s_cbranch_execz .LBB2_8789
; %bb.44629:
	s_getpc_b64 s[14:15]
.Lpost_getpc25898:
	s_add_u32 s14, s14, (.LBB2_23125-.Lpost_getpc25898)&4294967295
	s_addc_u32 s15, s15, (.LBB2_23125-.Lpost_getpc25898)>>32
	s_setpc_b64 s[14:15]
.LBB2_8789:
	s_or_saveexec_b64 s[6:7], s[6:7]
	v_mov_b32_e32 v6, s10
	s_xor_b64 exec, exec, s[6:7]
	s_cbranch_execz .LBB2_8790
; %bb.44631:
	s_getpc_b64 s[14:15]
.Lpost_getpc25899:
	s_add_u32 s14, s14, (.LBB2_23128-.Lpost_getpc25899)&4294967295
	s_addc_u32 s15, s15, (.LBB2_23128-.Lpost_getpc25899)>>32
	s_setpc_b64 s[14:15]
.LBB2_8790:
	s_or_b64 exec, exec, s[6:7]
	s_and_saveexec_b64 s[6:7], s[4:5]
	s_cbranch_execz .LBB2_8792
.LBB2_8791:
	v_bfe_u32 v3, v4, 16, 3
	v_ffbh_u32_e32 v12, v3
	v_min_u32_e32 v12, 32, v12
	v_lshrrev_b32_e32 v6, 19, v4
	v_subrev_u32_e32 v13, 28, v12
	v_and_b32_e32 v6, 15, v6
	v_lshlrev_b32_sdwa v13, v13, v4 dst_sel:DWORD dst_unused:UNUSED_PAD src0_sel:DWORD src1_sel:WORD_1
	v_bfe_u32 v7, v4, 19, 4
	v_sub_u32_e32 v12, 29, v12
	v_and_b32_e32 v13, 7, v13
	v_cmp_eq_u16_e32 vcc, 0, v6
	v_cndmask_b32_e32 v3, v3, v13, vcc
	v_cndmask_b32_e32 v6, v7, v12, vcc
	v_lshlrev_b32_e32 v7, 8, v4
	v_mov_b32_e32 v12, 0x3b800000
	v_lshlrev_b32_e32 v3, 20, v3
	v_and_b32_e32 v7, 0x80000000, v7
	v_lshl_add_u32 v6, v6, 23, v12
	v_or3_b32 v6, v7, v6, v3
.LBB2_8792:
	s_or_b64 exec, exec, s[6:7]
	s_nop 0
	v_mfma_f32_16x16x4f32 a[0:3], v2, v6, a[0:3]
	s_movk_i32 s4, 0x7f
	v_cmp_gt_i16_sdwa s[6:7], v8, s4 src0_sel:BYTE_3 src1_sel:DWORD
	s_mov_b64 s[4:5], 0
                                        ; implicit-def: $sgpr10
	s_and_saveexec_b64 s[8:9], s[6:7]
	s_xor_b64 s[6:7], exec, s[8:9]
	s_cbranch_execz .LBB2_8793
; %bb.44633:
	s_getpc_b64 s[14:15]
.Lpost_getpc25900:
	s_add_u32 s14, s14, (.LBB2_23129-.Lpost_getpc25900)&4294967295
	s_addc_u32 s15, s15, (.LBB2_23129-.Lpost_getpc25900)>>32
	s_setpc_b64 s[14:15]
.LBB2_8793:
	s_or_saveexec_b64 s[6:7], s[6:7]
	v_mov_b32_e32 v2, s10
	s_xor_b64 exec, exec, s[6:7]
	s_cbranch_execz .LBB2_8794
; %bb.44635:
	s_getpc_b64 s[14:15]
.Lpost_getpc25901:
	s_add_u32 s14, s14, (.LBB2_23132-.Lpost_getpc25901)&4294967295
	s_addc_u32 s15, s15, (.LBB2_23132-.Lpost_getpc25901)>>32
	s_setpc_b64 s[14:15]
.LBB2_8794:
	s_or_b64 exec, exec, s[6:7]
	s_and_saveexec_b64 s[6:7], s[4:5]
	s_cbranch_execz .LBB2_8796
.LBB2_8795:
	v_bfe_u32 v2, v8, 24, 3
	v_ffbh_u32_e32 v12, v2
	v_min_u32_e32 v12, 32, v12
	v_lshrrev_b32_e32 v6, 27, v8
	v_subrev_u32_e32 v13, 28, v12
	v_and_b32_e32 v3, 0x80000000, v8
	v_and_b32_e32 v6, 15, v6
	v_bfe_u32 v7, v8, 27, 4
	v_lshlrev_b32_sdwa v8, v13, v8 dst_sel:DWORD dst_unused:UNUSED_PAD src0_sel:DWORD src1_sel:BYTE_3
	v_sub_u32_e32 v12, 29, v12
	v_and_b32_e32 v8, 7, v8
	v_cmp_eq_u16_e32 vcc, 0, v6
	v_cndmask_b32_e32 v2, v2, v8, vcc
	v_cndmask_b32_e32 v6, v7, v12, vcc
	v_mov_b32_e32 v7, 0x3b800000
	v_lshlrev_b32_e32 v2, 20, v2
	v_lshl_add_u32 v6, v6, 23, v7
	v_or3_b32 v2, v3, v6, v2
.LBB2_8796:
	s_or_b64 exec, exec, s[6:7]
	s_movk_i32 s4, 0x7f
	v_cmp_gt_i16_sdwa s[6:7], v4, s4 src0_sel:BYTE_3 src1_sel:DWORD
	s_mov_b64 s[4:5], 0
                                        ; implicit-def: $sgpr10
	s_and_saveexec_b64 s[8:9], s[6:7]
	s_xor_b64 s[6:7], exec, s[8:9]
	s_cbranch_execz .LBB2_8797
; %bb.44637:
	s_getpc_b64 s[14:15]
.Lpost_getpc25902:
	s_add_u32 s14, s14, (.LBB2_23133-.Lpost_getpc25902)&4294967295
	s_addc_u32 s15, s15, (.LBB2_23133-.Lpost_getpc25902)>>32
	s_setpc_b64 s[14:15]
.LBB2_8797:
	s_or_saveexec_b64 s[6:7], s[6:7]
	v_mov_b32_e32 v3, s10
	s_xor_b64 exec, exec, s[6:7]
	s_cbranch_execz .LBB2_8798
; %bb.44639:
	s_getpc_b64 s[14:15]
.Lpost_getpc25903:
	s_add_u32 s14, s14, (.LBB2_23136-.Lpost_getpc25903)&4294967295
	s_addc_u32 s15, s15, (.LBB2_23136-.Lpost_getpc25903)>>32
	s_setpc_b64 s[14:15]
.LBB2_8798:
	s_or_b64 exec, exec, s[6:7]
	s_and_saveexec_b64 s[6:7], s[4:5]
	s_cbranch_execz .LBB2_8800
.LBB2_8799:
	v_bfe_u32 v3, v4, 24, 3
	v_ffbh_u32_e32 v12, v3
	v_min_u32_e32 v12, 32, v12
	v_lshrrev_b32_e32 v7, 27, v4
	v_subrev_u32_e32 v13, 28, v12
	v_and_b32_e32 v6, 0x80000000, v4
	v_and_b32_e32 v7, 15, v7
	v_bfe_u32 v8, v4, 27, 4
	v_lshlrev_b32_sdwa v4, v13, v4 dst_sel:DWORD dst_unused:UNUSED_PAD src0_sel:DWORD src1_sel:BYTE_3
	v_sub_u32_e32 v12, 29, v12
	v_and_b32_e32 v4, 7, v4
	v_cmp_eq_u16_e32 vcc, 0, v7
	v_cndmask_b32_e32 v3, v3, v4, vcc
	v_cndmask_b32_e32 v4, v8, v12, vcc
	v_mov_b32_e32 v7, 0x3b800000
	v_lshlrev_b32_e32 v3, 20, v3
	v_lshl_add_u32 v4, v4, 23, v7
	v_or3_b32 v3, v6, v4, v3
.LBB2_8800:
	s_or_b64 exec, exec, s[6:7]
	s_nop 0
	v_mfma_f32_16x16x4f32 a[0:3], v2, v3, a[0:3]
	s_movk_i32 s4, 0x7f
	v_cmp_gt_i16_sdwa s[6:7], v9, s4 src0_sel:BYTE_0 src1_sel:DWORD
	s_mov_b64 s[4:5], 0
                                        ; implicit-def: $sgpr10
	s_and_saveexec_b64 s[8:9], s[6:7]
	s_xor_b64 s[6:7], exec, s[8:9]
	s_cbranch_execz .LBB2_8801
; %bb.44641:
	s_getpc_b64 s[14:15]
.Lpost_getpc25904:
	s_add_u32 s14, s14, (.LBB2_23137-.Lpost_getpc25904)&4294967295
	s_addc_u32 s15, s15, (.LBB2_23137-.Lpost_getpc25904)>>32
	s_setpc_b64 s[14:15]
.LBB2_8801:
	s_or_saveexec_b64 s[6:7], s[6:7]
	v_mov_b32_e32 v2, s10
	s_xor_b64 exec, exec, s[6:7]
	s_cbranch_execz .LBB2_8802
; %bb.44643:
	s_getpc_b64 s[14:15]
.Lpost_getpc25905:
	s_add_u32 s14, s14, (.LBB2_23140-.Lpost_getpc25905)&4294967295
	s_addc_u32 s15, s15, (.LBB2_23140-.Lpost_getpc25905)>>32
	s_setpc_b64 s[14:15]
.LBB2_8802:
	s_or_b64 exec, exec, s[6:7]
	s_and_saveexec_b64 s[6:7], s[4:5]
	s_cbranch_execz .LBB2_8804
.LBB2_8803:
	v_mov_b32_e32 v2, 8
	v_and_b32_e32 v3, 7, v9
	v_lshrrev_b32_sdwa v2, v2, v9 dst_sel:BYTE_1 dst_unused:UNUSED_PAD src0_sel:DWORD src1_sel:DWORD
	v_ffbh_u32_e32 v4, v3
	v_or_b32_sdwa v2, v9, v2 dst_sel:DWORD dst_unused:UNUSED_PAD src0_sel:BYTE_0 src1_sel:DWORD
	v_min_u32_e32 v4, 32, v4
	v_lshrrev_b16_e32 v2, 3, v2
	v_subrev_u32_e32 v6, 28, v4
	v_and_b32_e32 v2, 15, v2
	v_lshlrev_b32_e32 v6, v6, v9
	v_sub_u32_e32 v4, 29, v4
	v_and_b32_e32 v6, 7, v6
	v_cmp_eq_u16_e32 vcc, 0, v2
	v_cndmask_b32_e32 v3, v3, v6, vcc
	v_cndmask_b32_e32 v2, v2, v4, vcc
	v_lshlrev_b32_e32 v4, 24, v9
	v_mov_b32_e32 v6, 0x3b800000
	v_lshlrev_b32_e32 v3, 20, v3
	v_and_b32_e32 v4, 0x80000000, v4
	v_lshl_add_u32 v2, v2, 23, v6
	v_or3_b32 v2, v4, v2, v3
.LBB2_8804:
	s_or_b64 exec, exec, s[6:7]
	s_movk_i32 s4, 0x7f
	v_cmp_gt_i16_sdwa s[6:7], v5, s4 src0_sel:BYTE_0 src1_sel:DWORD
	s_mov_b64 s[4:5], 0
                                        ; implicit-def: $sgpr10
	s_and_saveexec_b64 s[8:9], s[6:7]
	s_xor_b64 s[6:7], exec, s[8:9]
	s_cbranch_execz .LBB2_8805
; %bb.44645:
	s_getpc_b64 s[14:15]
.Lpost_getpc25906:
	s_add_u32 s14, s14, (.LBB2_23141-.Lpost_getpc25906)&4294967295
	s_addc_u32 s15, s15, (.LBB2_23141-.Lpost_getpc25906)>>32
	s_setpc_b64 s[14:15]
.LBB2_8805:
	s_or_saveexec_b64 s[6:7], s[6:7]
	v_mov_b32_e32 v3, s10
	s_xor_b64 exec, exec, s[6:7]
	s_cbranch_execz .LBB2_8806
; %bb.44647:
	s_getpc_b64 s[14:15]
.Lpost_getpc25907:
	s_add_u32 s14, s14, (.LBB2_23144-.Lpost_getpc25907)&4294967295
	s_addc_u32 s15, s15, (.LBB2_23144-.Lpost_getpc25907)>>32
	s_setpc_b64 s[14:15]
.LBB2_8806:
	s_or_b64 exec, exec, s[6:7]
	s_and_saveexec_b64 s[6:7], s[4:5]
	s_cbranch_execz .LBB2_8808
.LBB2_8807:
	v_mov_b32_e32 v3, 8
	v_and_b32_e32 v4, 7, v5
	v_lshrrev_b32_sdwa v3, v3, v5 dst_sel:BYTE_1 dst_unused:UNUSED_PAD src0_sel:DWORD src1_sel:DWORD
	v_ffbh_u32_e32 v6, v4
	v_or_b32_sdwa v3, v5, v3 dst_sel:DWORD dst_unused:UNUSED_PAD src0_sel:BYTE_0 src1_sel:DWORD
	v_min_u32_e32 v6, 32, v6
	v_lshrrev_b16_e32 v3, 3, v3
	v_subrev_u32_e32 v7, 28, v6
	v_and_b32_e32 v3, 15, v3
	v_lshlrev_b32_e32 v7, v7, v5
	v_sub_u32_e32 v6, 29, v6
	v_and_b32_e32 v7, 7, v7
	v_cmp_eq_u16_e32 vcc, 0, v3
	v_cndmask_b32_e32 v4, v4, v7, vcc
	v_cndmask_b32_e32 v3, v3, v6, vcc
	v_lshlrev_b32_e32 v6, 24, v5
	v_mov_b32_e32 v7, 0x3b800000
	v_lshlrev_b32_e32 v4, 20, v4
	v_and_b32_e32 v6, 0x80000000, v6
	v_lshl_add_u32 v3, v3, 23, v7
	v_or3_b32 v3, v6, v3, v4
.LBB2_8808:
	s_or_b64 exec, exec, s[6:7]
	s_nop 0
	v_mfma_f32_16x16x4f32 a[0:3], v2, v3, a[0:3]
	v_lshrrev_b32_e32 v3, 8, v9
	s_movk_i32 s4, 0x7f
	v_cmp_gt_i16_sdwa s[6:7], v3, s4 src0_sel:BYTE_0 src1_sel:DWORD
	s_mov_b64 s[4:5], 0
                                        ; implicit-def: $sgpr10
	s_and_saveexec_b64 s[8:9], s[6:7]
	s_xor_b64 s[6:7], exec, s[8:9]
	s_cbranch_execz .LBB2_8809
; %bb.44649:
	s_getpc_b64 s[14:15]
.Lpost_getpc25908:
	s_add_u32 s14, s14, (.LBB2_23145-.Lpost_getpc25908)&4294967295
	s_addc_u32 s15, s15, (.LBB2_23145-.Lpost_getpc25908)>>32
	s_setpc_b64 s[14:15]
.LBB2_8809:
	s_or_saveexec_b64 s[6:7], s[6:7]
	v_mov_b32_e32 v2, s10
	s_xor_b64 exec, exec, s[6:7]
	s_cbranch_execz .LBB2_8810
; %bb.44651:
	s_getpc_b64 s[14:15]
.Lpost_getpc25909:
	s_add_u32 s14, s14, (.LBB2_23148-.Lpost_getpc25909)&4294967295
	s_addc_u32 s15, s15, (.LBB2_23148-.Lpost_getpc25909)>>32
	s_setpc_b64 s[14:15]
.LBB2_8810:
	s_or_b64 exec, exec, s[6:7]
	s_and_saveexec_b64 s[6:7], s[4:5]
	s_cbranch_execz .LBB2_8812
.LBB2_8811:
	v_bfe_u32 v2, v9, 8, 3
	v_ffbh_u32_e32 v6, v2
	v_min_u32_e32 v6, 32, v6
	v_lshrrev_b16_e32 v4, 3, v3
	v_subrev_u32_e32 v7, 28, v6
	v_and_b32_e32 v4, 15, v4
	v_lshlrev_b32_e32 v3, v7, v3
	v_sub_u32_e32 v6, 29, v6
	v_and_b32_e32 v3, 7, v3
	v_cmp_eq_u16_e32 vcc, 0, v4
	v_cndmask_b32_e32 v2, v2, v3, vcc
	v_cndmask_b32_e32 v3, v4, v6, vcc
	v_lshlrev_b32_e32 v4, 16, v9
	v_mov_b32_e32 v6, 0x3b800000
	v_lshlrev_b32_e32 v2, 20, v2
	v_and_b32_e32 v4, 0x80000000, v4
	v_lshl_add_u32 v3, v3, 23, v6
	v_or3_b32 v2, v4, v3, v2
.LBB2_8812:
	s_or_b64 exec, exec, s[6:7]
	v_lshrrev_b32_e32 v3, 8, v5
	s_movk_i32 s4, 0x7f
	v_cmp_gt_i16_sdwa s[6:7], v3, s4 src0_sel:BYTE_0 src1_sel:DWORD
	s_mov_b64 s[4:5], 0
                                        ; implicit-def: $sgpr10
	s_and_saveexec_b64 s[8:9], s[6:7]
	s_xor_b64 s[6:7], exec, s[8:9]
	s_cbranch_execz .LBB2_8813
; %bb.44653:
	s_getpc_b64 s[14:15]
.Lpost_getpc25910:
	s_add_u32 s14, s14, (.LBB2_23149-.Lpost_getpc25910)&4294967295
	s_addc_u32 s15, s15, (.LBB2_23149-.Lpost_getpc25910)>>32
	s_setpc_b64 s[14:15]
.LBB2_8813:
	s_or_saveexec_b64 s[6:7], s[6:7]
	v_mov_b32_e32 v4, s10
	s_xor_b64 exec, exec, s[6:7]
	s_cbranch_execz .LBB2_8814
; %bb.44655:
	s_getpc_b64 s[14:15]
.Lpost_getpc25911:
	s_add_u32 s14, s14, (.LBB2_23152-.Lpost_getpc25911)&4294967295
	s_addc_u32 s15, s15, (.LBB2_23152-.Lpost_getpc25911)>>32
	s_setpc_b64 s[14:15]
.LBB2_8814:
	s_or_b64 exec, exec, s[6:7]
	s_and_saveexec_b64 s[6:7], s[4:5]
	s_cbranch_execz .LBB2_8816
.LBB2_8815:
	v_bfe_u32 v4, v5, 8, 3
	v_ffbh_u32_e32 v7, v4
	v_min_u32_e32 v7, 32, v7
	v_lshrrev_b16_e32 v6, 3, v3
	v_subrev_u32_e32 v8, 28, v7
	v_and_b32_e32 v6, 15, v6
	v_lshlrev_b32_e32 v3, v8, v3
	v_sub_u32_e32 v7, 29, v7
	v_and_b32_e32 v3, 7, v3
	v_cmp_eq_u16_e32 vcc, 0, v6
	v_cndmask_b32_e32 v3, v4, v3, vcc
	v_cndmask_b32_e32 v4, v6, v7, vcc
	v_lshlrev_b32_e32 v6, 16, v5
	v_mov_b32_e32 v7, 0x3b800000
	v_lshlrev_b32_e32 v3, 20, v3
	v_and_b32_e32 v6, 0x80000000, v6
	v_lshl_add_u32 v4, v4, 23, v7
	v_or3_b32 v4, v6, v4, v3
.LBB2_8816:
	s_or_b64 exec, exec, s[6:7]
	s_nop 0
	v_mfma_f32_16x16x4f32 a[0:3], v2, v4, a[0:3]
	s_movk_i32 s4, 0xff
	v_and_b32_sdwa v3, v9, s4 dst_sel:DWORD dst_unused:UNUSED_PAD src0_sel:WORD_1 src1_sel:DWORD
	s_movk_i32 s4, 0x7f
	v_cmp_lt_i16_e32 vcc, s4, v3
	s_mov_b64 s[4:5], 0
                                        ; implicit-def: $sgpr10
	s_and_saveexec_b64 s[6:7], vcc
	s_xor_b64 s[6:7], exec, s[6:7]
	s_cbranch_execz .LBB2_8817
; %bb.44657:
	s_getpc_b64 s[14:15]
.Lpost_getpc25912:
	s_add_u32 s14, s14, (.LBB2_23153-.Lpost_getpc25912)&4294967295
	s_addc_u32 s15, s15, (.LBB2_23153-.Lpost_getpc25912)>>32
	s_setpc_b64 s[14:15]
.LBB2_8817:
	s_or_saveexec_b64 s[6:7], s[6:7]
	v_mov_b32_e32 v2, s10
	s_xor_b64 exec, exec, s[6:7]
	s_cbranch_execz .LBB2_8818
; %bb.44659:
	s_getpc_b64 s[14:15]
.Lpost_getpc25913:
	s_add_u32 s14, s14, (.LBB2_23156-.Lpost_getpc25913)&4294967295
	s_addc_u32 s15, s15, (.LBB2_23156-.Lpost_getpc25913)>>32
	s_setpc_b64 s[14:15]
.LBB2_8818:
	s_or_b64 exec, exec, s[6:7]
	s_and_saveexec_b64 s[6:7], s[4:5]
	s_cbranch_execz .LBB2_8820
.LBB2_8819:
	v_bfe_u32 v2, v9, 16, 3
	v_ffbh_u32_e32 v6, v2
	v_min_u32_e32 v6, 32, v6
	v_lshrrev_b32_e32 v3, 19, v9
	v_subrev_u32_e32 v7, 28, v6
	v_and_b32_e32 v3, 15, v3
	v_lshlrev_b32_sdwa v7, v7, v9 dst_sel:DWORD dst_unused:UNUSED_PAD src0_sel:DWORD src1_sel:WORD_1
	v_bfe_u32 v4, v9, 19, 4
	v_sub_u32_e32 v6, 29, v6
	v_and_b32_e32 v7, 7, v7
	v_cmp_eq_u16_e32 vcc, 0, v3
	v_cndmask_b32_e32 v2, v2, v7, vcc
	v_cndmask_b32_e32 v3, v4, v6, vcc
	v_lshlrev_b32_e32 v4, 8, v9
	v_mov_b32_e32 v6, 0x3b800000
	v_lshlrev_b32_e32 v2, 20, v2
	v_and_b32_e32 v4, 0x80000000, v4
	v_lshl_add_u32 v3, v3, 23, v6
	v_or3_b32 v2, v4, v3, v2
.LBB2_8820:
	s_or_b64 exec, exec, s[6:7]
	s_movk_i32 s4, 0xff
	v_and_b32_sdwa v3, v5, s4 dst_sel:DWORD dst_unused:UNUSED_PAD src0_sel:WORD_1 src1_sel:DWORD
	s_movk_i32 s4, 0x7f
	v_cmp_lt_i16_e32 vcc, s4, v3
	s_mov_b64 s[4:5], 0
                                        ; implicit-def: $sgpr10
	s_and_saveexec_b64 s[6:7], vcc
	s_xor_b64 s[6:7], exec, s[6:7]
	s_cbranch_execz .LBB2_8821
; %bb.44661:
	s_getpc_b64 s[14:15]
.Lpost_getpc25914:
	s_add_u32 s14, s14, (.LBB2_23157-.Lpost_getpc25914)&4294967295
	s_addc_u32 s15, s15, (.LBB2_23157-.Lpost_getpc25914)>>32
	s_setpc_b64 s[14:15]
.LBB2_8821:
	s_or_saveexec_b64 s[6:7], s[6:7]
	v_mov_b32_e32 v4, s10
	s_xor_b64 exec, exec, s[6:7]
	s_cbranch_execz .LBB2_8822
; %bb.44663:
	s_getpc_b64 s[14:15]
.Lpost_getpc25915:
	s_add_u32 s14, s14, (.LBB2_23160-.Lpost_getpc25915)&4294967295
	s_addc_u32 s15, s15, (.LBB2_23160-.Lpost_getpc25915)>>32
	s_setpc_b64 s[14:15]
.LBB2_8822:
	s_or_b64 exec, exec, s[6:7]
	s_and_saveexec_b64 s[6:7], s[4:5]
	s_cbranch_execz .LBB2_8824
.LBB2_8823:
	v_bfe_u32 v3, v5, 16, 3
	v_ffbh_u32_e32 v7, v3
	v_min_u32_e32 v7, 32, v7
	v_lshrrev_b32_e32 v4, 19, v5
	v_subrev_u32_e32 v8, 28, v7
	v_and_b32_e32 v4, 15, v4
	v_lshlrev_b32_sdwa v8, v8, v5 dst_sel:DWORD dst_unused:UNUSED_PAD src0_sel:DWORD src1_sel:WORD_1
	v_bfe_u32 v6, v5, 19, 4
	v_sub_u32_e32 v7, 29, v7
	v_and_b32_e32 v8, 7, v8
	v_cmp_eq_u16_e32 vcc, 0, v4
	v_cndmask_b32_e32 v3, v3, v8, vcc
	v_cndmask_b32_e32 v4, v6, v7, vcc
	v_lshlrev_b32_e32 v6, 8, v5
	v_mov_b32_e32 v7, 0x3b800000
	v_lshlrev_b32_e32 v3, 20, v3
	v_and_b32_e32 v6, 0x80000000, v6
	v_lshl_add_u32 v4, v4, 23, v7
	v_or3_b32 v4, v6, v4, v3
.LBB2_8824:
	s_or_b64 exec, exec, s[6:7]
	s_nop 0
	v_mfma_f32_16x16x4f32 a[0:3], v2, v4, a[0:3]
	s_movk_i32 s4, 0x7f
	v_cmp_gt_i16_sdwa s[6:7], v9, s4 src0_sel:BYTE_3 src1_sel:DWORD
	s_mov_b64 s[4:5], 0
                                        ; implicit-def: $sgpr10
	s_and_saveexec_b64 s[8:9], s[6:7]
	s_xor_b64 s[6:7], exec, s[8:9]
	s_cbranch_execz .LBB2_8825
; %bb.44665:
	s_getpc_b64 s[14:15]
.Lpost_getpc25916:
	s_add_u32 s14, s14, (.LBB2_23161-.Lpost_getpc25916)&4294967295
	s_addc_u32 s15, s15, (.LBB2_23161-.Lpost_getpc25916)>>32
	s_setpc_b64 s[14:15]
.LBB2_8825:
	s_or_saveexec_b64 s[6:7], s[6:7]
	v_mov_b32_e32 v2, s10
	s_xor_b64 exec, exec, s[6:7]
	s_cbranch_execz .LBB2_8826
; %bb.44667:
	s_getpc_b64 s[14:15]
.Lpost_getpc25917:
	s_add_u32 s14, s14, (.LBB2_23164-.Lpost_getpc25917)&4294967295
	s_addc_u32 s15, s15, (.LBB2_23164-.Lpost_getpc25917)>>32
	s_setpc_b64 s[14:15]
.LBB2_8826:
	s_or_b64 exec, exec, s[6:7]
	s_and_saveexec_b64 s[6:7], s[4:5]
	s_cbranch_execz .LBB2_8828
.LBB2_8827:
	v_bfe_u32 v2, v9, 24, 3
	v_ffbh_u32_e32 v7, v2
	v_min_u32_e32 v7, 32, v7
	v_lshrrev_b32_e32 v4, 27, v9
	v_subrev_u32_e32 v8, 28, v7
	v_and_b32_e32 v4, 15, v4
	v_lshlrev_b32_sdwa v8, v8, v9 dst_sel:DWORD dst_unused:UNUSED_PAD src0_sel:DWORD src1_sel:BYTE_3
	v_bfe_u32 v6, v9, 27, 4
	v_sub_u32_e32 v7, 29, v7
	v_and_b32_e32 v8, 7, v8
	v_cmp_eq_u16_e32 vcc, 0, v4
	v_cndmask_b32_e32 v2, v2, v8, vcc
	v_cndmask_b32_e32 v4, v6, v7, vcc
	v_mov_b32_e32 v6, 0x3b800000
	v_and_b32_e32 v3, 0x80000000, v9
	v_lshlrev_b32_e32 v2, 20, v2
	v_lshl_add_u32 v4, v4, 23, v6
	v_or3_b32 v2, v3, v4, v2
.LBB2_8828:
	s_or_b64 exec, exec, s[6:7]
	s_movk_i32 s4, 0x7f
	v_cmp_gt_i16_sdwa s[6:7], v5, s4 src0_sel:BYTE_3 src1_sel:DWORD
	s_mov_b64 s[4:5], 0
                                        ; implicit-def: $sgpr10
	s_and_saveexec_b64 s[8:9], s[6:7]
	s_xor_b64 s[6:7], exec, s[8:9]
	s_cbranch_execz .LBB2_8829
; %bb.44669:
	s_getpc_b64 s[14:15]
.Lpost_getpc25918:
	s_add_u32 s14, s14, (.LBB2_23165-.Lpost_getpc25918)&4294967295
	s_addc_u32 s15, s15, (.LBB2_23165-.Lpost_getpc25918)>>32
	s_setpc_b64 s[14:15]
.LBB2_8829:
	s_or_saveexec_b64 s[6:7], s[6:7]
	v_mov_b32_e32 v3, s10
	s_xor_b64 exec, exec, s[6:7]
	s_cbranch_execz .LBB2_8830
; %bb.44671:
	s_getpc_b64 s[14:15]
.Lpost_getpc25919:
	s_add_u32 s14, s14, (.LBB2_23168-.Lpost_getpc25919)&4294967295
	s_addc_u32 s15, s15, (.LBB2_23168-.Lpost_getpc25919)>>32
	s_setpc_b64 s[14:15]
.LBB2_8830:
	s_or_b64 exec, exec, s[6:7]
	s_and_saveexec_b64 s[6:7], s[4:5]
	s_cbranch_execz .LBB2_8832
.LBB2_8831:
	v_bfe_u32 v3, v5, 24, 3
	v_ffbh_u32_e32 v8, v3
	v_min_u32_e32 v8, 32, v8
	v_lshrrev_b32_e32 v6, 27, v5
	v_subrev_u32_e32 v9, 28, v8
	v_and_b32_e32 v4, 0x80000000, v5
	v_and_b32_e32 v6, 15, v6
	v_bfe_u32 v7, v5, 27, 4
	v_lshlrev_b32_sdwa v5, v9, v5 dst_sel:DWORD dst_unused:UNUSED_PAD src0_sel:DWORD src1_sel:BYTE_3
	v_sub_u32_e32 v8, 29, v8
	v_and_b32_e32 v5, 7, v5
	v_cmp_eq_u16_e32 vcc, 0, v6
	v_cndmask_b32_e32 v3, v3, v5, vcc
	v_cndmask_b32_e32 v5, v7, v8, vcc
	v_mov_b32_e32 v6, 0x3b800000
	v_lshlrev_b32_e32 v3, 20, v3
	v_lshl_add_u32 v5, v5, 23, v6
	v_or3_b32 v3, v4, v5, v3
.LBB2_8832:
	s_or_b64 exec, exec, s[6:7]
	s_nop 0
	v_mfma_f32_16x16x4f32 a[0:3], v2, v3, a[0:3]
	s_movk_i32 s4, 0x7f
                                        ; implicit-def: $sgpr10
	s_nop 7
	s_nop 1
	flat_store_dwordx4 v[10:11], a[0:3] offset:192
	flat_load_dwordx4 v[12:15], v[0:1]
	s_nop 0
	flat_load_dwordx2 v[10:11], v[0:1] offset:16
	s_waitcnt vmcnt(0) lgkmcnt(0)
	flat_load_dwordx4 v[6:9], v[12:13] offset:128
	flat_load_dwordx4 v[2:5], v[14:15] offset:208
	s_waitcnt vmcnt(0) lgkmcnt(0)
	v_cmp_gt_i16_sdwa s[6:7], v6, s4 src0_sel:BYTE_0 src1_sel:DWORD
	s_mov_b64 s[4:5], 0
	s_and_saveexec_b64 s[8:9], s[6:7]
	s_xor_b64 s[6:7], exec, s[8:9]
	s_cbranch_execz .LBB2_8833
; %bb.44673:
	s_getpc_b64 s[14:15]
.Lpost_getpc25920:
	s_add_u32 s14, s14, (.LBB2_23169-.Lpost_getpc25920)&4294967295
	s_addc_u32 s15, s15, (.LBB2_23169-.Lpost_getpc25920)>>32
	s_setpc_b64 s[14:15]
.LBB2_8833:
	s_or_saveexec_b64 s[6:7], s[6:7]
	v_mov_b32_e32 v12, s10
	s_xor_b64 exec, exec, s[6:7]
	s_cbranch_execz .LBB2_8834
; %bb.44675:
	s_getpc_b64 s[14:15]
.Lpost_getpc25921:
	s_add_u32 s14, s14, (.LBB2_23172-.Lpost_getpc25921)&4294967295
	s_addc_u32 s15, s15, (.LBB2_23172-.Lpost_getpc25921)>>32
	s_setpc_b64 s[14:15]
.LBB2_8834:
	s_or_b64 exec, exec, s[6:7]
	s_and_saveexec_b64 s[6:7], s[4:5]
	s_cbranch_execz .LBB2_8836
.LBB2_8835:
	v_and_b32_e32 v12, 7, v6
	v_ffbh_u32_e32 v14, v12
	v_min_u32_e32 v14, 32, v14
	v_lshrrev_b16_e32 v13, 3, v6
	v_subrev_u32_e32 v15, 28, v14
	v_and_b32_e32 v13, 15, v13
	v_lshlrev_b32_e32 v15, v15, v6
	v_sub_u32_e32 v14, 29, v14
	v_and_b32_e32 v15, 7, v15
	v_cmp_eq_u16_e32 vcc, 0, v13
	v_cndmask_b32_e32 v12, v12, v15, vcc
	v_cndmask_b32_e32 v13, v13, v14, vcc
	v_lshlrev_b32_e32 v14, 24, v6
	v_mov_b32_e32 v15, 0x3b800000
	v_lshlrev_b32_e32 v12, 20, v12
	v_and_b32_e32 v14, 0x80000000, v14
	v_lshl_add_u32 v13, v13, 23, v15
	v_or3_b32 v12, v14, v13, v12
.LBB2_8836:
	s_or_b64 exec, exec, s[6:7]
	s_movk_i32 s4, 0x7f
	v_cmp_gt_i16_sdwa s[6:7], v2, s4 src0_sel:BYTE_0 src1_sel:DWORD
	s_mov_b64 s[4:5], 0
                                        ; implicit-def: $sgpr10
	s_and_saveexec_b64 s[8:9], s[6:7]
	s_xor_b64 s[6:7], exec, s[8:9]
	s_cbranch_execz .LBB2_8837
; %bb.44677:
	s_getpc_b64 s[14:15]
.Lpost_getpc25922:
	s_add_u32 s14, s14, (.LBB2_23173-.Lpost_getpc25922)&4294967295
	s_addc_u32 s15, s15, (.LBB2_23173-.Lpost_getpc25922)>>32
	s_setpc_b64 s[14:15]
.LBB2_8837:
	s_or_saveexec_b64 s[6:7], s[6:7]
	v_mov_b32_e32 v13, s10
	s_xor_b64 exec, exec, s[6:7]
	s_cbranch_execz .LBB2_8838
; %bb.44679:
	s_getpc_b64 s[14:15]
.Lpost_getpc25923:
	s_add_u32 s14, s14, (.LBB2_23176-.Lpost_getpc25923)&4294967295
	s_addc_u32 s15, s15, (.LBB2_23176-.Lpost_getpc25923)>>32
	s_setpc_b64 s[14:15]
.LBB2_8838:
	s_or_b64 exec, exec, s[6:7]
	s_and_saveexec_b64 s[6:7], s[4:5]
	s_cbranch_execz .LBB2_8840
.LBB2_8839:
	v_and_b32_e32 v13, 7, v2
	v_ffbh_u32_e32 v15, v13
	v_min_u32_e32 v15, 32, v15
	v_lshrrev_b16_e32 v14, 3, v2
	v_subrev_u32_e32 v16, 28, v15
	v_and_b32_e32 v14, 15, v14
	v_lshlrev_b32_e32 v16, v16, v2
	v_sub_u32_e32 v15, 29, v15
	v_and_b32_e32 v16, 7, v16
	v_cmp_eq_u16_e32 vcc, 0, v14
	v_cndmask_b32_e32 v13, v13, v16, vcc
	v_cndmask_b32_e32 v14, v14, v15, vcc
	v_lshlrev_b32_e32 v15, 24, v2
	v_mov_b32_e32 v16, 0x3b800000
	v_lshlrev_b32_e32 v13, 20, v13
	v_and_b32_e32 v15, 0x80000000, v15
	v_lshl_add_u32 v14, v14, 23, v16
	v_or3_b32 v13, v15, v14, v13
.LBB2_8840:
	s_or_b64 exec, exec, s[6:7]
	flat_load_dwordx4 a[0:3], v[10:11] offset:208
	s_movk_i32 s4, 0x7f
                                        ; implicit-def: $sgpr10
	s_waitcnt vmcnt(0) lgkmcnt(0)
	v_mfma_f32_16x16x4f32 a[0:3], v12, v13, a[0:3]
	v_lshrrev_b32_e32 v13, 8, v6
	v_cmp_gt_i16_sdwa s[6:7], v13, s4 src0_sel:BYTE_0 src1_sel:DWORD
	s_mov_b64 s[4:5], 0
	s_and_saveexec_b64 s[8:9], s[6:7]
	s_xor_b64 s[6:7], exec, s[8:9]
	s_cbranch_execz .LBB2_8841
; %bb.44681:
	s_getpc_b64 s[14:15]
.Lpost_getpc25924:
	s_add_u32 s14, s14, (.LBB2_23177-.Lpost_getpc25924)&4294967295
	s_addc_u32 s15, s15, (.LBB2_23177-.Lpost_getpc25924)>>32
	s_setpc_b64 s[14:15]
.LBB2_8841:
	s_or_saveexec_b64 s[6:7], s[6:7]
	v_mov_b32_e32 v12, s10
	s_xor_b64 exec, exec, s[6:7]
	s_cbranch_execz .LBB2_8842
; %bb.44683:
	s_getpc_b64 s[14:15]
.Lpost_getpc25925:
	s_add_u32 s14, s14, (.LBB2_23180-.Lpost_getpc25925)&4294967295
	s_addc_u32 s15, s15, (.LBB2_23180-.Lpost_getpc25925)>>32
	s_setpc_b64 s[14:15]
.LBB2_8842:
	s_or_b64 exec, exec, s[6:7]
	s_and_saveexec_b64 s[6:7], s[4:5]
	s_cbranch_execz .LBB2_8844
.LBB2_8843:
	v_bfe_u32 v12, v6, 8, 3
	v_ffbh_u32_e32 v15, v12
	v_min_u32_e32 v15, 32, v15
	v_lshrrev_b16_e32 v14, 3, v13
	v_subrev_u32_e32 v16, 28, v15
	v_and_b32_e32 v14, 15, v14
	v_lshlrev_b32_e32 v13, v16, v13
	v_sub_u32_e32 v15, 29, v15
	v_and_b32_e32 v13, 7, v13
	v_cmp_eq_u16_e32 vcc, 0, v14
	v_cndmask_b32_e32 v12, v12, v13, vcc
	v_cndmask_b32_e32 v13, v14, v15, vcc
	v_lshlrev_b32_e32 v14, 16, v6
	v_mov_b32_e32 v15, 0x3b800000
	v_lshlrev_b32_e32 v12, 20, v12
	v_and_b32_e32 v14, 0x80000000, v14
	v_lshl_add_u32 v13, v13, 23, v15
	v_or3_b32 v12, v14, v13, v12
.LBB2_8844:
	s_or_b64 exec, exec, s[6:7]
	v_lshrrev_b32_e32 v13, 8, v2
	s_movk_i32 s4, 0x7f
	v_cmp_gt_i16_sdwa s[6:7], v13, s4 src0_sel:BYTE_0 src1_sel:DWORD
	s_mov_b64 s[4:5], 0
                                        ; implicit-def: $sgpr10
	s_and_saveexec_b64 s[8:9], s[6:7]
	s_xor_b64 s[6:7], exec, s[8:9]
	s_cbranch_execz .LBB2_8845
; %bb.44685:
	s_getpc_b64 s[14:15]
.Lpost_getpc25926:
	s_add_u32 s14, s14, (.LBB2_23181-.Lpost_getpc25926)&4294967295
	s_addc_u32 s15, s15, (.LBB2_23181-.Lpost_getpc25926)>>32
	s_setpc_b64 s[14:15]
.LBB2_8845:
	s_or_saveexec_b64 s[6:7], s[6:7]
	v_mov_b32_e32 v14, s10
	s_xor_b64 exec, exec, s[6:7]
	s_cbranch_execz .LBB2_8846
; %bb.44687:
	s_getpc_b64 s[14:15]
.Lpost_getpc25927:
	s_add_u32 s14, s14, (.LBB2_23184-.Lpost_getpc25927)&4294967295
	s_addc_u32 s15, s15, (.LBB2_23184-.Lpost_getpc25927)>>32
	s_setpc_b64 s[14:15]
.LBB2_8846:
	s_or_b64 exec, exec, s[6:7]
	s_and_saveexec_b64 s[6:7], s[4:5]
	s_cbranch_execz .LBB2_8848
.LBB2_8847:
	v_bfe_u32 v14, v2, 8, 3
	v_ffbh_u32_e32 v16, v14
	v_min_u32_e32 v16, 32, v16
	v_lshrrev_b16_e32 v15, 3, v13
	v_subrev_u32_e32 v17, 28, v16
	v_and_b32_e32 v15, 15, v15
	v_lshlrev_b32_e32 v13, v17, v13
	v_sub_u32_e32 v16, 29, v16
	v_and_b32_e32 v13, 7, v13
	v_cmp_eq_u16_e32 vcc, 0, v15
	v_cndmask_b32_e32 v13, v14, v13, vcc
	v_cndmask_b32_e32 v14, v15, v16, vcc
	v_lshlrev_b32_e32 v15, 16, v2
	v_mov_b32_e32 v16, 0x3b800000
	v_lshlrev_b32_e32 v13, 20, v13
	v_and_b32_e32 v15, 0x80000000, v15
	v_lshl_add_u32 v14, v14, 23, v16
	v_or3_b32 v14, v15, v14, v13
.LBB2_8848:
	s_or_b64 exec, exec, s[6:7]
	s_nop 0
	v_mfma_f32_16x16x4f32 a[0:3], v12, v14, a[0:3]
	s_movk_i32 s4, 0xff
	v_and_b32_sdwa v13, v6, s4 dst_sel:DWORD dst_unused:UNUSED_PAD src0_sel:WORD_1 src1_sel:DWORD
	s_movk_i32 s4, 0x7f
	v_cmp_lt_i16_e32 vcc, s4, v13
	s_mov_b64 s[4:5], 0
                                        ; implicit-def: $sgpr10
	s_and_saveexec_b64 s[6:7], vcc
	s_xor_b64 s[6:7], exec, s[6:7]
	s_cbranch_execz .LBB2_8849
; %bb.44689:
	s_getpc_b64 s[14:15]
.Lpost_getpc25928:
	s_add_u32 s14, s14, (.LBB2_23185-.Lpost_getpc25928)&4294967295
	s_addc_u32 s15, s15, (.LBB2_23185-.Lpost_getpc25928)>>32
	s_setpc_b64 s[14:15]
.LBB2_8849:
	s_or_saveexec_b64 s[6:7], s[6:7]
	v_mov_b32_e32 v12, s10
	s_xor_b64 exec, exec, s[6:7]
	s_cbranch_execz .LBB2_8850
; %bb.44691:
	s_getpc_b64 s[14:15]
.Lpost_getpc25929:
	s_add_u32 s14, s14, (.LBB2_23188-.Lpost_getpc25929)&4294967295
	s_addc_u32 s15, s15, (.LBB2_23188-.Lpost_getpc25929)>>32
	s_setpc_b64 s[14:15]
.LBB2_8850:
	s_or_b64 exec, exec, s[6:7]
	s_and_saveexec_b64 s[6:7], s[4:5]
	s_cbranch_execz .LBB2_8852
.LBB2_8851:
	v_bfe_u32 v12, v6, 16, 3
	v_ffbh_u32_e32 v15, v12
	v_min_u32_e32 v15, 32, v15
	v_lshrrev_b32_e32 v13, 19, v6
	v_subrev_u32_e32 v16, 28, v15
	v_and_b32_e32 v13, 15, v13
	v_lshlrev_b32_sdwa v16, v16, v6 dst_sel:DWORD dst_unused:UNUSED_PAD src0_sel:DWORD src1_sel:WORD_1
	v_bfe_u32 v14, v6, 19, 4
	v_sub_u32_e32 v15, 29, v15
	v_and_b32_e32 v16, 7, v16
	v_cmp_eq_u16_e32 vcc, 0, v13
	v_cndmask_b32_e32 v12, v12, v16, vcc
	v_cndmask_b32_e32 v13, v14, v15, vcc
	v_lshlrev_b32_e32 v14, 8, v6
	v_mov_b32_e32 v15, 0x3b800000
	v_lshlrev_b32_e32 v12, 20, v12
	v_and_b32_e32 v14, 0x80000000, v14
	v_lshl_add_u32 v13, v13, 23, v15
	v_or3_b32 v12, v14, v13, v12
.LBB2_8852:
	s_or_b64 exec, exec, s[6:7]
	s_movk_i32 s4, 0xff
	v_and_b32_sdwa v13, v2, s4 dst_sel:DWORD dst_unused:UNUSED_PAD src0_sel:WORD_1 src1_sel:DWORD
	s_movk_i32 s4, 0x7f
	v_cmp_lt_i16_e32 vcc, s4, v13
	s_mov_b64 s[4:5], 0
                                        ; implicit-def: $sgpr10
	s_and_saveexec_b64 s[6:7], vcc
	s_xor_b64 s[6:7], exec, s[6:7]
	s_cbranch_execz .LBB2_8853
; %bb.44693:
	s_getpc_b64 s[14:15]
.Lpost_getpc25930:
	s_add_u32 s14, s14, (.LBB2_23189-.Lpost_getpc25930)&4294967295
	s_addc_u32 s15, s15, (.LBB2_23189-.Lpost_getpc25930)>>32
	s_setpc_b64 s[14:15]
.LBB2_8853:
	s_or_saveexec_b64 s[6:7], s[6:7]
	v_mov_b32_e32 v14, s10
	s_xor_b64 exec, exec, s[6:7]
	s_cbranch_execz .LBB2_8854
; %bb.44695:
	s_getpc_b64 s[14:15]
.Lpost_getpc25931:
	s_add_u32 s14, s14, (.LBB2_23192-.Lpost_getpc25931)&4294967295
	s_addc_u32 s15, s15, (.LBB2_23192-.Lpost_getpc25931)>>32
	s_setpc_b64 s[14:15]
.LBB2_8854:
	s_or_b64 exec, exec, s[6:7]
	s_and_saveexec_b64 s[6:7], s[4:5]
	s_cbranch_execz .LBB2_8856
.LBB2_8855:
	v_bfe_u32 v13, v2, 16, 3
	v_ffbh_u32_e32 v16, v13
	v_min_u32_e32 v16, 32, v16
	v_lshrrev_b32_e32 v14, 19, v2
	v_subrev_u32_e32 v17, 28, v16
	v_and_b32_e32 v14, 15, v14
	v_lshlrev_b32_sdwa v17, v17, v2 dst_sel:DWORD dst_unused:UNUSED_PAD src0_sel:DWORD src1_sel:WORD_1
	v_bfe_u32 v15, v2, 19, 4
	v_sub_u32_e32 v16, 29, v16
	v_and_b32_e32 v17, 7, v17
	v_cmp_eq_u16_e32 vcc, 0, v14
	v_cndmask_b32_e32 v13, v13, v17, vcc
	v_cndmask_b32_e32 v14, v15, v16, vcc
	v_lshlrev_b32_e32 v15, 8, v2
	v_mov_b32_e32 v16, 0x3b800000
	v_lshlrev_b32_e32 v13, 20, v13
	v_and_b32_e32 v15, 0x80000000, v15
	v_lshl_add_u32 v14, v14, 23, v16
	v_or3_b32 v14, v15, v14, v13
.LBB2_8856:
	s_or_b64 exec, exec, s[6:7]
	s_nop 0
	v_mfma_f32_16x16x4f32 a[0:3], v12, v14, a[0:3]
	s_movk_i32 s4, 0x7f
	v_cmp_gt_i16_sdwa s[6:7], v6, s4 src0_sel:BYTE_3 src1_sel:DWORD
	s_mov_b64 s[4:5], 0
                                        ; implicit-def: $sgpr10
	s_and_saveexec_b64 s[8:9], s[6:7]
	s_xor_b64 s[6:7], exec, s[8:9]
	s_cbranch_execz .LBB2_8857
; %bb.44697:
	s_getpc_b64 s[14:15]
.Lpost_getpc25932:
	s_add_u32 s14, s14, (.LBB2_23193-.Lpost_getpc25932)&4294967295
	s_addc_u32 s15, s15, (.LBB2_23193-.Lpost_getpc25932)>>32
	s_setpc_b64 s[14:15]
.LBB2_8857:
	s_or_saveexec_b64 s[6:7], s[6:7]
	v_mov_b32_e32 v12, s10
	s_xor_b64 exec, exec, s[6:7]
	s_cbranch_execz .LBB2_8858
; %bb.44699:
	s_getpc_b64 s[14:15]
.Lpost_getpc25933:
	s_add_u32 s14, s14, (.LBB2_23196-.Lpost_getpc25933)&4294967295
	s_addc_u32 s15, s15, (.LBB2_23196-.Lpost_getpc25933)>>32
	s_setpc_b64 s[14:15]
.LBB2_8858:
	s_or_b64 exec, exec, s[6:7]
	s_and_saveexec_b64 s[6:7], s[4:5]
	s_cbranch_execz .LBB2_8860
.LBB2_8859:
	v_bfe_u32 v12, v6, 24, 3
	v_ffbh_u32_e32 v16, v12
	v_min_u32_e32 v16, 32, v16
	v_lshrrev_b32_e32 v14, 27, v6
	v_subrev_u32_e32 v17, 28, v16
	v_and_b32_e32 v13, 0x80000000, v6
	v_and_b32_e32 v14, 15, v14
	v_bfe_u32 v15, v6, 27, 4
	v_lshlrev_b32_sdwa v6, v17, v6 dst_sel:DWORD dst_unused:UNUSED_PAD src0_sel:DWORD src1_sel:BYTE_3
	v_sub_u32_e32 v16, 29, v16
	v_and_b32_e32 v6, 7, v6
	v_cmp_eq_u16_e32 vcc, 0, v14
	v_cndmask_b32_e32 v6, v12, v6, vcc
	v_cndmask_b32_e32 v12, v15, v16, vcc
	v_mov_b32_e32 v14, 0x3b800000
	v_lshlrev_b32_e32 v6, 20, v6
	v_lshl_add_u32 v12, v12, 23, v14
	v_or3_b32 v12, v13, v12, v6
.LBB2_8860:
	s_or_b64 exec, exec, s[6:7]
	s_movk_i32 s4, 0x7f
	v_cmp_gt_i16_sdwa s[6:7], v2, s4 src0_sel:BYTE_3 src1_sel:DWORD
	s_mov_b64 s[4:5], 0
                                        ; implicit-def: $sgpr10
	s_and_saveexec_b64 s[8:9], s[6:7]
	s_xor_b64 s[6:7], exec, s[8:9]
	s_cbranch_execz .LBB2_8861
; %bb.44701:
	s_getpc_b64 s[14:15]
.Lpost_getpc25934:
	s_add_u32 s14, s14, (.LBB2_23197-.Lpost_getpc25934)&4294967295
	s_addc_u32 s15, s15, (.LBB2_23197-.Lpost_getpc25934)>>32
	s_setpc_b64 s[14:15]
.LBB2_8861:
	s_or_saveexec_b64 s[6:7], s[6:7]
	v_mov_b32_e32 v6, s10
	s_xor_b64 exec, exec, s[6:7]
	s_cbranch_execz .LBB2_8862
; %bb.44703:
	s_getpc_b64 s[14:15]
.Lpost_getpc25935:
	s_add_u32 s14, s14, (.LBB2_23200-.Lpost_getpc25935)&4294967295
	s_addc_u32 s15, s15, (.LBB2_23200-.Lpost_getpc25935)>>32
	s_setpc_b64 s[14:15]
.LBB2_8862:
	s_or_b64 exec, exec, s[6:7]
	s_and_saveexec_b64 s[6:7], s[4:5]
	s_cbranch_execz .LBB2_8864
.LBB2_8863:
	v_bfe_u32 v6, v2, 24, 3
	v_ffbh_u32_e32 v16, v6
	v_min_u32_e32 v16, 32, v16
	v_lshrrev_b32_e32 v14, 27, v2
	v_subrev_u32_e32 v17, 28, v16
	v_and_b32_e32 v13, 0x80000000, v2
	v_and_b32_e32 v14, 15, v14
	v_bfe_u32 v15, v2, 27, 4
	v_lshlrev_b32_sdwa v2, v17, v2 dst_sel:DWORD dst_unused:UNUSED_PAD src0_sel:DWORD src1_sel:BYTE_3
	v_sub_u32_e32 v16, 29, v16
	v_and_b32_e32 v2, 7, v2
	v_cmp_eq_u16_e32 vcc, 0, v14
	v_cndmask_b32_e32 v2, v6, v2, vcc
	v_cndmask_b32_e32 v6, v15, v16, vcc
	v_mov_b32_e32 v14, 0x3b800000
	v_lshlrev_b32_e32 v2, 20, v2
	v_lshl_add_u32 v6, v6, 23, v14
	v_or3_b32 v6, v13, v6, v2
.LBB2_8864:
	s_or_b64 exec, exec, s[6:7]
	s_nop 0
	v_mfma_f32_16x16x4f32 a[0:3], v12, v6, a[0:3]
	s_movk_i32 s4, 0x7f
	v_cmp_gt_i16_sdwa s[6:7], v7, s4 src0_sel:BYTE_0 src1_sel:DWORD
	s_mov_b64 s[4:5], 0
                                        ; implicit-def: $sgpr10
	s_and_saveexec_b64 s[8:9], s[6:7]
	s_xor_b64 s[6:7], exec, s[8:9]
	s_cbranch_execz .LBB2_8865
; %bb.44705:
	s_getpc_b64 s[14:15]
.Lpost_getpc25936:
	s_add_u32 s14, s14, (.LBB2_23201-.Lpost_getpc25936)&4294967295
	s_addc_u32 s15, s15, (.LBB2_23201-.Lpost_getpc25936)>>32
	s_setpc_b64 s[14:15]
.LBB2_8865:
	s_or_saveexec_b64 s[6:7], s[6:7]
	v_mov_b32_e32 v2, s10
	s_xor_b64 exec, exec, s[6:7]
	s_cbranch_execz .LBB2_8866
; %bb.44707:
	s_getpc_b64 s[14:15]
.Lpost_getpc25937:
	s_add_u32 s14, s14, (.LBB2_23204-.Lpost_getpc25937)&4294967295
	s_addc_u32 s15, s15, (.LBB2_23204-.Lpost_getpc25937)>>32
	s_setpc_b64 s[14:15]
.LBB2_8866:
	s_or_b64 exec, exec, s[6:7]
	s_and_saveexec_b64 s[6:7], s[4:5]
	s_cbranch_execz .LBB2_8868
.LBB2_8867:
	v_and_b32_e32 v2, 7, v7
	v_ffbh_u32_e32 v12, v2
	v_min_u32_e32 v12, 32, v12
	v_lshrrev_b16_e32 v6, 3, v7
	v_subrev_u32_e32 v13, 28, v12
	v_and_b32_e32 v6, 15, v6
	v_lshlrev_b32_e32 v13, v13, v7
	v_sub_u32_e32 v12, 29, v12
	v_and_b32_e32 v13, 7, v13
	v_cmp_eq_u16_e32 vcc, 0, v6
	v_cndmask_b32_e32 v2, v2, v13, vcc
	v_cndmask_b32_e32 v6, v6, v12, vcc
	v_lshlrev_b32_e32 v12, 24, v7
	v_mov_b32_e32 v13, 0x3b800000
	v_lshlrev_b32_e32 v2, 20, v2
	v_and_b32_e32 v12, 0x80000000, v12
	v_lshl_add_u32 v6, v6, 23, v13
	v_or3_b32 v2, v12, v6, v2
.LBB2_8868:
	s_or_b64 exec, exec, s[6:7]
	s_movk_i32 s4, 0x7f
	v_cmp_gt_i16_sdwa s[6:7], v3, s4 src0_sel:BYTE_0 src1_sel:DWORD
	s_mov_b64 s[4:5], 0
                                        ; implicit-def: $sgpr10
	s_and_saveexec_b64 s[8:9], s[6:7]
	s_xor_b64 s[6:7], exec, s[8:9]
	s_cbranch_execz .LBB2_8869
; %bb.44709:
	s_getpc_b64 s[14:15]
.Lpost_getpc25938:
	s_add_u32 s14, s14, (.LBB2_23205-.Lpost_getpc25938)&4294967295
	s_addc_u32 s15, s15, (.LBB2_23205-.Lpost_getpc25938)>>32
	s_setpc_b64 s[14:15]
.LBB2_8869:
	s_or_saveexec_b64 s[6:7], s[6:7]
	v_mov_b32_e32 v6, s10
	s_xor_b64 exec, exec, s[6:7]
	s_cbranch_execz .LBB2_8870
; %bb.44711:
	s_getpc_b64 s[14:15]
.Lpost_getpc25939:
	s_add_u32 s14, s14, (.LBB2_23208-.Lpost_getpc25939)&4294967295
	s_addc_u32 s15, s15, (.LBB2_23208-.Lpost_getpc25939)>>32
	s_setpc_b64 s[14:15]
.LBB2_8870:
	s_or_b64 exec, exec, s[6:7]
	s_and_saveexec_b64 s[6:7], s[4:5]
	s_cbranch_execz .LBB2_8872
.LBB2_8871:
	v_and_b32_e32 v6, 7, v3
	v_ffbh_u32_e32 v13, v6
	v_min_u32_e32 v13, 32, v13
	v_lshrrev_b16_e32 v12, 3, v3
	v_subrev_u32_e32 v14, 28, v13
	v_and_b32_e32 v12, 15, v12
	v_lshlrev_b32_e32 v14, v14, v3
	v_sub_u32_e32 v13, 29, v13
	v_and_b32_e32 v14, 7, v14
	v_cmp_eq_u16_e32 vcc, 0, v12
	v_cndmask_b32_e32 v6, v6, v14, vcc
	v_cndmask_b32_e32 v12, v12, v13, vcc
	v_lshlrev_b32_e32 v13, 24, v3
	v_mov_b32_e32 v14, 0x3b800000
	v_lshlrev_b32_e32 v6, 20, v6
	v_and_b32_e32 v13, 0x80000000, v13
	v_lshl_add_u32 v12, v12, 23, v14
	v_or3_b32 v6, v13, v12, v6
.LBB2_8872:
	s_or_b64 exec, exec, s[6:7]
	s_nop 0
	v_mfma_f32_16x16x4f32 a[0:3], v2, v6, a[0:3]
	v_lshrrev_b32_e32 v6, 8, v7
	s_movk_i32 s4, 0x7f
	v_cmp_gt_i16_sdwa s[6:7], v6, s4 src0_sel:BYTE_0 src1_sel:DWORD
	s_mov_b64 s[4:5], 0
                                        ; implicit-def: $sgpr10
	s_and_saveexec_b64 s[8:9], s[6:7]
	s_xor_b64 s[6:7], exec, s[8:9]
	s_cbranch_execz .LBB2_8873
; %bb.44713:
	s_getpc_b64 s[14:15]
.Lpost_getpc25940:
	s_add_u32 s14, s14, (.LBB2_23209-.Lpost_getpc25940)&4294967295
	s_addc_u32 s15, s15, (.LBB2_23209-.Lpost_getpc25940)>>32
	s_setpc_b64 s[14:15]
.LBB2_8873:
	s_or_saveexec_b64 s[6:7], s[6:7]
	v_mov_b32_e32 v2, s10
	s_xor_b64 exec, exec, s[6:7]
	s_cbranch_execz .LBB2_8874
; %bb.44715:
	s_getpc_b64 s[14:15]
.Lpost_getpc25941:
	s_add_u32 s14, s14, (.LBB2_23212-.Lpost_getpc25941)&4294967295
	s_addc_u32 s15, s15, (.LBB2_23212-.Lpost_getpc25941)>>32
	s_setpc_b64 s[14:15]
.LBB2_8874:
	s_or_b64 exec, exec, s[6:7]
	s_and_saveexec_b64 s[6:7], s[4:5]
	s_cbranch_execz .LBB2_8876
.LBB2_8875:
	v_bfe_u32 v2, v7, 8, 3
	v_ffbh_u32_e32 v13, v2
	v_min_u32_e32 v13, 32, v13
	v_lshrrev_b16_e32 v12, 3, v6
	v_subrev_u32_e32 v14, 28, v13
	v_and_b32_e32 v12, 15, v12
	v_lshlrev_b32_e32 v6, v14, v6
	v_sub_u32_e32 v13, 29, v13
	v_and_b32_e32 v6, 7, v6
	v_cmp_eq_u16_e32 vcc, 0, v12
	v_cndmask_b32_e32 v2, v2, v6, vcc
	v_cndmask_b32_e32 v6, v12, v13, vcc
	v_lshlrev_b32_e32 v12, 16, v7
	v_mov_b32_e32 v13, 0x3b800000
	v_lshlrev_b32_e32 v2, 20, v2
	v_and_b32_e32 v12, 0x80000000, v12
	v_lshl_add_u32 v6, v6, 23, v13
	v_or3_b32 v2, v12, v6, v2
.LBB2_8876:
	s_or_b64 exec, exec, s[6:7]
	v_lshrrev_b32_e32 v6, 8, v3
	s_movk_i32 s4, 0x7f
	v_cmp_gt_i16_sdwa s[6:7], v6, s4 src0_sel:BYTE_0 src1_sel:DWORD
	s_mov_b64 s[4:5], 0
                                        ; implicit-def: $sgpr10
	s_and_saveexec_b64 s[8:9], s[6:7]
	s_xor_b64 s[6:7], exec, s[8:9]
	s_cbranch_execz .LBB2_8877
; %bb.44717:
	s_getpc_b64 s[14:15]
.Lpost_getpc25942:
	s_add_u32 s14, s14, (.LBB2_23213-.Lpost_getpc25942)&4294967295
	s_addc_u32 s15, s15, (.LBB2_23213-.Lpost_getpc25942)>>32
	s_setpc_b64 s[14:15]
.LBB2_8877:
	s_or_saveexec_b64 s[6:7], s[6:7]
	v_mov_b32_e32 v12, s10
	s_xor_b64 exec, exec, s[6:7]
	s_cbranch_execz .LBB2_8878
; %bb.44719:
	s_getpc_b64 s[14:15]
.Lpost_getpc25943:
	s_add_u32 s14, s14, (.LBB2_23216-.Lpost_getpc25943)&4294967295
	s_addc_u32 s15, s15, (.LBB2_23216-.Lpost_getpc25943)>>32
	s_setpc_b64 s[14:15]
.LBB2_8878:
	s_or_b64 exec, exec, s[6:7]
	s_and_saveexec_b64 s[6:7], s[4:5]
	s_cbranch_execz .LBB2_8880
.LBB2_8879:
	v_bfe_u32 v12, v3, 8, 3
	v_ffbh_u32_e32 v14, v12
	v_min_u32_e32 v14, 32, v14
	v_lshrrev_b16_e32 v13, 3, v6
	v_subrev_u32_e32 v15, 28, v14
	v_and_b32_e32 v13, 15, v13
	v_lshlrev_b32_e32 v6, v15, v6
	v_sub_u32_e32 v14, 29, v14
	v_and_b32_e32 v6, 7, v6
	v_cmp_eq_u16_e32 vcc, 0, v13
	v_cndmask_b32_e32 v6, v12, v6, vcc
	v_cndmask_b32_e32 v12, v13, v14, vcc
	v_lshlrev_b32_e32 v13, 16, v3
	v_mov_b32_e32 v14, 0x3b800000
	v_lshlrev_b32_e32 v6, 20, v6
	v_and_b32_e32 v13, 0x80000000, v13
	v_lshl_add_u32 v12, v12, 23, v14
	v_or3_b32 v12, v13, v12, v6
.LBB2_8880:
	s_or_b64 exec, exec, s[6:7]
	s_nop 0
	v_mfma_f32_16x16x4f32 a[0:3], v2, v12, a[0:3]
	s_movk_i32 s4, 0xff
	v_and_b32_sdwa v6, v7, s4 dst_sel:DWORD dst_unused:UNUSED_PAD src0_sel:WORD_1 src1_sel:DWORD
	s_movk_i32 s4, 0x7f
	v_cmp_lt_i16_e32 vcc, s4, v6
	s_mov_b64 s[4:5], 0
                                        ; implicit-def: $sgpr10
	s_and_saveexec_b64 s[6:7], vcc
	s_xor_b64 s[6:7], exec, s[6:7]
	s_cbranch_execz .LBB2_8881
; %bb.44721:
	s_getpc_b64 s[14:15]
.Lpost_getpc25944:
	s_add_u32 s14, s14, (.LBB2_23217-.Lpost_getpc25944)&4294967295
	s_addc_u32 s15, s15, (.LBB2_23217-.Lpost_getpc25944)>>32
	s_setpc_b64 s[14:15]
.LBB2_8881:
	s_or_saveexec_b64 s[6:7], s[6:7]
	v_mov_b32_e32 v2, s10
	s_xor_b64 exec, exec, s[6:7]
	s_cbranch_execz .LBB2_8882
; %bb.44723:
	s_getpc_b64 s[14:15]
.Lpost_getpc25945:
	s_add_u32 s14, s14, (.LBB2_23220-.Lpost_getpc25945)&4294967295
	s_addc_u32 s15, s15, (.LBB2_23220-.Lpost_getpc25945)>>32
	s_setpc_b64 s[14:15]
.LBB2_8882:
	s_or_b64 exec, exec, s[6:7]
	s_and_saveexec_b64 s[6:7], s[4:5]
	s_cbranch_execz .LBB2_8884
.LBB2_8883:
	v_bfe_u32 v2, v7, 16, 3
	v_ffbh_u32_e32 v13, v2
	v_min_u32_e32 v13, 32, v13
	v_lshrrev_b32_e32 v6, 19, v7
	v_subrev_u32_e32 v14, 28, v13
	v_and_b32_e32 v6, 15, v6
	v_lshlrev_b32_sdwa v14, v14, v7 dst_sel:DWORD dst_unused:UNUSED_PAD src0_sel:DWORD src1_sel:WORD_1
	v_bfe_u32 v12, v7, 19, 4
	v_sub_u32_e32 v13, 29, v13
	v_and_b32_e32 v14, 7, v14
	v_cmp_eq_u16_e32 vcc, 0, v6
	v_cndmask_b32_e32 v2, v2, v14, vcc
	v_cndmask_b32_e32 v6, v12, v13, vcc
	v_lshlrev_b32_e32 v12, 8, v7
	v_mov_b32_e32 v13, 0x3b800000
	v_lshlrev_b32_e32 v2, 20, v2
	v_and_b32_e32 v12, 0x80000000, v12
	v_lshl_add_u32 v6, v6, 23, v13
	v_or3_b32 v2, v12, v6, v2
.LBB2_8884:
	s_or_b64 exec, exec, s[6:7]
	s_movk_i32 s4, 0xff
	v_and_b32_sdwa v6, v3, s4 dst_sel:DWORD dst_unused:UNUSED_PAD src0_sel:WORD_1 src1_sel:DWORD
	s_movk_i32 s4, 0x7f
	v_cmp_lt_i16_e32 vcc, s4, v6
	s_mov_b64 s[4:5], 0
                                        ; implicit-def: $sgpr10
	s_and_saveexec_b64 s[6:7], vcc
	s_xor_b64 s[6:7], exec, s[6:7]
	s_cbranch_execz .LBB2_8885
; %bb.44725:
	s_getpc_b64 s[14:15]
.Lpost_getpc25946:
	s_add_u32 s14, s14, (.LBB2_23221-.Lpost_getpc25946)&4294967295
	s_addc_u32 s15, s15, (.LBB2_23221-.Lpost_getpc25946)>>32
	s_setpc_b64 s[14:15]
.LBB2_8885:
	s_or_saveexec_b64 s[6:7], s[6:7]
	v_mov_b32_e32 v12, s10
	s_xor_b64 exec, exec, s[6:7]
	s_cbranch_execz .LBB2_8886
; %bb.44727:
	s_getpc_b64 s[14:15]
.Lpost_getpc25947:
	s_add_u32 s14, s14, (.LBB2_23224-.Lpost_getpc25947)&4294967295
	s_addc_u32 s15, s15, (.LBB2_23224-.Lpost_getpc25947)>>32
	s_setpc_b64 s[14:15]
.LBB2_8886:
	s_or_b64 exec, exec, s[6:7]
	s_and_saveexec_b64 s[6:7], s[4:5]
	s_cbranch_execz .LBB2_8888
.LBB2_8887:
	v_bfe_u32 v6, v3, 16, 3
	v_ffbh_u32_e32 v14, v6
	v_min_u32_e32 v14, 32, v14
	v_lshrrev_b32_e32 v12, 19, v3
	v_subrev_u32_e32 v15, 28, v14
	v_and_b32_e32 v12, 15, v12
	v_lshlrev_b32_sdwa v15, v15, v3 dst_sel:DWORD dst_unused:UNUSED_PAD src0_sel:DWORD src1_sel:WORD_1
	v_bfe_u32 v13, v3, 19, 4
	v_sub_u32_e32 v14, 29, v14
	v_and_b32_e32 v15, 7, v15
	v_cmp_eq_u16_e32 vcc, 0, v12
	v_cndmask_b32_e32 v6, v6, v15, vcc
	v_cndmask_b32_e32 v12, v13, v14, vcc
	v_lshlrev_b32_e32 v13, 8, v3
	v_mov_b32_e32 v14, 0x3b800000
	v_lshlrev_b32_e32 v6, 20, v6
	v_and_b32_e32 v13, 0x80000000, v13
	v_lshl_add_u32 v12, v12, 23, v14
	v_or3_b32 v12, v13, v12, v6
.LBB2_8888:
	s_or_b64 exec, exec, s[6:7]
	s_nop 0
	v_mfma_f32_16x16x4f32 a[0:3], v2, v12, a[0:3]
	s_movk_i32 s4, 0x7f
	v_cmp_gt_i16_sdwa s[6:7], v7, s4 src0_sel:BYTE_3 src1_sel:DWORD
	s_mov_b64 s[4:5], 0
                                        ; implicit-def: $sgpr10
	s_and_saveexec_b64 s[8:9], s[6:7]
	s_xor_b64 s[6:7], exec, s[8:9]
	s_cbranch_execz .LBB2_8889
; %bb.44729:
	s_getpc_b64 s[14:15]
.Lpost_getpc25948:
	s_add_u32 s14, s14, (.LBB2_23225-.Lpost_getpc25948)&4294967295
	s_addc_u32 s15, s15, (.LBB2_23225-.Lpost_getpc25948)>>32
	s_setpc_b64 s[14:15]
.LBB2_8889:
	s_or_saveexec_b64 s[6:7], s[6:7]
	v_mov_b32_e32 v2, s10
	s_xor_b64 exec, exec, s[6:7]
	s_cbranch_execz .LBB2_8890
; %bb.44731:
	s_getpc_b64 s[14:15]
.Lpost_getpc25949:
	s_add_u32 s14, s14, (.LBB2_23228-.Lpost_getpc25949)&4294967295
	s_addc_u32 s15, s15, (.LBB2_23228-.Lpost_getpc25949)>>32
	s_setpc_b64 s[14:15]
.LBB2_8890:
	s_or_b64 exec, exec, s[6:7]
	s_and_saveexec_b64 s[6:7], s[4:5]
	s_cbranch_execz .LBB2_8892
.LBB2_8891:
	v_bfe_u32 v2, v7, 24, 3
	v_ffbh_u32_e32 v14, v2
	v_min_u32_e32 v14, 32, v14
	v_lshrrev_b32_e32 v12, 27, v7
	v_subrev_u32_e32 v15, 28, v14
	v_and_b32_e32 v6, 0x80000000, v7
	v_and_b32_e32 v12, 15, v12
	v_bfe_u32 v13, v7, 27, 4
	v_lshlrev_b32_sdwa v7, v15, v7 dst_sel:DWORD dst_unused:UNUSED_PAD src0_sel:DWORD src1_sel:BYTE_3
	v_sub_u32_e32 v14, 29, v14
	v_and_b32_e32 v7, 7, v7
	v_cmp_eq_u16_e32 vcc, 0, v12
	v_cndmask_b32_e32 v2, v2, v7, vcc
	v_cndmask_b32_e32 v7, v13, v14, vcc
	v_mov_b32_e32 v12, 0x3b800000
	v_lshlrev_b32_e32 v2, 20, v2
	v_lshl_add_u32 v7, v7, 23, v12
	v_or3_b32 v2, v6, v7, v2
.LBB2_8892:
	s_or_b64 exec, exec, s[6:7]
	s_movk_i32 s4, 0x7f
	v_cmp_gt_i16_sdwa s[6:7], v3, s4 src0_sel:BYTE_3 src1_sel:DWORD
	s_mov_b64 s[4:5], 0
                                        ; implicit-def: $sgpr10
	s_and_saveexec_b64 s[8:9], s[6:7]
	s_xor_b64 s[6:7], exec, s[8:9]
	s_cbranch_execz .LBB2_8893
; %bb.44733:
	s_getpc_b64 s[14:15]
.Lpost_getpc25950:
	s_add_u32 s14, s14, (.LBB2_23229-.Lpost_getpc25950)&4294967295
	s_addc_u32 s15, s15, (.LBB2_23229-.Lpost_getpc25950)>>32
	s_setpc_b64 s[14:15]
.LBB2_8893:
	s_or_saveexec_b64 s[6:7], s[6:7]
	v_mov_b32_e32 v6, s10
	s_xor_b64 exec, exec, s[6:7]
	s_cbranch_execz .LBB2_8894
; %bb.44735:
	s_getpc_b64 s[14:15]
.Lpost_getpc25951:
	s_add_u32 s14, s14, (.LBB2_23232-.Lpost_getpc25951)&4294967295
	s_addc_u32 s15, s15, (.LBB2_23232-.Lpost_getpc25951)>>32
	s_setpc_b64 s[14:15]
.LBB2_8894:
	s_or_b64 exec, exec, s[6:7]
	s_and_saveexec_b64 s[6:7], s[4:5]
	s_cbranch_execz .LBB2_8896
.LBB2_8895:
	v_bfe_u32 v6, v3, 24, 3
	v_ffbh_u32_e32 v14, v6
	v_min_u32_e32 v14, 32, v14
	v_lshrrev_b32_e32 v12, 27, v3
	v_subrev_u32_e32 v15, 28, v14
	v_and_b32_e32 v7, 0x80000000, v3
	v_and_b32_e32 v12, 15, v12
	v_bfe_u32 v13, v3, 27, 4
	v_lshlrev_b32_sdwa v3, v15, v3 dst_sel:DWORD dst_unused:UNUSED_PAD src0_sel:DWORD src1_sel:BYTE_3
	v_sub_u32_e32 v14, 29, v14
	v_and_b32_e32 v3, 7, v3
	v_cmp_eq_u16_e32 vcc, 0, v12
	v_cndmask_b32_e32 v3, v6, v3, vcc
	v_cndmask_b32_e32 v6, v13, v14, vcc
	v_mov_b32_e32 v12, 0x3b800000
	v_lshlrev_b32_e32 v3, 20, v3
	v_lshl_add_u32 v6, v6, 23, v12
	v_or3_b32 v6, v7, v6, v3
.LBB2_8896:
	s_or_b64 exec, exec, s[6:7]
	s_nop 0
	v_mfma_f32_16x16x4f32 a[0:3], v2, v6, a[0:3]
	s_movk_i32 s4, 0x7f
	v_cmp_gt_i16_sdwa s[6:7], v8, s4 src0_sel:BYTE_0 src1_sel:DWORD
	s_mov_b64 s[4:5], 0
                                        ; implicit-def: $sgpr10
	s_and_saveexec_b64 s[8:9], s[6:7]
	s_xor_b64 s[6:7], exec, s[8:9]
	s_cbranch_execz .LBB2_8897
; %bb.44737:
	s_getpc_b64 s[14:15]
.Lpost_getpc25952:
	s_add_u32 s14, s14, (.LBB2_23233-.Lpost_getpc25952)&4294967295
	s_addc_u32 s15, s15, (.LBB2_23233-.Lpost_getpc25952)>>32
	s_setpc_b64 s[14:15]
.LBB2_8897:
	s_or_saveexec_b64 s[6:7], s[6:7]
	v_mov_b32_e32 v2, s10
	s_xor_b64 exec, exec, s[6:7]
	s_cbranch_execz .LBB2_8898
; %bb.44739:
	s_getpc_b64 s[14:15]
.Lpost_getpc25953:
	s_add_u32 s14, s14, (.LBB2_23236-.Lpost_getpc25953)&4294967295
	s_addc_u32 s15, s15, (.LBB2_23236-.Lpost_getpc25953)>>32
	s_setpc_b64 s[14:15]
.LBB2_8898:
	s_or_b64 exec, exec, s[6:7]
	s_and_saveexec_b64 s[6:7], s[4:5]
	s_cbranch_execz .LBB2_8900
.LBB2_8899:
	v_and_b32_e32 v2, 7, v8
	v_ffbh_u32_e32 v6, v2
	v_min_u32_e32 v6, 32, v6
	v_lshrrev_b16_e32 v3, 3, v8
	v_subrev_u32_e32 v7, 28, v6
	v_and_b32_e32 v3, 15, v3
	v_lshlrev_b32_e32 v7, v7, v8
	v_sub_u32_e32 v6, 29, v6
	v_and_b32_e32 v7, 7, v7
	v_cmp_eq_u16_e32 vcc, 0, v3
	v_cndmask_b32_e32 v2, v2, v7, vcc
	v_cndmask_b32_e32 v3, v3, v6, vcc
	v_lshlrev_b32_e32 v6, 24, v8
	v_mov_b32_e32 v7, 0x3b800000
	v_lshlrev_b32_e32 v2, 20, v2
	v_and_b32_e32 v6, 0x80000000, v6
	v_lshl_add_u32 v3, v3, 23, v7
	v_or3_b32 v2, v6, v3, v2
.LBB2_8900:
	s_or_b64 exec, exec, s[6:7]
	s_movk_i32 s4, 0x7f
	v_cmp_gt_i16_sdwa s[6:7], v4, s4 src0_sel:BYTE_0 src1_sel:DWORD
	s_mov_b64 s[4:5], 0
                                        ; implicit-def: $sgpr10
	s_and_saveexec_b64 s[8:9], s[6:7]
	s_xor_b64 s[6:7], exec, s[8:9]
	s_cbranch_execz .LBB2_8901
; %bb.44741:
	s_getpc_b64 s[14:15]
.Lpost_getpc25954:
	s_add_u32 s14, s14, (.LBB2_23237-.Lpost_getpc25954)&4294967295
	s_addc_u32 s15, s15, (.LBB2_23237-.Lpost_getpc25954)>>32
	s_setpc_b64 s[14:15]
.LBB2_8901:
	s_or_saveexec_b64 s[6:7], s[6:7]
	v_mov_b32_e32 v3, s10
	s_xor_b64 exec, exec, s[6:7]
	s_cbranch_execz .LBB2_8902
; %bb.44743:
	s_getpc_b64 s[14:15]
.Lpost_getpc25955:
	s_add_u32 s14, s14, (.LBB2_23240-.Lpost_getpc25955)&4294967295
	s_addc_u32 s15, s15, (.LBB2_23240-.Lpost_getpc25955)>>32
	s_setpc_b64 s[14:15]
.LBB2_8902:
	s_or_b64 exec, exec, s[6:7]
	s_and_saveexec_b64 s[6:7], s[4:5]
	s_cbranch_execz .LBB2_8904
.LBB2_8903:
	v_and_b32_e32 v3, 7, v4
	v_ffbh_u32_e32 v7, v3
	v_min_u32_e32 v7, 32, v7
	v_lshrrev_b16_e32 v6, 3, v4
	v_subrev_u32_e32 v12, 28, v7
	v_and_b32_e32 v6, 15, v6
	v_lshlrev_b32_e32 v12, v12, v4
	v_sub_u32_e32 v7, 29, v7
	v_and_b32_e32 v12, 7, v12
	v_cmp_eq_u16_e32 vcc, 0, v6
	v_cndmask_b32_e32 v3, v3, v12, vcc
	v_cndmask_b32_e32 v6, v6, v7, vcc
	v_lshlrev_b32_e32 v7, 24, v4
	v_mov_b32_e32 v12, 0x3b800000
	v_lshlrev_b32_e32 v3, 20, v3
	v_and_b32_e32 v7, 0x80000000, v7
	v_lshl_add_u32 v6, v6, 23, v12
	v_or3_b32 v3, v7, v6, v3
.LBB2_8904:
	s_or_b64 exec, exec, s[6:7]
	s_nop 0
	v_mfma_f32_16x16x4f32 a[0:3], v2, v3, a[0:3]
	v_lshrrev_b32_e32 v3, 8, v8
	s_movk_i32 s4, 0x7f
	v_cmp_gt_i16_sdwa s[6:7], v3, s4 src0_sel:BYTE_0 src1_sel:DWORD
	s_mov_b64 s[4:5], 0
                                        ; implicit-def: $sgpr10
	s_and_saveexec_b64 s[8:9], s[6:7]
	s_xor_b64 s[6:7], exec, s[8:9]
	s_cbranch_execz .LBB2_8905
; %bb.44745:
	s_getpc_b64 s[14:15]
.Lpost_getpc25956:
	s_add_u32 s14, s14, (.LBB2_23241-.Lpost_getpc25956)&4294967295
	s_addc_u32 s15, s15, (.LBB2_23241-.Lpost_getpc25956)>>32
	s_setpc_b64 s[14:15]
.LBB2_8905:
	s_or_saveexec_b64 s[6:7], s[6:7]
	v_mov_b32_e32 v2, s10
	s_xor_b64 exec, exec, s[6:7]
	s_cbranch_execz .LBB2_8906
; %bb.44747:
	s_getpc_b64 s[14:15]
.Lpost_getpc25957:
	s_add_u32 s14, s14, (.LBB2_23244-.Lpost_getpc25957)&4294967295
	s_addc_u32 s15, s15, (.LBB2_23244-.Lpost_getpc25957)>>32
	s_setpc_b64 s[14:15]
.LBB2_8906:
	s_or_b64 exec, exec, s[6:7]
	s_and_saveexec_b64 s[6:7], s[4:5]
	s_cbranch_execz .LBB2_8908
.LBB2_8907:
	v_bfe_u32 v2, v8, 8, 3
	v_ffbh_u32_e32 v7, v2
	v_min_u32_e32 v7, 32, v7
	v_lshrrev_b16_e32 v6, 3, v3
	v_subrev_u32_e32 v12, 28, v7
	v_and_b32_e32 v6, 15, v6
	v_lshlrev_b32_e32 v3, v12, v3
	v_sub_u32_e32 v7, 29, v7
	v_and_b32_e32 v3, 7, v3
	v_cmp_eq_u16_e32 vcc, 0, v6
	v_cndmask_b32_e32 v2, v2, v3, vcc
	v_cndmask_b32_e32 v3, v6, v7, vcc
	v_lshlrev_b32_e32 v6, 16, v8
	v_mov_b32_e32 v7, 0x3b800000
	v_lshlrev_b32_e32 v2, 20, v2
	v_and_b32_e32 v6, 0x80000000, v6
	v_lshl_add_u32 v3, v3, 23, v7
	v_or3_b32 v2, v6, v3, v2
.LBB2_8908:
	s_or_b64 exec, exec, s[6:7]
	v_lshrrev_b32_e32 v3, 8, v4
	s_movk_i32 s4, 0x7f
	v_cmp_gt_i16_sdwa s[6:7], v3, s4 src0_sel:BYTE_0 src1_sel:DWORD
	s_mov_b64 s[4:5], 0
                                        ; implicit-def: $sgpr10
	s_and_saveexec_b64 s[8:9], s[6:7]
	s_xor_b64 s[6:7], exec, s[8:9]
	s_cbranch_execz .LBB2_8909
; %bb.44749:
	s_getpc_b64 s[14:15]
.Lpost_getpc25958:
	s_add_u32 s14, s14, (.LBB2_23245-.Lpost_getpc25958)&4294967295
	s_addc_u32 s15, s15, (.LBB2_23245-.Lpost_getpc25958)>>32
	s_setpc_b64 s[14:15]
.LBB2_8909:
	s_or_saveexec_b64 s[6:7], s[6:7]
	v_mov_b32_e32 v6, s10
	s_xor_b64 exec, exec, s[6:7]
	s_cbranch_execz .LBB2_8910
; %bb.44751:
	s_getpc_b64 s[14:15]
.Lpost_getpc25959:
	s_add_u32 s14, s14, (.LBB2_23248-.Lpost_getpc25959)&4294967295
	s_addc_u32 s15, s15, (.LBB2_23248-.Lpost_getpc25959)>>32
	s_setpc_b64 s[14:15]
.LBB2_8910:
	s_or_b64 exec, exec, s[6:7]
	s_and_saveexec_b64 s[6:7], s[4:5]
	s_cbranch_execz .LBB2_8912
.LBB2_8911:
	v_bfe_u32 v6, v4, 8, 3
	v_ffbh_u32_e32 v12, v6
	v_min_u32_e32 v12, 32, v12
	v_lshrrev_b16_e32 v7, 3, v3
	v_subrev_u32_e32 v13, 28, v12
	v_and_b32_e32 v7, 15, v7
	v_lshlrev_b32_e32 v3, v13, v3
	v_sub_u32_e32 v12, 29, v12
	v_and_b32_e32 v3, 7, v3
	v_cmp_eq_u16_e32 vcc, 0, v7
	v_cndmask_b32_e32 v3, v6, v3, vcc
	v_cndmask_b32_e32 v6, v7, v12, vcc
	v_lshlrev_b32_e32 v7, 16, v4
	v_mov_b32_e32 v12, 0x3b800000
	v_lshlrev_b32_e32 v3, 20, v3
	v_and_b32_e32 v7, 0x80000000, v7
	v_lshl_add_u32 v6, v6, 23, v12
	v_or3_b32 v6, v7, v6, v3
.LBB2_8912:
	s_or_b64 exec, exec, s[6:7]
	s_nop 0
	v_mfma_f32_16x16x4f32 a[0:3], v2, v6, a[0:3]
	s_movk_i32 s4, 0xff
	v_and_b32_sdwa v3, v8, s4 dst_sel:DWORD dst_unused:UNUSED_PAD src0_sel:WORD_1 src1_sel:DWORD
	s_movk_i32 s4, 0x7f
	v_cmp_lt_i16_e32 vcc, s4, v3
	s_mov_b64 s[4:5], 0
                                        ; implicit-def: $sgpr10
	s_and_saveexec_b64 s[6:7], vcc
	s_xor_b64 s[6:7], exec, s[6:7]
	s_cbranch_execz .LBB2_8913
; %bb.44753:
	s_getpc_b64 s[14:15]
.Lpost_getpc25960:
	s_add_u32 s14, s14, (.LBB2_23249-.Lpost_getpc25960)&4294967295
	s_addc_u32 s15, s15, (.LBB2_23249-.Lpost_getpc25960)>>32
	s_setpc_b64 s[14:15]
.LBB2_8913:
	s_or_saveexec_b64 s[6:7], s[6:7]
	v_mov_b32_e32 v2, s10
	s_xor_b64 exec, exec, s[6:7]
	s_cbranch_execz .LBB2_8914
; %bb.44755:
	s_getpc_b64 s[14:15]
.Lpost_getpc25961:
	s_add_u32 s14, s14, (.LBB2_23252-.Lpost_getpc25961)&4294967295
	s_addc_u32 s15, s15, (.LBB2_23252-.Lpost_getpc25961)>>32
	s_setpc_b64 s[14:15]
.LBB2_8914:
	s_or_b64 exec, exec, s[6:7]
	s_and_saveexec_b64 s[6:7], s[4:5]
	s_cbranch_execz .LBB2_8916
.LBB2_8915:
	v_bfe_u32 v2, v8, 16, 3
	v_ffbh_u32_e32 v7, v2
	v_min_u32_e32 v7, 32, v7
	v_lshrrev_b32_e32 v3, 19, v8
	v_subrev_u32_e32 v12, 28, v7
	v_and_b32_e32 v3, 15, v3
	v_lshlrev_b32_sdwa v12, v12, v8 dst_sel:DWORD dst_unused:UNUSED_PAD src0_sel:DWORD src1_sel:WORD_1
	v_bfe_u32 v6, v8, 19, 4
	v_sub_u32_e32 v7, 29, v7
	v_and_b32_e32 v12, 7, v12
	v_cmp_eq_u16_e32 vcc, 0, v3
	v_cndmask_b32_e32 v2, v2, v12, vcc
	v_cndmask_b32_e32 v3, v6, v7, vcc
	v_lshlrev_b32_e32 v6, 8, v8
	v_mov_b32_e32 v7, 0x3b800000
	v_lshlrev_b32_e32 v2, 20, v2
	v_and_b32_e32 v6, 0x80000000, v6
	v_lshl_add_u32 v3, v3, 23, v7
	v_or3_b32 v2, v6, v3, v2
.LBB2_8916:
	s_or_b64 exec, exec, s[6:7]
	s_movk_i32 s4, 0xff
	v_and_b32_sdwa v3, v4, s4 dst_sel:DWORD dst_unused:UNUSED_PAD src0_sel:WORD_1 src1_sel:DWORD
	s_movk_i32 s4, 0x7f
	v_cmp_lt_i16_e32 vcc, s4, v3
	s_mov_b64 s[4:5], 0
                                        ; implicit-def: $sgpr10
	s_and_saveexec_b64 s[6:7], vcc
	s_xor_b64 s[6:7], exec, s[6:7]
	s_cbranch_execz .LBB2_8917
; %bb.44757:
	s_getpc_b64 s[14:15]
.Lpost_getpc25962:
	s_add_u32 s14, s14, (.LBB2_23253-.Lpost_getpc25962)&4294967295
	s_addc_u32 s15, s15, (.LBB2_23253-.Lpost_getpc25962)>>32
	s_setpc_b64 s[14:15]
.LBB2_8917:
	s_or_saveexec_b64 s[6:7], s[6:7]
	v_mov_b32_e32 v6, s10
	s_xor_b64 exec, exec, s[6:7]
	s_cbranch_execz .LBB2_8918
; %bb.44759:
	s_getpc_b64 s[14:15]
.Lpost_getpc25963:
	s_add_u32 s14, s14, (.LBB2_23256-.Lpost_getpc25963)&4294967295
	s_addc_u32 s15, s15, (.LBB2_23256-.Lpost_getpc25963)>>32
	s_setpc_b64 s[14:15]
.LBB2_8918:
	s_or_b64 exec, exec, s[6:7]
	s_and_saveexec_b64 s[6:7], s[4:5]
	s_cbranch_execz .LBB2_8920
.LBB2_8919:
	v_bfe_u32 v3, v4, 16, 3
	v_ffbh_u32_e32 v12, v3
	v_min_u32_e32 v12, 32, v12
	v_lshrrev_b32_e32 v6, 19, v4
	v_subrev_u32_e32 v13, 28, v12
	v_and_b32_e32 v6, 15, v6
	v_lshlrev_b32_sdwa v13, v13, v4 dst_sel:DWORD dst_unused:UNUSED_PAD src0_sel:DWORD src1_sel:WORD_1
	v_bfe_u32 v7, v4, 19, 4
	v_sub_u32_e32 v12, 29, v12
	v_and_b32_e32 v13, 7, v13
	v_cmp_eq_u16_e32 vcc, 0, v6
	v_cndmask_b32_e32 v3, v3, v13, vcc
	v_cndmask_b32_e32 v6, v7, v12, vcc
	v_lshlrev_b32_e32 v7, 8, v4
	v_mov_b32_e32 v12, 0x3b800000
	v_lshlrev_b32_e32 v3, 20, v3
	v_and_b32_e32 v7, 0x80000000, v7
	v_lshl_add_u32 v6, v6, 23, v12
	v_or3_b32 v6, v7, v6, v3
.LBB2_8920:
	s_or_b64 exec, exec, s[6:7]
	s_nop 0
	v_mfma_f32_16x16x4f32 a[0:3], v2, v6, a[0:3]
	s_movk_i32 s4, 0x7f
	v_cmp_gt_i16_sdwa s[6:7], v8, s4 src0_sel:BYTE_3 src1_sel:DWORD
	s_mov_b64 s[4:5], 0
                                        ; implicit-def: $sgpr10
	s_and_saveexec_b64 s[8:9], s[6:7]
	s_xor_b64 s[6:7], exec, s[8:9]
	s_cbranch_execz .LBB2_8921
; %bb.44761:
	s_getpc_b64 s[14:15]
.Lpost_getpc25964:
	s_add_u32 s14, s14, (.LBB2_23257-.Lpost_getpc25964)&4294967295
	s_addc_u32 s15, s15, (.LBB2_23257-.Lpost_getpc25964)>>32
	s_setpc_b64 s[14:15]
.LBB2_8921:
	s_or_saveexec_b64 s[6:7], s[6:7]
	v_mov_b32_e32 v2, s10
	s_xor_b64 exec, exec, s[6:7]
	s_cbranch_execz .LBB2_8922
; %bb.44763:
	s_getpc_b64 s[14:15]
.Lpost_getpc25965:
	s_add_u32 s14, s14, (.LBB2_23260-.Lpost_getpc25965)&4294967295
	s_addc_u32 s15, s15, (.LBB2_23260-.Lpost_getpc25965)>>32
	s_setpc_b64 s[14:15]
.LBB2_8922:
	s_or_b64 exec, exec, s[6:7]
	s_and_saveexec_b64 s[6:7], s[4:5]
	s_cbranch_execz .LBB2_8924
.LBB2_8923:
	v_bfe_u32 v2, v8, 24, 3
	v_ffbh_u32_e32 v12, v2
	v_min_u32_e32 v12, 32, v12
	v_lshrrev_b32_e32 v6, 27, v8
	v_subrev_u32_e32 v13, 28, v12
	v_and_b32_e32 v3, 0x80000000, v8
	v_and_b32_e32 v6, 15, v6
	v_bfe_u32 v7, v8, 27, 4
	v_lshlrev_b32_sdwa v8, v13, v8 dst_sel:DWORD dst_unused:UNUSED_PAD src0_sel:DWORD src1_sel:BYTE_3
	v_sub_u32_e32 v12, 29, v12
	v_and_b32_e32 v8, 7, v8
	v_cmp_eq_u16_e32 vcc, 0, v6
	v_cndmask_b32_e32 v2, v2, v8, vcc
	v_cndmask_b32_e32 v6, v7, v12, vcc
	v_mov_b32_e32 v7, 0x3b800000
	v_lshlrev_b32_e32 v2, 20, v2
	v_lshl_add_u32 v6, v6, 23, v7
	v_or3_b32 v2, v3, v6, v2
.LBB2_8924:
	s_or_b64 exec, exec, s[6:7]
	s_movk_i32 s4, 0x7f
	v_cmp_gt_i16_sdwa s[6:7], v4, s4 src0_sel:BYTE_3 src1_sel:DWORD
	s_mov_b64 s[4:5], 0
                                        ; implicit-def: $sgpr10
	s_and_saveexec_b64 s[8:9], s[6:7]
	s_xor_b64 s[6:7], exec, s[8:9]
	s_cbranch_execz .LBB2_8925
; %bb.44765:
	s_getpc_b64 s[14:15]
.Lpost_getpc25966:
	s_add_u32 s14, s14, (.LBB2_23261-.Lpost_getpc25966)&4294967295
	s_addc_u32 s15, s15, (.LBB2_23261-.Lpost_getpc25966)>>32
	s_setpc_b64 s[14:15]
.LBB2_8925:
	s_or_saveexec_b64 s[6:7], s[6:7]
	v_mov_b32_e32 v3, s10
	s_xor_b64 exec, exec, s[6:7]
	s_cbranch_execz .LBB2_8926
; %bb.44767:
	s_getpc_b64 s[14:15]
.Lpost_getpc25967:
	s_add_u32 s14, s14, (.LBB2_23264-.Lpost_getpc25967)&4294967295
	s_addc_u32 s15, s15, (.LBB2_23264-.Lpost_getpc25967)>>32
	s_setpc_b64 s[14:15]
.LBB2_8926:
	s_or_b64 exec, exec, s[6:7]
	s_and_saveexec_b64 s[6:7], s[4:5]
	s_cbranch_execz .LBB2_8928
.LBB2_8927:
	v_bfe_u32 v3, v4, 24, 3
	v_ffbh_u32_e32 v12, v3
	v_min_u32_e32 v12, 32, v12
	v_lshrrev_b32_e32 v7, 27, v4
	v_subrev_u32_e32 v13, 28, v12
	v_and_b32_e32 v6, 0x80000000, v4
	v_and_b32_e32 v7, 15, v7
	v_bfe_u32 v8, v4, 27, 4
	v_lshlrev_b32_sdwa v4, v13, v4 dst_sel:DWORD dst_unused:UNUSED_PAD src0_sel:DWORD src1_sel:BYTE_3
	v_sub_u32_e32 v12, 29, v12
	v_and_b32_e32 v4, 7, v4
	v_cmp_eq_u16_e32 vcc, 0, v7
	v_cndmask_b32_e32 v3, v3, v4, vcc
	v_cndmask_b32_e32 v4, v8, v12, vcc
	v_mov_b32_e32 v7, 0x3b800000
	v_lshlrev_b32_e32 v3, 20, v3
	v_lshl_add_u32 v4, v4, 23, v7
	v_or3_b32 v3, v6, v4, v3
.LBB2_8928:
	s_or_b64 exec, exec, s[6:7]
	s_nop 0
	v_mfma_f32_16x16x4f32 a[0:3], v2, v3, a[0:3]
	s_movk_i32 s4, 0x7f
	v_cmp_gt_i16_sdwa s[6:7], v9, s4 src0_sel:BYTE_0 src1_sel:DWORD
	s_mov_b64 s[4:5], 0
                                        ; implicit-def: $sgpr10
	s_and_saveexec_b64 s[8:9], s[6:7]
	s_xor_b64 s[6:7], exec, s[8:9]
	s_cbranch_execz .LBB2_8929
; %bb.44769:
	s_getpc_b64 s[14:15]
.Lpost_getpc25968:
	s_add_u32 s14, s14, (.LBB2_23265-.Lpost_getpc25968)&4294967295
	s_addc_u32 s15, s15, (.LBB2_23265-.Lpost_getpc25968)>>32
	s_setpc_b64 s[14:15]
.LBB2_8929:
	s_or_saveexec_b64 s[6:7], s[6:7]
	v_mov_b32_e32 v2, s10
	s_xor_b64 exec, exec, s[6:7]
	s_cbranch_execz .LBB2_8930
; %bb.44771:
	s_getpc_b64 s[14:15]
.Lpost_getpc25969:
	s_add_u32 s14, s14, (.LBB2_23268-.Lpost_getpc25969)&4294967295
	s_addc_u32 s15, s15, (.LBB2_23268-.Lpost_getpc25969)>>32
	s_setpc_b64 s[14:15]
.LBB2_8930:
	s_or_b64 exec, exec, s[6:7]
	s_and_saveexec_b64 s[6:7], s[4:5]
	s_cbranch_execz .LBB2_8932
.LBB2_8931:
	v_mov_b32_e32 v2, 8
	v_and_b32_e32 v3, 7, v9
	v_lshrrev_b32_sdwa v2, v2, v9 dst_sel:BYTE_1 dst_unused:UNUSED_PAD src0_sel:DWORD src1_sel:DWORD
	v_ffbh_u32_e32 v4, v3
	v_or_b32_sdwa v2, v9, v2 dst_sel:DWORD dst_unused:UNUSED_PAD src0_sel:BYTE_0 src1_sel:DWORD
	v_min_u32_e32 v4, 32, v4
	v_lshrrev_b16_e32 v2, 3, v2
	v_subrev_u32_e32 v6, 28, v4
	v_and_b32_e32 v2, 15, v2
	v_lshlrev_b32_e32 v6, v6, v9
	v_sub_u32_e32 v4, 29, v4
	v_and_b32_e32 v6, 7, v6
	v_cmp_eq_u16_e32 vcc, 0, v2
	v_cndmask_b32_e32 v3, v3, v6, vcc
	v_cndmask_b32_e32 v2, v2, v4, vcc
	v_lshlrev_b32_e32 v4, 24, v9
	v_mov_b32_e32 v6, 0x3b800000
	v_lshlrev_b32_e32 v3, 20, v3
	v_and_b32_e32 v4, 0x80000000, v4
	v_lshl_add_u32 v2, v2, 23, v6
	v_or3_b32 v2, v4, v2, v3
.LBB2_8932:
	s_or_b64 exec, exec, s[6:7]
	s_movk_i32 s4, 0x7f
	v_cmp_gt_i16_sdwa s[6:7], v5, s4 src0_sel:BYTE_0 src1_sel:DWORD
	s_mov_b64 s[4:5], 0
                                        ; implicit-def: $sgpr10
	s_and_saveexec_b64 s[8:9], s[6:7]
	s_xor_b64 s[6:7], exec, s[8:9]
	s_cbranch_execz .LBB2_8933
; %bb.44773:
	s_getpc_b64 s[14:15]
.Lpost_getpc25970:
	s_add_u32 s14, s14, (.LBB2_23269-.Lpost_getpc25970)&4294967295
	s_addc_u32 s15, s15, (.LBB2_23269-.Lpost_getpc25970)>>32
	s_setpc_b64 s[14:15]
.LBB2_8933:
	s_or_saveexec_b64 s[6:7], s[6:7]
	v_mov_b32_e32 v3, s10
	s_xor_b64 exec, exec, s[6:7]
	s_cbranch_execz .LBB2_8934
; %bb.44775:
	s_getpc_b64 s[14:15]
.Lpost_getpc25971:
	s_add_u32 s14, s14, (.LBB2_23272-.Lpost_getpc25971)&4294967295
	s_addc_u32 s15, s15, (.LBB2_23272-.Lpost_getpc25971)>>32
	s_setpc_b64 s[14:15]
.LBB2_8934:
	s_or_b64 exec, exec, s[6:7]
	s_and_saveexec_b64 s[6:7], s[4:5]
	s_cbranch_execz .LBB2_8936
.LBB2_8935:
	v_mov_b32_e32 v3, 8
	v_and_b32_e32 v4, 7, v5
	v_lshrrev_b32_sdwa v3, v3, v5 dst_sel:BYTE_1 dst_unused:UNUSED_PAD src0_sel:DWORD src1_sel:DWORD
	v_ffbh_u32_e32 v6, v4
	v_or_b32_sdwa v3, v5, v3 dst_sel:DWORD dst_unused:UNUSED_PAD src0_sel:BYTE_0 src1_sel:DWORD
	v_min_u32_e32 v6, 32, v6
	v_lshrrev_b16_e32 v3, 3, v3
	v_subrev_u32_e32 v7, 28, v6
	v_and_b32_e32 v3, 15, v3
	v_lshlrev_b32_e32 v7, v7, v5
	v_sub_u32_e32 v6, 29, v6
	v_and_b32_e32 v7, 7, v7
	v_cmp_eq_u16_e32 vcc, 0, v3
	v_cndmask_b32_e32 v4, v4, v7, vcc
	v_cndmask_b32_e32 v3, v3, v6, vcc
	v_lshlrev_b32_e32 v6, 24, v5
	v_mov_b32_e32 v7, 0x3b800000
	v_lshlrev_b32_e32 v4, 20, v4
	v_and_b32_e32 v6, 0x80000000, v6
	v_lshl_add_u32 v3, v3, 23, v7
	v_or3_b32 v3, v6, v3, v4
.LBB2_8936:
	s_or_b64 exec, exec, s[6:7]
	s_nop 0
	v_mfma_f32_16x16x4f32 a[0:3], v2, v3, a[0:3]
	v_lshrrev_b32_e32 v3, 8, v9
	s_movk_i32 s4, 0x7f
	v_cmp_gt_i16_sdwa s[6:7], v3, s4 src0_sel:BYTE_0 src1_sel:DWORD
	s_mov_b64 s[4:5], 0
                                        ; implicit-def: $sgpr10
	s_and_saveexec_b64 s[8:9], s[6:7]
	s_xor_b64 s[6:7], exec, s[8:9]
	s_cbranch_execz .LBB2_8937
; %bb.44777:
	s_getpc_b64 s[14:15]
.Lpost_getpc25972:
	s_add_u32 s14, s14, (.LBB2_23273-.Lpost_getpc25972)&4294967295
	s_addc_u32 s15, s15, (.LBB2_23273-.Lpost_getpc25972)>>32
	s_setpc_b64 s[14:15]
.LBB2_8937:
	s_or_saveexec_b64 s[6:7], s[6:7]
	v_mov_b32_e32 v2, s10
	s_xor_b64 exec, exec, s[6:7]
	s_cbranch_execz .LBB2_8938
; %bb.44779:
	s_getpc_b64 s[14:15]
.Lpost_getpc25973:
	s_add_u32 s14, s14, (.LBB2_23276-.Lpost_getpc25973)&4294967295
	s_addc_u32 s15, s15, (.LBB2_23276-.Lpost_getpc25973)>>32
	s_setpc_b64 s[14:15]
.LBB2_8938:
	s_or_b64 exec, exec, s[6:7]
	s_and_saveexec_b64 s[6:7], s[4:5]
	s_cbranch_execz .LBB2_8940
.LBB2_8939:
	v_bfe_u32 v2, v9, 8, 3
	v_ffbh_u32_e32 v6, v2
	v_min_u32_e32 v6, 32, v6
	v_lshrrev_b16_e32 v4, 3, v3
	v_subrev_u32_e32 v7, 28, v6
	v_and_b32_e32 v4, 15, v4
	v_lshlrev_b32_e32 v3, v7, v3
	v_sub_u32_e32 v6, 29, v6
	v_and_b32_e32 v3, 7, v3
	v_cmp_eq_u16_e32 vcc, 0, v4
	v_cndmask_b32_e32 v2, v2, v3, vcc
	v_cndmask_b32_e32 v3, v4, v6, vcc
	v_lshlrev_b32_e32 v4, 16, v9
	v_mov_b32_e32 v6, 0x3b800000
	v_lshlrev_b32_e32 v2, 20, v2
	v_and_b32_e32 v4, 0x80000000, v4
	v_lshl_add_u32 v3, v3, 23, v6
	v_or3_b32 v2, v4, v3, v2
.LBB2_8940:
	s_or_b64 exec, exec, s[6:7]
	v_lshrrev_b32_e32 v3, 8, v5
	s_movk_i32 s4, 0x7f
	v_cmp_gt_i16_sdwa s[6:7], v3, s4 src0_sel:BYTE_0 src1_sel:DWORD
	s_mov_b64 s[4:5], 0
                                        ; implicit-def: $sgpr10
	s_and_saveexec_b64 s[8:9], s[6:7]
	s_xor_b64 s[6:7], exec, s[8:9]
	s_cbranch_execz .LBB2_8941
; %bb.44781:
	s_getpc_b64 s[14:15]
.Lpost_getpc25974:
	s_add_u32 s14, s14, (.LBB2_23277-.Lpost_getpc25974)&4294967295
	s_addc_u32 s15, s15, (.LBB2_23277-.Lpost_getpc25974)>>32
	s_setpc_b64 s[14:15]
.LBB2_8941:
	s_or_saveexec_b64 s[6:7], s[6:7]
	v_mov_b32_e32 v4, s10
	s_xor_b64 exec, exec, s[6:7]
	s_cbranch_execz .LBB2_8942
; %bb.44783:
	s_getpc_b64 s[14:15]
.Lpost_getpc25975:
	s_add_u32 s14, s14, (.LBB2_23280-.Lpost_getpc25975)&4294967295
	s_addc_u32 s15, s15, (.LBB2_23280-.Lpost_getpc25975)>>32
	s_setpc_b64 s[14:15]
.LBB2_8942:
	s_or_b64 exec, exec, s[6:7]
	s_and_saveexec_b64 s[6:7], s[4:5]
	s_cbranch_execz .LBB2_8944
.LBB2_8943:
	v_bfe_u32 v4, v5, 8, 3
	v_ffbh_u32_e32 v7, v4
	v_min_u32_e32 v7, 32, v7
	v_lshrrev_b16_e32 v6, 3, v3
	v_subrev_u32_e32 v8, 28, v7
	v_and_b32_e32 v6, 15, v6
	v_lshlrev_b32_e32 v3, v8, v3
	v_sub_u32_e32 v7, 29, v7
	v_and_b32_e32 v3, 7, v3
	v_cmp_eq_u16_e32 vcc, 0, v6
	v_cndmask_b32_e32 v3, v4, v3, vcc
	v_cndmask_b32_e32 v4, v6, v7, vcc
	v_lshlrev_b32_e32 v6, 16, v5
	v_mov_b32_e32 v7, 0x3b800000
	v_lshlrev_b32_e32 v3, 20, v3
	v_and_b32_e32 v6, 0x80000000, v6
	v_lshl_add_u32 v4, v4, 23, v7
	v_or3_b32 v4, v6, v4, v3
.LBB2_8944:
	s_or_b64 exec, exec, s[6:7]
	s_nop 0
	v_mfma_f32_16x16x4f32 a[0:3], v2, v4, a[0:3]
	s_movk_i32 s4, 0xff
	v_and_b32_sdwa v3, v9, s4 dst_sel:DWORD dst_unused:UNUSED_PAD src0_sel:WORD_1 src1_sel:DWORD
	s_movk_i32 s4, 0x7f
	v_cmp_lt_i16_e32 vcc, s4, v3
	s_mov_b64 s[4:5], 0
                                        ; implicit-def: $sgpr10
	s_and_saveexec_b64 s[6:7], vcc
	s_xor_b64 s[6:7], exec, s[6:7]
	s_cbranch_execz .LBB2_8945
; %bb.44785:
	s_getpc_b64 s[14:15]
.Lpost_getpc25976:
	s_add_u32 s14, s14, (.LBB2_23281-.Lpost_getpc25976)&4294967295
	s_addc_u32 s15, s15, (.LBB2_23281-.Lpost_getpc25976)>>32
	s_setpc_b64 s[14:15]
.LBB2_8945:
	s_or_saveexec_b64 s[6:7], s[6:7]
	v_mov_b32_e32 v2, s10
	s_xor_b64 exec, exec, s[6:7]
	s_cbranch_execz .LBB2_8946
; %bb.44787:
	s_getpc_b64 s[14:15]
.Lpost_getpc25977:
	s_add_u32 s14, s14, (.LBB2_23284-.Lpost_getpc25977)&4294967295
	s_addc_u32 s15, s15, (.LBB2_23284-.Lpost_getpc25977)>>32
	s_setpc_b64 s[14:15]
.LBB2_8946:
	s_or_b64 exec, exec, s[6:7]
	s_and_saveexec_b64 s[6:7], s[4:5]
	s_cbranch_execz .LBB2_8948
.LBB2_8947:
	v_bfe_u32 v2, v9, 16, 3
	v_ffbh_u32_e32 v6, v2
	v_min_u32_e32 v6, 32, v6
	v_lshrrev_b32_e32 v3, 19, v9
	v_subrev_u32_e32 v7, 28, v6
	v_and_b32_e32 v3, 15, v3
	v_lshlrev_b32_sdwa v7, v7, v9 dst_sel:DWORD dst_unused:UNUSED_PAD src0_sel:DWORD src1_sel:WORD_1
	v_bfe_u32 v4, v9, 19, 4
	v_sub_u32_e32 v6, 29, v6
	v_and_b32_e32 v7, 7, v7
	v_cmp_eq_u16_e32 vcc, 0, v3
	v_cndmask_b32_e32 v2, v2, v7, vcc
	v_cndmask_b32_e32 v3, v4, v6, vcc
	v_lshlrev_b32_e32 v4, 8, v9
	v_mov_b32_e32 v6, 0x3b800000
	v_lshlrev_b32_e32 v2, 20, v2
	v_and_b32_e32 v4, 0x80000000, v4
	v_lshl_add_u32 v3, v3, 23, v6
	v_or3_b32 v2, v4, v3, v2
.LBB2_8948:
	s_or_b64 exec, exec, s[6:7]
	s_movk_i32 s4, 0xff
	v_and_b32_sdwa v3, v5, s4 dst_sel:DWORD dst_unused:UNUSED_PAD src0_sel:WORD_1 src1_sel:DWORD
	s_movk_i32 s4, 0x7f
	v_cmp_lt_i16_e32 vcc, s4, v3
	s_mov_b64 s[4:5], 0
                                        ; implicit-def: $sgpr10
	s_and_saveexec_b64 s[6:7], vcc
	s_xor_b64 s[6:7], exec, s[6:7]
	s_cbranch_execz .LBB2_8949
; %bb.44789:
	s_getpc_b64 s[14:15]
.Lpost_getpc25978:
	s_add_u32 s14, s14, (.LBB2_23285-.Lpost_getpc25978)&4294967295
	s_addc_u32 s15, s15, (.LBB2_23285-.Lpost_getpc25978)>>32
	s_setpc_b64 s[14:15]
.LBB2_8949:
	s_or_saveexec_b64 s[6:7], s[6:7]
	v_mov_b32_e32 v4, s10
	s_xor_b64 exec, exec, s[6:7]
	s_cbranch_execz .LBB2_8950
; %bb.44791:
	s_getpc_b64 s[14:15]
.Lpost_getpc25979:
	s_add_u32 s14, s14, (.LBB2_23288-.Lpost_getpc25979)&4294967295
	s_addc_u32 s15, s15, (.LBB2_23288-.Lpost_getpc25979)>>32
	s_setpc_b64 s[14:15]
.LBB2_8950:
	s_or_b64 exec, exec, s[6:7]
	s_and_saveexec_b64 s[6:7], s[4:5]
	s_cbranch_execz .LBB2_8952
.LBB2_8951:
	v_bfe_u32 v3, v5, 16, 3
	v_ffbh_u32_e32 v7, v3
	v_min_u32_e32 v7, 32, v7
	v_lshrrev_b32_e32 v4, 19, v5
	v_subrev_u32_e32 v8, 28, v7
	v_and_b32_e32 v4, 15, v4
	v_lshlrev_b32_sdwa v8, v8, v5 dst_sel:DWORD dst_unused:UNUSED_PAD src0_sel:DWORD src1_sel:WORD_1
	v_bfe_u32 v6, v5, 19, 4
	v_sub_u32_e32 v7, 29, v7
	v_and_b32_e32 v8, 7, v8
	v_cmp_eq_u16_e32 vcc, 0, v4
	v_cndmask_b32_e32 v3, v3, v8, vcc
	v_cndmask_b32_e32 v4, v6, v7, vcc
	v_lshlrev_b32_e32 v6, 8, v5
	v_mov_b32_e32 v7, 0x3b800000
	v_lshlrev_b32_e32 v3, 20, v3
	v_and_b32_e32 v6, 0x80000000, v6
	v_lshl_add_u32 v4, v4, 23, v7
	v_or3_b32 v4, v6, v4, v3
.LBB2_8952:
	s_or_b64 exec, exec, s[6:7]
	s_nop 0
	v_mfma_f32_16x16x4f32 a[0:3], v2, v4, a[0:3]
	s_movk_i32 s4, 0x7f
	v_cmp_gt_i16_sdwa s[6:7], v9, s4 src0_sel:BYTE_3 src1_sel:DWORD
	s_mov_b64 s[4:5], 0
                                        ; implicit-def: $sgpr10
	s_and_saveexec_b64 s[8:9], s[6:7]
	s_xor_b64 s[6:7], exec, s[8:9]
	s_cbranch_execz .LBB2_8953
; %bb.44793:
	s_getpc_b64 s[14:15]
.Lpost_getpc25980:
	s_add_u32 s14, s14, (.LBB2_23289-.Lpost_getpc25980)&4294967295
	s_addc_u32 s15, s15, (.LBB2_23289-.Lpost_getpc25980)>>32
	s_setpc_b64 s[14:15]
.LBB2_8953:
	s_or_saveexec_b64 s[6:7], s[6:7]
	v_mov_b32_e32 v2, s10
	s_xor_b64 exec, exec, s[6:7]
	s_cbranch_execz .LBB2_8954
; %bb.44795:
	s_getpc_b64 s[14:15]
.Lpost_getpc25981:
	s_add_u32 s14, s14, (.LBB2_23292-.Lpost_getpc25981)&4294967295
	s_addc_u32 s15, s15, (.LBB2_23292-.Lpost_getpc25981)>>32
	s_setpc_b64 s[14:15]
.LBB2_8954:
	s_or_b64 exec, exec, s[6:7]
	s_and_saveexec_b64 s[6:7], s[4:5]
	s_cbranch_execz .LBB2_8956
.LBB2_8955:
	v_bfe_u32 v2, v9, 24, 3
	v_ffbh_u32_e32 v7, v2
	v_min_u32_e32 v7, 32, v7
	v_lshrrev_b32_e32 v4, 27, v9
	v_subrev_u32_e32 v8, 28, v7
	v_and_b32_e32 v4, 15, v4
	v_lshlrev_b32_sdwa v8, v8, v9 dst_sel:DWORD dst_unused:UNUSED_PAD src0_sel:DWORD src1_sel:BYTE_3
	v_bfe_u32 v6, v9, 27, 4
	v_sub_u32_e32 v7, 29, v7
	v_and_b32_e32 v8, 7, v8
	v_cmp_eq_u16_e32 vcc, 0, v4
	v_cndmask_b32_e32 v2, v2, v8, vcc
	v_cndmask_b32_e32 v4, v6, v7, vcc
	v_mov_b32_e32 v6, 0x3b800000
	v_and_b32_e32 v3, 0x80000000, v9
	v_lshlrev_b32_e32 v2, 20, v2
	v_lshl_add_u32 v4, v4, 23, v6
	v_or3_b32 v2, v3, v4, v2
.LBB2_8956:
	s_or_b64 exec, exec, s[6:7]
	s_movk_i32 s4, 0x7f
	v_cmp_gt_i16_sdwa s[6:7], v5, s4 src0_sel:BYTE_3 src1_sel:DWORD
	s_mov_b64 s[4:5], 0
                                        ; implicit-def: $sgpr10
	s_and_saveexec_b64 s[8:9], s[6:7]
	s_xor_b64 s[6:7], exec, s[8:9]
	s_cbranch_execz .LBB2_8957
; %bb.44797:
	s_getpc_b64 s[14:15]
.Lpost_getpc25982:
	s_add_u32 s14, s14, (.LBB2_23293-.Lpost_getpc25982)&4294967295
	s_addc_u32 s15, s15, (.LBB2_23293-.Lpost_getpc25982)>>32
	s_setpc_b64 s[14:15]
.LBB2_8957:
	s_or_saveexec_b64 s[6:7], s[6:7]
	v_mov_b32_e32 v3, s10
	s_xor_b64 exec, exec, s[6:7]
	s_cbranch_execz .LBB2_8958
; %bb.44799:
	s_getpc_b64 s[14:15]
.Lpost_getpc25983:
	s_add_u32 s14, s14, (.LBB2_23296-.Lpost_getpc25983)&4294967295
	s_addc_u32 s15, s15, (.LBB2_23296-.Lpost_getpc25983)>>32
	s_setpc_b64 s[14:15]
.LBB2_8958:
	s_or_b64 exec, exec, s[6:7]
	s_and_saveexec_b64 s[6:7], s[4:5]
	s_cbranch_execz .LBB2_8960
.LBB2_8959:
	v_bfe_u32 v3, v5, 24, 3
	v_ffbh_u32_e32 v8, v3
	v_min_u32_e32 v8, 32, v8
	v_lshrrev_b32_e32 v6, 27, v5
	v_subrev_u32_e32 v9, 28, v8
	v_and_b32_e32 v4, 0x80000000, v5
	v_and_b32_e32 v6, 15, v6
	v_bfe_u32 v7, v5, 27, 4
	v_lshlrev_b32_sdwa v5, v9, v5 dst_sel:DWORD dst_unused:UNUSED_PAD src0_sel:DWORD src1_sel:BYTE_3
	v_sub_u32_e32 v8, 29, v8
	v_and_b32_e32 v5, 7, v5
	v_cmp_eq_u16_e32 vcc, 0, v6
	v_cndmask_b32_e32 v3, v3, v5, vcc
	v_cndmask_b32_e32 v5, v7, v8, vcc
	v_mov_b32_e32 v6, 0x3b800000
	v_lshlrev_b32_e32 v3, 20, v3
	v_lshl_add_u32 v5, v5, 23, v6
	v_or3_b32 v3, v4, v5, v3
.LBB2_8960:
	s_or_b64 exec, exec, s[6:7]
	s_nop 0
	v_mfma_f32_16x16x4f32 a[0:3], v2, v3, a[0:3]
	s_movk_i32 s4, 0x7f
                                        ; implicit-def: $sgpr10
	s_nop 7
	s_nop 1
	flat_store_dwordx4 v[10:11], a[0:3] offset:208
	flat_load_dwordx4 v[12:15], v[0:1]
	s_nop 0
	flat_load_dwordx2 v[10:11], v[0:1] offset:16
	s_waitcnt vmcnt(0) lgkmcnt(0)
	flat_load_dwordx4 v[6:9], v[12:13] offset:128
	flat_load_dwordx4 v[2:5], v[14:15] offset:224
	s_waitcnt vmcnt(0) lgkmcnt(0)
	v_cmp_gt_i16_sdwa s[6:7], v6, s4 src0_sel:BYTE_0 src1_sel:DWORD
	s_mov_b64 s[4:5], 0
	s_and_saveexec_b64 s[8:9], s[6:7]
	s_xor_b64 s[6:7], exec, s[8:9]
	s_cbranch_execz .LBB2_8961
; %bb.44801:
	s_getpc_b64 s[14:15]
.Lpost_getpc25984:
	s_add_u32 s14, s14, (.LBB2_23297-.Lpost_getpc25984)&4294967295
	s_addc_u32 s15, s15, (.LBB2_23297-.Lpost_getpc25984)>>32
	s_setpc_b64 s[14:15]
.LBB2_8961:
	s_or_saveexec_b64 s[6:7], s[6:7]
	v_mov_b32_e32 v12, s10
	s_xor_b64 exec, exec, s[6:7]
	s_cbranch_execz .LBB2_8962
; %bb.44803:
	s_getpc_b64 s[14:15]
.Lpost_getpc25985:
	s_add_u32 s14, s14, (.LBB2_23300-.Lpost_getpc25985)&4294967295
	s_addc_u32 s15, s15, (.LBB2_23300-.Lpost_getpc25985)>>32
	s_setpc_b64 s[14:15]
.LBB2_8962:
	s_or_b64 exec, exec, s[6:7]
	s_and_saveexec_b64 s[6:7], s[4:5]
	s_cbranch_execz .LBB2_8964
.LBB2_8963:
	v_and_b32_e32 v12, 7, v6
	v_ffbh_u32_e32 v14, v12
	v_min_u32_e32 v14, 32, v14
	v_lshrrev_b16_e32 v13, 3, v6
	v_subrev_u32_e32 v15, 28, v14
	v_and_b32_e32 v13, 15, v13
	v_lshlrev_b32_e32 v15, v15, v6
	v_sub_u32_e32 v14, 29, v14
	v_and_b32_e32 v15, 7, v15
	v_cmp_eq_u16_e32 vcc, 0, v13
	v_cndmask_b32_e32 v12, v12, v15, vcc
	v_cndmask_b32_e32 v13, v13, v14, vcc
	v_lshlrev_b32_e32 v14, 24, v6
	v_mov_b32_e32 v15, 0x3b800000
	v_lshlrev_b32_e32 v12, 20, v12
	v_and_b32_e32 v14, 0x80000000, v14
	v_lshl_add_u32 v13, v13, 23, v15
	v_or3_b32 v12, v14, v13, v12
.LBB2_8964:
	s_or_b64 exec, exec, s[6:7]
	s_movk_i32 s4, 0x7f
	v_cmp_gt_i16_sdwa s[6:7], v2, s4 src0_sel:BYTE_0 src1_sel:DWORD
	s_mov_b64 s[4:5], 0
                                        ; implicit-def: $sgpr10
	s_and_saveexec_b64 s[8:9], s[6:7]
	s_xor_b64 s[6:7], exec, s[8:9]
	s_cbranch_execz .LBB2_8965
; %bb.44805:
	s_getpc_b64 s[14:15]
.Lpost_getpc25986:
	s_add_u32 s14, s14, (.LBB2_23301-.Lpost_getpc25986)&4294967295
	s_addc_u32 s15, s15, (.LBB2_23301-.Lpost_getpc25986)>>32
	s_setpc_b64 s[14:15]
.LBB2_8965:
	s_or_saveexec_b64 s[6:7], s[6:7]
	v_mov_b32_e32 v13, s10
	s_xor_b64 exec, exec, s[6:7]
	s_cbranch_execz .LBB2_8966
; %bb.44807:
	s_getpc_b64 s[14:15]
.Lpost_getpc25987:
	s_add_u32 s14, s14, (.LBB2_23304-.Lpost_getpc25987)&4294967295
	s_addc_u32 s15, s15, (.LBB2_23304-.Lpost_getpc25987)>>32
	s_setpc_b64 s[14:15]
.LBB2_8966:
	s_or_b64 exec, exec, s[6:7]
	s_and_saveexec_b64 s[6:7], s[4:5]
	s_cbranch_execz .LBB2_8968
.LBB2_8967:
	v_and_b32_e32 v13, 7, v2
	v_ffbh_u32_e32 v15, v13
	v_min_u32_e32 v15, 32, v15
	v_lshrrev_b16_e32 v14, 3, v2
	v_subrev_u32_e32 v16, 28, v15
	v_and_b32_e32 v14, 15, v14
	v_lshlrev_b32_e32 v16, v16, v2
	v_sub_u32_e32 v15, 29, v15
	v_and_b32_e32 v16, 7, v16
	v_cmp_eq_u16_e32 vcc, 0, v14
	v_cndmask_b32_e32 v13, v13, v16, vcc
	v_cndmask_b32_e32 v14, v14, v15, vcc
	v_lshlrev_b32_e32 v15, 24, v2
	v_mov_b32_e32 v16, 0x3b800000
	v_lshlrev_b32_e32 v13, 20, v13
	v_and_b32_e32 v15, 0x80000000, v15
	v_lshl_add_u32 v14, v14, 23, v16
	v_or3_b32 v13, v15, v14, v13
.LBB2_8968:
	s_or_b64 exec, exec, s[6:7]
	flat_load_dwordx4 a[0:3], v[10:11] offset:224
	s_movk_i32 s4, 0x7f
                                        ; implicit-def: $sgpr10
	s_waitcnt vmcnt(0) lgkmcnt(0)
	v_mfma_f32_16x16x4f32 a[0:3], v12, v13, a[0:3]
	v_lshrrev_b32_e32 v13, 8, v6
	v_cmp_gt_i16_sdwa s[6:7], v13, s4 src0_sel:BYTE_0 src1_sel:DWORD
	s_mov_b64 s[4:5], 0
	s_and_saveexec_b64 s[8:9], s[6:7]
	s_xor_b64 s[6:7], exec, s[8:9]
	s_cbranch_execz .LBB2_8969
; %bb.44809:
	s_getpc_b64 s[14:15]
.Lpost_getpc25988:
	s_add_u32 s14, s14, (.LBB2_23305-.Lpost_getpc25988)&4294967295
	s_addc_u32 s15, s15, (.LBB2_23305-.Lpost_getpc25988)>>32
	s_setpc_b64 s[14:15]
.LBB2_8969:
	s_or_saveexec_b64 s[6:7], s[6:7]
	v_mov_b32_e32 v12, s10
	s_xor_b64 exec, exec, s[6:7]
	s_cbranch_execz .LBB2_8970
; %bb.44811:
	s_getpc_b64 s[14:15]
.Lpost_getpc25989:
	s_add_u32 s14, s14, (.LBB2_23308-.Lpost_getpc25989)&4294967295
	s_addc_u32 s15, s15, (.LBB2_23308-.Lpost_getpc25989)>>32
	s_setpc_b64 s[14:15]
.LBB2_8970:
	s_or_b64 exec, exec, s[6:7]
	s_and_saveexec_b64 s[6:7], s[4:5]
	s_cbranch_execz .LBB2_8972
.LBB2_8971:
	v_bfe_u32 v12, v6, 8, 3
	v_ffbh_u32_e32 v15, v12
	v_min_u32_e32 v15, 32, v15
	v_lshrrev_b16_e32 v14, 3, v13
	v_subrev_u32_e32 v16, 28, v15
	v_and_b32_e32 v14, 15, v14
	v_lshlrev_b32_e32 v13, v16, v13
	v_sub_u32_e32 v15, 29, v15
	v_and_b32_e32 v13, 7, v13
	v_cmp_eq_u16_e32 vcc, 0, v14
	v_cndmask_b32_e32 v12, v12, v13, vcc
	v_cndmask_b32_e32 v13, v14, v15, vcc
	v_lshlrev_b32_e32 v14, 16, v6
	v_mov_b32_e32 v15, 0x3b800000
	v_lshlrev_b32_e32 v12, 20, v12
	v_and_b32_e32 v14, 0x80000000, v14
	v_lshl_add_u32 v13, v13, 23, v15
	v_or3_b32 v12, v14, v13, v12
.LBB2_8972:
	s_or_b64 exec, exec, s[6:7]
	v_lshrrev_b32_e32 v13, 8, v2
	s_movk_i32 s4, 0x7f
	v_cmp_gt_i16_sdwa s[6:7], v13, s4 src0_sel:BYTE_0 src1_sel:DWORD
	s_mov_b64 s[4:5], 0
                                        ; implicit-def: $sgpr10
	s_and_saveexec_b64 s[8:9], s[6:7]
	s_xor_b64 s[6:7], exec, s[8:9]
	s_cbranch_execz .LBB2_8973
; %bb.44813:
	s_getpc_b64 s[14:15]
.Lpost_getpc25990:
	s_add_u32 s14, s14, (.LBB2_23309-.Lpost_getpc25990)&4294967295
	s_addc_u32 s15, s15, (.LBB2_23309-.Lpost_getpc25990)>>32
	s_setpc_b64 s[14:15]
.LBB2_8973:
	s_or_saveexec_b64 s[6:7], s[6:7]
	v_mov_b32_e32 v14, s10
	s_xor_b64 exec, exec, s[6:7]
	s_cbranch_execz .LBB2_8974
; %bb.44815:
	s_getpc_b64 s[14:15]
.Lpost_getpc25991:
	s_add_u32 s14, s14, (.LBB2_23312-.Lpost_getpc25991)&4294967295
	s_addc_u32 s15, s15, (.LBB2_23312-.Lpost_getpc25991)>>32
	s_setpc_b64 s[14:15]
.LBB2_8974:
	s_or_b64 exec, exec, s[6:7]
	s_and_saveexec_b64 s[6:7], s[4:5]
	s_cbranch_execz .LBB2_8976
.LBB2_8975:
	v_bfe_u32 v14, v2, 8, 3
	v_ffbh_u32_e32 v16, v14
	v_min_u32_e32 v16, 32, v16
	v_lshrrev_b16_e32 v15, 3, v13
	v_subrev_u32_e32 v17, 28, v16
	v_and_b32_e32 v15, 15, v15
	v_lshlrev_b32_e32 v13, v17, v13
	v_sub_u32_e32 v16, 29, v16
	v_and_b32_e32 v13, 7, v13
	v_cmp_eq_u16_e32 vcc, 0, v15
	v_cndmask_b32_e32 v13, v14, v13, vcc
	v_cndmask_b32_e32 v14, v15, v16, vcc
	v_lshlrev_b32_e32 v15, 16, v2
	v_mov_b32_e32 v16, 0x3b800000
	v_lshlrev_b32_e32 v13, 20, v13
	v_and_b32_e32 v15, 0x80000000, v15
	v_lshl_add_u32 v14, v14, 23, v16
	v_or3_b32 v14, v15, v14, v13
.LBB2_8976:
	s_or_b64 exec, exec, s[6:7]
	s_nop 0
	v_mfma_f32_16x16x4f32 a[0:3], v12, v14, a[0:3]
	s_movk_i32 s4, 0xff
	v_and_b32_sdwa v13, v6, s4 dst_sel:DWORD dst_unused:UNUSED_PAD src0_sel:WORD_1 src1_sel:DWORD
	s_movk_i32 s4, 0x7f
	v_cmp_lt_i16_e32 vcc, s4, v13
	s_mov_b64 s[4:5], 0
                                        ; implicit-def: $sgpr10
	s_and_saveexec_b64 s[6:7], vcc
	s_xor_b64 s[6:7], exec, s[6:7]
	s_cbranch_execz .LBB2_8977
; %bb.44817:
	s_getpc_b64 s[14:15]
.Lpost_getpc25992:
	s_add_u32 s14, s14, (.LBB2_23313-.Lpost_getpc25992)&4294967295
	s_addc_u32 s15, s15, (.LBB2_23313-.Lpost_getpc25992)>>32
	s_setpc_b64 s[14:15]
.LBB2_8977:
	s_or_saveexec_b64 s[6:7], s[6:7]
	v_mov_b32_e32 v12, s10
	s_xor_b64 exec, exec, s[6:7]
	s_cbranch_execz .LBB2_8978
; %bb.44819:
	s_getpc_b64 s[14:15]
.Lpost_getpc25993:
	s_add_u32 s14, s14, (.LBB2_23316-.Lpost_getpc25993)&4294967295
	s_addc_u32 s15, s15, (.LBB2_23316-.Lpost_getpc25993)>>32
	s_setpc_b64 s[14:15]
.LBB2_8978:
	s_or_b64 exec, exec, s[6:7]
	s_and_saveexec_b64 s[6:7], s[4:5]
	s_cbranch_execz .LBB2_8980
.LBB2_8979:
	v_bfe_u32 v12, v6, 16, 3
	v_ffbh_u32_e32 v15, v12
	v_min_u32_e32 v15, 32, v15
	v_lshrrev_b32_e32 v13, 19, v6
	v_subrev_u32_e32 v16, 28, v15
	v_and_b32_e32 v13, 15, v13
	v_lshlrev_b32_sdwa v16, v16, v6 dst_sel:DWORD dst_unused:UNUSED_PAD src0_sel:DWORD src1_sel:WORD_1
	v_bfe_u32 v14, v6, 19, 4
	v_sub_u32_e32 v15, 29, v15
	v_and_b32_e32 v16, 7, v16
	v_cmp_eq_u16_e32 vcc, 0, v13
	v_cndmask_b32_e32 v12, v12, v16, vcc
	v_cndmask_b32_e32 v13, v14, v15, vcc
	v_lshlrev_b32_e32 v14, 8, v6
	v_mov_b32_e32 v15, 0x3b800000
	v_lshlrev_b32_e32 v12, 20, v12
	v_and_b32_e32 v14, 0x80000000, v14
	v_lshl_add_u32 v13, v13, 23, v15
	v_or3_b32 v12, v14, v13, v12
.LBB2_8980:
	s_or_b64 exec, exec, s[6:7]
	s_movk_i32 s4, 0xff
	v_and_b32_sdwa v13, v2, s4 dst_sel:DWORD dst_unused:UNUSED_PAD src0_sel:WORD_1 src1_sel:DWORD
	s_movk_i32 s4, 0x7f
	v_cmp_lt_i16_e32 vcc, s4, v13
	s_mov_b64 s[4:5], 0
                                        ; implicit-def: $sgpr10
	s_and_saveexec_b64 s[6:7], vcc
	s_xor_b64 s[6:7], exec, s[6:7]
	s_cbranch_execz .LBB2_8981
; %bb.44821:
	s_getpc_b64 s[14:15]
.Lpost_getpc25994:
	s_add_u32 s14, s14, (.LBB2_23317-.Lpost_getpc25994)&4294967295
	s_addc_u32 s15, s15, (.LBB2_23317-.Lpost_getpc25994)>>32
	s_setpc_b64 s[14:15]
.LBB2_8981:
	s_or_saveexec_b64 s[6:7], s[6:7]
	v_mov_b32_e32 v14, s10
	s_xor_b64 exec, exec, s[6:7]
	s_cbranch_execz .LBB2_8982
; %bb.44823:
	s_getpc_b64 s[14:15]
.Lpost_getpc25995:
	s_add_u32 s14, s14, (.LBB2_23320-.Lpost_getpc25995)&4294967295
	s_addc_u32 s15, s15, (.LBB2_23320-.Lpost_getpc25995)>>32
	s_setpc_b64 s[14:15]
.LBB2_8982:
	s_or_b64 exec, exec, s[6:7]
	s_and_saveexec_b64 s[6:7], s[4:5]
	s_cbranch_execz .LBB2_8984
.LBB2_8983:
	v_bfe_u32 v13, v2, 16, 3
	v_ffbh_u32_e32 v16, v13
	v_min_u32_e32 v16, 32, v16
	v_lshrrev_b32_e32 v14, 19, v2
	v_subrev_u32_e32 v17, 28, v16
	v_and_b32_e32 v14, 15, v14
	v_lshlrev_b32_sdwa v17, v17, v2 dst_sel:DWORD dst_unused:UNUSED_PAD src0_sel:DWORD src1_sel:WORD_1
	v_bfe_u32 v15, v2, 19, 4
	v_sub_u32_e32 v16, 29, v16
	v_and_b32_e32 v17, 7, v17
	v_cmp_eq_u16_e32 vcc, 0, v14
	v_cndmask_b32_e32 v13, v13, v17, vcc
	v_cndmask_b32_e32 v14, v15, v16, vcc
	v_lshlrev_b32_e32 v15, 8, v2
	v_mov_b32_e32 v16, 0x3b800000
	v_lshlrev_b32_e32 v13, 20, v13
	v_and_b32_e32 v15, 0x80000000, v15
	v_lshl_add_u32 v14, v14, 23, v16
	v_or3_b32 v14, v15, v14, v13
.LBB2_8984:
	s_or_b64 exec, exec, s[6:7]
	s_nop 0
	v_mfma_f32_16x16x4f32 a[0:3], v12, v14, a[0:3]
	s_movk_i32 s4, 0x7f
	v_cmp_gt_i16_sdwa s[6:7], v6, s4 src0_sel:BYTE_3 src1_sel:DWORD
	s_mov_b64 s[4:5], 0
                                        ; implicit-def: $sgpr10
	s_and_saveexec_b64 s[8:9], s[6:7]
	s_xor_b64 s[6:7], exec, s[8:9]
	s_cbranch_execz .LBB2_8985
; %bb.44825:
	s_getpc_b64 s[14:15]
.Lpost_getpc25996:
	s_add_u32 s14, s14, (.LBB2_23321-.Lpost_getpc25996)&4294967295
	s_addc_u32 s15, s15, (.LBB2_23321-.Lpost_getpc25996)>>32
	s_setpc_b64 s[14:15]
.LBB2_8985:
	s_or_saveexec_b64 s[6:7], s[6:7]
	v_mov_b32_e32 v12, s10
	s_xor_b64 exec, exec, s[6:7]
	s_cbranch_execz .LBB2_8986
; %bb.44827:
	s_getpc_b64 s[14:15]
.Lpost_getpc25997:
	s_add_u32 s14, s14, (.LBB2_23324-.Lpost_getpc25997)&4294967295
	s_addc_u32 s15, s15, (.LBB2_23324-.Lpost_getpc25997)>>32
	s_setpc_b64 s[14:15]
.LBB2_8986:
	s_or_b64 exec, exec, s[6:7]
	s_and_saveexec_b64 s[6:7], s[4:5]
	s_cbranch_execz .LBB2_8988
.LBB2_8987:
	v_bfe_u32 v12, v6, 24, 3
	v_ffbh_u32_e32 v16, v12
	v_min_u32_e32 v16, 32, v16
	v_lshrrev_b32_e32 v14, 27, v6
	v_subrev_u32_e32 v17, 28, v16
	v_and_b32_e32 v13, 0x80000000, v6
	v_and_b32_e32 v14, 15, v14
	v_bfe_u32 v15, v6, 27, 4
	v_lshlrev_b32_sdwa v6, v17, v6 dst_sel:DWORD dst_unused:UNUSED_PAD src0_sel:DWORD src1_sel:BYTE_3
	v_sub_u32_e32 v16, 29, v16
	v_and_b32_e32 v6, 7, v6
	v_cmp_eq_u16_e32 vcc, 0, v14
	v_cndmask_b32_e32 v6, v12, v6, vcc
	v_cndmask_b32_e32 v12, v15, v16, vcc
	v_mov_b32_e32 v14, 0x3b800000
	v_lshlrev_b32_e32 v6, 20, v6
	v_lshl_add_u32 v12, v12, 23, v14
	v_or3_b32 v12, v13, v12, v6
.LBB2_8988:
	s_or_b64 exec, exec, s[6:7]
	s_movk_i32 s4, 0x7f
	v_cmp_gt_i16_sdwa s[6:7], v2, s4 src0_sel:BYTE_3 src1_sel:DWORD
	s_mov_b64 s[4:5], 0
                                        ; implicit-def: $sgpr10
	s_and_saveexec_b64 s[8:9], s[6:7]
	s_xor_b64 s[6:7], exec, s[8:9]
	s_cbranch_execz .LBB2_8989
; %bb.44829:
	s_getpc_b64 s[14:15]
.Lpost_getpc25998:
	s_add_u32 s14, s14, (.LBB2_23325-.Lpost_getpc25998)&4294967295
	s_addc_u32 s15, s15, (.LBB2_23325-.Lpost_getpc25998)>>32
	s_setpc_b64 s[14:15]
.LBB2_8989:
	s_or_saveexec_b64 s[6:7], s[6:7]
	v_mov_b32_e32 v6, s10
	s_xor_b64 exec, exec, s[6:7]
	s_cbranch_execz .LBB2_8990
; %bb.44831:
	s_getpc_b64 s[14:15]
.Lpost_getpc25999:
	s_add_u32 s14, s14, (.LBB2_23328-.Lpost_getpc25999)&4294967295
	s_addc_u32 s15, s15, (.LBB2_23328-.Lpost_getpc25999)>>32
	s_setpc_b64 s[14:15]
.LBB2_8990:
	s_or_b64 exec, exec, s[6:7]
	s_and_saveexec_b64 s[6:7], s[4:5]
	s_cbranch_execz .LBB2_8992
.LBB2_8991:
	v_bfe_u32 v6, v2, 24, 3
	v_ffbh_u32_e32 v16, v6
	v_min_u32_e32 v16, 32, v16
	v_lshrrev_b32_e32 v14, 27, v2
	v_subrev_u32_e32 v17, 28, v16
	v_and_b32_e32 v13, 0x80000000, v2
	v_and_b32_e32 v14, 15, v14
	v_bfe_u32 v15, v2, 27, 4
	v_lshlrev_b32_sdwa v2, v17, v2 dst_sel:DWORD dst_unused:UNUSED_PAD src0_sel:DWORD src1_sel:BYTE_3
	v_sub_u32_e32 v16, 29, v16
	v_and_b32_e32 v2, 7, v2
	v_cmp_eq_u16_e32 vcc, 0, v14
	v_cndmask_b32_e32 v2, v6, v2, vcc
	v_cndmask_b32_e32 v6, v15, v16, vcc
	v_mov_b32_e32 v14, 0x3b800000
	v_lshlrev_b32_e32 v2, 20, v2
	v_lshl_add_u32 v6, v6, 23, v14
	v_or3_b32 v6, v13, v6, v2
.LBB2_8992:
	s_or_b64 exec, exec, s[6:7]
	s_nop 0
	v_mfma_f32_16x16x4f32 a[0:3], v12, v6, a[0:3]
	s_movk_i32 s4, 0x7f
	v_cmp_gt_i16_sdwa s[6:7], v7, s4 src0_sel:BYTE_0 src1_sel:DWORD
	s_mov_b64 s[4:5], 0
                                        ; implicit-def: $sgpr10
	s_and_saveexec_b64 s[8:9], s[6:7]
	s_xor_b64 s[6:7], exec, s[8:9]
	s_cbranch_execz .LBB2_8993
; %bb.44833:
	s_getpc_b64 s[14:15]
.Lpost_getpc26000:
	s_add_u32 s14, s14, (.LBB2_23329-.Lpost_getpc26000)&4294967295
	s_addc_u32 s15, s15, (.LBB2_23329-.Lpost_getpc26000)>>32
	s_setpc_b64 s[14:15]
.LBB2_8993:
	s_or_saveexec_b64 s[6:7], s[6:7]
	v_mov_b32_e32 v2, s10
	s_xor_b64 exec, exec, s[6:7]
	s_cbranch_execz .LBB2_8994
; %bb.44835:
	s_getpc_b64 s[14:15]
.Lpost_getpc26001:
	s_add_u32 s14, s14, (.LBB2_23332-.Lpost_getpc26001)&4294967295
	s_addc_u32 s15, s15, (.LBB2_23332-.Lpost_getpc26001)>>32
	s_setpc_b64 s[14:15]
.LBB2_8994:
	s_or_b64 exec, exec, s[6:7]
	s_and_saveexec_b64 s[6:7], s[4:5]
	s_cbranch_execz .LBB2_8996
.LBB2_8995:
	v_and_b32_e32 v2, 7, v7
	v_ffbh_u32_e32 v12, v2
	v_min_u32_e32 v12, 32, v12
	v_lshrrev_b16_e32 v6, 3, v7
	v_subrev_u32_e32 v13, 28, v12
	v_and_b32_e32 v6, 15, v6
	v_lshlrev_b32_e32 v13, v13, v7
	v_sub_u32_e32 v12, 29, v12
	v_and_b32_e32 v13, 7, v13
	v_cmp_eq_u16_e32 vcc, 0, v6
	v_cndmask_b32_e32 v2, v2, v13, vcc
	v_cndmask_b32_e32 v6, v6, v12, vcc
	v_lshlrev_b32_e32 v12, 24, v7
	v_mov_b32_e32 v13, 0x3b800000
	v_lshlrev_b32_e32 v2, 20, v2
	v_and_b32_e32 v12, 0x80000000, v12
	v_lshl_add_u32 v6, v6, 23, v13
	v_or3_b32 v2, v12, v6, v2
.LBB2_8996:
	s_or_b64 exec, exec, s[6:7]
	s_movk_i32 s4, 0x7f
	v_cmp_gt_i16_sdwa s[6:7], v3, s4 src0_sel:BYTE_0 src1_sel:DWORD
	s_mov_b64 s[4:5], 0
                                        ; implicit-def: $sgpr10
	s_and_saveexec_b64 s[8:9], s[6:7]
	s_xor_b64 s[6:7], exec, s[8:9]
	s_cbranch_execz .LBB2_8997
; %bb.44837:
	s_getpc_b64 s[14:15]
.Lpost_getpc26002:
	s_add_u32 s14, s14, (.LBB2_23333-.Lpost_getpc26002)&4294967295
	s_addc_u32 s15, s15, (.LBB2_23333-.Lpost_getpc26002)>>32
	s_setpc_b64 s[14:15]
.LBB2_8997:
	s_or_saveexec_b64 s[6:7], s[6:7]
	v_mov_b32_e32 v6, s10
	s_xor_b64 exec, exec, s[6:7]
	s_cbranch_execz .LBB2_8998
; %bb.44839:
	s_getpc_b64 s[14:15]
.Lpost_getpc26003:
	s_add_u32 s14, s14, (.LBB2_23336-.Lpost_getpc26003)&4294967295
	s_addc_u32 s15, s15, (.LBB2_23336-.Lpost_getpc26003)>>32
	s_setpc_b64 s[14:15]
.LBB2_8998:
	s_or_b64 exec, exec, s[6:7]
	s_and_saveexec_b64 s[6:7], s[4:5]
	s_cbranch_execz .LBB2_9000
.LBB2_8999:
	v_and_b32_e32 v6, 7, v3
	v_ffbh_u32_e32 v13, v6
	v_min_u32_e32 v13, 32, v13
	v_lshrrev_b16_e32 v12, 3, v3
	v_subrev_u32_e32 v14, 28, v13
	v_and_b32_e32 v12, 15, v12
	v_lshlrev_b32_e32 v14, v14, v3
	v_sub_u32_e32 v13, 29, v13
	v_and_b32_e32 v14, 7, v14
	v_cmp_eq_u16_e32 vcc, 0, v12
	v_cndmask_b32_e32 v6, v6, v14, vcc
	v_cndmask_b32_e32 v12, v12, v13, vcc
	v_lshlrev_b32_e32 v13, 24, v3
	v_mov_b32_e32 v14, 0x3b800000
	v_lshlrev_b32_e32 v6, 20, v6
	v_and_b32_e32 v13, 0x80000000, v13
	v_lshl_add_u32 v12, v12, 23, v14
	v_or3_b32 v6, v13, v12, v6
.LBB2_9000:
	s_or_b64 exec, exec, s[6:7]
	s_nop 0
	v_mfma_f32_16x16x4f32 a[0:3], v2, v6, a[0:3]
	v_lshrrev_b32_e32 v6, 8, v7
	s_movk_i32 s4, 0x7f
	v_cmp_gt_i16_sdwa s[6:7], v6, s4 src0_sel:BYTE_0 src1_sel:DWORD
	s_mov_b64 s[4:5], 0
                                        ; implicit-def: $sgpr10
	s_and_saveexec_b64 s[8:9], s[6:7]
	s_xor_b64 s[6:7], exec, s[8:9]
	s_cbranch_execz .LBB2_9001
; %bb.44841:
	s_getpc_b64 s[14:15]
.Lpost_getpc26004:
	s_add_u32 s14, s14, (.LBB2_23337-.Lpost_getpc26004)&4294967295
	s_addc_u32 s15, s15, (.LBB2_23337-.Lpost_getpc26004)>>32
	s_setpc_b64 s[14:15]
.LBB2_9001:
	s_or_saveexec_b64 s[6:7], s[6:7]
	v_mov_b32_e32 v2, s10
	s_xor_b64 exec, exec, s[6:7]
	s_cbranch_execz .LBB2_9002
; %bb.44843:
	s_getpc_b64 s[14:15]
.Lpost_getpc26005:
	s_add_u32 s14, s14, (.LBB2_23340-.Lpost_getpc26005)&4294967295
	s_addc_u32 s15, s15, (.LBB2_23340-.Lpost_getpc26005)>>32
	s_setpc_b64 s[14:15]
.LBB2_9002:
	s_or_b64 exec, exec, s[6:7]
	s_and_saveexec_b64 s[6:7], s[4:5]
	s_cbranch_execz .LBB2_9004
.LBB2_9003:
	v_bfe_u32 v2, v7, 8, 3
	v_ffbh_u32_e32 v13, v2
	v_min_u32_e32 v13, 32, v13
	v_lshrrev_b16_e32 v12, 3, v6
	v_subrev_u32_e32 v14, 28, v13
	v_and_b32_e32 v12, 15, v12
	v_lshlrev_b32_e32 v6, v14, v6
	v_sub_u32_e32 v13, 29, v13
	v_and_b32_e32 v6, 7, v6
	v_cmp_eq_u16_e32 vcc, 0, v12
	v_cndmask_b32_e32 v2, v2, v6, vcc
	v_cndmask_b32_e32 v6, v12, v13, vcc
	v_lshlrev_b32_e32 v12, 16, v7
	v_mov_b32_e32 v13, 0x3b800000
	v_lshlrev_b32_e32 v2, 20, v2
	v_and_b32_e32 v12, 0x80000000, v12
	v_lshl_add_u32 v6, v6, 23, v13
	v_or3_b32 v2, v12, v6, v2
.LBB2_9004:
	s_or_b64 exec, exec, s[6:7]
	v_lshrrev_b32_e32 v6, 8, v3
	s_movk_i32 s4, 0x7f
	v_cmp_gt_i16_sdwa s[6:7], v6, s4 src0_sel:BYTE_0 src1_sel:DWORD
	s_mov_b64 s[4:5], 0
                                        ; implicit-def: $sgpr10
	s_and_saveexec_b64 s[8:9], s[6:7]
	s_xor_b64 s[6:7], exec, s[8:9]
	s_cbranch_execz .LBB2_9005
; %bb.44845:
	s_getpc_b64 s[14:15]
.Lpost_getpc26006:
	s_add_u32 s14, s14, (.LBB2_23341-.Lpost_getpc26006)&4294967295
	s_addc_u32 s15, s15, (.LBB2_23341-.Lpost_getpc26006)>>32
	s_setpc_b64 s[14:15]
.LBB2_9005:
	s_or_saveexec_b64 s[6:7], s[6:7]
	v_mov_b32_e32 v12, s10
	s_xor_b64 exec, exec, s[6:7]
	s_cbranch_execz .LBB2_9006
; %bb.44847:
	s_getpc_b64 s[14:15]
.Lpost_getpc26007:
	s_add_u32 s14, s14, (.LBB2_23344-.Lpost_getpc26007)&4294967295
	s_addc_u32 s15, s15, (.LBB2_23344-.Lpost_getpc26007)>>32
	s_setpc_b64 s[14:15]
.LBB2_9006:
	s_or_b64 exec, exec, s[6:7]
	s_and_saveexec_b64 s[6:7], s[4:5]
	s_cbranch_execz .LBB2_9008
.LBB2_9007:
	v_bfe_u32 v12, v3, 8, 3
	v_ffbh_u32_e32 v14, v12
	v_min_u32_e32 v14, 32, v14
	v_lshrrev_b16_e32 v13, 3, v6
	v_subrev_u32_e32 v15, 28, v14
	v_and_b32_e32 v13, 15, v13
	v_lshlrev_b32_e32 v6, v15, v6
	v_sub_u32_e32 v14, 29, v14
	v_and_b32_e32 v6, 7, v6
	v_cmp_eq_u16_e32 vcc, 0, v13
	v_cndmask_b32_e32 v6, v12, v6, vcc
	v_cndmask_b32_e32 v12, v13, v14, vcc
	v_lshlrev_b32_e32 v13, 16, v3
	v_mov_b32_e32 v14, 0x3b800000
	v_lshlrev_b32_e32 v6, 20, v6
	v_and_b32_e32 v13, 0x80000000, v13
	v_lshl_add_u32 v12, v12, 23, v14
	v_or3_b32 v12, v13, v12, v6
.LBB2_9008:
	s_or_b64 exec, exec, s[6:7]
	s_nop 0
	v_mfma_f32_16x16x4f32 a[0:3], v2, v12, a[0:3]
	s_movk_i32 s4, 0xff
	v_and_b32_sdwa v6, v7, s4 dst_sel:DWORD dst_unused:UNUSED_PAD src0_sel:WORD_1 src1_sel:DWORD
	s_movk_i32 s4, 0x7f
	v_cmp_lt_i16_e32 vcc, s4, v6
	s_mov_b64 s[4:5], 0
                                        ; implicit-def: $sgpr10
	s_and_saveexec_b64 s[6:7], vcc
	s_xor_b64 s[6:7], exec, s[6:7]
	s_cbranch_execz .LBB2_9009
; %bb.44849:
	s_getpc_b64 s[14:15]
.Lpost_getpc26008:
	s_add_u32 s14, s14, (.LBB2_23345-.Lpost_getpc26008)&4294967295
	s_addc_u32 s15, s15, (.LBB2_23345-.Lpost_getpc26008)>>32
	s_setpc_b64 s[14:15]
.LBB2_9009:
	s_or_saveexec_b64 s[6:7], s[6:7]
	v_mov_b32_e32 v2, s10
	s_xor_b64 exec, exec, s[6:7]
	s_cbranch_execz .LBB2_9010
; %bb.44851:
	s_getpc_b64 s[14:15]
.Lpost_getpc26009:
	s_add_u32 s14, s14, (.LBB2_23348-.Lpost_getpc26009)&4294967295
	s_addc_u32 s15, s15, (.LBB2_23348-.Lpost_getpc26009)>>32
	s_setpc_b64 s[14:15]
.LBB2_9010:
	s_or_b64 exec, exec, s[6:7]
	s_and_saveexec_b64 s[6:7], s[4:5]
	s_cbranch_execz .LBB2_9012
.LBB2_9011:
	v_bfe_u32 v2, v7, 16, 3
	v_ffbh_u32_e32 v13, v2
	v_min_u32_e32 v13, 32, v13
	v_lshrrev_b32_e32 v6, 19, v7
	v_subrev_u32_e32 v14, 28, v13
	v_and_b32_e32 v6, 15, v6
	v_lshlrev_b32_sdwa v14, v14, v7 dst_sel:DWORD dst_unused:UNUSED_PAD src0_sel:DWORD src1_sel:WORD_1
	v_bfe_u32 v12, v7, 19, 4
	v_sub_u32_e32 v13, 29, v13
	v_and_b32_e32 v14, 7, v14
	v_cmp_eq_u16_e32 vcc, 0, v6
	v_cndmask_b32_e32 v2, v2, v14, vcc
	v_cndmask_b32_e32 v6, v12, v13, vcc
	v_lshlrev_b32_e32 v12, 8, v7
	v_mov_b32_e32 v13, 0x3b800000
	v_lshlrev_b32_e32 v2, 20, v2
	v_and_b32_e32 v12, 0x80000000, v12
	v_lshl_add_u32 v6, v6, 23, v13
	v_or3_b32 v2, v12, v6, v2
.LBB2_9012:
	s_or_b64 exec, exec, s[6:7]
	s_movk_i32 s4, 0xff
	v_and_b32_sdwa v6, v3, s4 dst_sel:DWORD dst_unused:UNUSED_PAD src0_sel:WORD_1 src1_sel:DWORD
	s_movk_i32 s4, 0x7f
	v_cmp_lt_i16_e32 vcc, s4, v6
	s_mov_b64 s[4:5], 0
                                        ; implicit-def: $sgpr10
	s_and_saveexec_b64 s[6:7], vcc
	s_xor_b64 s[6:7], exec, s[6:7]
	s_cbranch_execz .LBB2_9013
; %bb.44853:
	s_getpc_b64 s[14:15]
.Lpost_getpc26010:
	s_add_u32 s14, s14, (.LBB2_23349-.Lpost_getpc26010)&4294967295
	s_addc_u32 s15, s15, (.LBB2_23349-.Lpost_getpc26010)>>32
	s_setpc_b64 s[14:15]
.LBB2_9013:
	s_or_saveexec_b64 s[6:7], s[6:7]
	v_mov_b32_e32 v12, s10
	s_xor_b64 exec, exec, s[6:7]
	s_cbranch_execz .LBB2_9014
; %bb.44855:
	s_getpc_b64 s[14:15]
.Lpost_getpc26011:
	s_add_u32 s14, s14, (.LBB2_23352-.Lpost_getpc26011)&4294967295
	s_addc_u32 s15, s15, (.LBB2_23352-.Lpost_getpc26011)>>32
	s_setpc_b64 s[14:15]
.LBB2_9014:
	s_or_b64 exec, exec, s[6:7]
	s_and_saveexec_b64 s[6:7], s[4:5]
	s_cbranch_execz .LBB2_9016
.LBB2_9015:
	v_bfe_u32 v6, v3, 16, 3
	v_ffbh_u32_e32 v14, v6
	v_min_u32_e32 v14, 32, v14
	v_lshrrev_b32_e32 v12, 19, v3
	v_subrev_u32_e32 v15, 28, v14
	v_and_b32_e32 v12, 15, v12
	v_lshlrev_b32_sdwa v15, v15, v3 dst_sel:DWORD dst_unused:UNUSED_PAD src0_sel:DWORD src1_sel:WORD_1
	v_bfe_u32 v13, v3, 19, 4
	v_sub_u32_e32 v14, 29, v14
	v_and_b32_e32 v15, 7, v15
	v_cmp_eq_u16_e32 vcc, 0, v12
	v_cndmask_b32_e32 v6, v6, v15, vcc
	v_cndmask_b32_e32 v12, v13, v14, vcc
	v_lshlrev_b32_e32 v13, 8, v3
	v_mov_b32_e32 v14, 0x3b800000
	v_lshlrev_b32_e32 v6, 20, v6
	v_and_b32_e32 v13, 0x80000000, v13
	v_lshl_add_u32 v12, v12, 23, v14
	v_or3_b32 v12, v13, v12, v6
.LBB2_9016:
	s_or_b64 exec, exec, s[6:7]
	s_nop 0
	v_mfma_f32_16x16x4f32 a[0:3], v2, v12, a[0:3]
	s_movk_i32 s4, 0x7f
	v_cmp_gt_i16_sdwa s[6:7], v7, s4 src0_sel:BYTE_3 src1_sel:DWORD
	s_mov_b64 s[4:5], 0
                                        ; implicit-def: $sgpr10
	s_and_saveexec_b64 s[8:9], s[6:7]
	s_xor_b64 s[6:7], exec, s[8:9]
	s_cbranch_execz .LBB2_9017
; %bb.44857:
	s_getpc_b64 s[14:15]
.Lpost_getpc26012:
	s_add_u32 s14, s14, (.LBB2_23353-.Lpost_getpc26012)&4294967295
	s_addc_u32 s15, s15, (.LBB2_23353-.Lpost_getpc26012)>>32
	s_setpc_b64 s[14:15]
.LBB2_9017:
	s_or_saveexec_b64 s[6:7], s[6:7]
	v_mov_b32_e32 v2, s10
	s_xor_b64 exec, exec, s[6:7]
	s_cbranch_execz .LBB2_9018
; %bb.44859:
	s_getpc_b64 s[14:15]
.Lpost_getpc26013:
	s_add_u32 s14, s14, (.LBB2_23356-.Lpost_getpc26013)&4294967295
	s_addc_u32 s15, s15, (.LBB2_23356-.Lpost_getpc26013)>>32
	s_setpc_b64 s[14:15]
.LBB2_9018:
	s_or_b64 exec, exec, s[6:7]
	s_and_saveexec_b64 s[6:7], s[4:5]
	s_cbranch_execz .LBB2_9020
.LBB2_9019:
	v_bfe_u32 v2, v7, 24, 3
	v_ffbh_u32_e32 v14, v2
	v_min_u32_e32 v14, 32, v14
	v_lshrrev_b32_e32 v12, 27, v7
	v_subrev_u32_e32 v15, 28, v14
	v_and_b32_e32 v6, 0x80000000, v7
	v_and_b32_e32 v12, 15, v12
	v_bfe_u32 v13, v7, 27, 4
	v_lshlrev_b32_sdwa v7, v15, v7 dst_sel:DWORD dst_unused:UNUSED_PAD src0_sel:DWORD src1_sel:BYTE_3
	v_sub_u32_e32 v14, 29, v14
	v_and_b32_e32 v7, 7, v7
	v_cmp_eq_u16_e32 vcc, 0, v12
	v_cndmask_b32_e32 v2, v2, v7, vcc
	v_cndmask_b32_e32 v7, v13, v14, vcc
	v_mov_b32_e32 v12, 0x3b800000
	v_lshlrev_b32_e32 v2, 20, v2
	v_lshl_add_u32 v7, v7, 23, v12
	v_or3_b32 v2, v6, v7, v2
.LBB2_9020:
	s_or_b64 exec, exec, s[6:7]
	s_movk_i32 s4, 0x7f
	v_cmp_gt_i16_sdwa s[6:7], v3, s4 src0_sel:BYTE_3 src1_sel:DWORD
	s_mov_b64 s[4:5], 0
                                        ; implicit-def: $sgpr10
	s_and_saveexec_b64 s[8:9], s[6:7]
	s_xor_b64 s[6:7], exec, s[8:9]
	s_cbranch_execz .LBB2_9021
; %bb.44861:
	s_getpc_b64 s[14:15]
.Lpost_getpc26014:
	s_add_u32 s14, s14, (.LBB2_23357-.Lpost_getpc26014)&4294967295
	s_addc_u32 s15, s15, (.LBB2_23357-.Lpost_getpc26014)>>32
	s_setpc_b64 s[14:15]
.LBB2_9021:
	s_or_saveexec_b64 s[6:7], s[6:7]
	v_mov_b32_e32 v6, s10
	s_xor_b64 exec, exec, s[6:7]
	s_cbranch_execz .LBB2_9022
; %bb.44863:
	s_getpc_b64 s[14:15]
.Lpost_getpc26015:
	s_add_u32 s14, s14, (.LBB2_23360-.Lpost_getpc26015)&4294967295
	s_addc_u32 s15, s15, (.LBB2_23360-.Lpost_getpc26015)>>32
	s_setpc_b64 s[14:15]
.LBB2_9022:
	s_or_b64 exec, exec, s[6:7]
	s_and_saveexec_b64 s[6:7], s[4:5]
	s_cbranch_execz .LBB2_9024
.LBB2_9023:
	v_bfe_u32 v6, v3, 24, 3
	v_ffbh_u32_e32 v14, v6
	v_min_u32_e32 v14, 32, v14
	v_lshrrev_b32_e32 v12, 27, v3
	v_subrev_u32_e32 v15, 28, v14
	v_and_b32_e32 v7, 0x80000000, v3
	v_and_b32_e32 v12, 15, v12
	v_bfe_u32 v13, v3, 27, 4
	v_lshlrev_b32_sdwa v3, v15, v3 dst_sel:DWORD dst_unused:UNUSED_PAD src0_sel:DWORD src1_sel:BYTE_3
	v_sub_u32_e32 v14, 29, v14
	v_and_b32_e32 v3, 7, v3
	v_cmp_eq_u16_e32 vcc, 0, v12
	v_cndmask_b32_e32 v3, v6, v3, vcc
	v_cndmask_b32_e32 v6, v13, v14, vcc
	v_mov_b32_e32 v12, 0x3b800000
	v_lshlrev_b32_e32 v3, 20, v3
	v_lshl_add_u32 v6, v6, 23, v12
	v_or3_b32 v6, v7, v6, v3
.LBB2_9024:
	s_or_b64 exec, exec, s[6:7]
	s_nop 0
	v_mfma_f32_16x16x4f32 a[0:3], v2, v6, a[0:3]
	s_movk_i32 s4, 0x7f
	v_cmp_gt_i16_sdwa s[6:7], v8, s4 src0_sel:BYTE_0 src1_sel:DWORD
	s_mov_b64 s[4:5], 0
                                        ; implicit-def: $sgpr10
	s_and_saveexec_b64 s[8:9], s[6:7]
	s_xor_b64 s[6:7], exec, s[8:9]
	s_cbranch_execz .LBB2_9025
; %bb.44865:
	s_getpc_b64 s[14:15]
.Lpost_getpc26016:
	s_add_u32 s14, s14, (.LBB2_23361-.Lpost_getpc26016)&4294967295
	s_addc_u32 s15, s15, (.LBB2_23361-.Lpost_getpc26016)>>32
	s_setpc_b64 s[14:15]
.LBB2_9025:
	s_or_saveexec_b64 s[6:7], s[6:7]
	v_mov_b32_e32 v2, s10
	s_xor_b64 exec, exec, s[6:7]
	s_cbranch_execz .LBB2_9026
; %bb.44867:
	s_getpc_b64 s[14:15]
.Lpost_getpc26017:
	s_add_u32 s14, s14, (.LBB2_23364-.Lpost_getpc26017)&4294967295
	s_addc_u32 s15, s15, (.LBB2_23364-.Lpost_getpc26017)>>32
	s_setpc_b64 s[14:15]
.LBB2_9026:
	s_or_b64 exec, exec, s[6:7]
	s_and_saveexec_b64 s[6:7], s[4:5]
	s_cbranch_execz .LBB2_9028
.LBB2_9027:
	v_and_b32_e32 v2, 7, v8
	v_ffbh_u32_e32 v6, v2
	v_min_u32_e32 v6, 32, v6
	v_lshrrev_b16_e32 v3, 3, v8
	v_subrev_u32_e32 v7, 28, v6
	v_and_b32_e32 v3, 15, v3
	v_lshlrev_b32_e32 v7, v7, v8
	v_sub_u32_e32 v6, 29, v6
	v_and_b32_e32 v7, 7, v7
	v_cmp_eq_u16_e32 vcc, 0, v3
	v_cndmask_b32_e32 v2, v2, v7, vcc
	v_cndmask_b32_e32 v3, v3, v6, vcc
	v_lshlrev_b32_e32 v6, 24, v8
	v_mov_b32_e32 v7, 0x3b800000
	v_lshlrev_b32_e32 v2, 20, v2
	v_and_b32_e32 v6, 0x80000000, v6
	v_lshl_add_u32 v3, v3, 23, v7
	v_or3_b32 v2, v6, v3, v2
.LBB2_9028:
	s_or_b64 exec, exec, s[6:7]
	s_movk_i32 s4, 0x7f
	v_cmp_gt_i16_sdwa s[6:7], v4, s4 src0_sel:BYTE_0 src1_sel:DWORD
	s_mov_b64 s[4:5], 0
                                        ; implicit-def: $sgpr10
	s_and_saveexec_b64 s[8:9], s[6:7]
	s_xor_b64 s[6:7], exec, s[8:9]
	s_cbranch_execz .LBB2_9029
; %bb.44869:
	s_getpc_b64 s[14:15]
.Lpost_getpc26018:
	s_add_u32 s14, s14, (.LBB2_23365-.Lpost_getpc26018)&4294967295
	s_addc_u32 s15, s15, (.LBB2_23365-.Lpost_getpc26018)>>32
	s_setpc_b64 s[14:15]
.LBB2_9029:
	s_or_saveexec_b64 s[6:7], s[6:7]
	v_mov_b32_e32 v3, s10
	s_xor_b64 exec, exec, s[6:7]
	s_cbranch_execz .LBB2_9030
; %bb.44871:
	s_getpc_b64 s[14:15]
.Lpost_getpc26019:
	s_add_u32 s14, s14, (.LBB2_23368-.Lpost_getpc26019)&4294967295
	s_addc_u32 s15, s15, (.LBB2_23368-.Lpost_getpc26019)>>32
	s_setpc_b64 s[14:15]
.LBB2_9030:
	s_or_b64 exec, exec, s[6:7]
	s_and_saveexec_b64 s[6:7], s[4:5]
	s_cbranch_execz .LBB2_9032
.LBB2_9031:
	v_and_b32_e32 v3, 7, v4
	v_ffbh_u32_e32 v7, v3
	v_min_u32_e32 v7, 32, v7
	v_lshrrev_b16_e32 v6, 3, v4
	v_subrev_u32_e32 v12, 28, v7
	v_and_b32_e32 v6, 15, v6
	v_lshlrev_b32_e32 v12, v12, v4
	v_sub_u32_e32 v7, 29, v7
	v_and_b32_e32 v12, 7, v12
	v_cmp_eq_u16_e32 vcc, 0, v6
	v_cndmask_b32_e32 v3, v3, v12, vcc
	v_cndmask_b32_e32 v6, v6, v7, vcc
	v_lshlrev_b32_e32 v7, 24, v4
	v_mov_b32_e32 v12, 0x3b800000
	v_lshlrev_b32_e32 v3, 20, v3
	v_and_b32_e32 v7, 0x80000000, v7
	v_lshl_add_u32 v6, v6, 23, v12
	v_or3_b32 v3, v7, v6, v3
.LBB2_9032:
	s_or_b64 exec, exec, s[6:7]
	s_nop 0
	v_mfma_f32_16x16x4f32 a[0:3], v2, v3, a[0:3]
	v_lshrrev_b32_e32 v3, 8, v8
	s_movk_i32 s4, 0x7f
	v_cmp_gt_i16_sdwa s[6:7], v3, s4 src0_sel:BYTE_0 src1_sel:DWORD
	s_mov_b64 s[4:5], 0
                                        ; implicit-def: $sgpr10
	s_and_saveexec_b64 s[8:9], s[6:7]
	s_xor_b64 s[6:7], exec, s[8:9]
	s_cbranch_execz .LBB2_9033
; %bb.44873:
	s_getpc_b64 s[14:15]
.Lpost_getpc26020:
	s_add_u32 s14, s14, (.LBB2_23369-.Lpost_getpc26020)&4294967295
	s_addc_u32 s15, s15, (.LBB2_23369-.Lpost_getpc26020)>>32
	s_setpc_b64 s[14:15]
.LBB2_9033:
	s_or_saveexec_b64 s[6:7], s[6:7]
	v_mov_b32_e32 v2, s10
	s_xor_b64 exec, exec, s[6:7]
	s_cbranch_execz .LBB2_9034
; %bb.44875:
	s_getpc_b64 s[14:15]
.Lpost_getpc26021:
	s_add_u32 s14, s14, (.LBB2_23372-.Lpost_getpc26021)&4294967295
	s_addc_u32 s15, s15, (.LBB2_23372-.Lpost_getpc26021)>>32
	s_setpc_b64 s[14:15]
.LBB2_9034:
	s_or_b64 exec, exec, s[6:7]
	s_and_saveexec_b64 s[6:7], s[4:5]
	s_cbranch_execz .LBB2_9036
.LBB2_9035:
	v_bfe_u32 v2, v8, 8, 3
	v_ffbh_u32_e32 v7, v2
	v_min_u32_e32 v7, 32, v7
	v_lshrrev_b16_e32 v6, 3, v3
	v_subrev_u32_e32 v12, 28, v7
	v_and_b32_e32 v6, 15, v6
	v_lshlrev_b32_e32 v3, v12, v3
	v_sub_u32_e32 v7, 29, v7
	v_and_b32_e32 v3, 7, v3
	v_cmp_eq_u16_e32 vcc, 0, v6
	v_cndmask_b32_e32 v2, v2, v3, vcc
	v_cndmask_b32_e32 v3, v6, v7, vcc
	v_lshlrev_b32_e32 v6, 16, v8
	v_mov_b32_e32 v7, 0x3b800000
	v_lshlrev_b32_e32 v2, 20, v2
	v_and_b32_e32 v6, 0x80000000, v6
	v_lshl_add_u32 v3, v3, 23, v7
	v_or3_b32 v2, v6, v3, v2
.LBB2_9036:
	s_or_b64 exec, exec, s[6:7]
	v_lshrrev_b32_e32 v3, 8, v4
	s_movk_i32 s4, 0x7f
	v_cmp_gt_i16_sdwa s[6:7], v3, s4 src0_sel:BYTE_0 src1_sel:DWORD
	s_mov_b64 s[4:5], 0
                                        ; implicit-def: $sgpr10
	s_and_saveexec_b64 s[8:9], s[6:7]
	s_xor_b64 s[6:7], exec, s[8:9]
	s_cbranch_execz .LBB2_9037
; %bb.44877:
	s_getpc_b64 s[14:15]
.Lpost_getpc26022:
	s_add_u32 s14, s14, (.LBB2_23373-.Lpost_getpc26022)&4294967295
	s_addc_u32 s15, s15, (.LBB2_23373-.Lpost_getpc26022)>>32
	s_setpc_b64 s[14:15]
.LBB2_9037:
	s_or_saveexec_b64 s[6:7], s[6:7]
	v_mov_b32_e32 v6, s10
	s_xor_b64 exec, exec, s[6:7]
	s_cbranch_execz .LBB2_9038
; %bb.44879:
	s_getpc_b64 s[14:15]
.Lpost_getpc26023:
	s_add_u32 s14, s14, (.LBB2_23376-.Lpost_getpc26023)&4294967295
	s_addc_u32 s15, s15, (.LBB2_23376-.Lpost_getpc26023)>>32
	s_setpc_b64 s[14:15]
.LBB2_9038:
	s_or_b64 exec, exec, s[6:7]
	s_and_saveexec_b64 s[6:7], s[4:5]
	s_cbranch_execz .LBB2_9040
.LBB2_9039:
	v_bfe_u32 v6, v4, 8, 3
	v_ffbh_u32_e32 v12, v6
	v_min_u32_e32 v12, 32, v12
	v_lshrrev_b16_e32 v7, 3, v3
	v_subrev_u32_e32 v13, 28, v12
	v_and_b32_e32 v7, 15, v7
	v_lshlrev_b32_e32 v3, v13, v3
	v_sub_u32_e32 v12, 29, v12
	v_and_b32_e32 v3, 7, v3
	v_cmp_eq_u16_e32 vcc, 0, v7
	v_cndmask_b32_e32 v3, v6, v3, vcc
	v_cndmask_b32_e32 v6, v7, v12, vcc
	v_lshlrev_b32_e32 v7, 16, v4
	v_mov_b32_e32 v12, 0x3b800000
	v_lshlrev_b32_e32 v3, 20, v3
	v_and_b32_e32 v7, 0x80000000, v7
	v_lshl_add_u32 v6, v6, 23, v12
	v_or3_b32 v6, v7, v6, v3
.LBB2_9040:
	s_or_b64 exec, exec, s[6:7]
	s_nop 0
	v_mfma_f32_16x16x4f32 a[0:3], v2, v6, a[0:3]
	s_movk_i32 s4, 0xff
	v_and_b32_sdwa v3, v8, s4 dst_sel:DWORD dst_unused:UNUSED_PAD src0_sel:WORD_1 src1_sel:DWORD
	s_movk_i32 s4, 0x7f
	v_cmp_lt_i16_e32 vcc, s4, v3
	s_mov_b64 s[4:5], 0
                                        ; implicit-def: $sgpr10
	s_and_saveexec_b64 s[6:7], vcc
	s_xor_b64 s[6:7], exec, s[6:7]
	s_cbranch_execz .LBB2_9041
; %bb.44881:
	s_getpc_b64 s[14:15]
.Lpost_getpc26024:
	s_add_u32 s14, s14, (.LBB2_23377-.Lpost_getpc26024)&4294967295
	s_addc_u32 s15, s15, (.LBB2_23377-.Lpost_getpc26024)>>32
	s_setpc_b64 s[14:15]
.LBB2_9041:
	s_or_saveexec_b64 s[6:7], s[6:7]
	v_mov_b32_e32 v2, s10
	s_xor_b64 exec, exec, s[6:7]
	s_cbranch_execz .LBB2_9042
; %bb.44883:
	s_getpc_b64 s[14:15]
.Lpost_getpc26025:
	s_add_u32 s14, s14, (.LBB2_23380-.Lpost_getpc26025)&4294967295
	s_addc_u32 s15, s15, (.LBB2_23380-.Lpost_getpc26025)>>32
	s_setpc_b64 s[14:15]
.LBB2_9042:
	s_or_b64 exec, exec, s[6:7]
	s_and_saveexec_b64 s[6:7], s[4:5]
	s_cbranch_execz .LBB2_9044
.LBB2_9043:
	v_bfe_u32 v2, v8, 16, 3
	v_ffbh_u32_e32 v7, v2
	v_min_u32_e32 v7, 32, v7
	v_lshrrev_b32_e32 v3, 19, v8
	v_subrev_u32_e32 v12, 28, v7
	v_and_b32_e32 v3, 15, v3
	v_lshlrev_b32_sdwa v12, v12, v8 dst_sel:DWORD dst_unused:UNUSED_PAD src0_sel:DWORD src1_sel:WORD_1
	v_bfe_u32 v6, v8, 19, 4
	v_sub_u32_e32 v7, 29, v7
	v_and_b32_e32 v12, 7, v12
	v_cmp_eq_u16_e32 vcc, 0, v3
	v_cndmask_b32_e32 v2, v2, v12, vcc
	v_cndmask_b32_e32 v3, v6, v7, vcc
	v_lshlrev_b32_e32 v6, 8, v8
	v_mov_b32_e32 v7, 0x3b800000
	v_lshlrev_b32_e32 v2, 20, v2
	v_and_b32_e32 v6, 0x80000000, v6
	v_lshl_add_u32 v3, v3, 23, v7
	v_or3_b32 v2, v6, v3, v2
.LBB2_9044:
	s_or_b64 exec, exec, s[6:7]
	s_movk_i32 s4, 0xff
	v_and_b32_sdwa v3, v4, s4 dst_sel:DWORD dst_unused:UNUSED_PAD src0_sel:WORD_1 src1_sel:DWORD
	s_movk_i32 s4, 0x7f
	v_cmp_lt_i16_e32 vcc, s4, v3
	s_mov_b64 s[4:5], 0
                                        ; implicit-def: $sgpr10
	s_and_saveexec_b64 s[6:7], vcc
	s_xor_b64 s[6:7], exec, s[6:7]
	s_cbranch_execz .LBB2_9045
; %bb.44885:
	s_getpc_b64 s[14:15]
.Lpost_getpc26026:
	s_add_u32 s14, s14, (.LBB2_23381-.Lpost_getpc26026)&4294967295
	s_addc_u32 s15, s15, (.LBB2_23381-.Lpost_getpc26026)>>32
	s_setpc_b64 s[14:15]
.LBB2_9045:
	s_or_saveexec_b64 s[6:7], s[6:7]
	v_mov_b32_e32 v6, s10
	s_xor_b64 exec, exec, s[6:7]
	s_cbranch_execz .LBB2_9046
; %bb.44887:
	s_getpc_b64 s[14:15]
.Lpost_getpc26027:
	s_add_u32 s14, s14, (.LBB2_23384-.Lpost_getpc26027)&4294967295
	s_addc_u32 s15, s15, (.LBB2_23384-.Lpost_getpc26027)>>32
	s_setpc_b64 s[14:15]
.LBB2_9046:
	s_or_b64 exec, exec, s[6:7]
	s_and_saveexec_b64 s[6:7], s[4:5]
	s_cbranch_execz .LBB2_9048
.LBB2_9047:
	v_bfe_u32 v3, v4, 16, 3
	v_ffbh_u32_e32 v12, v3
	v_min_u32_e32 v12, 32, v12
	v_lshrrev_b32_e32 v6, 19, v4
	v_subrev_u32_e32 v13, 28, v12
	v_and_b32_e32 v6, 15, v6
	v_lshlrev_b32_sdwa v13, v13, v4 dst_sel:DWORD dst_unused:UNUSED_PAD src0_sel:DWORD src1_sel:WORD_1
	v_bfe_u32 v7, v4, 19, 4
	v_sub_u32_e32 v12, 29, v12
	v_and_b32_e32 v13, 7, v13
	v_cmp_eq_u16_e32 vcc, 0, v6
	v_cndmask_b32_e32 v3, v3, v13, vcc
	v_cndmask_b32_e32 v6, v7, v12, vcc
	v_lshlrev_b32_e32 v7, 8, v4
	v_mov_b32_e32 v12, 0x3b800000
	v_lshlrev_b32_e32 v3, 20, v3
	v_and_b32_e32 v7, 0x80000000, v7
	v_lshl_add_u32 v6, v6, 23, v12
	v_or3_b32 v6, v7, v6, v3
.LBB2_9048:
	s_or_b64 exec, exec, s[6:7]
	s_nop 0
	v_mfma_f32_16x16x4f32 a[0:3], v2, v6, a[0:3]
	s_movk_i32 s4, 0x7f
	v_cmp_gt_i16_sdwa s[6:7], v8, s4 src0_sel:BYTE_3 src1_sel:DWORD
	s_mov_b64 s[4:5], 0
                                        ; implicit-def: $sgpr10
	s_and_saveexec_b64 s[8:9], s[6:7]
	s_xor_b64 s[6:7], exec, s[8:9]
	s_cbranch_execz .LBB2_9049
; %bb.44889:
	s_getpc_b64 s[14:15]
.Lpost_getpc26028:
	s_add_u32 s14, s14, (.LBB2_23385-.Lpost_getpc26028)&4294967295
	s_addc_u32 s15, s15, (.LBB2_23385-.Lpost_getpc26028)>>32
	s_setpc_b64 s[14:15]
.LBB2_9049:
	s_or_saveexec_b64 s[6:7], s[6:7]
	v_mov_b32_e32 v2, s10
	s_xor_b64 exec, exec, s[6:7]
	s_cbranch_execz .LBB2_9050
; %bb.44891:
	s_getpc_b64 s[14:15]
.Lpost_getpc26029:
	s_add_u32 s14, s14, (.LBB2_23388-.Lpost_getpc26029)&4294967295
	s_addc_u32 s15, s15, (.LBB2_23388-.Lpost_getpc26029)>>32
	s_setpc_b64 s[14:15]
.LBB2_9050:
	s_or_b64 exec, exec, s[6:7]
	s_and_saveexec_b64 s[6:7], s[4:5]
	s_cbranch_execz .LBB2_9052
.LBB2_9051:
	v_bfe_u32 v2, v8, 24, 3
	v_ffbh_u32_e32 v12, v2
	v_min_u32_e32 v12, 32, v12
	v_lshrrev_b32_e32 v6, 27, v8
	v_subrev_u32_e32 v13, 28, v12
	v_and_b32_e32 v3, 0x80000000, v8
	v_and_b32_e32 v6, 15, v6
	v_bfe_u32 v7, v8, 27, 4
	v_lshlrev_b32_sdwa v8, v13, v8 dst_sel:DWORD dst_unused:UNUSED_PAD src0_sel:DWORD src1_sel:BYTE_3
	v_sub_u32_e32 v12, 29, v12
	v_and_b32_e32 v8, 7, v8
	v_cmp_eq_u16_e32 vcc, 0, v6
	v_cndmask_b32_e32 v2, v2, v8, vcc
	v_cndmask_b32_e32 v6, v7, v12, vcc
	v_mov_b32_e32 v7, 0x3b800000
	v_lshlrev_b32_e32 v2, 20, v2
	v_lshl_add_u32 v6, v6, 23, v7
	v_or3_b32 v2, v3, v6, v2
.LBB2_9052:
	s_or_b64 exec, exec, s[6:7]
	s_movk_i32 s4, 0x7f
	v_cmp_gt_i16_sdwa s[6:7], v4, s4 src0_sel:BYTE_3 src1_sel:DWORD
	s_mov_b64 s[4:5], 0
                                        ; implicit-def: $sgpr10
	s_and_saveexec_b64 s[8:9], s[6:7]
	s_xor_b64 s[6:7], exec, s[8:9]
	s_cbranch_execz .LBB2_9053
; %bb.44893:
	s_getpc_b64 s[14:15]
.Lpost_getpc26030:
	s_add_u32 s14, s14, (.LBB2_23389-.Lpost_getpc26030)&4294967295
	s_addc_u32 s15, s15, (.LBB2_23389-.Lpost_getpc26030)>>32
	s_setpc_b64 s[14:15]
.LBB2_9053:
	s_or_saveexec_b64 s[6:7], s[6:7]
	v_mov_b32_e32 v3, s10
	s_xor_b64 exec, exec, s[6:7]
	s_cbranch_execz .LBB2_9054
; %bb.44895:
	s_getpc_b64 s[14:15]
.Lpost_getpc26031:
	s_add_u32 s14, s14, (.LBB2_23392-.Lpost_getpc26031)&4294967295
	s_addc_u32 s15, s15, (.LBB2_23392-.Lpost_getpc26031)>>32
	s_setpc_b64 s[14:15]
.LBB2_9054:
	s_or_b64 exec, exec, s[6:7]
	s_and_saveexec_b64 s[6:7], s[4:5]
	s_cbranch_execz .LBB2_9056
.LBB2_9055:
	v_bfe_u32 v3, v4, 24, 3
	v_ffbh_u32_e32 v12, v3
	v_min_u32_e32 v12, 32, v12
	v_lshrrev_b32_e32 v7, 27, v4
	v_subrev_u32_e32 v13, 28, v12
	v_and_b32_e32 v6, 0x80000000, v4
	v_and_b32_e32 v7, 15, v7
	v_bfe_u32 v8, v4, 27, 4
	v_lshlrev_b32_sdwa v4, v13, v4 dst_sel:DWORD dst_unused:UNUSED_PAD src0_sel:DWORD src1_sel:BYTE_3
	v_sub_u32_e32 v12, 29, v12
	v_and_b32_e32 v4, 7, v4
	v_cmp_eq_u16_e32 vcc, 0, v7
	v_cndmask_b32_e32 v3, v3, v4, vcc
	v_cndmask_b32_e32 v4, v8, v12, vcc
	v_mov_b32_e32 v7, 0x3b800000
	v_lshlrev_b32_e32 v3, 20, v3
	v_lshl_add_u32 v4, v4, 23, v7
	v_or3_b32 v3, v6, v4, v3
.LBB2_9056:
	s_or_b64 exec, exec, s[6:7]
	s_nop 0
	v_mfma_f32_16x16x4f32 a[0:3], v2, v3, a[0:3]
	s_movk_i32 s4, 0x7f
	v_cmp_gt_i16_sdwa s[6:7], v9, s4 src0_sel:BYTE_0 src1_sel:DWORD
	s_mov_b64 s[4:5], 0
                                        ; implicit-def: $sgpr10
	s_and_saveexec_b64 s[8:9], s[6:7]
	s_xor_b64 s[6:7], exec, s[8:9]
	s_cbranch_execz .LBB2_9057
; %bb.44897:
	s_getpc_b64 s[14:15]
.Lpost_getpc26032:
	s_add_u32 s14, s14, (.LBB2_23393-.Lpost_getpc26032)&4294967295
	s_addc_u32 s15, s15, (.LBB2_23393-.Lpost_getpc26032)>>32
	s_setpc_b64 s[14:15]
.LBB2_9057:
	s_or_saveexec_b64 s[6:7], s[6:7]
	v_mov_b32_e32 v2, s10
	s_xor_b64 exec, exec, s[6:7]
	s_cbranch_execz .LBB2_9058
; %bb.44899:
	s_getpc_b64 s[14:15]
.Lpost_getpc26033:
	s_add_u32 s14, s14, (.LBB2_23396-.Lpost_getpc26033)&4294967295
	s_addc_u32 s15, s15, (.LBB2_23396-.Lpost_getpc26033)>>32
	s_setpc_b64 s[14:15]
.LBB2_9058:
	s_or_b64 exec, exec, s[6:7]
	s_and_saveexec_b64 s[6:7], s[4:5]
	s_cbranch_execz .LBB2_9060
.LBB2_9059:
	v_mov_b32_e32 v2, 8
	v_and_b32_e32 v3, 7, v9
	v_lshrrev_b32_sdwa v2, v2, v9 dst_sel:BYTE_1 dst_unused:UNUSED_PAD src0_sel:DWORD src1_sel:DWORD
	v_ffbh_u32_e32 v4, v3
	v_or_b32_sdwa v2, v9, v2 dst_sel:DWORD dst_unused:UNUSED_PAD src0_sel:BYTE_0 src1_sel:DWORD
	v_min_u32_e32 v4, 32, v4
	v_lshrrev_b16_e32 v2, 3, v2
	v_subrev_u32_e32 v6, 28, v4
	v_and_b32_e32 v2, 15, v2
	v_lshlrev_b32_e32 v6, v6, v9
	v_sub_u32_e32 v4, 29, v4
	v_and_b32_e32 v6, 7, v6
	v_cmp_eq_u16_e32 vcc, 0, v2
	v_cndmask_b32_e32 v3, v3, v6, vcc
	v_cndmask_b32_e32 v2, v2, v4, vcc
	v_lshlrev_b32_e32 v4, 24, v9
	v_mov_b32_e32 v6, 0x3b800000
	v_lshlrev_b32_e32 v3, 20, v3
	v_and_b32_e32 v4, 0x80000000, v4
	v_lshl_add_u32 v2, v2, 23, v6
	v_or3_b32 v2, v4, v2, v3
.LBB2_9060:
	s_or_b64 exec, exec, s[6:7]
	s_movk_i32 s4, 0x7f
	v_cmp_gt_i16_sdwa s[6:7], v5, s4 src0_sel:BYTE_0 src1_sel:DWORD
	s_mov_b64 s[4:5], 0
                                        ; implicit-def: $sgpr10
	s_and_saveexec_b64 s[8:9], s[6:7]
	s_xor_b64 s[6:7], exec, s[8:9]
	s_cbranch_execz .LBB2_9061
; %bb.44901:
	s_getpc_b64 s[14:15]
.Lpost_getpc26034:
	s_add_u32 s14, s14, (.LBB2_23397-.Lpost_getpc26034)&4294967295
	s_addc_u32 s15, s15, (.LBB2_23397-.Lpost_getpc26034)>>32
	s_setpc_b64 s[14:15]
.LBB2_9061:
	s_or_saveexec_b64 s[6:7], s[6:7]
	v_mov_b32_e32 v3, s10
	s_xor_b64 exec, exec, s[6:7]
	s_cbranch_execz .LBB2_9062
; %bb.44903:
	s_getpc_b64 s[14:15]
.Lpost_getpc26035:
	s_add_u32 s14, s14, (.LBB2_23400-.Lpost_getpc26035)&4294967295
	s_addc_u32 s15, s15, (.LBB2_23400-.Lpost_getpc26035)>>32
	s_setpc_b64 s[14:15]
.LBB2_9062:
	s_or_b64 exec, exec, s[6:7]
	s_and_saveexec_b64 s[6:7], s[4:5]
	s_cbranch_execz .LBB2_9064
.LBB2_9063:
	v_mov_b32_e32 v3, 8
	v_and_b32_e32 v4, 7, v5
	v_lshrrev_b32_sdwa v3, v3, v5 dst_sel:BYTE_1 dst_unused:UNUSED_PAD src0_sel:DWORD src1_sel:DWORD
	v_ffbh_u32_e32 v6, v4
	v_or_b32_sdwa v3, v5, v3 dst_sel:DWORD dst_unused:UNUSED_PAD src0_sel:BYTE_0 src1_sel:DWORD
	v_min_u32_e32 v6, 32, v6
	v_lshrrev_b16_e32 v3, 3, v3
	v_subrev_u32_e32 v7, 28, v6
	v_and_b32_e32 v3, 15, v3
	v_lshlrev_b32_e32 v7, v7, v5
	v_sub_u32_e32 v6, 29, v6
	v_and_b32_e32 v7, 7, v7
	v_cmp_eq_u16_e32 vcc, 0, v3
	v_cndmask_b32_e32 v4, v4, v7, vcc
	v_cndmask_b32_e32 v3, v3, v6, vcc
	v_lshlrev_b32_e32 v6, 24, v5
	v_mov_b32_e32 v7, 0x3b800000
	v_lshlrev_b32_e32 v4, 20, v4
	v_and_b32_e32 v6, 0x80000000, v6
	v_lshl_add_u32 v3, v3, 23, v7
	v_or3_b32 v3, v6, v3, v4
.LBB2_9064:
	s_or_b64 exec, exec, s[6:7]
	s_nop 0
	v_mfma_f32_16x16x4f32 a[0:3], v2, v3, a[0:3]
	v_lshrrev_b32_e32 v3, 8, v9
	s_movk_i32 s4, 0x7f
	v_cmp_gt_i16_sdwa s[6:7], v3, s4 src0_sel:BYTE_0 src1_sel:DWORD
	s_mov_b64 s[4:5], 0
                                        ; implicit-def: $sgpr10
	s_and_saveexec_b64 s[8:9], s[6:7]
	s_xor_b64 s[6:7], exec, s[8:9]
	s_cbranch_execz .LBB2_9065
; %bb.44905:
	s_getpc_b64 s[14:15]
.Lpost_getpc26036:
	s_add_u32 s14, s14, (.LBB2_23401-.Lpost_getpc26036)&4294967295
	s_addc_u32 s15, s15, (.LBB2_23401-.Lpost_getpc26036)>>32
	s_setpc_b64 s[14:15]
.LBB2_9065:
	s_or_saveexec_b64 s[6:7], s[6:7]
	v_mov_b32_e32 v2, s10
	s_xor_b64 exec, exec, s[6:7]
	s_cbranch_execz .LBB2_9066
; %bb.44907:
	s_getpc_b64 s[14:15]
.Lpost_getpc26037:
	s_add_u32 s14, s14, (.LBB2_23404-.Lpost_getpc26037)&4294967295
	s_addc_u32 s15, s15, (.LBB2_23404-.Lpost_getpc26037)>>32
	s_setpc_b64 s[14:15]
.LBB2_9066:
	s_or_b64 exec, exec, s[6:7]
	s_and_saveexec_b64 s[6:7], s[4:5]
	s_cbranch_execz .LBB2_9068
.LBB2_9067:
	v_bfe_u32 v2, v9, 8, 3
	v_ffbh_u32_e32 v6, v2
	v_min_u32_e32 v6, 32, v6
	v_lshrrev_b16_e32 v4, 3, v3
	v_subrev_u32_e32 v7, 28, v6
	v_and_b32_e32 v4, 15, v4
	v_lshlrev_b32_e32 v3, v7, v3
	v_sub_u32_e32 v6, 29, v6
	v_and_b32_e32 v3, 7, v3
	v_cmp_eq_u16_e32 vcc, 0, v4
	v_cndmask_b32_e32 v2, v2, v3, vcc
	v_cndmask_b32_e32 v3, v4, v6, vcc
	v_lshlrev_b32_e32 v4, 16, v9
	v_mov_b32_e32 v6, 0x3b800000
	v_lshlrev_b32_e32 v2, 20, v2
	v_and_b32_e32 v4, 0x80000000, v4
	v_lshl_add_u32 v3, v3, 23, v6
	v_or3_b32 v2, v4, v3, v2
.LBB2_9068:
	s_or_b64 exec, exec, s[6:7]
	v_lshrrev_b32_e32 v3, 8, v5
	s_movk_i32 s4, 0x7f
	v_cmp_gt_i16_sdwa s[6:7], v3, s4 src0_sel:BYTE_0 src1_sel:DWORD
	s_mov_b64 s[4:5], 0
                                        ; implicit-def: $sgpr10
	s_and_saveexec_b64 s[8:9], s[6:7]
	s_xor_b64 s[6:7], exec, s[8:9]
	s_cbranch_execz .LBB2_9069
; %bb.44909:
	s_getpc_b64 s[14:15]
.Lpost_getpc26038:
	s_add_u32 s14, s14, (.LBB2_23405-.Lpost_getpc26038)&4294967295
	s_addc_u32 s15, s15, (.LBB2_23405-.Lpost_getpc26038)>>32
	s_setpc_b64 s[14:15]
.LBB2_9069:
	s_or_saveexec_b64 s[6:7], s[6:7]
	v_mov_b32_e32 v4, s10
	s_xor_b64 exec, exec, s[6:7]
	s_cbranch_execz .LBB2_9070
; %bb.44911:
	s_getpc_b64 s[14:15]
.Lpost_getpc26039:
	s_add_u32 s14, s14, (.LBB2_23408-.Lpost_getpc26039)&4294967295
	s_addc_u32 s15, s15, (.LBB2_23408-.Lpost_getpc26039)>>32
	s_setpc_b64 s[14:15]
.LBB2_9070:
	s_or_b64 exec, exec, s[6:7]
	s_and_saveexec_b64 s[6:7], s[4:5]
	s_cbranch_execz .LBB2_9072
.LBB2_9071:
	v_bfe_u32 v4, v5, 8, 3
	v_ffbh_u32_e32 v7, v4
	v_min_u32_e32 v7, 32, v7
	v_lshrrev_b16_e32 v6, 3, v3
	v_subrev_u32_e32 v8, 28, v7
	v_and_b32_e32 v6, 15, v6
	v_lshlrev_b32_e32 v3, v8, v3
	v_sub_u32_e32 v7, 29, v7
	v_and_b32_e32 v3, 7, v3
	v_cmp_eq_u16_e32 vcc, 0, v6
	v_cndmask_b32_e32 v3, v4, v3, vcc
	v_cndmask_b32_e32 v4, v6, v7, vcc
	v_lshlrev_b32_e32 v6, 16, v5
	v_mov_b32_e32 v7, 0x3b800000
	v_lshlrev_b32_e32 v3, 20, v3
	v_and_b32_e32 v6, 0x80000000, v6
	v_lshl_add_u32 v4, v4, 23, v7
	v_or3_b32 v4, v6, v4, v3
.LBB2_9072:
	s_or_b64 exec, exec, s[6:7]
	s_nop 0
	v_mfma_f32_16x16x4f32 a[0:3], v2, v4, a[0:3]
	s_movk_i32 s4, 0xff
	v_and_b32_sdwa v3, v9, s4 dst_sel:DWORD dst_unused:UNUSED_PAD src0_sel:WORD_1 src1_sel:DWORD
	s_movk_i32 s4, 0x7f
	v_cmp_lt_i16_e32 vcc, s4, v3
	s_mov_b64 s[4:5], 0
                                        ; implicit-def: $sgpr10
	s_and_saveexec_b64 s[6:7], vcc
	s_xor_b64 s[6:7], exec, s[6:7]
	s_cbranch_execz .LBB2_9073
; %bb.44913:
	s_getpc_b64 s[14:15]
.Lpost_getpc26040:
	s_add_u32 s14, s14, (.LBB2_23409-.Lpost_getpc26040)&4294967295
	s_addc_u32 s15, s15, (.LBB2_23409-.Lpost_getpc26040)>>32
	s_setpc_b64 s[14:15]
.LBB2_9073:
	s_or_saveexec_b64 s[6:7], s[6:7]
	v_mov_b32_e32 v2, s10
	s_xor_b64 exec, exec, s[6:7]
	s_cbranch_execz .LBB2_9074
; %bb.44915:
	s_getpc_b64 s[14:15]
.Lpost_getpc26041:
	s_add_u32 s14, s14, (.LBB2_23412-.Lpost_getpc26041)&4294967295
	s_addc_u32 s15, s15, (.LBB2_23412-.Lpost_getpc26041)>>32
	s_setpc_b64 s[14:15]
.LBB2_9074:
	s_or_b64 exec, exec, s[6:7]
	s_and_saveexec_b64 s[6:7], s[4:5]
	s_cbranch_execz .LBB2_9076
.LBB2_9075:
	v_bfe_u32 v2, v9, 16, 3
	v_ffbh_u32_e32 v6, v2
	v_min_u32_e32 v6, 32, v6
	v_lshrrev_b32_e32 v3, 19, v9
	v_subrev_u32_e32 v7, 28, v6
	v_and_b32_e32 v3, 15, v3
	v_lshlrev_b32_sdwa v7, v7, v9 dst_sel:DWORD dst_unused:UNUSED_PAD src0_sel:DWORD src1_sel:WORD_1
	v_bfe_u32 v4, v9, 19, 4
	v_sub_u32_e32 v6, 29, v6
	v_and_b32_e32 v7, 7, v7
	v_cmp_eq_u16_e32 vcc, 0, v3
	v_cndmask_b32_e32 v2, v2, v7, vcc
	v_cndmask_b32_e32 v3, v4, v6, vcc
	v_lshlrev_b32_e32 v4, 8, v9
	v_mov_b32_e32 v6, 0x3b800000
	v_lshlrev_b32_e32 v2, 20, v2
	v_and_b32_e32 v4, 0x80000000, v4
	v_lshl_add_u32 v3, v3, 23, v6
	v_or3_b32 v2, v4, v3, v2
.LBB2_9076:
	s_or_b64 exec, exec, s[6:7]
	s_movk_i32 s4, 0xff
	v_and_b32_sdwa v3, v5, s4 dst_sel:DWORD dst_unused:UNUSED_PAD src0_sel:WORD_1 src1_sel:DWORD
	s_movk_i32 s4, 0x7f
	v_cmp_lt_i16_e32 vcc, s4, v3
	s_mov_b64 s[4:5], 0
                                        ; implicit-def: $sgpr10
	s_and_saveexec_b64 s[6:7], vcc
	s_xor_b64 s[6:7], exec, s[6:7]
	s_cbranch_execz .LBB2_9077
; %bb.44917:
	s_getpc_b64 s[14:15]
.Lpost_getpc26042:
	s_add_u32 s14, s14, (.LBB2_23413-.Lpost_getpc26042)&4294967295
	s_addc_u32 s15, s15, (.LBB2_23413-.Lpost_getpc26042)>>32
	s_setpc_b64 s[14:15]
.LBB2_9077:
	s_or_saveexec_b64 s[6:7], s[6:7]
	v_mov_b32_e32 v4, s10
	s_xor_b64 exec, exec, s[6:7]
	s_cbranch_execz .LBB2_9078
; %bb.44919:
	s_getpc_b64 s[14:15]
.Lpost_getpc26043:
	s_add_u32 s14, s14, (.LBB2_23416-.Lpost_getpc26043)&4294967295
	s_addc_u32 s15, s15, (.LBB2_23416-.Lpost_getpc26043)>>32
	s_setpc_b64 s[14:15]
.LBB2_9078:
	s_or_b64 exec, exec, s[6:7]
	s_and_saveexec_b64 s[6:7], s[4:5]
	s_cbranch_execz .LBB2_9080
.LBB2_9079:
	v_bfe_u32 v3, v5, 16, 3
	v_ffbh_u32_e32 v7, v3
	v_min_u32_e32 v7, 32, v7
	v_lshrrev_b32_e32 v4, 19, v5
	v_subrev_u32_e32 v8, 28, v7
	v_and_b32_e32 v4, 15, v4
	v_lshlrev_b32_sdwa v8, v8, v5 dst_sel:DWORD dst_unused:UNUSED_PAD src0_sel:DWORD src1_sel:WORD_1
	v_bfe_u32 v6, v5, 19, 4
	v_sub_u32_e32 v7, 29, v7
	v_and_b32_e32 v8, 7, v8
	v_cmp_eq_u16_e32 vcc, 0, v4
	v_cndmask_b32_e32 v3, v3, v8, vcc
	v_cndmask_b32_e32 v4, v6, v7, vcc
	v_lshlrev_b32_e32 v6, 8, v5
	v_mov_b32_e32 v7, 0x3b800000
	v_lshlrev_b32_e32 v3, 20, v3
	v_and_b32_e32 v6, 0x80000000, v6
	v_lshl_add_u32 v4, v4, 23, v7
	v_or3_b32 v4, v6, v4, v3
.LBB2_9080:
	s_or_b64 exec, exec, s[6:7]
	s_nop 0
	v_mfma_f32_16x16x4f32 a[0:3], v2, v4, a[0:3]
	s_movk_i32 s4, 0x7f
	v_cmp_gt_i16_sdwa s[6:7], v9, s4 src0_sel:BYTE_3 src1_sel:DWORD
	s_mov_b64 s[4:5], 0
                                        ; implicit-def: $sgpr10
	s_and_saveexec_b64 s[8:9], s[6:7]
	s_xor_b64 s[6:7], exec, s[8:9]
	s_cbranch_execz .LBB2_9081
; %bb.44921:
	s_getpc_b64 s[14:15]
.Lpost_getpc26044:
	s_add_u32 s14, s14, (.LBB2_23417-.Lpost_getpc26044)&4294967295
	s_addc_u32 s15, s15, (.LBB2_23417-.Lpost_getpc26044)>>32
	s_setpc_b64 s[14:15]
.LBB2_9081:
	s_or_saveexec_b64 s[6:7], s[6:7]
	v_mov_b32_e32 v2, s10
	s_xor_b64 exec, exec, s[6:7]
	s_cbranch_execz .LBB2_9082
; %bb.44923:
	s_getpc_b64 s[14:15]
.Lpost_getpc26045:
	s_add_u32 s14, s14, (.LBB2_23420-.Lpost_getpc26045)&4294967295
	s_addc_u32 s15, s15, (.LBB2_23420-.Lpost_getpc26045)>>32
	s_setpc_b64 s[14:15]
.LBB2_9082:
	s_or_b64 exec, exec, s[6:7]
	s_and_saveexec_b64 s[6:7], s[4:5]
	s_cbranch_execz .LBB2_9084
.LBB2_9083:
	v_bfe_u32 v2, v9, 24, 3
	v_ffbh_u32_e32 v7, v2
	v_min_u32_e32 v7, 32, v7
	v_lshrrev_b32_e32 v4, 27, v9
	v_subrev_u32_e32 v8, 28, v7
	v_and_b32_e32 v4, 15, v4
	v_lshlrev_b32_sdwa v8, v8, v9 dst_sel:DWORD dst_unused:UNUSED_PAD src0_sel:DWORD src1_sel:BYTE_3
	v_bfe_u32 v6, v9, 27, 4
	v_sub_u32_e32 v7, 29, v7
	v_and_b32_e32 v8, 7, v8
	v_cmp_eq_u16_e32 vcc, 0, v4
	v_cndmask_b32_e32 v2, v2, v8, vcc
	v_cndmask_b32_e32 v4, v6, v7, vcc
	v_mov_b32_e32 v6, 0x3b800000
	v_and_b32_e32 v3, 0x80000000, v9
	v_lshlrev_b32_e32 v2, 20, v2
	v_lshl_add_u32 v4, v4, 23, v6
	v_or3_b32 v2, v3, v4, v2
.LBB2_9084:
	s_or_b64 exec, exec, s[6:7]
	s_movk_i32 s4, 0x7f
	v_cmp_gt_i16_sdwa s[6:7], v5, s4 src0_sel:BYTE_3 src1_sel:DWORD
	s_mov_b64 s[4:5], 0
                                        ; implicit-def: $sgpr10
	s_and_saveexec_b64 s[8:9], s[6:7]
	s_xor_b64 s[6:7], exec, s[8:9]
	s_cbranch_execz .LBB2_9085
; %bb.44925:
	s_getpc_b64 s[14:15]
.Lpost_getpc26046:
	s_add_u32 s14, s14, (.LBB2_23421-.Lpost_getpc26046)&4294967295
	s_addc_u32 s15, s15, (.LBB2_23421-.Lpost_getpc26046)>>32
	s_setpc_b64 s[14:15]
.LBB2_9085:
	s_or_saveexec_b64 s[6:7], s[6:7]
	v_mov_b32_e32 v3, s10
	s_xor_b64 exec, exec, s[6:7]
	s_cbranch_execz .LBB2_9086
; %bb.44927:
	s_getpc_b64 s[14:15]
.Lpost_getpc26047:
	s_add_u32 s14, s14, (.LBB2_23424-.Lpost_getpc26047)&4294967295
	s_addc_u32 s15, s15, (.LBB2_23424-.Lpost_getpc26047)>>32
	s_setpc_b64 s[14:15]
.LBB2_9086:
	s_or_b64 exec, exec, s[6:7]
	s_and_saveexec_b64 s[6:7], s[4:5]
	s_cbranch_execz .LBB2_9088
.LBB2_9087:
	v_bfe_u32 v3, v5, 24, 3
	v_ffbh_u32_e32 v8, v3
	v_min_u32_e32 v8, 32, v8
	v_lshrrev_b32_e32 v6, 27, v5
	v_subrev_u32_e32 v9, 28, v8
	v_and_b32_e32 v4, 0x80000000, v5
	v_and_b32_e32 v6, 15, v6
	v_bfe_u32 v7, v5, 27, 4
	v_lshlrev_b32_sdwa v5, v9, v5 dst_sel:DWORD dst_unused:UNUSED_PAD src0_sel:DWORD src1_sel:BYTE_3
	v_sub_u32_e32 v8, 29, v8
	v_and_b32_e32 v5, 7, v5
	v_cmp_eq_u16_e32 vcc, 0, v6
	v_cndmask_b32_e32 v3, v3, v5, vcc
	v_cndmask_b32_e32 v5, v7, v8, vcc
	v_mov_b32_e32 v6, 0x3b800000
	v_lshlrev_b32_e32 v3, 20, v3
	v_lshl_add_u32 v5, v5, 23, v6
	v_or3_b32 v3, v4, v5, v3
.LBB2_9088:
	s_or_b64 exec, exec, s[6:7]
	s_nop 0
	v_mfma_f32_16x16x4f32 a[0:3], v2, v3, a[0:3]
	s_movk_i32 s4, 0x7f
                                        ; implicit-def: $sgpr10
	s_nop 7
	s_nop 1
	flat_store_dwordx4 v[10:11], a[0:3] offset:224
	flat_load_dwordx4 v[12:15], v[0:1]
	s_nop 0
	flat_load_dwordx2 v[10:11], v[0:1] offset:16
	s_waitcnt vmcnt(0) lgkmcnt(0)
	flat_load_dwordx4 v[6:9], v[12:13] offset:128
	flat_load_dwordx4 v[2:5], v[14:15] offset:240
	s_waitcnt vmcnt(0) lgkmcnt(0)
	v_cmp_gt_i16_sdwa s[6:7], v6, s4 src0_sel:BYTE_0 src1_sel:DWORD
	s_mov_b64 s[4:5], 0
	s_and_saveexec_b64 s[8:9], s[6:7]
	s_xor_b64 s[6:7], exec, s[8:9]
	s_cbranch_execz .LBB2_9089
; %bb.44929:
	s_getpc_b64 s[14:15]
.Lpost_getpc26048:
	s_add_u32 s14, s14, (.LBB2_23425-.Lpost_getpc26048)&4294967295
	s_addc_u32 s15, s15, (.LBB2_23425-.Lpost_getpc26048)>>32
	s_setpc_b64 s[14:15]
.LBB2_9089:
	s_or_saveexec_b64 s[6:7], s[6:7]
	v_mov_b32_e32 v12, s10
	s_xor_b64 exec, exec, s[6:7]
	s_cbranch_execz .LBB2_9090
; %bb.44931:
	s_getpc_b64 s[14:15]
.Lpost_getpc26049:
	s_add_u32 s14, s14, (.LBB2_23428-.Lpost_getpc26049)&4294967295
	s_addc_u32 s15, s15, (.LBB2_23428-.Lpost_getpc26049)>>32
	s_setpc_b64 s[14:15]
.LBB2_9090:
	s_or_b64 exec, exec, s[6:7]
	s_and_saveexec_b64 s[6:7], s[4:5]
	s_cbranch_execz .LBB2_9092
.LBB2_9091:
	v_and_b32_e32 v12, 7, v6
	v_ffbh_u32_e32 v14, v12
	v_min_u32_e32 v14, 32, v14
	v_lshrrev_b16_e32 v13, 3, v6
	v_subrev_u32_e32 v15, 28, v14
	v_and_b32_e32 v13, 15, v13
	v_lshlrev_b32_e32 v15, v15, v6
	v_sub_u32_e32 v14, 29, v14
	v_and_b32_e32 v15, 7, v15
	v_cmp_eq_u16_e32 vcc, 0, v13
	v_cndmask_b32_e32 v12, v12, v15, vcc
	v_cndmask_b32_e32 v13, v13, v14, vcc
	v_lshlrev_b32_e32 v14, 24, v6
	v_mov_b32_e32 v15, 0x3b800000
	v_lshlrev_b32_e32 v12, 20, v12
	v_and_b32_e32 v14, 0x80000000, v14
	v_lshl_add_u32 v13, v13, 23, v15
	v_or3_b32 v12, v14, v13, v12
.LBB2_9092:
	s_or_b64 exec, exec, s[6:7]
	s_movk_i32 s4, 0x7f
	v_cmp_gt_i16_sdwa s[6:7], v2, s4 src0_sel:BYTE_0 src1_sel:DWORD
	s_mov_b64 s[4:5], 0
                                        ; implicit-def: $sgpr10
	s_and_saveexec_b64 s[8:9], s[6:7]
	s_xor_b64 s[6:7], exec, s[8:9]
	s_cbranch_execz .LBB2_9093
; %bb.44933:
	s_getpc_b64 s[14:15]
.Lpost_getpc26050:
	s_add_u32 s14, s14, (.LBB2_23429-.Lpost_getpc26050)&4294967295
	s_addc_u32 s15, s15, (.LBB2_23429-.Lpost_getpc26050)>>32
	s_setpc_b64 s[14:15]
.LBB2_9093:
	s_or_saveexec_b64 s[6:7], s[6:7]
	v_mov_b32_e32 v13, s10
	s_xor_b64 exec, exec, s[6:7]
	s_cbranch_execz .LBB2_9094
; %bb.44935:
	s_getpc_b64 s[14:15]
.Lpost_getpc26051:
	s_add_u32 s14, s14, (.LBB2_23432-.Lpost_getpc26051)&4294967295
	s_addc_u32 s15, s15, (.LBB2_23432-.Lpost_getpc26051)>>32
	s_setpc_b64 s[14:15]
.LBB2_9094:
	s_or_b64 exec, exec, s[6:7]
	s_and_saveexec_b64 s[6:7], s[4:5]
	s_cbranch_execz .LBB2_9096
.LBB2_9095:
	v_and_b32_e32 v13, 7, v2
	v_ffbh_u32_e32 v15, v13
	v_min_u32_e32 v15, 32, v15
	v_lshrrev_b16_e32 v14, 3, v2
	v_subrev_u32_e32 v16, 28, v15
	v_and_b32_e32 v14, 15, v14
	v_lshlrev_b32_e32 v16, v16, v2
	v_sub_u32_e32 v15, 29, v15
	v_and_b32_e32 v16, 7, v16
	v_cmp_eq_u16_e32 vcc, 0, v14
	v_cndmask_b32_e32 v13, v13, v16, vcc
	v_cndmask_b32_e32 v14, v14, v15, vcc
	v_lshlrev_b32_e32 v15, 24, v2
	v_mov_b32_e32 v16, 0x3b800000
	v_lshlrev_b32_e32 v13, 20, v13
	v_and_b32_e32 v15, 0x80000000, v15
	v_lshl_add_u32 v14, v14, 23, v16
	v_or3_b32 v13, v15, v14, v13
.LBB2_9096:
	s_or_b64 exec, exec, s[6:7]
	flat_load_dwordx4 a[0:3], v[10:11] offset:240
	s_movk_i32 s4, 0x7f
                                        ; implicit-def: $sgpr10
	s_waitcnt vmcnt(0) lgkmcnt(0)
	v_mfma_f32_16x16x4f32 a[0:3], v12, v13, a[0:3]
	v_lshrrev_b32_e32 v13, 8, v6
	v_cmp_gt_i16_sdwa s[6:7], v13, s4 src0_sel:BYTE_0 src1_sel:DWORD
	s_mov_b64 s[4:5], 0
	s_and_saveexec_b64 s[8:9], s[6:7]
	s_xor_b64 s[6:7], exec, s[8:9]
	s_cbranch_execz .LBB2_9097
; %bb.44937:
	s_getpc_b64 s[14:15]
.Lpost_getpc26052:
	s_add_u32 s14, s14, (.LBB2_23433-.Lpost_getpc26052)&4294967295
	s_addc_u32 s15, s15, (.LBB2_23433-.Lpost_getpc26052)>>32
	s_setpc_b64 s[14:15]
.LBB2_9097:
	s_or_saveexec_b64 s[6:7], s[6:7]
	v_mov_b32_e32 v12, s10
	s_xor_b64 exec, exec, s[6:7]
	s_cbranch_execz .LBB2_9098
; %bb.44939:
	s_getpc_b64 s[14:15]
.Lpost_getpc26053:
	s_add_u32 s14, s14, (.LBB2_23436-.Lpost_getpc26053)&4294967295
	s_addc_u32 s15, s15, (.LBB2_23436-.Lpost_getpc26053)>>32
	s_setpc_b64 s[14:15]
.LBB2_9098:
	s_or_b64 exec, exec, s[6:7]
	s_and_saveexec_b64 s[6:7], s[4:5]
	s_cbranch_execz .LBB2_9100
.LBB2_9099:
	v_bfe_u32 v12, v6, 8, 3
	v_ffbh_u32_e32 v15, v12
	v_min_u32_e32 v15, 32, v15
	v_lshrrev_b16_e32 v14, 3, v13
	v_subrev_u32_e32 v16, 28, v15
	v_and_b32_e32 v14, 15, v14
	v_lshlrev_b32_e32 v13, v16, v13
	v_sub_u32_e32 v15, 29, v15
	v_and_b32_e32 v13, 7, v13
	v_cmp_eq_u16_e32 vcc, 0, v14
	v_cndmask_b32_e32 v12, v12, v13, vcc
	v_cndmask_b32_e32 v13, v14, v15, vcc
	v_lshlrev_b32_e32 v14, 16, v6
	v_mov_b32_e32 v15, 0x3b800000
	v_lshlrev_b32_e32 v12, 20, v12
	v_and_b32_e32 v14, 0x80000000, v14
	v_lshl_add_u32 v13, v13, 23, v15
	v_or3_b32 v12, v14, v13, v12
.LBB2_9100:
	s_or_b64 exec, exec, s[6:7]
	v_lshrrev_b32_e32 v13, 8, v2
	s_movk_i32 s4, 0x7f
	v_cmp_gt_i16_sdwa s[6:7], v13, s4 src0_sel:BYTE_0 src1_sel:DWORD
	s_mov_b64 s[4:5], 0
                                        ; implicit-def: $sgpr10
	s_and_saveexec_b64 s[8:9], s[6:7]
	s_xor_b64 s[6:7], exec, s[8:9]
	s_cbranch_execz .LBB2_9101
; %bb.44941:
	s_getpc_b64 s[14:15]
.Lpost_getpc26054:
	s_add_u32 s14, s14, (.LBB2_23437-.Lpost_getpc26054)&4294967295
	s_addc_u32 s15, s15, (.LBB2_23437-.Lpost_getpc26054)>>32
	s_setpc_b64 s[14:15]
.LBB2_9101:
	s_or_saveexec_b64 s[6:7], s[6:7]
	v_mov_b32_e32 v14, s10
	s_xor_b64 exec, exec, s[6:7]
	s_cbranch_execz .LBB2_9102
; %bb.44943:
	s_getpc_b64 s[14:15]
.Lpost_getpc26055:
	s_add_u32 s14, s14, (.LBB2_23440-.Lpost_getpc26055)&4294967295
	s_addc_u32 s15, s15, (.LBB2_23440-.Lpost_getpc26055)>>32
	s_setpc_b64 s[14:15]
.LBB2_9102:
	s_or_b64 exec, exec, s[6:7]
	s_and_saveexec_b64 s[6:7], s[4:5]
	s_cbranch_execz .LBB2_9104
.LBB2_9103:
	v_bfe_u32 v14, v2, 8, 3
	v_ffbh_u32_e32 v16, v14
	v_min_u32_e32 v16, 32, v16
	v_lshrrev_b16_e32 v15, 3, v13
	v_subrev_u32_e32 v17, 28, v16
	v_and_b32_e32 v15, 15, v15
	v_lshlrev_b32_e32 v13, v17, v13
	v_sub_u32_e32 v16, 29, v16
	v_and_b32_e32 v13, 7, v13
	v_cmp_eq_u16_e32 vcc, 0, v15
	v_cndmask_b32_e32 v13, v14, v13, vcc
	v_cndmask_b32_e32 v14, v15, v16, vcc
	v_lshlrev_b32_e32 v15, 16, v2
	v_mov_b32_e32 v16, 0x3b800000
	v_lshlrev_b32_e32 v13, 20, v13
	v_and_b32_e32 v15, 0x80000000, v15
	v_lshl_add_u32 v14, v14, 23, v16
	v_or3_b32 v14, v15, v14, v13
.LBB2_9104:
	s_or_b64 exec, exec, s[6:7]
	s_nop 0
	v_mfma_f32_16x16x4f32 a[0:3], v12, v14, a[0:3]
	s_movk_i32 s4, 0xff
	v_and_b32_sdwa v13, v6, s4 dst_sel:DWORD dst_unused:UNUSED_PAD src0_sel:WORD_1 src1_sel:DWORD
	s_movk_i32 s4, 0x7f
	v_cmp_lt_i16_e32 vcc, s4, v13
	s_mov_b64 s[4:5], 0
                                        ; implicit-def: $sgpr10
	s_and_saveexec_b64 s[6:7], vcc
	s_xor_b64 s[6:7], exec, s[6:7]
	s_cbranch_execz .LBB2_9105
; %bb.44945:
	s_getpc_b64 s[14:15]
.Lpost_getpc26056:
	s_add_u32 s14, s14, (.LBB2_23441-.Lpost_getpc26056)&4294967295
	s_addc_u32 s15, s15, (.LBB2_23441-.Lpost_getpc26056)>>32
	s_setpc_b64 s[14:15]
.LBB2_9105:
	s_or_saveexec_b64 s[6:7], s[6:7]
	v_mov_b32_e32 v12, s10
	s_xor_b64 exec, exec, s[6:7]
	s_cbranch_execz .LBB2_9106
; %bb.44947:
	s_getpc_b64 s[14:15]
.Lpost_getpc26057:
	s_add_u32 s14, s14, (.LBB2_23444-.Lpost_getpc26057)&4294967295
	s_addc_u32 s15, s15, (.LBB2_23444-.Lpost_getpc26057)>>32
	s_setpc_b64 s[14:15]
.LBB2_9106:
	s_or_b64 exec, exec, s[6:7]
	s_and_saveexec_b64 s[6:7], s[4:5]
	s_cbranch_execz .LBB2_9108
.LBB2_9107:
	v_bfe_u32 v12, v6, 16, 3
	v_ffbh_u32_e32 v15, v12
	v_min_u32_e32 v15, 32, v15
	v_lshrrev_b32_e32 v13, 19, v6
	v_subrev_u32_e32 v16, 28, v15
	v_and_b32_e32 v13, 15, v13
	v_lshlrev_b32_sdwa v16, v16, v6 dst_sel:DWORD dst_unused:UNUSED_PAD src0_sel:DWORD src1_sel:WORD_1
	v_bfe_u32 v14, v6, 19, 4
	v_sub_u32_e32 v15, 29, v15
	v_and_b32_e32 v16, 7, v16
	v_cmp_eq_u16_e32 vcc, 0, v13
	v_cndmask_b32_e32 v12, v12, v16, vcc
	v_cndmask_b32_e32 v13, v14, v15, vcc
	v_lshlrev_b32_e32 v14, 8, v6
	v_mov_b32_e32 v15, 0x3b800000
	v_lshlrev_b32_e32 v12, 20, v12
	v_and_b32_e32 v14, 0x80000000, v14
	v_lshl_add_u32 v13, v13, 23, v15
	v_or3_b32 v12, v14, v13, v12
.LBB2_9108:
	s_or_b64 exec, exec, s[6:7]
	s_movk_i32 s4, 0xff
	v_and_b32_sdwa v13, v2, s4 dst_sel:DWORD dst_unused:UNUSED_PAD src0_sel:WORD_1 src1_sel:DWORD
	s_movk_i32 s4, 0x7f
	v_cmp_lt_i16_e32 vcc, s4, v13
	s_mov_b64 s[4:5], 0
                                        ; implicit-def: $sgpr10
	s_and_saveexec_b64 s[6:7], vcc
	s_xor_b64 s[6:7], exec, s[6:7]
	s_cbranch_execz .LBB2_9109
; %bb.44949:
	s_getpc_b64 s[14:15]
.Lpost_getpc26058:
	s_add_u32 s14, s14, (.LBB2_23445-.Lpost_getpc26058)&4294967295
	s_addc_u32 s15, s15, (.LBB2_23445-.Lpost_getpc26058)>>32
	s_setpc_b64 s[14:15]
.LBB2_9109:
	s_or_saveexec_b64 s[6:7], s[6:7]
	v_mov_b32_e32 v14, s10
	s_xor_b64 exec, exec, s[6:7]
	s_cbranch_execz .LBB2_9110
; %bb.44951:
	s_getpc_b64 s[14:15]
.Lpost_getpc26059:
	s_add_u32 s14, s14, (.LBB2_23448-.Lpost_getpc26059)&4294967295
	s_addc_u32 s15, s15, (.LBB2_23448-.Lpost_getpc26059)>>32
	s_setpc_b64 s[14:15]
.LBB2_9110:
	s_or_b64 exec, exec, s[6:7]
	s_and_saveexec_b64 s[6:7], s[4:5]
	s_cbranch_execz .LBB2_9112
.LBB2_9111:
	v_bfe_u32 v13, v2, 16, 3
	v_ffbh_u32_e32 v16, v13
	v_min_u32_e32 v16, 32, v16
	v_lshrrev_b32_e32 v14, 19, v2
	v_subrev_u32_e32 v17, 28, v16
	v_and_b32_e32 v14, 15, v14
	v_lshlrev_b32_sdwa v17, v17, v2 dst_sel:DWORD dst_unused:UNUSED_PAD src0_sel:DWORD src1_sel:WORD_1
	v_bfe_u32 v15, v2, 19, 4
	v_sub_u32_e32 v16, 29, v16
	v_and_b32_e32 v17, 7, v17
	v_cmp_eq_u16_e32 vcc, 0, v14
	v_cndmask_b32_e32 v13, v13, v17, vcc
	v_cndmask_b32_e32 v14, v15, v16, vcc
	v_lshlrev_b32_e32 v15, 8, v2
	v_mov_b32_e32 v16, 0x3b800000
	v_lshlrev_b32_e32 v13, 20, v13
	v_and_b32_e32 v15, 0x80000000, v15
	v_lshl_add_u32 v14, v14, 23, v16
	v_or3_b32 v14, v15, v14, v13
.LBB2_9112:
	s_or_b64 exec, exec, s[6:7]
	s_nop 0
	v_mfma_f32_16x16x4f32 a[0:3], v12, v14, a[0:3]
	s_movk_i32 s4, 0x7f
	v_cmp_gt_i16_sdwa s[6:7], v6, s4 src0_sel:BYTE_3 src1_sel:DWORD
	s_mov_b64 s[4:5], 0
                                        ; implicit-def: $sgpr10
	s_and_saveexec_b64 s[8:9], s[6:7]
	s_xor_b64 s[6:7], exec, s[8:9]
	s_cbranch_execz .LBB2_9113
; %bb.44953:
	s_getpc_b64 s[14:15]
.Lpost_getpc26060:
	s_add_u32 s14, s14, (.LBB2_23449-.Lpost_getpc26060)&4294967295
	s_addc_u32 s15, s15, (.LBB2_23449-.Lpost_getpc26060)>>32
	s_setpc_b64 s[14:15]
.LBB2_9113:
	s_or_saveexec_b64 s[6:7], s[6:7]
	v_mov_b32_e32 v12, s10
	s_xor_b64 exec, exec, s[6:7]
	s_cbranch_execz .LBB2_9114
; %bb.44955:
	s_getpc_b64 s[14:15]
.Lpost_getpc26061:
	s_add_u32 s14, s14, (.LBB2_23452-.Lpost_getpc26061)&4294967295
	s_addc_u32 s15, s15, (.LBB2_23452-.Lpost_getpc26061)>>32
	s_setpc_b64 s[14:15]
.LBB2_9114:
	s_or_b64 exec, exec, s[6:7]
	s_and_saveexec_b64 s[6:7], s[4:5]
	s_cbranch_execz .LBB2_9116
.LBB2_9115:
	v_bfe_u32 v12, v6, 24, 3
	v_ffbh_u32_e32 v16, v12
	v_min_u32_e32 v16, 32, v16
	v_lshrrev_b32_e32 v14, 27, v6
	v_subrev_u32_e32 v17, 28, v16
	v_and_b32_e32 v13, 0x80000000, v6
	v_and_b32_e32 v14, 15, v14
	v_bfe_u32 v15, v6, 27, 4
	v_lshlrev_b32_sdwa v6, v17, v6 dst_sel:DWORD dst_unused:UNUSED_PAD src0_sel:DWORD src1_sel:BYTE_3
	v_sub_u32_e32 v16, 29, v16
	v_and_b32_e32 v6, 7, v6
	v_cmp_eq_u16_e32 vcc, 0, v14
	v_cndmask_b32_e32 v6, v12, v6, vcc
	v_cndmask_b32_e32 v12, v15, v16, vcc
	v_mov_b32_e32 v14, 0x3b800000
	v_lshlrev_b32_e32 v6, 20, v6
	v_lshl_add_u32 v12, v12, 23, v14
	v_or3_b32 v12, v13, v12, v6
.LBB2_9116:
	s_or_b64 exec, exec, s[6:7]
	s_movk_i32 s4, 0x7f
	v_cmp_gt_i16_sdwa s[6:7], v2, s4 src0_sel:BYTE_3 src1_sel:DWORD
	s_mov_b64 s[4:5], 0
                                        ; implicit-def: $sgpr10
	s_and_saveexec_b64 s[8:9], s[6:7]
	s_xor_b64 s[6:7], exec, s[8:9]
	s_cbranch_execz .LBB2_9117
; %bb.44957:
	s_getpc_b64 s[14:15]
.Lpost_getpc26062:
	s_add_u32 s14, s14, (.LBB2_23453-.Lpost_getpc26062)&4294967295
	s_addc_u32 s15, s15, (.LBB2_23453-.Lpost_getpc26062)>>32
	s_setpc_b64 s[14:15]
.LBB2_9117:
	s_or_saveexec_b64 s[6:7], s[6:7]
	v_mov_b32_e32 v6, s10
	s_xor_b64 exec, exec, s[6:7]
	s_cbranch_execz .LBB2_9118
; %bb.44959:
	s_getpc_b64 s[14:15]
.Lpost_getpc26063:
	s_add_u32 s14, s14, (.LBB2_23456-.Lpost_getpc26063)&4294967295
	s_addc_u32 s15, s15, (.LBB2_23456-.Lpost_getpc26063)>>32
	s_setpc_b64 s[14:15]
.LBB2_9118:
	s_or_b64 exec, exec, s[6:7]
	s_and_saveexec_b64 s[6:7], s[4:5]
	s_cbranch_execz .LBB2_9120
.LBB2_9119:
	v_bfe_u32 v6, v2, 24, 3
	v_ffbh_u32_e32 v16, v6
	v_min_u32_e32 v16, 32, v16
	v_lshrrev_b32_e32 v14, 27, v2
	v_subrev_u32_e32 v17, 28, v16
	v_and_b32_e32 v13, 0x80000000, v2
	v_and_b32_e32 v14, 15, v14
	v_bfe_u32 v15, v2, 27, 4
	v_lshlrev_b32_sdwa v2, v17, v2 dst_sel:DWORD dst_unused:UNUSED_PAD src0_sel:DWORD src1_sel:BYTE_3
	v_sub_u32_e32 v16, 29, v16
	v_and_b32_e32 v2, 7, v2
	v_cmp_eq_u16_e32 vcc, 0, v14
	v_cndmask_b32_e32 v2, v6, v2, vcc
	v_cndmask_b32_e32 v6, v15, v16, vcc
	v_mov_b32_e32 v14, 0x3b800000
	v_lshlrev_b32_e32 v2, 20, v2
	v_lshl_add_u32 v6, v6, 23, v14
	v_or3_b32 v6, v13, v6, v2
.LBB2_9120:
	s_or_b64 exec, exec, s[6:7]
	s_nop 0
	v_mfma_f32_16x16x4f32 a[0:3], v12, v6, a[0:3]
	s_movk_i32 s4, 0x7f
	v_cmp_gt_i16_sdwa s[6:7], v7, s4 src0_sel:BYTE_0 src1_sel:DWORD
	s_mov_b64 s[4:5], 0
                                        ; implicit-def: $sgpr10
	s_and_saveexec_b64 s[8:9], s[6:7]
	s_xor_b64 s[6:7], exec, s[8:9]
	s_cbranch_execz .LBB2_9121
; %bb.44961:
	s_getpc_b64 s[14:15]
.Lpost_getpc26064:
	s_add_u32 s14, s14, (.LBB2_23457-.Lpost_getpc26064)&4294967295
	s_addc_u32 s15, s15, (.LBB2_23457-.Lpost_getpc26064)>>32
	s_setpc_b64 s[14:15]
.LBB2_9121:
	s_or_saveexec_b64 s[6:7], s[6:7]
	v_mov_b32_e32 v2, s10
	s_xor_b64 exec, exec, s[6:7]
	s_cbranch_execz .LBB2_9122
; %bb.44963:
	s_getpc_b64 s[14:15]
.Lpost_getpc26065:
	s_add_u32 s14, s14, (.LBB2_23460-.Lpost_getpc26065)&4294967295
	s_addc_u32 s15, s15, (.LBB2_23460-.Lpost_getpc26065)>>32
	s_setpc_b64 s[14:15]
.LBB2_9122:
	s_or_b64 exec, exec, s[6:7]
	s_and_saveexec_b64 s[6:7], s[4:5]
	s_cbranch_execz .LBB2_9124
.LBB2_9123:
	v_and_b32_e32 v2, 7, v7
	v_ffbh_u32_e32 v12, v2
	v_min_u32_e32 v12, 32, v12
	v_lshrrev_b16_e32 v6, 3, v7
	v_subrev_u32_e32 v13, 28, v12
	v_and_b32_e32 v6, 15, v6
	v_lshlrev_b32_e32 v13, v13, v7
	v_sub_u32_e32 v12, 29, v12
	v_and_b32_e32 v13, 7, v13
	v_cmp_eq_u16_e32 vcc, 0, v6
	v_cndmask_b32_e32 v2, v2, v13, vcc
	v_cndmask_b32_e32 v6, v6, v12, vcc
	v_lshlrev_b32_e32 v12, 24, v7
	v_mov_b32_e32 v13, 0x3b800000
	v_lshlrev_b32_e32 v2, 20, v2
	v_and_b32_e32 v12, 0x80000000, v12
	v_lshl_add_u32 v6, v6, 23, v13
	v_or3_b32 v2, v12, v6, v2
.LBB2_9124:
	s_or_b64 exec, exec, s[6:7]
	s_movk_i32 s4, 0x7f
	v_cmp_gt_i16_sdwa s[6:7], v3, s4 src0_sel:BYTE_0 src1_sel:DWORD
	s_mov_b64 s[4:5], 0
                                        ; implicit-def: $sgpr10
	s_and_saveexec_b64 s[8:9], s[6:7]
	s_xor_b64 s[6:7], exec, s[8:9]
	s_cbranch_execz .LBB2_9125
; %bb.44965:
	s_getpc_b64 s[14:15]
.Lpost_getpc26066:
	s_add_u32 s14, s14, (.LBB2_23461-.Lpost_getpc26066)&4294967295
	s_addc_u32 s15, s15, (.LBB2_23461-.Lpost_getpc26066)>>32
	s_setpc_b64 s[14:15]
.LBB2_9125:
	s_or_saveexec_b64 s[6:7], s[6:7]
	v_mov_b32_e32 v6, s10
	s_xor_b64 exec, exec, s[6:7]
	s_cbranch_execz .LBB2_9126
; %bb.44967:
	s_getpc_b64 s[14:15]
.Lpost_getpc26067:
	s_add_u32 s14, s14, (.LBB2_23464-.Lpost_getpc26067)&4294967295
	s_addc_u32 s15, s15, (.LBB2_23464-.Lpost_getpc26067)>>32
	s_setpc_b64 s[14:15]
.LBB2_9126:
	s_or_b64 exec, exec, s[6:7]
	s_and_saveexec_b64 s[6:7], s[4:5]
	s_cbranch_execz .LBB2_9128
.LBB2_9127:
	v_and_b32_e32 v6, 7, v3
	v_ffbh_u32_e32 v13, v6
	v_min_u32_e32 v13, 32, v13
	v_lshrrev_b16_e32 v12, 3, v3
	v_subrev_u32_e32 v14, 28, v13
	v_and_b32_e32 v12, 15, v12
	v_lshlrev_b32_e32 v14, v14, v3
	v_sub_u32_e32 v13, 29, v13
	v_and_b32_e32 v14, 7, v14
	v_cmp_eq_u16_e32 vcc, 0, v12
	v_cndmask_b32_e32 v6, v6, v14, vcc
	v_cndmask_b32_e32 v12, v12, v13, vcc
	v_lshlrev_b32_e32 v13, 24, v3
	v_mov_b32_e32 v14, 0x3b800000
	v_lshlrev_b32_e32 v6, 20, v6
	v_and_b32_e32 v13, 0x80000000, v13
	v_lshl_add_u32 v12, v12, 23, v14
	v_or3_b32 v6, v13, v12, v6
.LBB2_9128:
	s_or_b64 exec, exec, s[6:7]
	s_nop 0
	v_mfma_f32_16x16x4f32 a[0:3], v2, v6, a[0:3]
	v_lshrrev_b32_e32 v6, 8, v7
	s_movk_i32 s4, 0x7f
	v_cmp_gt_i16_sdwa s[6:7], v6, s4 src0_sel:BYTE_0 src1_sel:DWORD
	s_mov_b64 s[4:5], 0
                                        ; implicit-def: $sgpr10
	s_and_saveexec_b64 s[8:9], s[6:7]
	s_xor_b64 s[6:7], exec, s[8:9]
	s_cbranch_execz .LBB2_9129
; %bb.44969:
	s_getpc_b64 s[14:15]
.Lpost_getpc26068:
	s_add_u32 s14, s14, (.LBB2_23465-.Lpost_getpc26068)&4294967295
	s_addc_u32 s15, s15, (.LBB2_23465-.Lpost_getpc26068)>>32
	s_setpc_b64 s[14:15]
.LBB2_9129:
	s_or_saveexec_b64 s[6:7], s[6:7]
	v_mov_b32_e32 v2, s10
	s_xor_b64 exec, exec, s[6:7]
	s_cbranch_execz .LBB2_9130
; %bb.44971:
	s_getpc_b64 s[14:15]
.Lpost_getpc26069:
	s_add_u32 s14, s14, (.LBB2_23468-.Lpost_getpc26069)&4294967295
	s_addc_u32 s15, s15, (.LBB2_23468-.Lpost_getpc26069)>>32
	s_setpc_b64 s[14:15]
.LBB2_9130:
	s_or_b64 exec, exec, s[6:7]
	s_and_saveexec_b64 s[6:7], s[4:5]
	s_cbranch_execz .LBB2_9132
.LBB2_9131:
	v_bfe_u32 v2, v7, 8, 3
	v_ffbh_u32_e32 v13, v2
	v_min_u32_e32 v13, 32, v13
	v_lshrrev_b16_e32 v12, 3, v6
	v_subrev_u32_e32 v14, 28, v13
	v_and_b32_e32 v12, 15, v12
	v_lshlrev_b32_e32 v6, v14, v6
	v_sub_u32_e32 v13, 29, v13
	v_and_b32_e32 v6, 7, v6
	v_cmp_eq_u16_e32 vcc, 0, v12
	v_cndmask_b32_e32 v2, v2, v6, vcc
	v_cndmask_b32_e32 v6, v12, v13, vcc
	v_lshlrev_b32_e32 v12, 16, v7
	v_mov_b32_e32 v13, 0x3b800000
	v_lshlrev_b32_e32 v2, 20, v2
	v_and_b32_e32 v12, 0x80000000, v12
	v_lshl_add_u32 v6, v6, 23, v13
	v_or3_b32 v2, v12, v6, v2
.LBB2_9132:
	s_or_b64 exec, exec, s[6:7]
	v_lshrrev_b32_e32 v6, 8, v3
	s_movk_i32 s4, 0x7f
	v_cmp_gt_i16_sdwa s[6:7], v6, s4 src0_sel:BYTE_0 src1_sel:DWORD
	s_mov_b64 s[4:5], 0
                                        ; implicit-def: $sgpr10
	s_and_saveexec_b64 s[8:9], s[6:7]
	s_xor_b64 s[6:7], exec, s[8:9]
	s_cbranch_execz .LBB2_9133
; %bb.44973:
	s_getpc_b64 s[14:15]
.Lpost_getpc26070:
	s_add_u32 s14, s14, (.LBB2_23469-.Lpost_getpc26070)&4294967295
	s_addc_u32 s15, s15, (.LBB2_23469-.Lpost_getpc26070)>>32
	s_setpc_b64 s[14:15]
.LBB2_9133:
	s_or_saveexec_b64 s[6:7], s[6:7]
	v_mov_b32_e32 v12, s10
	s_xor_b64 exec, exec, s[6:7]
	s_cbranch_execz .LBB2_9134
; %bb.44975:
	s_getpc_b64 s[14:15]
.Lpost_getpc26071:
	s_add_u32 s14, s14, (.LBB2_23472-.Lpost_getpc26071)&4294967295
	s_addc_u32 s15, s15, (.LBB2_23472-.Lpost_getpc26071)>>32
	s_setpc_b64 s[14:15]
.LBB2_9134:
	s_or_b64 exec, exec, s[6:7]
	s_and_saveexec_b64 s[6:7], s[4:5]
	s_cbranch_execz .LBB2_9136
.LBB2_9135:
	v_bfe_u32 v12, v3, 8, 3
	v_ffbh_u32_e32 v14, v12
	v_min_u32_e32 v14, 32, v14
	v_lshrrev_b16_e32 v13, 3, v6
	v_subrev_u32_e32 v15, 28, v14
	v_and_b32_e32 v13, 15, v13
	v_lshlrev_b32_e32 v6, v15, v6
	v_sub_u32_e32 v14, 29, v14
	v_and_b32_e32 v6, 7, v6
	v_cmp_eq_u16_e32 vcc, 0, v13
	v_cndmask_b32_e32 v6, v12, v6, vcc
	v_cndmask_b32_e32 v12, v13, v14, vcc
	v_lshlrev_b32_e32 v13, 16, v3
	v_mov_b32_e32 v14, 0x3b800000
	v_lshlrev_b32_e32 v6, 20, v6
	v_and_b32_e32 v13, 0x80000000, v13
	v_lshl_add_u32 v12, v12, 23, v14
	v_or3_b32 v12, v13, v12, v6
.LBB2_9136:
	s_or_b64 exec, exec, s[6:7]
	s_nop 0
	v_mfma_f32_16x16x4f32 a[0:3], v2, v12, a[0:3]
	s_movk_i32 s4, 0xff
	v_and_b32_sdwa v6, v7, s4 dst_sel:DWORD dst_unused:UNUSED_PAD src0_sel:WORD_1 src1_sel:DWORD
	s_movk_i32 s4, 0x7f
	v_cmp_lt_i16_e32 vcc, s4, v6
	s_mov_b64 s[4:5], 0
                                        ; implicit-def: $sgpr10
	s_and_saveexec_b64 s[6:7], vcc
	s_xor_b64 s[6:7], exec, s[6:7]
	s_cbranch_execz .LBB2_9137
; %bb.44977:
	s_getpc_b64 s[14:15]
.Lpost_getpc26072:
	s_add_u32 s14, s14, (.LBB2_23473-.Lpost_getpc26072)&4294967295
	s_addc_u32 s15, s15, (.LBB2_23473-.Lpost_getpc26072)>>32
	s_setpc_b64 s[14:15]
.LBB2_9137:
	s_or_saveexec_b64 s[6:7], s[6:7]
	v_mov_b32_e32 v2, s10
	s_xor_b64 exec, exec, s[6:7]
	s_cbranch_execz .LBB2_9138
; %bb.44979:
	s_getpc_b64 s[14:15]
.Lpost_getpc26073:
	s_add_u32 s14, s14, (.LBB2_23476-.Lpost_getpc26073)&4294967295
	s_addc_u32 s15, s15, (.LBB2_23476-.Lpost_getpc26073)>>32
	s_setpc_b64 s[14:15]
.LBB2_9138:
	s_or_b64 exec, exec, s[6:7]
	s_and_saveexec_b64 s[6:7], s[4:5]
	s_cbranch_execz .LBB2_9140
.LBB2_9139:
	v_bfe_u32 v2, v7, 16, 3
	v_ffbh_u32_e32 v13, v2
	v_min_u32_e32 v13, 32, v13
	v_lshrrev_b32_e32 v6, 19, v7
	v_subrev_u32_e32 v14, 28, v13
	v_and_b32_e32 v6, 15, v6
	v_lshlrev_b32_sdwa v14, v14, v7 dst_sel:DWORD dst_unused:UNUSED_PAD src0_sel:DWORD src1_sel:WORD_1
	v_bfe_u32 v12, v7, 19, 4
	v_sub_u32_e32 v13, 29, v13
	v_and_b32_e32 v14, 7, v14
	v_cmp_eq_u16_e32 vcc, 0, v6
	v_cndmask_b32_e32 v2, v2, v14, vcc
	v_cndmask_b32_e32 v6, v12, v13, vcc
	v_lshlrev_b32_e32 v12, 8, v7
	v_mov_b32_e32 v13, 0x3b800000
	v_lshlrev_b32_e32 v2, 20, v2
	v_and_b32_e32 v12, 0x80000000, v12
	v_lshl_add_u32 v6, v6, 23, v13
	v_or3_b32 v2, v12, v6, v2
.LBB2_9140:
	s_or_b64 exec, exec, s[6:7]
	s_movk_i32 s4, 0xff
	v_and_b32_sdwa v6, v3, s4 dst_sel:DWORD dst_unused:UNUSED_PAD src0_sel:WORD_1 src1_sel:DWORD
	s_movk_i32 s4, 0x7f
	v_cmp_lt_i16_e32 vcc, s4, v6
	s_mov_b64 s[4:5], 0
                                        ; implicit-def: $sgpr10
	s_and_saveexec_b64 s[6:7], vcc
	s_xor_b64 s[6:7], exec, s[6:7]
	s_cbranch_execz .LBB2_9141
; %bb.44981:
	s_getpc_b64 s[14:15]
.Lpost_getpc26074:
	s_add_u32 s14, s14, (.LBB2_23477-.Lpost_getpc26074)&4294967295
	s_addc_u32 s15, s15, (.LBB2_23477-.Lpost_getpc26074)>>32
	s_setpc_b64 s[14:15]
.LBB2_9141:
	s_or_saveexec_b64 s[6:7], s[6:7]
	v_mov_b32_e32 v12, s10
	s_xor_b64 exec, exec, s[6:7]
	s_cbranch_execz .LBB2_9142
; %bb.44983:
	s_getpc_b64 s[14:15]
.Lpost_getpc26075:
	s_add_u32 s14, s14, (.LBB2_23480-.Lpost_getpc26075)&4294967295
	s_addc_u32 s15, s15, (.LBB2_23480-.Lpost_getpc26075)>>32
	s_setpc_b64 s[14:15]
.LBB2_9142:
	s_or_b64 exec, exec, s[6:7]
	s_and_saveexec_b64 s[6:7], s[4:5]
	s_cbranch_execz .LBB2_9144
.LBB2_9143:
	v_bfe_u32 v6, v3, 16, 3
	v_ffbh_u32_e32 v14, v6
	v_min_u32_e32 v14, 32, v14
	v_lshrrev_b32_e32 v12, 19, v3
	v_subrev_u32_e32 v15, 28, v14
	v_and_b32_e32 v12, 15, v12
	v_lshlrev_b32_sdwa v15, v15, v3 dst_sel:DWORD dst_unused:UNUSED_PAD src0_sel:DWORD src1_sel:WORD_1
	v_bfe_u32 v13, v3, 19, 4
	v_sub_u32_e32 v14, 29, v14
	v_and_b32_e32 v15, 7, v15
	v_cmp_eq_u16_e32 vcc, 0, v12
	v_cndmask_b32_e32 v6, v6, v15, vcc
	v_cndmask_b32_e32 v12, v13, v14, vcc
	v_lshlrev_b32_e32 v13, 8, v3
	v_mov_b32_e32 v14, 0x3b800000
	v_lshlrev_b32_e32 v6, 20, v6
	v_and_b32_e32 v13, 0x80000000, v13
	v_lshl_add_u32 v12, v12, 23, v14
	v_or3_b32 v12, v13, v12, v6
.LBB2_9144:
	s_or_b64 exec, exec, s[6:7]
	s_nop 0
	v_mfma_f32_16x16x4f32 a[0:3], v2, v12, a[0:3]
	s_movk_i32 s4, 0x7f
	v_cmp_gt_i16_sdwa s[6:7], v7, s4 src0_sel:BYTE_3 src1_sel:DWORD
	s_mov_b64 s[4:5], 0
                                        ; implicit-def: $sgpr10
	s_and_saveexec_b64 s[8:9], s[6:7]
	s_xor_b64 s[6:7], exec, s[8:9]
	s_cbranch_execz .LBB2_9145
; %bb.44985:
	s_getpc_b64 s[14:15]
.Lpost_getpc26076:
	s_add_u32 s14, s14, (.LBB2_23481-.Lpost_getpc26076)&4294967295
	s_addc_u32 s15, s15, (.LBB2_23481-.Lpost_getpc26076)>>32
	s_setpc_b64 s[14:15]
.LBB2_9145:
	s_or_saveexec_b64 s[6:7], s[6:7]
	v_mov_b32_e32 v2, s10
	s_xor_b64 exec, exec, s[6:7]
	s_cbranch_execz .LBB2_9146
; %bb.44987:
	s_getpc_b64 s[14:15]
.Lpost_getpc26077:
	s_add_u32 s14, s14, (.LBB2_23484-.Lpost_getpc26077)&4294967295
	s_addc_u32 s15, s15, (.LBB2_23484-.Lpost_getpc26077)>>32
	s_setpc_b64 s[14:15]
.LBB2_9146:
	s_or_b64 exec, exec, s[6:7]
	s_and_saveexec_b64 s[6:7], s[4:5]
	s_cbranch_execz .LBB2_9148
.LBB2_9147:
	v_bfe_u32 v2, v7, 24, 3
	v_ffbh_u32_e32 v14, v2
	v_min_u32_e32 v14, 32, v14
	v_lshrrev_b32_e32 v12, 27, v7
	v_subrev_u32_e32 v15, 28, v14
	v_and_b32_e32 v6, 0x80000000, v7
	v_and_b32_e32 v12, 15, v12
	v_bfe_u32 v13, v7, 27, 4
	v_lshlrev_b32_sdwa v7, v15, v7 dst_sel:DWORD dst_unused:UNUSED_PAD src0_sel:DWORD src1_sel:BYTE_3
	v_sub_u32_e32 v14, 29, v14
	v_and_b32_e32 v7, 7, v7
	v_cmp_eq_u16_e32 vcc, 0, v12
	v_cndmask_b32_e32 v2, v2, v7, vcc
	v_cndmask_b32_e32 v7, v13, v14, vcc
	v_mov_b32_e32 v12, 0x3b800000
	v_lshlrev_b32_e32 v2, 20, v2
	v_lshl_add_u32 v7, v7, 23, v12
	v_or3_b32 v2, v6, v7, v2
.LBB2_9148:
	s_or_b64 exec, exec, s[6:7]
	s_movk_i32 s4, 0x7f
	v_cmp_gt_i16_sdwa s[6:7], v3, s4 src0_sel:BYTE_3 src1_sel:DWORD
	s_mov_b64 s[4:5], 0
                                        ; implicit-def: $sgpr10
	s_and_saveexec_b64 s[8:9], s[6:7]
	s_xor_b64 s[6:7], exec, s[8:9]
	s_cbranch_execz .LBB2_9149
; %bb.44989:
	s_getpc_b64 s[14:15]
.Lpost_getpc26078:
	s_add_u32 s14, s14, (.LBB2_23485-.Lpost_getpc26078)&4294967295
	s_addc_u32 s15, s15, (.LBB2_23485-.Lpost_getpc26078)>>32
	s_setpc_b64 s[14:15]
.LBB2_9149:
	s_or_saveexec_b64 s[6:7], s[6:7]
	v_mov_b32_e32 v6, s10
	s_xor_b64 exec, exec, s[6:7]
	s_cbranch_execz .LBB2_9150
; %bb.44991:
	s_getpc_b64 s[14:15]
.Lpost_getpc26079:
	s_add_u32 s14, s14, (.LBB2_23488-.Lpost_getpc26079)&4294967295
	s_addc_u32 s15, s15, (.LBB2_23488-.Lpost_getpc26079)>>32
	s_setpc_b64 s[14:15]
.LBB2_9150:
	s_or_b64 exec, exec, s[6:7]
	s_and_saveexec_b64 s[6:7], s[4:5]
	s_cbranch_execz .LBB2_9152
.LBB2_9151:
	v_bfe_u32 v6, v3, 24, 3
	v_ffbh_u32_e32 v14, v6
	v_min_u32_e32 v14, 32, v14
	v_lshrrev_b32_e32 v12, 27, v3
	v_subrev_u32_e32 v15, 28, v14
	v_and_b32_e32 v7, 0x80000000, v3
	v_and_b32_e32 v12, 15, v12
	v_bfe_u32 v13, v3, 27, 4
	v_lshlrev_b32_sdwa v3, v15, v3 dst_sel:DWORD dst_unused:UNUSED_PAD src0_sel:DWORD src1_sel:BYTE_3
	v_sub_u32_e32 v14, 29, v14
	v_and_b32_e32 v3, 7, v3
	v_cmp_eq_u16_e32 vcc, 0, v12
	v_cndmask_b32_e32 v3, v6, v3, vcc
	v_cndmask_b32_e32 v6, v13, v14, vcc
	v_mov_b32_e32 v12, 0x3b800000
	v_lshlrev_b32_e32 v3, 20, v3
	v_lshl_add_u32 v6, v6, 23, v12
	v_or3_b32 v6, v7, v6, v3
.LBB2_9152:
	s_or_b64 exec, exec, s[6:7]
	s_nop 0
	v_mfma_f32_16x16x4f32 a[0:3], v2, v6, a[0:3]
	s_movk_i32 s4, 0x7f
	v_cmp_gt_i16_sdwa s[6:7], v8, s4 src0_sel:BYTE_0 src1_sel:DWORD
	s_mov_b64 s[4:5], 0
                                        ; implicit-def: $sgpr10
	s_and_saveexec_b64 s[8:9], s[6:7]
	s_xor_b64 s[6:7], exec, s[8:9]
	s_cbranch_execz .LBB2_9153
; %bb.44993:
	s_getpc_b64 s[14:15]
.Lpost_getpc26080:
	s_add_u32 s14, s14, (.LBB2_23489-.Lpost_getpc26080)&4294967295
	s_addc_u32 s15, s15, (.LBB2_23489-.Lpost_getpc26080)>>32
	s_setpc_b64 s[14:15]
.LBB2_9153:
	s_or_saveexec_b64 s[6:7], s[6:7]
	v_mov_b32_e32 v2, s10
	s_xor_b64 exec, exec, s[6:7]
	s_cbranch_execz .LBB2_9154
; %bb.44995:
	s_getpc_b64 s[14:15]
.Lpost_getpc26081:
	s_add_u32 s14, s14, (.LBB2_23492-.Lpost_getpc26081)&4294967295
	s_addc_u32 s15, s15, (.LBB2_23492-.Lpost_getpc26081)>>32
	s_setpc_b64 s[14:15]
.LBB2_9154:
	s_or_b64 exec, exec, s[6:7]
	s_and_saveexec_b64 s[6:7], s[4:5]
	s_cbranch_execz .LBB2_9156
.LBB2_9155:
	v_and_b32_e32 v2, 7, v8
	v_ffbh_u32_e32 v6, v2
	v_min_u32_e32 v6, 32, v6
	v_lshrrev_b16_e32 v3, 3, v8
	v_subrev_u32_e32 v7, 28, v6
	v_and_b32_e32 v3, 15, v3
	v_lshlrev_b32_e32 v7, v7, v8
	v_sub_u32_e32 v6, 29, v6
	v_and_b32_e32 v7, 7, v7
	v_cmp_eq_u16_e32 vcc, 0, v3
	v_cndmask_b32_e32 v2, v2, v7, vcc
	v_cndmask_b32_e32 v3, v3, v6, vcc
	v_lshlrev_b32_e32 v6, 24, v8
	v_mov_b32_e32 v7, 0x3b800000
	v_lshlrev_b32_e32 v2, 20, v2
	v_and_b32_e32 v6, 0x80000000, v6
	v_lshl_add_u32 v3, v3, 23, v7
	v_or3_b32 v2, v6, v3, v2
.LBB2_9156:
	s_or_b64 exec, exec, s[6:7]
	s_movk_i32 s4, 0x7f
	v_cmp_gt_i16_sdwa s[6:7], v4, s4 src0_sel:BYTE_0 src1_sel:DWORD
	s_mov_b64 s[4:5], 0
                                        ; implicit-def: $sgpr10
	s_and_saveexec_b64 s[8:9], s[6:7]
	s_xor_b64 s[6:7], exec, s[8:9]
	s_cbranch_execz .LBB2_9157
; %bb.44997:
	s_getpc_b64 s[14:15]
.Lpost_getpc26082:
	s_add_u32 s14, s14, (.LBB2_23493-.Lpost_getpc26082)&4294967295
	s_addc_u32 s15, s15, (.LBB2_23493-.Lpost_getpc26082)>>32
	s_setpc_b64 s[14:15]
.LBB2_9157:
	s_or_saveexec_b64 s[6:7], s[6:7]
	v_mov_b32_e32 v3, s10
	s_xor_b64 exec, exec, s[6:7]
	s_cbranch_execz .LBB2_9158
; %bb.44999:
	s_getpc_b64 s[14:15]
.Lpost_getpc26083:
	s_add_u32 s14, s14, (.LBB2_23496-.Lpost_getpc26083)&4294967295
	s_addc_u32 s15, s15, (.LBB2_23496-.Lpost_getpc26083)>>32
	s_setpc_b64 s[14:15]
.LBB2_9158:
	s_or_b64 exec, exec, s[6:7]
	s_and_saveexec_b64 s[6:7], s[4:5]
	s_cbranch_execz .LBB2_9160
.LBB2_9159:
	v_and_b32_e32 v3, 7, v4
	v_ffbh_u32_e32 v7, v3
	v_min_u32_e32 v7, 32, v7
	v_lshrrev_b16_e32 v6, 3, v4
	v_subrev_u32_e32 v12, 28, v7
	v_and_b32_e32 v6, 15, v6
	v_lshlrev_b32_e32 v12, v12, v4
	v_sub_u32_e32 v7, 29, v7
	v_and_b32_e32 v12, 7, v12
	v_cmp_eq_u16_e32 vcc, 0, v6
	v_cndmask_b32_e32 v3, v3, v12, vcc
	v_cndmask_b32_e32 v6, v6, v7, vcc
	v_lshlrev_b32_e32 v7, 24, v4
	v_mov_b32_e32 v12, 0x3b800000
	v_lshlrev_b32_e32 v3, 20, v3
	v_and_b32_e32 v7, 0x80000000, v7
	v_lshl_add_u32 v6, v6, 23, v12
	v_or3_b32 v3, v7, v6, v3
.LBB2_9160:
	s_or_b64 exec, exec, s[6:7]
	s_nop 0
	v_mfma_f32_16x16x4f32 a[0:3], v2, v3, a[0:3]
	v_lshrrev_b32_e32 v3, 8, v8
	s_movk_i32 s4, 0x7f
	v_cmp_gt_i16_sdwa s[6:7], v3, s4 src0_sel:BYTE_0 src1_sel:DWORD
	s_mov_b64 s[4:5], 0
                                        ; implicit-def: $sgpr10
	s_and_saveexec_b64 s[8:9], s[6:7]
	s_xor_b64 s[6:7], exec, s[8:9]
	s_cbranch_execz .LBB2_9161
; %bb.45001:
	s_getpc_b64 s[14:15]
.Lpost_getpc26084:
	s_add_u32 s14, s14, (.LBB2_23497-.Lpost_getpc26084)&4294967295
	s_addc_u32 s15, s15, (.LBB2_23497-.Lpost_getpc26084)>>32
	s_setpc_b64 s[14:15]
.LBB2_9161:
	s_or_saveexec_b64 s[6:7], s[6:7]
	v_mov_b32_e32 v2, s10
	s_xor_b64 exec, exec, s[6:7]
	s_cbranch_execz .LBB2_9162
; %bb.45003:
	s_getpc_b64 s[14:15]
.Lpost_getpc26085:
	s_add_u32 s14, s14, (.LBB2_23500-.Lpost_getpc26085)&4294967295
	s_addc_u32 s15, s15, (.LBB2_23500-.Lpost_getpc26085)>>32
	s_setpc_b64 s[14:15]
.LBB2_9162:
	s_or_b64 exec, exec, s[6:7]
	s_and_saveexec_b64 s[6:7], s[4:5]
	s_cbranch_execz .LBB2_9164
.LBB2_9163:
	v_bfe_u32 v2, v8, 8, 3
	v_ffbh_u32_e32 v7, v2
	v_min_u32_e32 v7, 32, v7
	v_lshrrev_b16_e32 v6, 3, v3
	v_subrev_u32_e32 v12, 28, v7
	v_and_b32_e32 v6, 15, v6
	v_lshlrev_b32_e32 v3, v12, v3
	v_sub_u32_e32 v7, 29, v7
	v_and_b32_e32 v3, 7, v3
	v_cmp_eq_u16_e32 vcc, 0, v6
	v_cndmask_b32_e32 v2, v2, v3, vcc
	v_cndmask_b32_e32 v3, v6, v7, vcc
	v_lshlrev_b32_e32 v6, 16, v8
	v_mov_b32_e32 v7, 0x3b800000
	v_lshlrev_b32_e32 v2, 20, v2
	v_and_b32_e32 v6, 0x80000000, v6
	v_lshl_add_u32 v3, v3, 23, v7
	v_or3_b32 v2, v6, v3, v2
.LBB2_9164:
	s_or_b64 exec, exec, s[6:7]
	v_lshrrev_b32_e32 v3, 8, v4
	s_movk_i32 s4, 0x7f
	v_cmp_gt_i16_sdwa s[6:7], v3, s4 src0_sel:BYTE_0 src1_sel:DWORD
	s_mov_b64 s[4:5], 0
                                        ; implicit-def: $sgpr10
	s_and_saveexec_b64 s[8:9], s[6:7]
	s_xor_b64 s[6:7], exec, s[8:9]
	s_cbranch_execz .LBB2_9165
; %bb.45005:
	s_getpc_b64 s[14:15]
.Lpost_getpc26086:
	s_add_u32 s14, s14, (.LBB2_23501-.Lpost_getpc26086)&4294967295
	s_addc_u32 s15, s15, (.LBB2_23501-.Lpost_getpc26086)>>32
	s_setpc_b64 s[14:15]
.LBB2_9165:
	s_or_saveexec_b64 s[6:7], s[6:7]
	v_mov_b32_e32 v6, s10
	s_xor_b64 exec, exec, s[6:7]
	s_cbranch_execz .LBB2_9166
; %bb.45007:
	s_getpc_b64 s[14:15]
.Lpost_getpc26087:
	s_add_u32 s14, s14, (.LBB2_23504-.Lpost_getpc26087)&4294967295
	s_addc_u32 s15, s15, (.LBB2_23504-.Lpost_getpc26087)>>32
	s_setpc_b64 s[14:15]
.LBB2_9166:
	s_or_b64 exec, exec, s[6:7]
	s_and_saveexec_b64 s[6:7], s[4:5]
	s_cbranch_execz .LBB2_9168
.LBB2_9167:
	v_bfe_u32 v6, v4, 8, 3
	v_ffbh_u32_e32 v12, v6
	v_min_u32_e32 v12, 32, v12
	v_lshrrev_b16_e32 v7, 3, v3
	v_subrev_u32_e32 v13, 28, v12
	v_and_b32_e32 v7, 15, v7
	v_lshlrev_b32_e32 v3, v13, v3
	v_sub_u32_e32 v12, 29, v12
	v_and_b32_e32 v3, 7, v3
	v_cmp_eq_u16_e32 vcc, 0, v7
	v_cndmask_b32_e32 v3, v6, v3, vcc
	v_cndmask_b32_e32 v6, v7, v12, vcc
	v_lshlrev_b32_e32 v7, 16, v4
	v_mov_b32_e32 v12, 0x3b800000
	v_lshlrev_b32_e32 v3, 20, v3
	v_and_b32_e32 v7, 0x80000000, v7
	v_lshl_add_u32 v6, v6, 23, v12
	v_or3_b32 v6, v7, v6, v3
.LBB2_9168:
	s_or_b64 exec, exec, s[6:7]
	s_nop 0
	v_mfma_f32_16x16x4f32 a[0:3], v2, v6, a[0:3]
	s_movk_i32 s4, 0xff
	v_and_b32_sdwa v3, v8, s4 dst_sel:DWORD dst_unused:UNUSED_PAD src0_sel:WORD_1 src1_sel:DWORD
	s_movk_i32 s4, 0x7f
	v_cmp_lt_i16_e32 vcc, s4, v3
	s_mov_b64 s[4:5], 0
                                        ; implicit-def: $sgpr10
	s_and_saveexec_b64 s[6:7], vcc
	s_xor_b64 s[6:7], exec, s[6:7]
	s_cbranch_execz .LBB2_9169
; %bb.45009:
	s_getpc_b64 s[14:15]
.Lpost_getpc26088:
	s_add_u32 s14, s14, (.LBB2_23505-.Lpost_getpc26088)&4294967295
	s_addc_u32 s15, s15, (.LBB2_23505-.Lpost_getpc26088)>>32
	s_setpc_b64 s[14:15]
.LBB2_9169:
	s_or_saveexec_b64 s[6:7], s[6:7]
	v_mov_b32_e32 v2, s10
	s_xor_b64 exec, exec, s[6:7]
	s_cbranch_execz .LBB2_9170
; %bb.45011:
	s_getpc_b64 s[14:15]
.Lpost_getpc26089:
	s_add_u32 s14, s14, (.LBB2_23508-.Lpost_getpc26089)&4294967295
	s_addc_u32 s15, s15, (.LBB2_23508-.Lpost_getpc26089)>>32
	s_setpc_b64 s[14:15]
.LBB2_9170:
	s_or_b64 exec, exec, s[6:7]
	s_and_saveexec_b64 s[6:7], s[4:5]
	s_cbranch_execz .LBB2_9172
.LBB2_9171:
	v_bfe_u32 v2, v8, 16, 3
	v_ffbh_u32_e32 v7, v2
	v_min_u32_e32 v7, 32, v7
	v_lshrrev_b32_e32 v3, 19, v8
	v_subrev_u32_e32 v12, 28, v7
	v_and_b32_e32 v3, 15, v3
	v_lshlrev_b32_sdwa v12, v12, v8 dst_sel:DWORD dst_unused:UNUSED_PAD src0_sel:DWORD src1_sel:WORD_1
	v_bfe_u32 v6, v8, 19, 4
	v_sub_u32_e32 v7, 29, v7
	v_and_b32_e32 v12, 7, v12
	v_cmp_eq_u16_e32 vcc, 0, v3
	v_cndmask_b32_e32 v2, v2, v12, vcc
	v_cndmask_b32_e32 v3, v6, v7, vcc
	v_lshlrev_b32_e32 v6, 8, v8
	v_mov_b32_e32 v7, 0x3b800000
	v_lshlrev_b32_e32 v2, 20, v2
	v_and_b32_e32 v6, 0x80000000, v6
	v_lshl_add_u32 v3, v3, 23, v7
	v_or3_b32 v2, v6, v3, v2
.LBB2_9172:
	s_or_b64 exec, exec, s[6:7]
	s_movk_i32 s4, 0xff
	v_and_b32_sdwa v3, v4, s4 dst_sel:DWORD dst_unused:UNUSED_PAD src0_sel:WORD_1 src1_sel:DWORD
	s_movk_i32 s4, 0x7f
	v_cmp_lt_i16_e32 vcc, s4, v3
	s_mov_b64 s[4:5], 0
                                        ; implicit-def: $sgpr10
	s_and_saveexec_b64 s[6:7], vcc
	s_xor_b64 s[6:7], exec, s[6:7]
	s_cbranch_execz .LBB2_9173
; %bb.45013:
	s_getpc_b64 s[14:15]
.Lpost_getpc26090:
	s_add_u32 s14, s14, (.LBB2_23509-.Lpost_getpc26090)&4294967295
	s_addc_u32 s15, s15, (.LBB2_23509-.Lpost_getpc26090)>>32
	s_setpc_b64 s[14:15]
.LBB2_9173:
	s_or_saveexec_b64 s[6:7], s[6:7]
	v_mov_b32_e32 v6, s10
	s_xor_b64 exec, exec, s[6:7]
	s_cbranch_execz .LBB2_9174
; %bb.45015:
	s_getpc_b64 s[14:15]
.Lpost_getpc26091:
	s_add_u32 s14, s14, (.LBB2_23512-.Lpost_getpc26091)&4294967295
	s_addc_u32 s15, s15, (.LBB2_23512-.Lpost_getpc26091)>>32
	s_setpc_b64 s[14:15]
.LBB2_9174:
	s_or_b64 exec, exec, s[6:7]
	s_and_saveexec_b64 s[6:7], s[4:5]
	s_cbranch_execz .LBB2_9176
.LBB2_9175:
	v_bfe_u32 v3, v4, 16, 3
	v_ffbh_u32_e32 v12, v3
	v_min_u32_e32 v12, 32, v12
	v_lshrrev_b32_e32 v6, 19, v4
	v_subrev_u32_e32 v13, 28, v12
	v_and_b32_e32 v6, 15, v6
	v_lshlrev_b32_sdwa v13, v13, v4 dst_sel:DWORD dst_unused:UNUSED_PAD src0_sel:DWORD src1_sel:WORD_1
	v_bfe_u32 v7, v4, 19, 4
	v_sub_u32_e32 v12, 29, v12
	v_and_b32_e32 v13, 7, v13
	v_cmp_eq_u16_e32 vcc, 0, v6
	v_cndmask_b32_e32 v3, v3, v13, vcc
	v_cndmask_b32_e32 v6, v7, v12, vcc
	v_lshlrev_b32_e32 v7, 8, v4
	v_mov_b32_e32 v12, 0x3b800000
	v_lshlrev_b32_e32 v3, 20, v3
	v_and_b32_e32 v7, 0x80000000, v7
	v_lshl_add_u32 v6, v6, 23, v12
	v_or3_b32 v6, v7, v6, v3
.LBB2_9176:
	s_or_b64 exec, exec, s[6:7]
	s_nop 0
	v_mfma_f32_16x16x4f32 a[0:3], v2, v6, a[0:3]
	s_movk_i32 s4, 0x7f
	v_cmp_gt_i16_sdwa s[6:7], v8, s4 src0_sel:BYTE_3 src1_sel:DWORD
	s_mov_b64 s[4:5], 0
                                        ; implicit-def: $sgpr10
	s_and_saveexec_b64 s[8:9], s[6:7]
	s_xor_b64 s[6:7], exec, s[8:9]
	s_cbranch_execz .LBB2_9177
; %bb.45017:
	s_getpc_b64 s[14:15]
.Lpost_getpc26092:
	s_add_u32 s14, s14, (.LBB2_23513-.Lpost_getpc26092)&4294967295
	s_addc_u32 s15, s15, (.LBB2_23513-.Lpost_getpc26092)>>32
	s_setpc_b64 s[14:15]
.LBB2_9177:
	s_or_saveexec_b64 s[6:7], s[6:7]
	v_mov_b32_e32 v2, s10
	s_xor_b64 exec, exec, s[6:7]
	s_cbranch_execz .LBB2_9178
; %bb.45019:
	s_getpc_b64 s[14:15]
.Lpost_getpc26093:
	s_add_u32 s14, s14, (.LBB2_23516-.Lpost_getpc26093)&4294967295
	s_addc_u32 s15, s15, (.LBB2_23516-.Lpost_getpc26093)>>32
	s_setpc_b64 s[14:15]
.LBB2_9178:
	s_or_b64 exec, exec, s[6:7]
	s_and_saveexec_b64 s[6:7], s[4:5]
	s_cbranch_execz .LBB2_9180
.LBB2_9179:
	v_bfe_u32 v2, v8, 24, 3
	v_ffbh_u32_e32 v12, v2
	v_min_u32_e32 v12, 32, v12
	v_lshrrev_b32_e32 v6, 27, v8
	v_subrev_u32_e32 v13, 28, v12
	v_and_b32_e32 v3, 0x80000000, v8
	v_and_b32_e32 v6, 15, v6
	v_bfe_u32 v7, v8, 27, 4
	v_lshlrev_b32_sdwa v8, v13, v8 dst_sel:DWORD dst_unused:UNUSED_PAD src0_sel:DWORD src1_sel:BYTE_3
	v_sub_u32_e32 v12, 29, v12
	v_and_b32_e32 v8, 7, v8
	v_cmp_eq_u16_e32 vcc, 0, v6
	v_cndmask_b32_e32 v2, v2, v8, vcc
	v_cndmask_b32_e32 v6, v7, v12, vcc
	v_mov_b32_e32 v7, 0x3b800000
	v_lshlrev_b32_e32 v2, 20, v2
	v_lshl_add_u32 v6, v6, 23, v7
	v_or3_b32 v2, v3, v6, v2
.LBB2_9180:
	s_or_b64 exec, exec, s[6:7]
	s_movk_i32 s4, 0x7f
	v_cmp_gt_i16_sdwa s[6:7], v4, s4 src0_sel:BYTE_3 src1_sel:DWORD
	s_mov_b64 s[4:5], 0
                                        ; implicit-def: $sgpr10
	s_and_saveexec_b64 s[8:9], s[6:7]
	s_xor_b64 s[6:7], exec, s[8:9]
	s_cbranch_execz .LBB2_9181
; %bb.45021:
	s_getpc_b64 s[14:15]
.Lpost_getpc26094:
	s_add_u32 s14, s14, (.LBB2_23517-.Lpost_getpc26094)&4294967295
	s_addc_u32 s15, s15, (.LBB2_23517-.Lpost_getpc26094)>>32
	s_setpc_b64 s[14:15]
.LBB2_9181:
	s_or_saveexec_b64 s[6:7], s[6:7]
	v_mov_b32_e32 v3, s10
	s_xor_b64 exec, exec, s[6:7]
	s_cbranch_execz .LBB2_9182
; %bb.45023:
	s_getpc_b64 s[14:15]
.Lpost_getpc26095:
	s_add_u32 s14, s14, (.LBB2_23520-.Lpost_getpc26095)&4294967295
	s_addc_u32 s15, s15, (.LBB2_23520-.Lpost_getpc26095)>>32
	s_setpc_b64 s[14:15]
.LBB2_9182:
	s_or_b64 exec, exec, s[6:7]
	s_and_saveexec_b64 s[6:7], s[4:5]
	s_cbranch_execz .LBB2_9184
.LBB2_9183:
	v_bfe_u32 v3, v4, 24, 3
	v_ffbh_u32_e32 v12, v3
	v_min_u32_e32 v12, 32, v12
	v_lshrrev_b32_e32 v7, 27, v4
	v_subrev_u32_e32 v13, 28, v12
	v_and_b32_e32 v6, 0x80000000, v4
	v_and_b32_e32 v7, 15, v7
	v_bfe_u32 v8, v4, 27, 4
	v_lshlrev_b32_sdwa v4, v13, v4 dst_sel:DWORD dst_unused:UNUSED_PAD src0_sel:DWORD src1_sel:BYTE_3
	v_sub_u32_e32 v12, 29, v12
	v_and_b32_e32 v4, 7, v4
	v_cmp_eq_u16_e32 vcc, 0, v7
	v_cndmask_b32_e32 v3, v3, v4, vcc
	v_cndmask_b32_e32 v4, v8, v12, vcc
	v_mov_b32_e32 v7, 0x3b800000
	v_lshlrev_b32_e32 v3, 20, v3
	v_lshl_add_u32 v4, v4, 23, v7
	v_or3_b32 v3, v6, v4, v3
.LBB2_9184:
	s_or_b64 exec, exec, s[6:7]
	s_nop 0
	v_mfma_f32_16x16x4f32 a[0:3], v2, v3, a[0:3]
	s_movk_i32 s4, 0x7f
	v_cmp_gt_i16_sdwa s[6:7], v9, s4 src0_sel:BYTE_0 src1_sel:DWORD
	s_mov_b64 s[4:5], 0
                                        ; implicit-def: $sgpr10
	s_and_saveexec_b64 s[8:9], s[6:7]
	s_xor_b64 s[6:7], exec, s[8:9]
	s_cbranch_execz .LBB2_9185
; %bb.45025:
	s_getpc_b64 s[14:15]
.Lpost_getpc26096:
	s_add_u32 s14, s14, (.LBB2_23521-.Lpost_getpc26096)&4294967295
	s_addc_u32 s15, s15, (.LBB2_23521-.Lpost_getpc26096)>>32
	s_setpc_b64 s[14:15]
.LBB2_9185:
	s_or_saveexec_b64 s[6:7], s[6:7]
	v_mov_b32_e32 v2, s10
	s_xor_b64 exec, exec, s[6:7]
	s_cbranch_execz .LBB2_9186
; %bb.45027:
	s_getpc_b64 s[14:15]
.Lpost_getpc26097:
	s_add_u32 s14, s14, (.LBB2_23524-.Lpost_getpc26097)&4294967295
	s_addc_u32 s15, s15, (.LBB2_23524-.Lpost_getpc26097)>>32
	s_setpc_b64 s[14:15]
.LBB2_9186:
	s_or_b64 exec, exec, s[6:7]
	s_and_saveexec_b64 s[6:7], s[4:5]
	s_cbranch_execz .LBB2_9188
.LBB2_9187:
	v_mov_b32_e32 v2, 8
	v_and_b32_e32 v3, 7, v9
	v_lshrrev_b32_sdwa v2, v2, v9 dst_sel:BYTE_1 dst_unused:UNUSED_PAD src0_sel:DWORD src1_sel:DWORD
	v_ffbh_u32_e32 v4, v3
	v_or_b32_sdwa v2, v9, v2 dst_sel:DWORD dst_unused:UNUSED_PAD src0_sel:BYTE_0 src1_sel:DWORD
	v_min_u32_e32 v4, 32, v4
	v_lshrrev_b16_e32 v2, 3, v2
	v_subrev_u32_e32 v6, 28, v4
	v_and_b32_e32 v2, 15, v2
	v_lshlrev_b32_e32 v6, v6, v9
	v_sub_u32_e32 v4, 29, v4
	v_and_b32_e32 v6, 7, v6
	v_cmp_eq_u16_e32 vcc, 0, v2
	v_cndmask_b32_e32 v3, v3, v6, vcc
	v_cndmask_b32_e32 v2, v2, v4, vcc
	v_lshlrev_b32_e32 v4, 24, v9
	v_mov_b32_e32 v6, 0x3b800000
	v_lshlrev_b32_e32 v3, 20, v3
	v_and_b32_e32 v4, 0x80000000, v4
	v_lshl_add_u32 v2, v2, 23, v6
	v_or3_b32 v2, v4, v2, v3
.LBB2_9188:
	s_or_b64 exec, exec, s[6:7]
	s_movk_i32 s4, 0x7f
	v_cmp_gt_i16_sdwa s[6:7], v5, s4 src0_sel:BYTE_0 src1_sel:DWORD
	s_mov_b64 s[4:5], 0
                                        ; implicit-def: $sgpr10
	s_and_saveexec_b64 s[8:9], s[6:7]
	s_xor_b64 s[6:7], exec, s[8:9]
	s_cbranch_execz .LBB2_9189
; %bb.45029:
	s_getpc_b64 s[14:15]
.Lpost_getpc26098:
	s_add_u32 s14, s14, (.LBB2_23525-.Lpost_getpc26098)&4294967295
	s_addc_u32 s15, s15, (.LBB2_23525-.Lpost_getpc26098)>>32
	s_setpc_b64 s[14:15]
.LBB2_9189:
	s_or_saveexec_b64 s[6:7], s[6:7]
	v_mov_b32_e32 v3, s10
	s_xor_b64 exec, exec, s[6:7]
	s_cbranch_execz .LBB2_9190
; %bb.45031:
	s_getpc_b64 s[14:15]
.Lpost_getpc26099:
	s_add_u32 s14, s14, (.LBB2_23528-.Lpost_getpc26099)&4294967295
	s_addc_u32 s15, s15, (.LBB2_23528-.Lpost_getpc26099)>>32
	s_setpc_b64 s[14:15]
.LBB2_9190:
	s_or_b64 exec, exec, s[6:7]
	s_and_saveexec_b64 s[6:7], s[4:5]
	s_cbranch_execz .LBB2_9192
.LBB2_9191:
	v_mov_b32_e32 v3, 8
	v_and_b32_e32 v4, 7, v5
	v_lshrrev_b32_sdwa v3, v3, v5 dst_sel:BYTE_1 dst_unused:UNUSED_PAD src0_sel:DWORD src1_sel:DWORD
	v_ffbh_u32_e32 v6, v4
	v_or_b32_sdwa v3, v5, v3 dst_sel:DWORD dst_unused:UNUSED_PAD src0_sel:BYTE_0 src1_sel:DWORD
	v_min_u32_e32 v6, 32, v6
	v_lshrrev_b16_e32 v3, 3, v3
	v_subrev_u32_e32 v7, 28, v6
	v_and_b32_e32 v3, 15, v3
	v_lshlrev_b32_e32 v7, v7, v5
	v_sub_u32_e32 v6, 29, v6
	v_and_b32_e32 v7, 7, v7
	v_cmp_eq_u16_e32 vcc, 0, v3
	v_cndmask_b32_e32 v4, v4, v7, vcc
	v_cndmask_b32_e32 v3, v3, v6, vcc
	v_lshlrev_b32_e32 v6, 24, v5
	v_mov_b32_e32 v7, 0x3b800000
	v_lshlrev_b32_e32 v4, 20, v4
	v_and_b32_e32 v6, 0x80000000, v6
	v_lshl_add_u32 v3, v3, 23, v7
	v_or3_b32 v3, v6, v3, v4
.LBB2_9192:
	s_or_b64 exec, exec, s[6:7]
	s_nop 0
	v_mfma_f32_16x16x4f32 a[0:3], v2, v3, a[0:3]
	v_lshrrev_b32_e32 v3, 8, v9
	s_movk_i32 s4, 0x7f
	v_cmp_gt_i16_sdwa s[6:7], v3, s4 src0_sel:BYTE_0 src1_sel:DWORD
	s_mov_b64 s[4:5], 0
                                        ; implicit-def: $sgpr10
	s_and_saveexec_b64 s[8:9], s[6:7]
	s_xor_b64 s[6:7], exec, s[8:9]
	s_cbranch_execz .LBB2_9193
; %bb.45033:
	s_getpc_b64 s[14:15]
.Lpost_getpc26100:
	s_add_u32 s14, s14, (.LBB2_23529-.Lpost_getpc26100)&4294967295
	s_addc_u32 s15, s15, (.LBB2_23529-.Lpost_getpc26100)>>32
	s_setpc_b64 s[14:15]
.LBB2_9193:
	s_or_saveexec_b64 s[6:7], s[6:7]
	v_mov_b32_e32 v2, s10
	s_xor_b64 exec, exec, s[6:7]
	s_cbranch_execz .LBB2_9194
; %bb.45035:
	s_getpc_b64 s[14:15]
.Lpost_getpc26101:
	s_add_u32 s14, s14, (.LBB2_23532-.Lpost_getpc26101)&4294967295
	s_addc_u32 s15, s15, (.LBB2_23532-.Lpost_getpc26101)>>32
	s_setpc_b64 s[14:15]
.LBB2_9194:
	s_or_b64 exec, exec, s[6:7]
	s_and_saveexec_b64 s[6:7], s[4:5]
	s_cbranch_execz .LBB2_9196
.LBB2_9195:
	v_bfe_u32 v2, v9, 8, 3
	v_ffbh_u32_e32 v6, v2
	v_min_u32_e32 v6, 32, v6
	v_lshrrev_b16_e32 v4, 3, v3
	v_subrev_u32_e32 v7, 28, v6
	v_and_b32_e32 v4, 15, v4
	v_lshlrev_b32_e32 v3, v7, v3
	v_sub_u32_e32 v6, 29, v6
	v_and_b32_e32 v3, 7, v3
	v_cmp_eq_u16_e32 vcc, 0, v4
	v_cndmask_b32_e32 v2, v2, v3, vcc
	v_cndmask_b32_e32 v3, v4, v6, vcc
	v_lshlrev_b32_e32 v4, 16, v9
	v_mov_b32_e32 v6, 0x3b800000
	v_lshlrev_b32_e32 v2, 20, v2
	v_and_b32_e32 v4, 0x80000000, v4
	v_lshl_add_u32 v3, v3, 23, v6
	v_or3_b32 v2, v4, v3, v2
.LBB2_9196:
	s_or_b64 exec, exec, s[6:7]
	v_lshrrev_b32_e32 v3, 8, v5
	s_movk_i32 s4, 0x7f
	v_cmp_gt_i16_sdwa s[6:7], v3, s4 src0_sel:BYTE_0 src1_sel:DWORD
	s_mov_b64 s[4:5], 0
                                        ; implicit-def: $sgpr10
	s_and_saveexec_b64 s[8:9], s[6:7]
	s_xor_b64 s[6:7], exec, s[8:9]
	s_cbranch_execz .LBB2_9197
; %bb.45037:
	s_getpc_b64 s[14:15]
.Lpost_getpc26102:
	s_add_u32 s14, s14, (.LBB2_23533-.Lpost_getpc26102)&4294967295
	s_addc_u32 s15, s15, (.LBB2_23533-.Lpost_getpc26102)>>32
	s_setpc_b64 s[14:15]
.LBB2_9197:
	s_or_saveexec_b64 s[6:7], s[6:7]
	v_mov_b32_e32 v4, s10
	s_xor_b64 exec, exec, s[6:7]
	s_cbranch_execz .LBB2_9198
; %bb.45039:
	s_getpc_b64 s[14:15]
.Lpost_getpc26103:
	s_add_u32 s14, s14, (.LBB2_23536-.Lpost_getpc26103)&4294967295
	s_addc_u32 s15, s15, (.LBB2_23536-.Lpost_getpc26103)>>32
	s_setpc_b64 s[14:15]
.LBB2_9198:
	s_or_b64 exec, exec, s[6:7]
	s_and_saveexec_b64 s[6:7], s[4:5]
	s_cbranch_execz .LBB2_9200
.LBB2_9199:
	v_bfe_u32 v4, v5, 8, 3
	v_ffbh_u32_e32 v7, v4
	v_min_u32_e32 v7, 32, v7
	v_lshrrev_b16_e32 v6, 3, v3
	v_subrev_u32_e32 v8, 28, v7
	v_and_b32_e32 v6, 15, v6
	v_lshlrev_b32_e32 v3, v8, v3
	v_sub_u32_e32 v7, 29, v7
	v_and_b32_e32 v3, 7, v3
	v_cmp_eq_u16_e32 vcc, 0, v6
	v_cndmask_b32_e32 v3, v4, v3, vcc
	v_cndmask_b32_e32 v4, v6, v7, vcc
	v_lshlrev_b32_e32 v6, 16, v5
	v_mov_b32_e32 v7, 0x3b800000
	v_lshlrev_b32_e32 v3, 20, v3
	v_and_b32_e32 v6, 0x80000000, v6
	v_lshl_add_u32 v4, v4, 23, v7
	v_or3_b32 v4, v6, v4, v3
.LBB2_9200:
	s_or_b64 exec, exec, s[6:7]
	s_nop 0
	v_mfma_f32_16x16x4f32 a[0:3], v2, v4, a[0:3]
	s_movk_i32 s4, 0xff
	v_and_b32_sdwa v3, v9, s4 dst_sel:DWORD dst_unused:UNUSED_PAD src0_sel:WORD_1 src1_sel:DWORD
	s_movk_i32 s4, 0x7f
	v_cmp_lt_i16_e32 vcc, s4, v3
	s_mov_b64 s[4:5], 0
                                        ; implicit-def: $sgpr10
	s_and_saveexec_b64 s[6:7], vcc
	s_xor_b64 s[6:7], exec, s[6:7]
	s_cbranch_execz .LBB2_9201
; %bb.45041:
	s_getpc_b64 s[14:15]
.Lpost_getpc26104:
	s_add_u32 s14, s14, (.LBB2_23537-.Lpost_getpc26104)&4294967295
	s_addc_u32 s15, s15, (.LBB2_23537-.Lpost_getpc26104)>>32
	s_setpc_b64 s[14:15]
.LBB2_9201:
	s_or_saveexec_b64 s[6:7], s[6:7]
	v_mov_b32_e32 v2, s10
	s_xor_b64 exec, exec, s[6:7]
	s_cbranch_execz .LBB2_9202
; %bb.45043:
	s_getpc_b64 s[14:15]
.Lpost_getpc26105:
	s_add_u32 s14, s14, (.LBB2_23540-.Lpost_getpc26105)&4294967295
	s_addc_u32 s15, s15, (.LBB2_23540-.Lpost_getpc26105)>>32
	s_setpc_b64 s[14:15]
.LBB2_9202:
	s_or_b64 exec, exec, s[6:7]
	s_and_saveexec_b64 s[6:7], s[4:5]
	s_cbranch_execz .LBB2_9204
.LBB2_9203:
	v_bfe_u32 v2, v9, 16, 3
	v_ffbh_u32_e32 v6, v2
	v_min_u32_e32 v6, 32, v6
	v_lshrrev_b32_e32 v3, 19, v9
	v_subrev_u32_e32 v7, 28, v6
	v_and_b32_e32 v3, 15, v3
	v_lshlrev_b32_sdwa v7, v7, v9 dst_sel:DWORD dst_unused:UNUSED_PAD src0_sel:DWORD src1_sel:WORD_1
	v_bfe_u32 v4, v9, 19, 4
	v_sub_u32_e32 v6, 29, v6
	v_and_b32_e32 v7, 7, v7
	v_cmp_eq_u16_e32 vcc, 0, v3
	v_cndmask_b32_e32 v2, v2, v7, vcc
	v_cndmask_b32_e32 v3, v4, v6, vcc
	v_lshlrev_b32_e32 v4, 8, v9
	v_mov_b32_e32 v6, 0x3b800000
	v_lshlrev_b32_e32 v2, 20, v2
	v_and_b32_e32 v4, 0x80000000, v4
	v_lshl_add_u32 v3, v3, 23, v6
	v_or3_b32 v2, v4, v3, v2
.LBB2_9204:
	s_or_b64 exec, exec, s[6:7]
	s_movk_i32 s4, 0xff
	v_and_b32_sdwa v3, v5, s4 dst_sel:DWORD dst_unused:UNUSED_PAD src0_sel:WORD_1 src1_sel:DWORD
	s_movk_i32 s4, 0x7f
	v_cmp_lt_i16_e32 vcc, s4, v3
	s_mov_b64 s[4:5], 0
                                        ; implicit-def: $sgpr10
	s_and_saveexec_b64 s[6:7], vcc
	s_xor_b64 s[6:7], exec, s[6:7]
	s_cbranch_execz .LBB2_9205
; %bb.45045:
	s_getpc_b64 s[14:15]
.Lpost_getpc26106:
	s_add_u32 s14, s14, (.LBB2_23541-.Lpost_getpc26106)&4294967295
	s_addc_u32 s15, s15, (.LBB2_23541-.Lpost_getpc26106)>>32
	s_setpc_b64 s[14:15]
.LBB2_9205:
	s_or_saveexec_b64 s[6:7], s[6:7]
	v_mov_b32_e32 v4, s10
	s_xor_b64 exec, exec, s[6:7]
	s_cbranch_execz .LBB2_9206
; %bb.45047:
	s_getpc_b64 s[14:15]
.Lpost_getpc26107:
	s_add_u32 s14, s14, (.LBB2_23544-.Lpost_getpc26107)&4294967295
	s_addc_u32 s15, s15, (.LBB2_23544-.Lpost_getpc26107)>>32
	s_setpc_b64 s[14:15]
.LBB2_9206:
	s_or_b64 exec, exec, s[6:7]
	s_and_saveexec_b64 s[6:7], s[4:5]
	s_cbranch_execz .LBB2_9208
.LBB2_9207:
	v_bfe_u32 v3, v5, 16, 3
	v_ffbh_u32_e32 v7, v3
	v_min_u32_e32 v7, 32, v7
	v_lshrrev_b32_e32 v4, 19, v5
	v_subrev_u32_e32 v8, 28, v7
	v_and_b32_e32 v4, 15, v4
	v_lshlrev_b32_sdwa v8, v8, v5 dst_sel:DWORD dst_unused:UNUSED_PAD src0_sel:DWORD src1_sel:WORD_1
	v_bfe_u32 v6, v5, 19, 4
	v_sub_u32_e32 v7, 29, v7
	v_and_b32_e32 v8, 7, v8
	v_cmp_eq_u16_e32 vcc, 0, v4
	v_cndmask_b32_e32 v3, v3, v8, vcc
	v_cndmask_b32_e32 v4, v6, v7, vcc
	v_lshlrev_b32_e32 v6, 8, v5
	v_mov_b32_e32 v7, 0x3b800000
	v_lshlrev_b32_e32 v3, 20, v3
	v_and_b32_e32 v6, 0x80000000, v6
	v_lshl_add_u32 v4, v4, 23, v7
	v_or3_b32 v4, v6, v4, v3
.LBB2_9208:
	s_or_b64 exec, exec, s[6:7]
	s_nop 0
	v_mfma_f32_16x16x4f32 a[0:3], v2, v4, a[0:3]
	s_movk_i32 s4, 0x7f
	v_cmp_gt_i16_sdwa s[6:7], v9, s4 src0_sel:BYTE_3 src1_sel:DWORD
	s_mov_b64 s[4:5], 0
                                        ; implicit-def: $sgpr10
	s_and_saveexec_b64 s[8:9], s[6:7]
	s_xor_b64 s[6:7], exec, s[8:9]
	s_cbranch_execz .LBB2_9209
; %bb.45049:
	s_getpc_b64 s[14:15]
.Lpost_getpc26108:
	s_add_u32 s14, s14, (.LBB2_23545-.Lpost_getpc26108)&4294967295
	s_addc_u32 s15, s15, (.LBB2_23545-.Lpost_getpc26108)>>32
	s_setpc_b64 s[14:15]
.LBB2_9209:
	s_or_saveexec_b64 s[6:7], s[6:7]
	v_mov_b32_e32 v2, s10
	s_xor_b64 exec, exec, s[6:7]
	s_cbranch_execz .LBB2_9210
; %bb.45051:
	s_getpc_b64 s[14:15]
.Lpost_getpc26109:
	s_add_u32 s14, s14, (.LBB2_23548-.Lpost_getpc26109)&4294967295
	s_addc_u32 s15, s15, (.LBB2_23548-.Lpost_getpc26109)>>32
	s_setpc_b64 s[14:15]
.LBB2_9210:
	s_or_b64 exec, exec, s[6:7]
	s_and_saveexec_b64 s[6:7], s[4:5]
	s_cbranch_execz .LBB2_9212
.LBB2_9211:
	v_bfe_u32 v2, v9, 24, 3
	v_ffbh_u32_e32 v7, v2
	v_min_u32_e32 v7, 32, v7
	v_lshrrev_b32_e32 v4, 27, v9
	v_subrev_u32_e32 v8, 28, v7
	v_and_b32_e32 v4, 15, v4
	v_lshlrev_b32_sdwa v8, v8, v9 dst_sel:DWORD dst_unused:UNUSED_PAD src0_sel:DWORD src1_sel:BYTE_3
	v_bfe_u32 v6, v9, 27, 4
	v_sub_u32_e32 v7, 29, v7
	v_and_b32_e32 v8, 7, v8
	v_cmp_eq_u16_e32 vcc, 0, v4
	v_cndmask_b32_e32 v2, v2, v8, vcc
	v_cndmask_b32_e32 v4, v6, v7, vcc
	v_mov_b32_e32 v6, 0x3b800000
	v_and_b32_e32 v3, 0x80000000, v9
	v_lshlrev_b32_e32 v2, 20, v2
	v_lshl_add_u32 v4, v4, 23, v6
	v_or3_b32 v2, v3, v4, v2
.LBB2_9212:
	s_or_b64 exec, exec, s[6:7]
	s_movk_i32 s4, 0x7f
	v_cmp_gt_i16_sdwa s[6:7], v5, s4 src0_sel:BYTE_3 src1_sel:DWORD
	s_mov_b64 s[4:5], 0
                                        ; implicit-def: $sgpr10
	s_and_saveexec_b64 s[8:9], s[6:7]
	s_xor_b64 s[6:7], exec, s[8:9]
	s_cbranch_execz .LBB2_9213
; %bb.45053:
	s_getpc_b64 s[14:15]
.Lpost_getpc26110:
	s_add_u32 s14, s14, (.LBB2_23549-.Lpost_getpc26110)&4294967295
	s_addc_u32 s15, s15, (.LBB2_23549-.Lpost_getpc26110)>>32
	s_setpc_b64 s[14:15]
.LBB2_9213:
	s_or_saveexec_b64 s[6:7], s[6:7]
	v_mov_b32_e32 v3, s10
	s_xor_b64 exec, exec, s[6:7]
	s_cbranch_execz .LBB2_9214
; %bb.45055:
	s_getpc_b64 s[14:15]
.Lpost_getpc26111:
	s_add_u32 s14, s14, (.LBB2_23552-.Lpost_getpc26111)&4294967295
	s_addc_u32 s15, s15, (.LBB2_23552-.Lpost_getpc26111)>>32
	s_setpc_b64 s[14:15]
.LBB2_9214:
	s_or_b64 exec, exec, s[6:7]
	s_and_saveexec_b64 s[6:7], s[4:5]
	s_cbranch_execz .LBB2_9216
.LBB2_9215:
	v_bfe_u32 v3, v5, 24, 3
	v_ffbh_u32_e32 v8, v3
	v_min_u32_e32 v8, 32, v8
	v_lshrrev_b32_e32 v6, 27, v5
	v_subrev_u32_e32 v9, 28, v8
	v_and_b32_e32 v4, 0x80000000, v5
	v_and_b32_e32 v6, 15, v6
	v_bfe_u32 v7, v5, 27, 4
	v_lshlrev_b32_sdwa v5, v9, v5 dst_sel:DWORD dst_unused:UNUSED_PAD src0_sel:DWORD src1_sel:BYTE_3
	v_sub_u32_e32 v8, 29, v8
	v_and_b32_e32 v5, 7, v5
	v_cmp_eq_u16_e32 vcc, 0, v6
	v_cndmask_b32_e32 v3, v3, v5, vcc
	v_cndmask_b32_e32 v5, v7, v8, vcc
	v_mov_b32_e32 v6, 0x3b800000
	v_lshlrev_b32_e32 v3, 20, v3
	v_lshl_add_u32 v5, v5, 23, v6
	v_or3_b32 v3, v4, v5, v3
.LBB2_9216:
	s_or_b64 exec, exec, s[6:7]
	s_nop 0
	v_mfma_f32_16x16x4f32 a[0:3], v2, v3, a[0:3]
	s_movk_i32 s4, 0x7f
                                        ; implicit-def: $sgpr10
	s_nop 7
	s_nop 1
	flat_store_dwordx4 v[10:11], a[0:3] offset:240
	flat_load_dwordx4 v[12:15], v[0:1]
	s_nop 0
	flat_load_dwordx2 v[10:11], v[0:1] offset:16
	s_waitcnt vmcnt(0) lgkmcnt(0)
	flat_load_dwordx4 v[6:9], v[12:13] offset:144
	flat_load_dwordx4 v[2:5], v[14:15] offset:128
	s_waitcnt vmcnt(0) lgkmcnt(0)
	v_cmp_gt_i16_sdwa s[6:7], v6, s4 src0_sel:BYTE_0 src1_sel:DWORD
	s_mov_b64 s[4:5], 0
	s_and_saveexec_b64 s[8:9], s[6:7]
	s_xor_b64 s[6:7], exec, s[8:9]
	s_cbranch_execz .LBB2_9217
; %bb.45057:
	s_getpc_b64 s[14:15]
.Lpost_getpc26112:
	s_add_u32 s14, s14, (.LBB2_23553-.Lpost_getpc26112)&4294967295
	s_addc_u32 s15, s15, (.LBB2_23553-.Lpost_getpc26112)>>32
	s_setpc_b64 s[14:15]
.LBB2_9217:
	s_or_saveexec_b64 s[6:7], s[6:7]
	v_mov_b32_e32 v12, s10
	s_xor_b64 exec, exec, s[6:7]
	s_cbranch_execz .LBB2_9218
; %bb.45059:
	s_getpc_b64 s[14:15]
.Lpost_getpc26113:
	s_add_u32 s14, s14, (.LBB2_23556-.Lpost_getpc26113)&4294967295
	s_addc_u32 s15, s15, (.LBB2_23556-.Lpost_getpc26113)>>32
	s_setpc_b64 s[14:15]
.LBB2_9218:
	s_or_b64 exec, exec, s[6:7]
	s_and_saveexec_b64 s[6:7], s[4:5]
	s_cbranch_execz .LBB2_9220
.LBB2_9219:
	v_and_b32_e32 v12, 7, v6
	v_ffbh_u32_e32 v14, v12
	v_min_u32_e32 v14, 32, v14
	v_lshrrev_b16_e32 v13, 3, v6
	v_subrev_u32_e32 v15, 28, v14
	v_and_b32_e32 v13, 15, v13
	v_lshlrev_b32_e32 v15, v15, v6
	v_sub_u32_e32 v14, 29, v14
	v_and_b32_e32 v15, 7, v15
	v_cmp_eq_u16_e32 vcc, 0, v13
	v_cndmask_b32_e32 v12, v12, v15, vcc
	v_cndmask_b32_e32 v13, v13, v14, vcc
	v_lshlrev_b32_e32 v14, 24, v6
	v_mov_b32_e32 v15, 0x3b800000
	v_lshlrev_b32_e32 v12, 20, v12
	v_and_b32_e32 v14, 0x80000000, v14
	v_lshl_add_u32 v13, v13, 23, v15
	v_or3_b32 v12, v14, v13, v12
.LBB2_9220:
	s_or_b64 exec, exec, s[6:7]
	s_movk_i32 s4, 0x7f
	v_cmp_gt_i16_sdwa s[6:7], v2, s4 src0_sel:BYTE_0 src1_sel:DWORD
	s_mov_b64 s[4:5], 0
                                        ; implicit-def: $sgpr10
	s_and_saveexec_b64 s[8:9], s[6:7]
	s_xor_b64 s[6:7], exec, s[8:9]
	s_cbranch_execz .LBB2_9221
; %bb.45061:
	s_getpc_b64 s[14:15]
.Lpost_getpc26114:
	s_add_u32 s14, s14, (.LBB2_23557-.Lpost_getpc26114)&4294967295
	s_addc_u32 s15, s15, (.LBB2_23557-.Lpost_getpc26114)>>32
	s_setpc_b64 s[14:15]
.LBB2_9221:
	s_or_saveexec_b64 s[6:7], s[6:7]
	v_mov_b32_e32 v13, s10
	s_xor_b64 exec, exec, s[6:7]
	s_cbranch_execz .LBB2_9222
; %bb.45063:
	s_getpc_b64 s[14:15]
.Lpost_getpc26115:
	s_add_u32 s14, s14, (.LBB2_23560-.Lpost_getpc26115)&4294967295
	s_addc_u32 s15, s15, (.LBB2_23560-.Lpost_getpc26115)>>32
	s_setpc_b64 s[14:15]
.LBB2_9222:
	s_or_b64 exec, exec, s[6:7]
	s_and_saveexec_b64 s[6:7], s[4:5]
	s_cbranch_execz .LBB2_9224
.LBB2_9223:
	v_and_b32_e32 v13, 7, v2
	v_ffbh_u32_e32 v15, v13
	v_min_u32_e32 v15, 32, v15
	v_lshrrev_b16_e32 v14, 3, v2
	v_subrev_u32_e32 v16, 28, v15
	v_and_b32_e32 v14, 15, v14
	v_lshlrev_b32_e32 v16, v16, v2
	v_sub_u32_e32 v15, 29, v15
	v_and_b32_e32 v16, 7, v16
	v_cmp_eq_u16_e32 vcc, 0, v14
	v_cndmask_b32_e32 v13, v13, v16, vcc
	v_cndmask_b32_e32 v14, v14, v15, vcc
	v_lshlrev_b32_e32 v15, 24, v2
	v_mov_b32_e32 v16, 0x3b800000
	v_lshlrev_b32_e32 v13, 20, v13
	v_and_b32_e32 v15, 0x80000000, v15
	v_lshl_add_u32 v14, v14, 23, v16
	v_or3_b32 v13, v15, v14, v13
.LBB2_9224:
	s_or_b64 exec, exec, s[6:7]
	flat_load_dwordx4 a[0:3], v[10:11] offset:256
	s_movk_i32 s4, 0x7f
                                        ; implicit-def: $sgpr10
	s_waitcnt vmcnt(0) lgkmcnt(0)
	v_mfma_f32_16x16x4f32 a[0:3], v12, v13, a[0:3]
	v_lshrrev_b32_e32 v13, 8, v6
	v_cmp_gt_i16_sdwa s[6:7], v13, s4 src0_sel:BYTE_0 src1_sel:DWORD
	s_mov_b64 s[4:5], 0
	s_and_saveexec_b64 s[8:9], s[6:7]
	s_xor_b64 s[6:7], exec, s[8:9]
	s_cbranch_execz .LBB2_9225
; %bb.45065:
	s_getpc_b64 s[14:15]
.Lpost_getpc26116:
	s_add_u32 s14, s14, (.LBB2_23561-.Lpost_getpc26116)&4294967295
	s_addc_u32 s15, s15, (.LBB2_23561-.Lpost_getpc26116)>>32
	s_setpc_b64 s[14:15]
.LBB2_9225:
	s_or_saveexec_b64 s[6:7], s[6:7]
	v_mov_b32_e32 v12, s10
	s_xor_b64 exec, exec, s[6:7]
	s_cbranch_execz .LBB2_9226
; %bb.45067:
	s_getpc_b64 s[14:15]
.Lpost_getpc26117:
	s_add_u32 s14, s14, (.LBB2_23564-.Lpost_getpc26117)&4294967295
	s_addc_u32 s15, s15, (.LBB2_23564-.Lpost_getpc26117)>>32
	s_setpc_b64 s[14:15]
.LBB2_9226:
	s_or_b64 exec, exec, s[6:7]
	s_and_saveexec_b64 s[6:7], s[4:5]
	s_cbranch_execz .LBB2_9228
.LBB2_9227:
	v_bfe_u32 v12, v6, 8, 3
	v_ffbh_u32_e32 v15, v12
	v_min_u32_e32 v15, 32, v15
	v_lshrrev_b16_e32 v14, 3, v13
	v_subrev_u32_e32 v16, 28, v15
	v_and_b32_e32 v14, 15, v14
	v_lshlrev_b32_e32 v13, v16, v13
	v_sub_u32_e32 v15, 29, v15
	v_and_b32_e32 v13, 7, v13
	v_cmp_eq_u16_e32 vcc, 0, v14
	v_cndmask_b32_e32 v12, v12, v13, vcc
	v_cndmask_b32_e32 v13, v14, v15, vcc
	v_lshlrev_b32_e32 v14, 16, v6
	v_mov_b32_e32 v15, 0x3b800000
	v_lshlrev_b32_e32 v12, 20, v12
	v_and_b32_e32 v14, 0x80000000, v14
	v_lshl_add_u32 v13, v13, 23, v15
	v_or3_b32 v12, v14, v13, v12
.LBB2_9228:
	s_or_b64 exec, exec, s[6:7]
	v_lshrrev_b32_e32 v13, 8, v2
	s_movk_i32 s4, 0x7f
	v_cmp_gt_i16_sdwa s[6:7], v13, s4 src0_sel:BYTE_0 src1_sel:DWORD
	s_mov_b64 s[4:5], 0
                                        ; implicit-def: $sgpr10
	s_and_saveexec_b64 s[8:9], s[6:7]
	s_xor_b64 s[6:7], exec, s[8:9]
	s_cbranch_execz .LBB2_9229
; %bb.45069:
	s_getpc_b64 s[14:15]
.Lpost_getpc26118:
	s_add_u32 s14, s14, (.LBB2_23565-.Lpost_getpc26118)&4294967295
	s_addc_u32 s15, s15, (.LBB2_23565-.Lpost_getpc26118)>>32
	s_setpc_b64 s[14:15]
.LBB2_9229:
	s_or_saveexec_b64 s[6:7], s[6:7]
	v_mov_b32_e32 v14, s10
	s_xor_b64 exec, exec, s[6:7]
	s_cbranch_execz .LBB2_9230
; %bb.45071:
	s_getpc_b64 s[14:15]
.Lpost_getpc26119:
	s_add_u32 s14, s14, (.LBB2_23568-.Lpost_getpc26119)&4294967295
	s_addc_u32 s15, s15, (.LBB2_23568-.Lpost_getpc26119)>>32
	s_setpc_b64 s[14:15]
.LBB2_9230:
	s_or_b64 exec, exec, s[6:7]
	s_and_saveexec_b64 s[6:7], s[4:5]
	s_cbranch_execz .LBB2_9232
.LBB2_9231:
	v_bfe_u32 v14, v2, 8, 3
	v_ffbh_u32_e32 v16, v14
	v_min_u32_e32 v16, 32, v16
	v_lshrrev_b16_e32 v15, 3, v13
	v_subrev_u32_e32 v17, 28, v16
	v_and_b32_e32 v15, 15, v15
	v_lshlrev_b32_e32 v13, v17, v13
	v_sub_u32_e32 v16, 29, v16
	v_and_b32_e32 v13, 7, v13
	v_cmp_eq_u16_e32 vcc, 0, v15
	v_cndmask_b32_e32 v13, v14, v13, vcc
	v_cndmask_b32_e32 v14, v15, v16, vcc
	v_lshlrev_b32_e32 v15, 16, v2
	v_mov_b32_e32 v16, 0x3b800000
	v_lshlrev_b32_e32 v13, 20, v13
	v_and_b32_e32 v15, 0x80000000, v15
	v_lshl_add_u32 v14, v14, 23, v16
	v_or3_b32 v14, v15, v14, v13
.LBB2_9232:
	s_or_b64 exec, exec, s[6:7]
	s_nop 0
	v_mfma_f32_16x16x4f32 a[0:3], v12, v14, a[0:3]
	s_movk_i32 s4, 0xff
	v_and_b32_sdwa v13, v6, s4 dst_sel:DWORD dst_unused:UNUSED_PAD src0_sel:WORD_1 src1_sel:DWORD
	s_movk_i32 s4, 0x7f
	v_cmp_lt_i16_e32 vcc, s4, v13
	s_mov_b64 s[4:5], 0
                                        ; implicit-def: $sgpr10
	s_and_saveexec_b64 s[6:7], vcc
	s_xor_b64 s[6:7], exec, s[6:7]
	s_cbranch_execz .LBB2_9233
; %bb.45073:
	s_getpc_b64 s[14:15]
.Lpost_getpc26120:
	s_add_u32 s14, s14, (.LBB2_23569-.Lpost_getpc26120)&4294967295
	s_addc_u32 s15, s15, (.LBB2_23569-.Lpost_getpc26120)>>32
	s_setpc_b64 s[14:15]
.LBB2_9233:
	s_or_saveexec_b64 s[6:7], s[6:7]
	v_mov_b32_e32 v12, s10
	s_xor_b64 exec, exec, s[6:7]
	s_cbranch_execz .LBB2_9234
; %bb.45075:
	s_getpc_b64 s[14:15]
.Lpost_getpc26121:
	s_add_u32 s14, s14, (.LBB2_23572-.Lpost_getpc26121)&4294967295
	s_addc_u32 s15, s15, (.LBB2_23572-.Lpost_getpc26121)>>32
	s_setpc_b64 s[14:15]
.LBB2_9234:
	s_or_b64 exec, exec, s[6:7]
	s_and_saveexec_b64 s[6:7], s[4:5]
	s_cbranch_execz .LBB2_9236
.LBB2_9235:
	v_bfe_u32 v12, v6, 16, 3
	v_ffbh_u32_e32 v15, v12
	v_min_u32_e32 v15, 32, v15
	v_lshrrev_b32_e32 v13, 19, v6
	v_subrev_u32_e32 v16, 28, v15
	v_and_b32_e32 v13, 15, v13
	v_lshlrev_b32_sdwa v16, v16, v6 dst_sel:DWORD dst_unused:UNUSED_PAD src0_sel:DWORD src1_sel:WORD_1
	v_bfe_u32 v14, v6, 19, 4
	v_sub_u32_e32 v15, 29, v15
	v_and_b32_e32 v16, 7, v16
	v_cmp_eq_u16_e32 vcc, 0, v13
	v_cndmask_b32_e32 v12, v12, v16, vcc
	v_cndmask_b32_e32 v13, v14, v15, vcc
	v_lshlrev_b32_e32 v14, 8, v6
	v_mov_b32_e32 v15, 0x3b800000
	v_lshlrev_b32_e32 v12, 20, v12
	v_and_b32_e32 v14, 0x80000000, v14
	v_lshl_add_u32 v13, v13, 23, v15
	v_or3_b32 v12, v14, v13, v12
.LBB2_9236:
	s_or_b64 exec, exec, s[6:7]
	s_movk_i32 s4, 0xff
	v_and_b32_sdwa v13, v2, s4 dst_sel:DWORD dst_unused:UNUSED_PAD src0_sel:WORD_1 src1_sel:DWORD
	s_movk_i32 s4, 0x7f
	v_cmp_lt_i16_e32 vcc, s4, v13
	s_mov_b64 s[4:5], 0
                                        ; implicit-def: $sgpr10
	s_and_saveexec_b64 s[6:7], vcc
	s_xor_b64 s[6:7], exec, s[6:7]
	s_cbranch_execz .LBB2_9237
; %bb.45077:
	s_getpc_b64 s[14:15]
.Lpost_getpc26122:
	s_add_u32 s14, s14, (.LBB2_23573-.Lpost_getpc26122)&4294967295
	s_addc_u32 s15, s15, (.LBB2_23573-.Lpost_getpc26122)>>32
	s_setpc_b64 s[14:15]
.LBB2_9237:
	s_or_saveexec_b64 s[6:7], s[6:7]
	v_mov_b32_e32 v14, s10
	s_xor_b64 exec, exec, s[6:7]
	s_cbranch_execz .LBB2_9238
; %bb.45079:
	s_getpc_b64 s[14:15]
.Lpost_getpc26123:
	s_add_u32 s14, s14, (.LBB2_23576-.Lpost_getpc26123)&4294967295
	s_addc_u32 s15, s15, (.LBB2_23576-.Lpost_getpc26123)>>32
	s_setpc_b64 s[14:15]
.LBB2_9238:
	s_or_b64 exec, exec, s[6:7]
	s_and_saveexec_b64 s[6:7], s[4:5]
	s_cbranch_execz .LBB2_9240
.LBB2_9239:
	v_bfe_u32 v13, v2, 16, 3
	v_ffbh_u32_e32 v16, v13
	v_min_u32_e32 v16, 32, v16
	v_lshrrev_b32_e32 v14, 19, v2
	v_subrev_u32_e32 v17, 28, v16
	v_and_b32_e32 v14, 15, v14
	v_lshlrev_b32_sdwa v17, v17, v2 dst_sel:DWORD dst_unused:UNUSED_PAD src0_sel:DWORD src1_sel:WORD_1
	v_bfe_u32 v15, v2, 19, 4
	v_sub_u32_e32 v16, 29, v16
	v_and_b32_e32 v17, 7, v17
	v_cmp_eq_u16_e32 vcc, 0, v14
	v_cndmask_b32_e32 v13, v13, v17, vcc
	v_cndmask_b32_e32 v14, v15, v16, vcc
	v_lshlrev_b32_e32 v15, 8, v2
	v_mov_b32_e32 v16, 0x3b800000
	v_lshlrev_b32_e32 v13, 20, v13
	v_and_b32_e32 v15, 0x80000000, v15
	v_lshl_add_u32 v14, v14, 23, v16
	v_or3_b32 v14, v15, v14, v13
.LBB2_9240:
	s_or_b64 exec, exec, s[6:7]
	s_nop 0
	v_mfma_f32_16x16x4f32 a[0:3], v12, v14, a[0:3]
	s_movk_i32 s4, 0x7f
	v_cmp_gt_i16_sdwa s[6:7], v6, s4 src0_sel:BYTE_3 src1_sel:DWORD
	s_mov_b64 s[4:5], 0
                                        ; implicit-def: $sgpr10
	s_and_saveexec_b64 s[8:9], s[6:7]
	s_xor_b64 s[6:7], exec, s[8:9]
	s_cbranch_execz .LBB2_9241
; %bb.45081:
	s_getpc_b64 s[14:15]
.Lpost_getpc26124:
	s_add_u32 s14, s14, (.LBB2_23577-.Lpost_getpc26124)&4294967295
	s_addc_u32 s15, s15, (.LBB2_23577-.Lpost_getpc26124)>>32
	s_setpc_b64 s[14:15]
.LBB2_9241:
	s_or_saveexec_b64 s[6:7], s[6:7]
	v_mov_b32_e32 v12, s10
	s_xor_b64 exec, exec, s[6:7]
	s_cbranch_execz .LBB2_9242
; %bb.45083:
	s_getpc_b64 s[14:15]
.Lpost_getpc26125:
	s_add_u32 s14, s14, (.LBB2_23580-.Lpost_getpc26125)&4294967295
	s_addc_u32 s15, s15, (.LBB2_23580-.Lpost_getpc26125)>>32
	s_setpc_b64 s[14:15]
.LBB2_9242:
	s_or_b64 exec, exec, s[6:7]
	s_and_saveexec_b64 s[6:7], s[4:5]
	s_cbranch_execz .LBB2_9244
.LBB2_9243:
	v_bfe_u32 v12, v6, 24, 3
	v_ffbh_u32_e32 v16, v12
	v_min_u32_e32 v16, 32, v16
	v_lshrrev_b32_e32 v14, 27, v6
	v_subrev_u32_e32 v17, 28, v16
	v_and_b32_e32 v13, 0x80000000, v6
	v_and_b32_e32 v14, 15, v14
	v_bfe_u32 v15, v6, 27, 4
	v_lshlrev_b32_sdwa v6, v17, v6 dst_sel:DWORD dst_unused:UNUSED_PAD src0_sel:DWORD src1_sel:BYTE_3
	v_sub_u32_e32 v16, 29, v16
	v_and_b32_e32 v6, 7, v6
	v_cmp_eq_u16_e32 vcc, 0, v14
	v_cndmask_b32_e32 v6, v12, v6, vcc
	v_cndmask_b32_e32 v12, v15, v16, vcc
	v_mov_b32_e32 v14, 0x3b800000
	v_lshlrev_b32_e32 v6, 20, v6
	v_lshl_add_u32 v12, v12, 23, v14
	v_or3_b32 v12, v13, v12, v6
.LBB2_9244:
	s_or_b64 exec, exec, s[6:7]
	s_movk_i32 s4, 0x7f
	v_cmp_gt_i16_sdwa s[6:7], v2, s4 src0_sel:BYTE_3 src1_sel:DWORD
	s_mov_b64 s[4:5], 0
                                        ; implicit-def: $sgpr10
	s_and_saveexec_b64 s[8:9], s[6:7]
	s_xor_b64 s[6:7], exec, s[8:9]
	s_cbranch_execz .LBB2_9245
; %bb.45085:
	s_getpc_b64 s[14:15]
.Lpost_getpc26126:
	s_add_u32 s14, s14, (.LBB2_23581-.Lpost_getpc26126)&4294967295
	s_addc_u32 s15, s15, (.LBB2_23581-.Lpost_getpc26126)>>32
	s_setpc_b64 s[14:15]
.LBB2_9245:
	s_or_saveexec_b64 s[6:7], s[6:7]
	v_mov_b32_e32 v6, s10
	s_xor_b64 exec, exec, s[6:7]
	s_cbranch_execz .LBB2_9246
; %bb.45087:
	s_getpc_b64 s[14:15]
.Lpost_getpc26127:
	s_add_u32 s14, s14, (.LBB2_23584-.Lpost_getpc26127)&4294967295
	s_addc_u32 s15, s15, (.LBB2_23584-.Lpost_getpc26127)>>32
	s_setpc_b64 s[14:15]
.LBB2_9246:
	s_or_b64 exec, exec, s[6:7]
	s_and_saveexec_b64 s[6:7], s[4:5]
	s_cbranch_execz .LBB2_9248
.LBB2_9247:
	v_bfe_u32 v6, v2, 24, 3
	v_ffbh_u32_e32 v16, v6
	v_min_u32_e32 v16, 32, v16
	v_lshrrev_b32_e32 v14, 27, v2
	v_subrev_u32_e32 v17, 28, v16
	v_and_b32_e32 v13, 0x80000000, v2
	v_and_b32_e32 v14, 15, v14
	v_bfe_u32 v15, v2, 27, 4
	v_lshlrev_b32_sdwa v2, v17, v2 dst_sel:DWORD dst_unused:UNUSED_PAD src0_sel:DWORD src1_sel:BYTE_3
	v_sub_u32_e32 v16, 29, v16
	v_and_b32_e32 v2, 7, v2
	v_cmp_eq_u16_e32 vcc, 0, v14
	v_cndmask_b32_e32 v2, v6, v2, vcc
	v_cndmask_b32_e32 v6, v15, v16, vcc
	v_mov_b32_e32 v14, 0x3b800000
	v_lshlrev_b32_e32 v2, 20, v2
	v_lshl_add_u32 v6, v6, 23, v14
	v_or3_b32 v6, v13, v6, v2
.LBB2_9248:
	s_or_b64 exec, exec, s[6:7]
	s_nop 0
	v_mfma_f32_16x16x4f32 a[0:3], v12, v6, a[0:3]
	s_movk_i32 s4, 0x7f
	v_cmp_gt_i16_sdwa s[6:7], v7, s4 src0_sel:BYTE_0 src1_sel:DWORD
	s_mov_b64 s[4:5], 0
                                        ; implicit-def: $sgpr10
	s_and_saveexec_b64 s[8:9], s[6:7]
	s_xor_b64 s[6:7], exec, s[8:9]
	s_cbranch_execz .LBB2_9249
; %bb.45089:
	s_getpc_b64 s[14:15]
.Lpost_getpc26128:
	s_add_u32 s14, s14, (.LBB2_23585-.Lpost_getpc26128)&4294967295
	s_addc_u32 s15, s15, (.LBB2_23585-.Lpost_getpc26128)>>32
	s_setpc_b64 s[14:15]
.LBB2_9249:
	s_or_saveexec_b64 s[6:7], s[6:7]
	v_mov_b32_e32 v2, s10
	s_xor_b64 exec, exec, s[6:7]
	s_cbranch_execz .LBB2_9250
; %bb.45091:
	s_getpc_b64 s[14:15]
.Lpost_getpc26129:
	s_add_u32 s14, s14, (.LBB2_23588-.Lpost_getpc26129)&4294967295
	s_addc_u32 s15, s15, (.LBB2_23588-.Lpost_getpc26129)>>32
	s_setpc_b64 s[14:15]
.LBB2_9250:
	s_or_b64 exec, exec, s[6:7]
	s_and_saveexec_b64 s[6:7], s[4:5]
	s_cbranch_execz .LBB2_9252
.LBB2_9251:
	v_and_b32_e32 v2, 7, v7
	v_ffbh_u32_e32 v12, v2
	v_min_u32_e32 v12, 32, v12
	v_lshrrev_b16_e32 v6, 3, v7
	v_subrev_u32_e32 v13, 28, v12
	v_and_b32_e32 v6, 15, v6
	v_lshlrev_b32_e32 v13, v13, v7
	v_sub_u32_e32 v12, 29, v12
	v_and_b32_e32 v13, 7, v13
	v_cmp_eq_u16_e32 vcc, 0, v6
	v_cndmask_b32_e32 v2, v2, v13, vcc
	v_cndmask_b32_e32 v6, v6, v12, vcc
	v_lshlrev_b32_e32 v12, 24, v7
	v_mov_b32_e32 v13, 0x3b800000
	v_lshlrev_b32_e32 v2, 20, v2
	v_and_b32_e32 v12, 0x80000000, v12
	v_lshl_add_u32 v6, v6, 23, v13
	v_or3_b32 v2, v12, v6, v2
.LBB2_9252:
	s_or_b64 exec, exec, s[6:7]
	s_movk_i32 s4, 0x7f
	v_cmp_gt_i16_sdwa s[6:7], v3, s4 src0_sel:BYTE_0 src1_sel:DWORD
	s_mov_b64 s[4:5], 0
                                        ; implicit-def: $sgpr10
	s_and_saveexec_b64 s[8:9], s[6:7]
	s_xor_b64 s[6:7], exec, s[8:9]
	s_cbranch_execz .LBB2_9253
; %bb.45093:
	s_getpc_b64 s[14:15]
.Lpost_getpc26130:
	s_add_u32 s14, s14, (.LBB2_23589-.Lpost_getpc26130)&4294967295
	s_addc_u32 s15, s15, (.LBB2_23589-.Lpost_getpc26130)>>32
	s_setpc_b64 s[14:15]
.LBB2_9253:
	s_or_saveexec_b64 s[6:7], s[6:7]
	v_mov_b32_e32 v6, s10
	s_xor_b64 exec, exec, s[6:7]
	s_cbranch_execz .LBB2_9254
; %bb.45095:
	s_getpc_b64 s[14:15]
.Lpost_getpc26131:
	s_add_u32 s14, s14, (.LBB2_23592-.Lpost_getpc26131)&4294967295
	s_addc_u32 s15, s15, (.LBB2_23592-.Lpost_getpc26131)>>32
	s_setpc_b64 s[14:15]
.LBB2_9254:
	s_or_b64 exec, exec, s[6:7]
	s_and_saveexec_b64 s[6:7], s[4:5]
	s_cbranch_execz .LBB2_9256
.LBB2_9255:
	v_and_b32_e32 v6, 7, v3
	v_ffbh_u32_e32 v13, v6
	v_min_u32_e32 v13, 32, v13
	v_lshrrev_b16_e32 v12, 3, v3
	v_subrev_u32_e32 v14, 28, v13
	v_and_b32_e32 v12, 15, v12
	v_lshlrev_b32_e32 v14, v14, v3
	v_sub_u32_e32 v13, 29, v13
	v_and_b32_e32 v14, 7, v14
	v_cmp_eq_u16_e32 vcc, 0, v12
	v_cndmask_b32_e32 v6, v6, v14, vcc
	v_cndmask_b32_e32 v12, v12, v13, vcc
	v_lshlrev_b32_e32 v13, 24, v3
	v_mov_b32_e32 v14, 0x3b800000
	v_lshlrev_b32_e32 v6, 20, v6
	v_and_b32_e32 v13, 0x80000000, v13
	v_lshl_add_u32 v12, v12, 23, v14
	v_or3_b32 v6, v13, v12, v6
.LBB2_9256:
	s_or_b64 exec, exec, s[6:7]
	s_nop 0
	v_mfma_f32_16x16x4f32 a[0:3], v2, v6, a[0:3]
	v_lshrrev_b32_e32 v6, 8, v7
	s_movk_i32 s4, 0x7f
	v_cmp_gt_i16_sdwa s[6:7], v6, s4 src0_sel:BYTE_0 src1_sel:DWORD
	s_mov_b64 s[4:5], 0
                                        ; implicit-def: $sgpr10
	s_and_saveexec_b64 s[8:9], s[6:7]
	s_xor_b64 s[6:7], exec, s[8:9]
	s_cbranch_execz .LBB2_9257
; %bb.45097:
	s_getpc_b64 s[14:15]
.Lpost_getpc26132:
	s_add_u32 s14, s14, (.LBB2_23593-.Lpost_getpc26132)&4294967295
	s_addc_u32 s15, s15, (.LBB2_23593-.Lpost_getpc26132)>>32
	s_setpc_b64 s[14:15]
.LBB2_9257:
	s_or_saveexec_b64 s[6:7], s[6:7]
	v_mov_b32_e32 v2, s10
	s_xor_b64 exec, exec, s[6:7]
	s_cbranch_execz .LBB2_9258
; %bb.45099:
	s_getpc_b64 s[14:15]
.Lpost_getpc26133:
	s_add_u32 s14, s14, (.LBB2_23596-.Lpost_getpc26133)&4294967295
	s_addc_u32 s15, s15, (.LBB2_23596-.Lpost_getpc26133)>>32
	s_setpc_b64 s[14:15]
.LBB2_9258:
	s_or_b64 exec, exec, s[6:7]
	s_and_saveexec_b64 s[6:7], s[4:5]
	s_cbranch_execz .LBB2_9260
.LBB2_9259:
	v_bfe_u32 v2, v7, 8, 3
	v_ffbh_u32_e32 v13, v2
	v_min_u32_e32 v13, 32, v13
	v_lshrrev_b16_e32 v12, 3, v6
	v_subrev_u32_e32 v14, 28, v13
	v_and_b32_e32 v12, 15, v12
	v_lshlrev_b32_e32 v6, v14, v6
	v_sub_u32_e32 v13, 29, v13
	v_and_b32_e32 v6, 7, v6
	v_cmp_eq_u16_e32 vcc, 0, v12
	v_cndmask_b32_e32 v2, v2, v6, vcc
	v_cndmask_b32_e32 v6, v12, v13, vcc
	v_lshlrev_b32_e32 v12, 16, v7
	v_mov_b32_e32 v13, 0x3b800000
	v_lshlrev_b32_e32 v2, 20, v2
	v_and_b32_e32 v12, 0x80000000, v12
	v_lshl_add_u32 v6, v6, 23, v13
	v_or3_b32 v2, v12, v6, v2
.LBB2_9260:
	s_or_b64 exec, exec, s[6:7]
	v_lshrrev_b32_e32 v6, 8, v3
	s_movk_i32 s4, 0x7f
	v_cmp_gt_i16_sdwa s[6:7], v6, s4 src0_sel:BYTE_0 src1_sel:DWORD
	s_mov_b64 s[4:5], 0
                                        ; implicit-def: $sgpr10
	s_and_saveexec_b64 s[8:9], s[6:7]
	s_xor_b64 s[6:7], exec, s[8:9]
	s_cbranch_execz .LBB2_9261
; %bb.45101:
	s_getpc_b64 s[14:15]
.Lpost_getpc26134:
	s_add_u32 s14, s14, (.LBB2_23597-.Lpost_getpc26134)&4294967295
	s_addc_u32 s15, s15, (.LBB2_23597-.Lpost_getpc26134)>>32
	s_setpc_b64 s[14:15]
.LBB2_9261:
	s_or_saveexec_b64 s[6:7], s[6:7]
	v_mov_b32_e32 v12, s10
	s_xor_b64 exec, exec, s[6:7]
	s_cbranch_execz .LBB2_9262
; %bb.45103:
	s_getpc_b64 s[14:15]
.Lpost_getpc26135:
	s_add_u32 s14, s14, (.LBB2_23600-.Lpost_getpc26135)&4294967295
	s_addc_u32 s15, s15, (.LBB2_23600-.Lpost_getpc26135)>>32
	s_setpc_b64 s[14:15]
.LBB2_9262:
	s_or_b64 exec, exec, s[6:7]
	s_and_saveexec_b64 s[6:7], s[4:5]
	s_cbranch_execz .LBB2_9264
.LBB2_9263:
	v_bfe_u32 v12, v3, 8, 3
	v_ffbh_u32_e32 v14, v12
	v_min_u32_e32 v14, 32, v14
	v_lshrrev_b16_e32 v13, 3, v6
	v_subrev_u32_e32 v15, 28, v14
	v_and_b32_e32 v13, 15, v13
	v_lshlrev_b32_e32 v6, v15, v6
	v_sub_u32_e32 v14, 29, v14
	v_and_b32_e32 v6, 7, v6
	v_cmp_eq_u16_e32 vcc, 0, v13
	v_cndmask_b32_e32 v6, v12, v6, vcc
	v_cndmask_b32_e32 v12, v13, v14, vcc
	v_lshlrev_b32_e32 v13, 16, v3
	v_mov_b32_e32 v14, 0x3b800000
	v_lshlrev_b32_e32 v6, 20, v6
	v_and_b32_e32 v13, 0x80000000, v13
	v_lshl_add_u32 v12, v12, 23, v14
	v_or3_b32 v12, v13, v12, v6
.LBB2_9264:
	s_or_b64 exec, exec, s[6:7]
	s_nop 0
	v_mfma_f32_16x16x4f32 a[0:3], v2, v12, a[0:3]
	s_movk_i32 s4, 0xff
	v_and_b32_sdwa v6, v7, s4 dst_sel:DWORD dst_unused:UNUSED_PAD src0_sel:WORD_1 src1_sel:DWORD
	s_movk_i32 s4, 0x7f
	v_cmp_lt_i16_e32 vcc, s4, v6
	s_mov_b64 s[4:5], 0
                                        ; implicit-def: $sgpr10
	s_and_saveexec_b64 s[6:7], vcc
	s_xor_b64 s[6:7], exec, s[6:7]
	s_cbranch_execz .LBB2_9265
; %bb.45105:
	s_getpc_b64 s[14:15]
.Lpost_getpc26136:
	s_add_u32 s14, s14, (.LBB2_23601-.Lpost_getpc26136)&4294967295
	s_addc_u32 s15, s15, (.LBB2_23601-.Lpost_getpc26136)>>32
	s_setpc_b64 s[14:15]
.LBB2_9265:
	s_or_saveexec_b64 s[6:7], s[6:7]
	v_mov_b32_e32 v2, s10
	s_xor_b64 exec, exec, s[6:7]
	s_cbranch_execz .LBB2_9266
; %bb.45107:
	s_getpc_b64 s[14:15]
.Lpost_getpc26137:
	s_add_u32 s14, s14, (.LBB2_23604-.Lpost_getpc26137)&4294967295
	s_addc_u32 s15, s15, (.LBB2_23604-.Lpost_getpc26137)>>32
	s_setpc_b64 s[14:15]
.LBB2_9266:
	s_or_b64 exec, exec, s[6:7]
	s_and_saveexec_b64 s[6:7], s[4:5]
	s_cbranch_execz .LBB2_9268
.LBB2_9267:
	v_bfe_u32 v2, v7, 16, 3
	v_ffbh_u32_e32 v13, v2
	v_min_u32_e32 v13, 32, v13
	v_lshrrev_b32_e32 v6, 19, v7
	v_subrev_u32_e32 v14, 28, v13
	v_and_b32_e32 v6, 15, v6
	v_lshlrev_b32_sdwa v14, v14, v7 dst_sel:DWORD dst_unused:UNUSED_PAD src0_sel:DWORD src1_sel:WORD_1
	v_bfe_u32 v12, v7, 19, 4
	v_sub_u32_e32 v13, 29, v13
	v_and_b32_e32 v14, 7, v14
	v_cmp_eq_u16_e32 vcc, 0, v6
	v_cndmask_b32_e32 v2, v2, v14, vcc
	v_cndmask_b32_e32 v6, v12, v13, vcc
	v_lshlrev_b32_e32 v12, 8, v7
	v_mov_b32_e32 v13, 0x3b800000
	v_lshlrev_b32_e32 v2, 20, v2
	v_and_b32_e32 v12, 0x80000000, v12
	v_lshl_add_u32 v6, v6, 23, v13
	v_or3_b32 v2, v12, v6, v2
.LBB2_9268:
	s_or_b64 exec, exec, s[6:7]
	s_movk_i32 s4, 0xff
	v_and_b32_sdwa v6, v3, s4 dst_sel:DWORD dst_unused:UNUSED_PAD src0_sel:WORD_1 src1_sel:DWORD
	s_movk_i32 s4, 0x7f
	v_cmp_lt_i16_e32 vcc, s4, v6
	s_mov_b64 s[4:5], 0
                                        ; implicit-def: $sgpr10
	s_and_saveexec_b64 s[6:7], vcc
	s_xor_b64 s[6:7], exec, s[6:7]
	s_cbranch_execz .LBB2_9269
; %bb.45109:
	s_getpc_b64 s[14:15]
.Lpost_getpc26138:
	s_add_u32 s14, s14, (.LBB2_23605-.Lpost_getpc26138)&4294967295
	s_addc_u32 s15, s15, (.LBB2_23605-.Lpost_getpc26138)>>32
	s_setpc_b64 s[14:15]
.LBB2_9269:
	s_or_saveexec_b64 s[6:7], s[6:7]
	v_mov_b32_e32 v12, s10
	s_xor_b64 exec, exec, s[6:7]
	s_cbranch_execz .LBB2_9270
; %bb.45111:
	s_getpc_b64 s[14:15]
.Lpost_getpc26139:
	s_add_u32 s14, s14, (.LBB2_23608-.Lpost_getpc26139)&4294967295
	s_addc_u32 s15, s15, (.LBB2_23608-.Lpost_getpc26139)>>32
	s_setpc_b64 s[14:15]
.LBB2_9270:
	s_or_b64 exec, exec, s[6:7]
	s_and_saveexec_b64 s[6:7], s[4:5]
	s_cbranch_execz .LBB2_9272
.LBB2_9271:
	v_bfe_u32 v6, v3, 16, 3
	v_ffbh_u32_e32 v14, v6
	v_min_u32_e32 v14, 32, v14
	v_lshrrev_b32_e32 v12, 19, v3
	v_subrev_u32_e32 v15, 28, v14
	v_and_b32_e32 v12, 15, v12
	v_lshlrev_b32_sdwa v15, v15, v3 dst_sel:DWORD dst_unused:UNUSED_PAD src0_sel:DWORD src1_sel:WORD_1
	v_bfe_u32 v13, v3, 19, 4
	v_sub_u32_e32 v14, 29, v14
	v_and_b32_e32 v15, 7, v15
	v_cmp_eq_u16_e32 vcc, 0, v12
	v_cndmask_b32_e32 v6, v6, v15, vcc
	v_cndmask_b32_e32 v12, v13, v14, vcc
	v_lshlrev_b32_e32 v13, 8, v3
	v_mov_b32_e32 v14, 0x3b800000
	v_lshlrev_b32_e32 v6, 20, v6
	v_and_b32_e32 v13, 0x80000000, v13
	v_lshl_add_u32 v12, v12, 23, v14
	v_or3_b32 v12, v13, v12, v6
.LBB2_9272:
	s_or_b64 exec, exec, s[6:7]
	s_nop 0
	v_mfma_f32_16x16x4f32 a[0:3], v2, v12, a[0:3]
	s_movk_i32 s4, 0x7f
	v_cmp_gt_i16_sdwa s[6:7], v7, s4 src0_sel:BYTE_3 src1_sel:DWORD
	s_mov_b64 s[4:5], 0
                                        ; implicit-def: $sgpr10
	s_and_saveexec_b64 s[8:9], s[6:7]
	s_xor_b64 s[6:7], exec, s[8:9]
	s_cbranch_execz .LBB2_9273
; %bb.45113:
	s_getpc_b64 s[14:15]
.Lpost_getpc26140:
	s_add_u32 s14, s14, (.LBB2_23609-.Lpost_getpc26140)&4294967295
	s_addc_u32 s15, s15, (.LBB2_23609-.Lpost_getpc26140)>>32
	s_setpc_b64 s[14:15]
.LBB2_9273:
	s_or_saveexec_b64 s[6:7], s[6:7]
	v_mov_b32_e32 v2, s10
	s_xor_b64 exec, exec, s[6:7]
	s_cbranch_execz .LBB2_9274
; %bb.45115:
	s_getpc_b64 s[14:15]
.Lpost_getpc26141:
	s_add_u32 s14, s14, (.LBB2_23612-.Lpost_getpc26141)&4294967295
	s_addc_u32 s15, s15, (.LBB2_23612-.Lpost_getpc26141)>>32
	s_setpc_b64 s[14:15]
.LBB2_9274:
	s_or_b64 exec, exec, s[6:7]
	s_and_saveexec_b64 s[6:7], s[4:5]
	s_cbranch_execz .LBB2_9276
.LBB2_9275:
	v_bfe_u32 v2, v7, 24, 3
	v_ffbh_u32_e32 v14, v2
	v_min_u32_e32 v14, 32, v14
	v_lshrrev_b32_e32 v12, 27, v7
	v_subrev_u32_e32 v15, 28, v14
	v_and_b32_e32 v6, 0x80000000, v7
	v_and_b32_e32 v12, 15, v12
	v_bfe_u32 v13, v7, 27, 4
	v_lshlrev_b32_sdwa v7, v15, v7 dst_sel:DWORD dst_unused:UNUSED_PAD src0_sel:DWORD src1_sel:BYTE_3
	v_sub_u32_e32 v14, 29, v14
	v_and_b32_e32 v7, 7, v7
	v_cmp_eq_u16_e32 vcc, 0, v12
	v_cndmask_b32_e32 v2, v2, v7, vcc
	v_cndmask_b32_e32 v7, v13, v14, vcc
	v_mov_b32_e32 v12, 0x3b800000
	v_lshlrev_b32_e32 v2, 20, v2
	v_lshl_add_u32 v7, v7, 23, v12
	v_or3_b32 v2, v6, v7, v2
.LBB2_9276:
	s_or_b64 exec, exec, s[6:7]
	s_movk_i32 s4, 0x7f
	v_cmp_gt_i16_sdwa s[6:7], v3, s4 src0_sel:BYTE_3 src1_sel:DWORD
	s_mov_b64 s[4:5], 0
                                        ; implicit-def: $sgpr10
	s_and_saveexec_b64 s[8:9], s[6:7]
	s_xor_b64 s[6:7], exec, s[8:9]
	s_cbranch_execz .LBB2_9277
; %bb.45117:
	s_getpc_b64 s[14:15]
.Lpost_getpc26142:
	s_add_u32 s14, s14, (.LBB2_23613-.Lpost_getpc26142)&4294967295
	s_addc_u32 s15, s15, (.LBB2_23613-.Lpost_getpc26142)>>32
	s_setpc_b64 s[14:15]
.LBB2_9277:
	s_or_saveexec_b64 s[6:7], s[6:7]
	v_mov_b32_e32 v6, s10
	s_xor_b64 exec, exec, s[6:7]
	s_cbranch_execz .LBB2_9278
; %bb.45119:
	s_getpc_b64 s[14:15]
.Lpost_getpc26143:
	s_add_u32 s14, s14, (.LBB2_23616-.Lpost_getpc26143)&4294967295
	s_addc_u32 s15, s15, (.LBB2_23616-.Lpost_getpc26143)>>32
	s_setpc_b64 s[14:15]
.LBB2_9278:
	s_or_b64 exec, exec, s[6:7]
	s_and_saveexec_b64 s[6:7], s[4:5]
	s_cbranch_execz .LBB2_9280
.LBB2_9279:
	v_bfe_u32 v6, v3, 24, 3
	v_ffbh_u32_e32 v14, v6
	v_min_u32_e32 v14, 32, v14
	v_lshrrev_b32_e32 v12, 27, v3
	v_subrev_u32_e32 v15, 28, v14
	v_and_b32_e32 v7, 0x80000000, v3
	v_and_b32_e32 v12, 15, v12
	v_bfe_u32 v13, v3, 27, 4
	v_lshlrev_b32_sdwa v3, v15, v3 dst_sel:DWORD dst_unused:UNUSED_PAD src0_sel:DWORD src1_sel:BYTE_3
	v_sub_u32_e32 v14, 29, v14
	v_and_b32_e32 v3, 7, v3
	v_cmp_eq_u16_e32 vcc, 0, v12
	v_cndmask_b32_e32 v3, v6, v3, vcc
	v_cndmask_b32_e32 v6, v13, v14, vcc
	v_mov_b32_e32 v12, 0x3b800000
	v_lshlrev_b32_e32 v3, 20, v3
	v_lshl_add_u32 v6, v6, 23, v12
	v_or3_b32 v6, v7, v6, v3
.LBB2_9280:
	s_or_b64 exec, exec, s[6:7]
	s_nop 0
	v_mfma_f32_16x16x4f32 a[0:3], v2, v6, a[0:3]
	s_movk_i32 s4, 0x7f
	v_cmp_gt_i16_sdwa s[6:7], v8, s4 src0_sel:BYTE_0 src1_sel:DWORD
	s_mov_b64 s[4:5], 0
                                        ; implicit-def: $sgpr10
	s_and_saveexec_b64 s[8:9], s[6:7]
	s_xor_b64 s[6:7], exec, s[8:9]
	s_cbranch_execz .LBB2_9281
; %bb.45121:
	s_getpc_b64 s[14:15]
.Lpost_getpc26144:
	s_add_u32 s14, s14, (.LBB2_23617-.Lpost_getpc26144)&4294967295
	s_addc_u32 s15, s15, (.LBB2_23617-.Lpost_getpc26144)>>32
	s_setpc_b64 s[14:15]
.LBB2_9281:
	s_or_saveexec_b64 s[6:7], s[6:7]
	v_mov_b32_e32 v2, s10
	s_xor_b64 exec, exec, s[6:7]
	s_cbranch_execz .LBB2_9282
; %bb.45123:
	s_getpc_b64 s[14:15]
.Lpost_getpc26145:
	s_add_u32 s14, s14, (.LBB2_23620-.Lpost_getpc26145)&4294967295
	s_addc_u32 s15, s15, (.LBB2_23620-.Lpost_getpc26145)>>32
	s_setpc_b64 s[14:15]
.LBB2_9282:
	s_or_b64 exec, exec, s[6:7]
	s_and_saveexec_b64 s[6:7], s[4:5]
	s_cbranch_execz .LBB2_9284
.LBB2_9283:
	v_and_b32_e32 v2, 7, v8
	v_ffbh_u32_e32 v6, v2
	v_min_u32_e32 v6, 32, v6
	v_lshrrev_b16_e32 v3, 3, v8
	v_subrev_u32_e32 v7, 28, v6
	v_and_b32_e32 v3, 15, v3
	v_lshlrev_b32_e32 v7, v7, v8
	v_sub_u32_e32 v6, 29, v6
	v_and_b32_e32 v7, 7, v7
	v_cmp_eq_u16_e32 vcc, 0, v3
	v_cndmask_b32_e32 v2, v2, v7, vcc
	v_cndmask_b32_e32 v3, v3, v6, vcc
	v_lshlrev_b32_e32 v6, 24, v8
	v_mov_b32_e32 v7, 0x3b800000
	v_lshlrev_b32_e32 v2, 20, v2
	v_and_b32_e32 v6, 0x80000000, v6
	v_lshl_add_u32 v3, v3, 23, v7
	v_or3_b32 v2, v6, v3, v2
.LBB2_9284:
	s_or_b64 exec, exec, s[6:7]
	s_movk_i32 s4, 0x7f
	v_cmp_gt_i16_sdwa s[6:7], v4, s4 src0_sel:BYTE_0 src1_sel:DWORD
	s_mov_b64 s[4:5], 0
                                        ; implicit-def: $sgpr10
	s_and_saveexec_b64 s[8:9], s[6:7]
	s_xor_b64 s[6:7], exec, s[8:9]
	s_cbranch_execz .LBB2_9285
; %bb.45125:
	s_getpc_b64 s[14:15]
.Lpost_getpc26146:
	s_add_u32 s14, s14, (.LBB2_23621-.Lpost_getpc26146)&4294967295
	s_addc_u32 s15, s15, (.LBB2_23621-.Lpost_getpc26146)>>32
	s_setpc_b64 s[14:15]
.LBB2_9285:
	s_or_saveexec_b64 s[6:7], s[6:7]
	v_mov_b32_e32 v3, s10
	s_xor_b64 exec, exec, s[6:7]
	s_cbranch_execz .LBB2_9286
; %bb.45127:
	s_getpc_b64 s[14:15]
.Lpost_getpc26147:
	s_add_u32 s14, s14, (.LBB2_23624-.Lpost_getpc26147)&4294967295
	s_addc_u32 s15, s15, (.LBB2_23624-.Lpost_getpc26147)>>32
	s_setpc_b64 s[14:15]
.LBB2_9286:
	s_or_b64 exec, exec, s[6:7]
	s_and_saveexec_b64 s[6:7], s[4:5]
	s_cbranch_execz .LBB2_9288
.LBB2_9287:
	v_and_b32_e32 v3, 7, v4
	v_ffbh_u32_e32 v7, v3
	v_min_u32_e32 v7, 32, v7
	v_lshrrev_b16_e32 v6, 3, v4
	v_subrev_u32_e32 v12, 28, v7
	v_and_b32_e32 v6, 15, v6
	v_lshlrev_b32_e32 v12, v12, v4
	v_sub_u32_e32 v7, 29, v7
	v_and_b32_e32 v12, 7, v12
	v_cmp_eq_u16_e32 vcc, 0, v6
	v_cndmask_b32_e32 v3, v3, v12, vcc
	v_cndmask_b32_e32 v6, v6, v7, vcc
	v_lshlrev_b32_e32 v7, 24, v4
	v_mov_b32_e32 v12, 0x3b800000
	v_lshlrev_b32_e32 v3, 20, v3
	v_and_b32_e32 v7, 0x80000000, v7
	v_lshl_add_u32 v6, v6, 23, v12
	v_or3_b32 v3, v7, v6, v3
.LBB2_9288:
	s_or_b64 exec, exec, s[6:7]
	s_nop 0
	v_mfma_f32_16x16x4f32 a[0:3], v2, v3, a[0:3]
	v_lshrrev_b32_e32 v3, 8, v8
	s_movk_i32 s4, 0x7f
	v_cmp_gt_i16_sdwa s[6:7], v3, s4 src0_sel:BYTE_0 src1_sel:DWORD
	s_mov_b64 s[4:5], 0
                                        ; implicit-def: $sgpr10
	s_and_saveexec_b64 s[8:9], s[6:7]
	s_xor_b64 s[6:7], exec, s[8:9]
	s_cbranch_execz .LBB2_9289
; %bb.45129:
	s_getpc_b64 s[14:15]
.Lpost_getpc26148:
	s_add_u32 s14, s14, (.LBB2_23625-.Lpost_getpc26148)&4294967295
	s_addc_u32 s15, s15, (.LBB2_23625-.Lpost_getpc26148)>>32
	s_setpc_b64 s[14:15]
.LBB2_9289:
	s_or_saveexec_b64 s[6:7], s[6:7]
	v_mov_b32_e32 v2, s10
	s_xor_b64 exec, exec, s[6:7]
	s_cbranch_execz .LBB2_9290
; %bb.45131:
	s_getpc_b64 s[14:15]
.Lpost_getpc26149:
	s_add_u32 s14, s14, (.LBB2_23628-.Lpost_getpc26149)&4294967295
	s_addc_u32 s15, s15, (.LBB2_23628-.Lpost_getpc26149)>>32
	s_setpc_b64 s[14:15]
.LBB2_9290:
	s_or_b64 exec, exec, s[6:7]
	s_and_saveexec_b64 s[6:7], s[4:5]
	s_cbranch_execz .LBB2_9292
.LBB2_9291:
	v_bfe_u32 v2, v8, 8, 3
	v_ffbh_u32_e32 v7, v2
	v_min_u32_e32 v7, 32, v7
	v_lshrrev_b16_e32 v6, 3, v3
	v_subrev_u32_e32 v12, 28, v7
	v_and_b32_e32 v6, 15, v6
	v_lshlrev_b32_e32 v3, v12, v3
	v_sub_u32_e32 v7, 29, v7
	v_and_b32_e32 v3, 7, v3
	v_cmp_eq_u16_e32 vcc, 0, v6
	v_cndmask_b32_e32 v2, v2, v3, vcc
	v_cndmask_b32_e32 v3, v6, v7, vcc
	v_lshlrev_b32_e32 v6, 16, v8
	v_mov_b32_e32 v7, 0x3b800000
	v_lshlrev_b32_e32 v2, 20, v2
	v_and_b32_e32 v6, 0x80000000, v6
	v_lshl_add_u32 v3, v3, 23, v7
	v_or3_b32 v2, v6, v3, v2
.LBB2_9292:
	s_or_b64 exec, exec, s[6:7]
	v_lshrrev_b32_e32 v3, 8, v4
	s_movk_i32 s4, 0x7f
	v_cmp_gt_i16_sdwa s[6:7], v3, s4 src0_sel:BYTE_0 src1_sel:DWORD
	s_mov_b64 s[4:5], 0
                                        ; implicit-def: $sgpr10
	s_and_saveexec_b64 s[8:9], s[6:7]
	s_xor_b64 s[6:7], exec, s[8:9]
	s_cbranch_execz .LBB2_9293
; %bb.45133:
	s_getpc_b64 s[14:15]
.Lpost_getpc26150:
	s_add_u32 s14, s14, (.LBB2_23629-.Lpost_getpc26150)&4294967295
	s_addc_u32 s15, s15, (.LBB2_23629-.Lpost_getpc26150)>>32
	s_setpc_b64 s[14:15]
.LBB2_9293:
	s_or_saveexec_b64 s[6:7], s[6:7]
	v_mov_b32_e32 v6, s10
	s_xor_b64 exec, exec, s[6:7]
	s_cbranch_execz .LBB2_9294
; %bb.45135:
	s_getpc_b64 s[14:15]
.Lpost_getpc26151:
	s_add_u32 s14, s14, (.LBB2_23632-.Lpost_getpc26151)&4294967295
	s_addc_u32 s15, s15, (.LBB2_23632-.Lpost_getpc26151)>>32
	s_setpc_b64 s[14:15]
.LBB2_9294:
	s_or_b64 exec, exec, s[6:7]
	s_and_saveexec_b64 s[6:7], s[4:5]
	s_cbranch_execz .LBB2_9296
.LBB2_9295:
	v_bfe_u32 v6, v4, 8, 3
	v_ffbh_u32_e32 v12, v6
	v_min_u32_e32 v12, 32, v12
	v_lshrrev_b16_e32 v7, 3, v3
	v_subrev_u32_e32 v13, 28, v12
	v_and_b32_e32 v7, 15, v7
	v_lshlrev_b32_e32 v3, v13, v3
	v_sub_u32_e32 v12, 29, v12
	v_and_b32_e32 v3, 7, v3
	v_cmp_eq_u16_e32 vcc, 0, v7
	v_cndmask_b32_e32 v3, v6, v3, vcc
	v_cndmask_b32_e32 v6, v7, v12, vcc
	v_lshlrev_b32_e32 v7, 16, v4
	v_mov_b32_e32 v12, 0x3b800000
	v_lshlrev_b32_e32 v3, 20, v3
	v_and_b32_e32 v7, 0x80000000, v7
	v_lshl_add_u32 v6, v6, 23, v12
	v_or3_b32 v6, v7, v6, v3
.LBB2_9296:
	s_or_b64 exec, exec, s[6:7]
	s_nop 0
	v_mfma_f32_16x16x4f32 a[0:3], v2, v6, a[0:3]
	s_movk_i32 s4, 0xff
	v_and_b32_sdwa v3, v8, s4 dst_sel:DWORD dst_unused:UNUSED_PAD src0_sel:WORD_1 src1_sel:DWORD
	s_movk_i32 s4, 0x7f
	v_cmp_lt_i16_e32 vcc, s4, v3
	s_mov_b64 s[4:5], 0
                                        ; implicit-def: $sgpr10
	s_and_saveexec_b64 s[6:7], vcc
	s_xor_b64 s[6:7], exec, s[6:7]
	s_cbranch_execz .LBB2_9297
; %bb.45137:
	s_getpc_b64 s[14:15]
.Lpost_getpc26152:
	s_add_u32 s14, s14, (.LBB2_23633-.Lpost_getpc26152)&4294967295
	s_addc_u32 s15, s15, (.LBB2_23633-.Lpost_getpc26152)>>32
	s_setpc_b64 s[14:15]
.LBB2_9297:
	s_or_saveexec_b64 s[6:7], s[6:7]
	v_mov_b32_e32 v2, s10
	s_xor_b64 exec, exec, s[6:7]
	s_cbranch_execz .LBB2_9298
; %bb.45139:
	s_getpc_b64 s[14:15]
.Lpost_getpc26153:
	s_add_u32 s14, s14, (.LBB2_23636-.Lpost_getpc26153)&4294967295
	s_addc_u32 s15, s15, (.LBB2_23636-.Lpost_getpc26153)>>32
	s_setpc_b64 s[14:15]
.LBB2_9298:
	s_or_b64 exec, exec, s[6:7]
	s_and_saveexec_b64 s[6:7], s[4:5]
	s_cbranch_execz .LBB2_9300
.LBB2_9299:
	v_bfe_u32 v2, v8, 16, 3
	v_ffbh_u32_e32 v7, v2
	v_min_u32_e32 v7, 32, v7
	v_lshrrev_b32_e32 v3, 19, v8
	v_subrev_u32_e32 v12, 28, v7
	v_and_b32_e32 v3, 15, v3
	v_lshlrev_b32_sdwa v12, v12, v8 dst_sel:DWORD dst_unused:UNUSED_PAD src0_sel:DWORD src1_sel:WORD_1
	v_bfe_u32 v6, v8, 19, 4
	v_sub_u32_e32 v7, 29, v7
	v_and_b32_e32 v12, 7, v12
	v_cmp_eq_u16_e32 vcc, 0, v3
	v_cndmask_b32_e32 v2, v2, v12, vcc
	v_cndmask_b32_e32 v3, v6, v7, vcc
	v_lshlrev_b32_e32 v6, 8, v8
	v_mov_b32_e32 v7, 0x3b800000
	v_lshlrev_b32_e32 v2, 20, v2
	v_and_b32_e32 v6, 0x80000000, v6
	v_lshl_add_u32 v3, v3, 23, v7
	v_or3_b32 v2, v6, v3, v2
.LBB2_9300:
	s_or_b64 exec, exec, s[6:7]
	s_movk_i32 s4, 0xff
	v_and_b32_sdwa v3, v4, s4 dst_sel:DWORD dst_unused:UNUSED_PAD src0_sel:WORD_1 src1_sel:DWORD
	s_movk_i32 s4, 0x7f
	v_cmp_lt_i16_e32 vcc, s4, v3
	s_mov_b64 s[4:5], 0
                                        ; implicit-def: $sgpr10
	s_and_saveexec_b64 s[6:7], vcc
	s_xor_b64 s[6:7], exec, s[6:7]
	s_cbranch_execz .LBB2_9301
; %bb.45141:
	s_getpc_b64 s[14:15]
.Lpost_getpc26154:
	s_add_u32 s14, s14, (.LBB2_23637-.Lpost_getpc26154)&4294967295
	s_addc_u32 s15, s15, (.LBB2_23637-.Lpost_getpc26154)>>32
	s_setpc_b64 s[14:15]
.LBB2_9301:
	s_or_saveexec_b64 s[6:7], s[6:7]
	v_mov_b32_e32 v6, s10
	s_xor_b64 exec, exec, s[6:7]
	s_cbranch_execz .LBB2_9302
; %bb.45143:
	s_getpc_b64 s[14:15]
.Lpost_getpc26155:
	s_add_u32 s14, s14, (.LBB2_23640-.Lpost_getpc26155)&4294967295
	s_addc_u32 s15, s15, (.LBB2_23640-.Lpost_getpc26155)>>32
	s_setpc_b64 s[14:15]
.LBB2_9302:
	s_or_b64 exec, exec, s[6:7]
	s_and_saveexec_b64 s[6:7], s[4:5]
	s_cbranch_execz .LBB2_9304
.LBB2_9303:
	v_bfe_u32 v3, v4, 16, 3
	v_ffbh_u32_e32 v12, v3
	v_min_u32_e32 v12, 32, v12
	v_lshrrev_b32_e32 v6, 19, v4
	v_subrev_u32_e32 v13, 28, v12
	v_and_b32_e32 v6, 15, v6
	v_lshlrev_b32_sdwa v13, v13, v4 dst_sel:DWORD dst_unused:UNUSED_PAD src0_sel:DWORD src1_sel:WORD_1
	v_bfe_u32 v7, v4, 19, 4
	v_sub_u32_e32 v12, 29, v12
	v_and_b32_e32 v13, 7, v13
	v_cmp_eq_u16_e32 vcc, 0, v6
	v_cndmask_b32_e32 v3, v3, v13, vcc
	v_cndmask_b32_e32 v6, v7, v12, vcc
	v_lshlrev_b32_e32 v7, 8, v4
	v_mov_b32_e32 v12, 0x3b800000
	v_lshlrev_b32_e32 v3, 20, v3
	v_and_b32_e32 v7, 0x80000000, v7
	v_lshl_add_u32 v6, v6, 23, v12
	v_or3_b32 v6, v7, v6, v3
.LBB2_9304:
	s_or_b64 exec, exec, s[6:7]
	s_nop 0
	v_mfma_f32_16x16x4f32 a[0:3], v2, v6, a[0:3]
	s_movk_i32 s4, 0x7f
	v_cmp_gt_i16_sdwa s[6:7], v8, s4 src0_sel:BYTE_3 src1_sel:DWORD
	s_mov_b64 s[4:5], 0
                                        ; implicit-def: $sgpr10
	s_and_saveexec_b64 s[8:9], s[6:7]
	s_xor_b64 s[6:7], exec, s[8:9]
	s_cbranch_execz .LBB2_9305
; %bb.45145:
	s_getpc_b64 s[14:15]
.Lpost_getpc26156:
	s_add_u32 s14, s14, (.LBB2_23641-.Lpost_getpc26156)&4294967295
	s_addc_u32 s15, s15, (.LBB2_23641-.Lpost_getpc26156)>>32
	s_setpc_b64 s[14:15]
.LBB2_9305:
	s_or_saveexec_b64 s[6:7], s[6:7]
	v_mov_b32_e32 v2, s10
	s_xor_b64 exec, exec, s[6:7]
	s_cbranch_execz .LBB2_9306
; %bb.45147:
	s_getpc_b64 s[14:15]
.Lpost_getpc26157:
	s_add_u32 s14, s14, (.LBB2_23644-.Lpost_getpc26157)&4294967295
	s_addc_u32 s15, s15, (.LBB2_23644-.Lpost_getpc26157)>>32
	s_setpc_b64 s[14:15]
.LBB2_9306:
	s_or_b64 exec, exec, s[6:7]
	s_and_saveexec_b64 s[6:7], s[4:5]
	s_cbranch_execz .LBB2_9308
.LBB2_9307:
	v_bfe_u32 v2, v8, 24, 3
	v_ffbh_u32_e32 v12, v2
	v_min_u32_e32 v12, 32, v12
	v_lshrrev_b32_e32 v6, 27, v8
	v_subrev_u32_e32 v13, 28, v12
	v_and_b32_e32 v3, 0x80000000, v8
	v_and_b32_e32 v6, 15, v6
	v_bfe_u32 v7, v8, 27, 4
	v_lshlrev_b32_sdwa v8, v13, v8 dst_sel:DWORD dst_unused:UNUSED_PAD src0_sel:DWORD src1_sel:BYTE_3
	v_sub_u32_e32 v12, 29, v12
	v_and_b32_e32 v8, 7, v8
	v_cmp_eq_u16_e32 vcc, 0, v6
	v_cndmask_b32_e32 v2, v2, v8, vcc
	v_cndmask_b32_e32 v6, v7, v12, vcc
	v_mov_b32_e32 v7, 0x3b800000
	v_lshlrev_b32_e32 v2, 20, v2
	v_lshl_add_u32 v6, v6, 23, v7
	v_or3_b32 v2, v3, v6, v2
.LBB2_9308:
	s_or_b64 exec, exec, s[6:7]
	s_movk_i32 s4, 0x7f
	v_cmp_gt_i16_sdwa s[6:7], v4, s4 src0_sel:BYTE_3 src1_sel:DWORD
	s_mov_b64 s[4:5], 0
                                        ; implicit-def: $sgpr10
	s_and_saveexec_b64 s[8:9], s[6:7]
	s_xor_b64 s[6:7], exec, s[8:9]
	s_cbranch_execz .LBB2_9309
; %bb.45149:
	s_getpc_b64 s[14:15]
.Lpost_getpc26158:
	s_add_u32 s14, s14, (.LBB2_23645-.Lpost_getpc26158)&4294967295
	s_addc_u32 s15, s15, (.LBB2_23645-.Lpost_getpc26158)>>32
	s_setpc_b64 s[14:15]
.LBB2_9309:
	s_or_saveexec_b64 s[6:7], s[6:7]
	v_mov_b32_e32 v3, s10
	s_xor_b64 exec, exec, s[6:7]
	s_cbranch_execz .LBB2_9310
; %bb.45151:
	s_getpc_b64 s[14:15]
.Lpost_getpc26159:
	s_add_u32 s14, s14, (.LBB2_23648-.Lpost_getpc26159)&4294967295
	s_addc_u32 s15, s15, (.LBB2_23648-.Lpost_getpc26159)>>32
	s_setpc_b64 s[14:15]
.LBB2_9310:
	s_or_b64 exec, exec, s[6:7]
	s_and_saveexec_b64 s[6:7], s[4:5]
	s_cbranch_execz .LBB2_9312
.LBB2_9311:
	v_bfe_u32 v3, v4, 24, 3
	v_ffbh_u32_e32 v12, v3
	v_min_u32_e32 v12, 32, v12
	v_lshrrev_b32_e32 v7, 27, v4
	v_subrev_u32_e32 v13, 28, v12
	v_and_b32_e32 v6, 0x80000000, v4
	v_and_b32_e32 v7, 15, v7
	v_bfe_u32 v8, v4, 27, 4
	v_lshlrev_b32_sdwa v4, v13, v4 dst_sel:DWORD dst_unused:UNUSED_PAD src0_sel:DWORD src1_sel:BYTE_3
	v_sub_u32_e32 v12, 29, v12
	v_and_b32_e32 v4, 7, v4
	v_cmp_eq_u16_e32 vcc, 0, v7
	v_cndmask_b32_e32 v3, v3, v4, vcc
	v_cndmask_b32_e32 v4, v8, v12, vcc
	v_mov_b32_e32 v7, 0x3b800000
	v_lshlrev_b32_e32 v3, 20, v3
	v_lshl_add_u32 v4, v4, 23, v7
	v_or3_b32 v3, v6, v4, v3
.LBB2_9312:
	s_or_b64 exec, exec, s[6:7]
	s_nop 0
	v_mfma_f32_16x16x4f32 a[0:3], v2, v3, a[0:3]
	s_movk_i32 s4, 0x7f
	v_cmp_gt_i16_sdwa s[6:7], v9, s4 src0_sel:BYTE_0 src1_sel:DWORD
	s_mov_b64 s[4:5], 0
                                        ; implicit-def: $sgpr10
	s_and_saveexec_b64 s[8:9], s[6:7]
	s_xor_b64 s[6:7], exec, s[8:9]
	s_cbranch_execz .LBB2_9313
; %bb.45153:
	s_getpc_b64 s[14:15]
.Lpost_getpc26160:
	s_add_u32 s14, s14, (.LBB2_23649-.Lpost_getpc26160)&4294967295
	s_addc_u32 s15, s15, (.LBB2_23649-.Lpost_getpc26160)>>32
	s_setpc_b64 s[14:15]
.LBB2_9313:
	s_or_saveexec_b64 s[6:7], s[6:7]
	v_mov_b32_e32 v2, s10
	s_xor_b64 exec, exec, s[6:7]
	s_cbranch_execz .LBB2_9314
; %bb.45155:
	s_getpc_b64 s[14:15]
.Lpost_getpc26161:
	s_add_u32 s14, s14, (.LBB2_23652-.Lpost_getpc26161)&4294967295
	s_addc_u32 s15, s15, (.LBB2_23652-.Lpost_getpc26161)>>32
	s_setpc_b64 s[14:15]
.LBB2_9314:
	s_or_b64 exec, exec, s[6:7]
	s_and_saveexec_b64 s[6:7], s[4:5]
	s_cbranch_execz .LBB2_9316
.LBB2_9315:
	v_mov_b32_e32 v2, 8
	v_and_b32_e32 v3, 7, v9
	v_lshrrev_b32_sdwa v2, v2, v9 dst_sel:BYTE_1 dst_unused:UNUSED_PAD src0_sel:DWORD src1_sel:DWORD
	v_ffbh_u32_e32 v4, v3
	v_or_b32_sdwa v2, v9, v2 dst_sel:DWORD dst_unused:UNUSED_PAD src0_sel:BYTE_0 src1_sel:DWORD
	v_min_u32_e32 v4, 32, v4
	v_lshrrev_b16_e32 v2, 3, v2
	v_subrev_u32_e32 v6, 28, v4
	v_and_b32_e32 v2, 15, v2
	v_lshlrev_b32_e32 v6, v6, v9
	v_sub_u32_e32 v4, 29, v4
	v_and_b32_e32 v6, 7, v6
	v_cmp_eq_u16_e32 vcc, 0, v2
	v_cndmask_b32_e32 v3, v3, v6, vcc
	v_cndmask_b32_e32 v2, v2, v4, vcc
	v_lshlrev_b32_e32 v4, 24, v9
	v_mov_b32_e32 v6, 0x3b800000
	v_lshlrev_b32_e32 v3, 20, v3
	v_and_b32_e32 v4, 0x80000000, v4
	v_lshl_add_u32 v2, v2, 23, v6
	v_or3_b32 v2, v4, v2, v3
.LBB2_9316:
	s_or_b64 exec, exec, s[6:7]
	s_movk_i32 s4, 0x7f
	v_cmp_gt_i16_sdwa s[6:7], v5, s4 src0_sel:BYTE_0 src1_sel:DWORD
	s_mov_b64 s[4:5], 0
                                        ; implicit-def: $sgpr10
	s_and_saveexec_b64 s[8:9], s[6:7]
	s_xor_b64 s[6:7], exec, s[8:9]
	s_cbranch_execz .LBB2_9317
; %bb.45157:
	s_getpc_b64 s[14:15]
.Lpost_getpc26162:
	s_add_u32 s14, s14, (.LBB2_23653-.Lpost_getpc26162)&4294967295
	s_addc_u32 s15, s15, (.LBB2_23653-.Lpost_getpc26162)>>32
	s_setpc_b64 s[14:15]
.LBB2_9317:
	s_or_saveexec_b64 s[6:7], s[6:7]
	v_mov_b32_e32 v3, s10
	s_xor_b64 exec, exec, s[6:7]
	s_cbranch_execz .LBB2_9318
; %bb.45159:
	s_getpc_b64 s[14:15]
.Lpost_getpc26163:
	s_add_u32 s14, s14, (.LBB2_23656-.Lpost_getpc26163)&4294967295
	s_addc_u32 s15, s15, (.LBB2_23656-.Lpost_getpc26163)>>32
	s_setpc_b64 s[14:15]
.LBB2_9318:
	s_or_b64 exec, exec, s[6:7]
	s_and_saveexec_b64 s[6:7], s[4:5]
	s_cbranch_execz .LBB2_9320
.LBB2_9319:
	v_mov_b32_e32 v3, 8
	v_and_b32_e32 v4, 7, v5
	v_lshrrev_b32_sdwa v3, v3, v5 dst_sel:BYTE_1 dst_unused:UNUSED_PAD src0_sel:DWORD src1_sel:DWORD
	v_ffbh_u32_e32 v6, v4
	v_or_b32_sdwa v3, v5, v3 dst_sel:DWORD dst_unused:UNUSED_PAD src0_sel:BYTE_0 src1_sel:DWORD
	v_min_u32_e32 v6, 32, v6
	v_lshrrev_b16_e32 v3, 3, v3
	v_subrev_u32_e32 v7, 28, v6
	v_and_b32_e32 v3, 15, v3
	v_lshlrev_b32_e32 v7, v7, v5
	v_sub_u32_e32 v6, 29, v6
	v_and_b32_e32 v7, 7, v7
	v_cmp_eq_u16_e32 vcc, 0, v3
	v_cndmask_b32_e32 v4, v4, v7, vcc
	v_cndmask_b32_e32 v3, v3, v6, vcc
	v_lshlrev_b32_e32 v6, 24, v5
	v_mov_b32_e32 v7, 0x3b800000
	v_lshlrev_b32_e32 v4, 20, v4
	v_and_b32_e32 v6, 0x80000000, v6
	v_lshl_add_u32 v3, v3, 23, v7
	v_or3_b32 v3, v6, v3, v4
.LBB2_9320:
	s_or_b64 exec, exec, s[6:7]
	s_nop 0
	v_mfma_f32_16x16x4f32 a[0:3], v2, v3, a[0:3]
	v_lshrrev_b32_e32 v3, 8, v9
	s_movk_i32 s4, 0x7f
	v_cmp_gt_i16_sdwa s[6:7], v3, s4 src0_sel:BYTE_0 src1_sel:DWORD
	s_mov_b64 s[4:5], 0
                                        ; implicit-def: $sgpr10
	s_and_saveexec_b64 s[8:9], s[6:7]
	s_xor_b64 s[6:7], exec, s[8:9]
	s_cbranch_execz .LBB2_9321
; %bb.45161:
	s_getpc_b64 s[14:15]
.Lpost_getpc26164:
	s_add_u32 s14, s14, (.LBB2_23657-.Lpost_getpc26164)&4294967295
	s_addc_u32 s15, s15, (.LBB2_23657-.Lpost_getpc26164)>>32
	s_setpc_b64 s[14:15]
.LBB2_9321:
	s_or_saveexec_b64 s[6:7], s[6:7]
	v_mov_b32_e32 v2, s10
	s_xor_b64 exec, exec, s[6:7]
	s_cbranch_execz .LBB2_9322
; %bb.45163:
	s_getpc_b64 s[14:15]
.Lpost_getpc26165:
	s_add_u32 s14, s14, (.LBB2_23660-.Lpost_getpc26165)&4294967295
	s_addc_u32 s15, s15, (.LBB2_23660-.Lpost_getpc26165)>>32
	s_setpc_b64 s[14:15]
.LBB2_9322:
	s_or_b64 exec, exec, s[6:7]
	s_and_saveexec_b64 s[6:7], s[4:5]
	s_cbranch_execz .LBB2_9324
.LBB2_9323:
	v_bfe_u32 v2, v9, 8, 3
	v_ffbh_u32_e32 v6, v2
	v_min_u32_e32 v6, 32, v6
	v_lshrrev_b16_e32 v4, 3, v3
	v_subrev_u32_e32 v7, 28, v6
	v_and_b32_e32 v4, 15, v4
	v_lshlrev_b32_e32 v3, v7, v3
	v_sub_u32_e32 v6, 29, v6
	v_and_b32_e32 v3, 7, v3
	v_cmp_eq_u16_e32 vcc, 0, v4
	v_cndmask_b32_e32 v2, v2, v3, vcc
	v_cndmask_b32_e32 v3, v4, v6, vcc
	v_lshlrev_b32_e32 v4, 16, v9
	v_mov_b32_e32 v6, 0x3b800000
	v_lshlrev_b32_e32 v2, 20, v2
	v_and_b32_e32 v4, 0x80000000, v4
	v_lshl_add_u32 v3, v3, 23, v6
	v_or3_b32 v2, v4, v3, v2
.LBB2_9324:
	s_or_b64 exec, exec, s[6:7]
	v_lshrrev_b32_e32 v3, 8, v5
	s_movk_i32 s4, 0x7f
	v_cmp_gt_i16_sdwa s[6:7], v3, s4 src0_sel:BYTE_0 src1_sel:DWORD
	s_mov_b64 s[4:5], 0
                                        ; implicit-def: $sgpr10
	s_and_saveexec_b64 s[8:9], s[6:7]
	s_xor_b64 s[6:7], exec, s[8:9]
	s_cbranch_execz .LBB2_9325
; %bb.45165:
	s_getpc_b64 s[14:15]
.Lpost_getpc26166:
	s_add_u32 s14, s14, (.LBB2_23661-.Lpost_getpc26166)&4294967295
	s_addc_u32 s15, s15, (.LBB2_23661-.Lpost_getpc26166)>>32
	s_setpc_b64 s[14:15]
.LBB2_9325:
	s_or_saveexec_b64 s[6:7], s[6:7]
	v_mov_b32_e32 v4, s10
	s_xor_b64 exec, exec, s[6:7]
	s_cbranch_execz .LBB2_9326
; %bb.45167:
	s_getpc_b64 s[14:15]
.Lpost_getpc26167:
	s_add_u32 s14, s14, (.LBB2_23664-.Lpost_getpc26167)&4294967295
	s_addc_u32 s15, s15, (.LBB2_23664-.Lpost_getpc26167)>>32
	s_setpc_b64 s[14:15]
.LBB2_9326:
	s_or_b64 exec, exec, s[6:7]
	s_and_saveexec_b64 s[6:7], s[4:5]
	s_cbranch_execz .LBB2_9328
.LBB2_9327:
	v_bfe_u32 v4, v5, 8, 3
	v_ffbh_u32_e32 v7, v4
	v_min_u32_e32 v7, 32, v7
	v_lshrrev_b16_e32 v6, 3, v3
	v_subrev_u32_e32 v8, 28, v7
	v_and_b32_e32 v6, 15, v6
	v_lshlrev_b32_e32 v3, v8, v3
	v_sub_u32_e32 v7, 29, v7
	v_and_b32_e32 v3, 7, v3
	v_cmp_eq_u16_e32 vcc, 0, v6
	v_cndmask_b32_e32 v3, v4, v3, vcc
	v_cndmask_b32_e32 v4, v6, v7, vcc
	v_lshlrev_b32_e32 v6, 16, v5
	v_mov_b32_e32 v7, 0x3b800000
	v_lshlrev_b32_e32 v3, 20, v3
	v_and_b32_e32 v6, 0x80000000, v6
	v_lshl_add_u32 v4, v4, 23, v7
	v_or3_b32 v4, v6, v4, v3
.LBB2_9328:
	s_or_b64 exec, exec, s[6:7]
	s_nop 0
	v_mfma_f32_16x16x4f32 a[0:3], v2, v4, a[0:3]
	s_movk_i32 s4, 0xff
	v_and_b32_sdwa v3, v9, s4 dst_sel:DWORD dst_unused:UNUSED_PAD src0_sel:WORD_1 src1_sel:DWORD
	s_movk_i32 s4, 0x7f
	v_cmp_lt_i16_e32 vcc, s4, v3
	s_mov_b64 s[4:5], 0
                                        ; implicit-def: $sgpr10
	s_and_saveexec_b64 s[6:7], vcc
	s_xor_b64 s[6:7], exec, s[6:7]
	s_cbranch_execz .LBB2_9329
; %bb.45169:
	s_getpc_b64 s[14:15]
.Lpost_getpc26168:
	s_add_u32 s14, s14, (.LBB2_23665-.Lpost_getpc26168)&4294967295
	s_addc_u32 s15, s15, (.LBB2_23665-.Lpost_getpc26168)>>32
	s_setpc_b64 s[14:15]
.LBB2_9329:
	s_or_saveexec_b64 s[6:7], s[6:7]
	v_mov_b32_e32 v2, s10
	s_xor_b64 exec, exec, s[6:7]
	s_cbranch_execz .LBB2_9330
; %bb.45171:
	s_getpc_b64 s[14:15]
.Lpost_getpc26169:
	s_add_u32 s14, s14, (.LBB2_23668-.Lpost_getpc26169)&4294967295
	s_addc_u32 s15, s15, (.LBB2_23668-.Lpost_getpc26169)>>32
	s_setpc_b64 s[14:15]
.LBB2_9330:
	s_or_b64 exec, exec, s[6:7]
	s_and_saveexec_b64 s[6:7], s[4:5]
	s_cbranch_execz .LBB2_9332
.LBB2_9331:
	v_bfe_u32 v2, v9, 16, 3
	v_ffbh_u32_e32 v6, v2
	v_min_u32_e32 v6, 32, v6
	v_lshrrev_b32_e32 v3, 19, v9
	v_subrev_u32_e32 v7, 28, v6
	v_and_b32_e32 v3, 15, v3
	v_lshlrev_b32_sdwa v7, v7, v9 dst_sel:DWORD dst_unused:UNUSED_PAD src0_sel:DWORD src1_sel:WORD_1
	v_bfe_u32 v4, v9, 19, 4
	v_sub_u32_e32 v6, 29, v6
	v_and_b32_e32 v7, 7, v7
	v_cmp_eq_u16_e32 vcc, 0, v3
	v_cndmask_b32_e32 v2, v2, v7, vcc
	v_cndmask_b32_e32 v3, v4, v6, vcc
	v_lshlrev_b32_e32 v4, 8, v9
	v_mov_b32_e32 v6, 0x3b800000
	v_lshlrev_b32_e32 v2, 20, v2
	v_and_b32_e32 v4, 0x80000000, v4
	v_lshl_add_u32 v3, v3, 23, v6
	v_or3_b32 v2, v4, v3, v2
.LBB2_9332:
	s_or_b64 exec, exec, s[6:7]
	s_movk_i32 s4, 0xff
	v_and_b32_sdwa v3, v5, s4 dst_sel:DWORD dst_unused:UNUSED_PAD src0_sel:WORD_1 src1_sel:DWORD
	s_movk_i32 s4, 0x7f
	v_cmp_lt_i16_e32 vcc, s4, v3
	s_mov_b64 s[4:5], 0
                                        ; implicit-def: $sgpr10
	s_and_saveexec_b64 s[6:7], vcc
	s_xor_b64 s[6:7], exec, s[6:7]
	s_cbranch_execz .LBB2_9333
; %bb.45173:
	s_getpc_b64 s[14:15]
.Lpost_getpc26170:
	s_add_u32 s14, s14, (.LBB2_23669-.Lpost_getpc26170)&4294967295
	s_addc_u32 s15, s15, (.LBB2_23669-.Lpost_getpc26170)>>32
	s_setpc_b64 s[14:15]
.LBB2_9333:
	s_or_saveexec_b64 s[6:7], s[6:7]
	v_mov_b32_e32 v4, s10
	s_xor_b64 exec, exec, s[6:7]
	s_cbranch_execz .LBB2_9334
; %bb.45175:
	s_getpc_b64 s[14:15]
.Lpost_getpc26171:
	s_add_u32 s14, s14, (.LBB2_23672-.Lpost_getpc26171)&4294967295
	s_addc_u32 s15, s15, (.LBB2_23672-.Lpost_getpc26171)>>32
	s_setpc_b64 s[14:15]
.LBB2_9334:
	s_or_b64 exec, exec, s[6:7]
	s_and_saveexec_b64 s[6:7], s[4:5]
	s_cbranch_execz .LBB2_9336
.LBB2_9335:
	v_bfe_u32 v3, v5, 16, 3
	v_ffbh_u32_e32 v7, v3
	v_min_u32_e32 v7, 32, v7
	v_lshrrev_b32_e32 v4, 19, v5
	v_subrev_u32_e32 v8, 28, v7
	v_and_b32_e32 v4, 15, v4
	v_lshlrev_b32_sdwa v8, v8, v5 dst_sel:DWORD dst_unused:UNUSED_PAD src0_sel:DWORD src1_sel:WORD_1
	v_bfe_u32 v6, v5, 19, 4
	v_sub_u32_e32 v7, 29, v7
	v_and_b32_e32 v8, 7, v8
	v_cmp_eq_u16_e32 vcc, 0, v4
	v_cndmask_b32_e32 v3, v3, v8, vcc
	v_cndmask_b32_e32 v4, v6, v7, vcc
	v_lshlrev_b32_e32 v6, 8, v5
	v_mov_b32_e32 v7, 0x3b800000
	v_lshlrev_b32_e32 v3, 20, v3
	v_and_b32_e32 v6, 0x80000000, v6
	v_lshl_add_u32 v4, v4, 23, v7
	v_or3_b32 v4, v6, v4, v3
.LBB2_9336:
	s_or_b64 exec, exec, s[6:7]
	s_nop 0
	v_mfma_f32_16x16x4f32 a[0:3], v2, v4, a[0:3]
	s_movk_i32 s4, 0x7f
	v_cmp_gt_i16_sdwa s[6:7], v9, s4 src0_sel:BYTE_3 src1_sel:DWORD
	s_mov_b64 s[4:5], 0
                                        ; implicit-def: $sgpr10
	s_and_saveexec_b64 s[8:9], s[6:7]
	s_xor_b64 s[6:7], exec, s[8:9]
	s_cbranch_execz .LBB2_9337
; %bb.45177:
	s_getpc_b64 s[14:15]
.Lpost_getpc26172:
	s_add_u32 s14, s14, (.LBB2_23673-.Lpost_getpc26172)&4294967295
	s_addc_u32 s15, s15, (.LBB2_23673-.Lpost_getpc26172)>>32
	s_setpc_b64 s[14:15]
.LBB2_9337:
	s_or_saveexec_b64 s[6:7], s[6:7]
	v_mov_b32_e32 v2, s10
	s_xor_b64 exec, exec, s[6:7]
	s_cbranch_execz .LBB2_9338
; %bb.45179:
	s_getpc_b64 s[14:15]
.Lpost_getpc26173:
	s_add_u32 s14, s14, (.LBB2_23676-.Lpost_getpc26173)&4294967295
	s_addc_u32 s15, s15, (.LBB2_23676-.Lpost_getpc26173)>>32
	s_setpc_b64 s[14:15]
.LBB2_9338:
	s_or_b64 exec, exec, s[6:7]
	s_and_saveexec_b64 s[6:7], s[4:5]
	s_cbranch_execz .LBB2_9340
.LBB2_9339:
	v_bfe_u32 v2, v9, 24, 3
	v_ffbh_u32_e32 v7, v2
	v_min_u32_e32 v7, 32, v7
	v_lshrrev_b32_e32 v4, 27, v9
	v_subrev_u32_e32 v8, 28, v7
	v_and_b32_e32 v4, 15, v4
	v_lshlrev_b32_sdwa v8, v8, v9 dst_sel:DWORD dst_unused:UNUSED_PAD src0_sel:DWORD src1_sel:BYTE_3
	v_bfe_u32 v6, v9, 27, 4
	v_sub_u32_e32 v7, 29, v7
	v_and_b32_e32 v8, 7, v8
	v_cmp_eq_u16_e32 vcc, 0, v4
	v_cndmask_b32_e32 v2, v2, v8, vcc
	v_cndmask_b32_e32 v4, v6, v7, vcc
	v_mov_b32_e32 v6, 0x3b800000
	v_and_b32_e32 v3, 0x80000000, v9
	v_lshlrev_b32_e32 v2, 20, v2
	v_lshl_add_u32 v4, v4, 23, v6
	v_or3_b32 v2, v3, v4, v2
.LBB2_9340:
	s_or_b64 exec, exec, s[6:7]
	s_movk_i32 s4, 0x7f
	v_cmp_gt_i16_sdwa s[6:7], v5, s4 src0_sel:BYTE_3 src1_sel:DWORD
	s_mov_b64 s[4:5], 0
                                        ; implicit-def: $sgpr10
	s_and_saveexec_b64 s[8:9], s[6:7]
	s_xor_b64 s[6:7], exec, s[8:9]
	s_cbranch_execz .LBB2_9341
; %bb.45181:
	s_getpc_b64 s[14:15]
.Lpost_getpc26174:
	s_add_u32 s14, s14, (.LBB2_23677-.Lpost_getpc26174)&4294967295
	s_addc_u32 s15, s15, (.LBB2_23677-.Lpost_getpc26174)>>32
	s_setpc_b64 s[14:15]
.LBB2_9341:
	s_or_saveexec_b64 s[6:7], s[6:7]
	v_mov_b32_e32 v3, s10
	s_xor_b64 exec, exec, s[6:7]
	s_cbranch_execz .LBB2_9342
; %bb.45183:
	s_getpc_b64 s[14:15]
.Lpost_getpc26175:
	s_add_u32 s14, s14, (.LBB2_23680-.Lpost_getpc26175)&4294967295
	s_addc_u32 s15, s15, (.LBB2_23680-.Lpost_getpc26175)>>32
	s_setpc_b64 s[14:15]
.LBB2_9342:
	s_or_b64 exec, exec, s[6:7]
	s_and_saveexec_b64 s[6:7], s[4:5]
	s_cbranch_execz .LBB2_9344
.LBB2_9343:
	v_bfe_u32 v3, v5, 24, 3
	v_ffbh_u32_e32 v8, v3
	v_min_u32_e32 v8, 32, v8
	v_lshrrev_b32_e32 v6, 27, v5
	v_subrev_u32_e32 v9, 28, v8
	v_and_b32_e32 v4, 0x80000000, v5
	v_and_b32_e32 v6, 15, v6
	v_bfe_u32 v7, v5, 27, 4
	v_lshlrev_b32_sdwa v5, v9, v5 dst_sel:DWORD dst_unused:UNUSED_PAD src0_sel:DWORD src1_sel:BYTE_3
	v_sub_u32_e32 v8, 29, v8
	v_and_b32_e32 v5, 7, v5
	v_cmp_eq_u16_e32 vcc, 0, v6
	v_cndmask_b32_e32 v3, v3, v5, vcc
	v_cndmask_b32_e32 v5, v7, v8, vcc
	v_mov_b32_e32 v6, 0x3b800000
	v_lshlrev_b32_e32 v3, 20, v3
	v_lshl_add_u32 v5, v5, 23, v6
	v_or3_b32 v3, v4, v5, v3
.LBB2_9344:
	s_or_b64 exec, exec, s[6:7]
	s_nop 0
	v_mfma_f32_16x16x4f32 a[0:3], v2, v3, a[0:3]
	s_movk_i32 s4, 0x7f
                                        ; implicit-def: $sgpr10
	s_nop 7
	s_nop 1
	flat_store_dwordx4 v[10:11], a[0:3] offset:256
	flat_load_dwordx4 v[12:15], v[0:1]
	s_nop 0
	flat_load_dwordx2 v[10:11], v[0:1] offset:16
	s_waitcnt vmcnt(0) lgkmcnt(0)
	flat_load_dwordx4 v[6:9], v[12:13] offset:144
	flat_load_dwordx4 v[2:5], v[14:15] offset:144
	s_waitcnt vmcnt(0) lgkmcnt(0)
	v_cmp_gt_i16_sdwa s[6:7], v6, s4 src0_sel:BYTE_0 src1_sel:DWORD
	s_mov_b64 s[4:5], 0
	s_and_saveexec_b64 s[8:9], s[6:7]
	s_xor_b64 s[6:7], exec, s[8:9]
	s_cbranch_execz .LBB2_9345
; %bb.45185:
	s_getpc_b64 s[14:15]
.Lpost_getpc26176:
	s_add_u32 s14, s14, (.LBB2_23681-.Lpost_getpc26176)&4294967295
	s_addc_u32 s15, s15, (.LBB2_23681-.Lpost_getpc26176)>>32
	s_setpc_b64 s[14:15]
.LBB2_9345:
	s_or_saveexec_b64 s[6:7], s[6:7]
	v_mov_b32_e32 v12, s10
	s_xor_b64 exec, exec, s[6:7]
	s_cbranch_execz .LBB2_9346
; %bb.45187:
	s_getpc_b64 s[14:15]
.Lpost_getpc26177:
	s_add_u32 s14, s14, (.LBB2_23684-.Lpost_getpc26177)&4294967295
	s_addc_u32 s15, s15, (.LBB2_23684-.Lpost_getpc26177)>>32
	s_setpc_b64 s[14:15]
.LBB2_9346:
	s_or_b64 exec, exec, s[6:7]
	s_and_saveexec_b64 s[6:7], s[4:5]
	s_cbranch_execz .LBB2_9348
.LBB2_9347:
	v_and_b32_e32 v12, 7, v6
	v_ffbh_u32_e32 v14, v12
	v_min_u32_e32 v14, 32, v14
	v_lshrrev_b16_e32 v13, 3, v6
	v_subrev_u32_e32 v15, 28, v14
	v_and_b32_e32 v13, 15, v13
	v_lshlrev_b32_e32 v15, v15, v6
	v_sub_u32_e32 v14, 29, v14
	v_and_b32_e32 v15, 7, v15
	v_cmp_eq_u16_e32 vcc, 0, v13
	v_cndmask_b32_e32 v12, v12, v15, vcc
	v_cndmask_b32_e32 v13, v13, v14, vcc
	v_lshlrev_b32_e32 v14, 24, v6
	v_mov_b32_e32 v15, 0x3b800000
	v_lshlrev_b32_e32 v12, 20, v12
	v_and_b32_e32 v14, 0x80000000, v14
	v_lshl_add_u32 v13, v13, 23, v15
	v_or3_b32 v12, v14, v13, v12
.LBB2_9348:
	s_or_b64 exec, exec, s[6:7]
	s_movk_i32 s4, 0x7f
	v_cmp_gt_i16_sdwa s[6:7], v2, s4 src0_sel:BYTE_0 src1_sel:DWORD
	s_mov_b64 s[4:5], 0
                                        ; implicit-def: $sgpr10
	s_and_saveexec_b64 s[8:9], s[6:7]
	s_xor_b64 s[6:7], exec, s[8:9]
	s_cbranch_execz .LBB2_9349
; %bb.45189:
	s_getpc_b64 s[14:15]
.Lpost_getpc26178:
	s_add_u32 s14, s14, (.LBB2_23685-.Lpost_getpc26178)&4294967295
	s_addc_u32 s15, s15, (.LBB2_23685-.Lpost_getpc26178)>>32
	s_setpc_b64 s[14:15]
.LBB2_9349:
	s_or_saveexec_b64 s[6:7], s[6:7]
	v_mov_b32_e32 v13, s10
	s_xor_b64 exec, exec, s[6:7]
	s_cbranch_execz .LBB2_9350
; %bb.45191:
	s_getpc_b64 s[14:15]
.Lpost_getpc26179:
	s_add_u32 s14, s14, (.LBB2_23688-.Lpost_getpc26179)&4294967295
	s_addc_u32 s15, s15, (.LBB2_23688-.Lpost_getpc26179)>>32
	s_setpc_b64 s[14:15]
.LBB2_9350:
	s_or_b64 exec, exec, s[6:7]
	s_and_saveexec_b64 s[6:7], s[4:5]
	s_cbranch_execz .LBB2_9352
.LBB2_9351:
	v_and_b32_e32 v13, 7, v2
	v_ffbh_u32_e32 v15, v13
	v_min_u32_e32 v15, 32, v15
	v_lshrrev_b16_e32 v14, 3, v2
	v_subrev_u32_e32 v16, 28, v15
	v_and_b32_e32 v14, 15, v14
	v_lshlrev_b32_e32 v16, v16, v2
	v_sub_u32_e32 v15, 29, v15
	v_and_b32_e32 v16, 7, v16
	v_cmp_eq_u16_e32 vcc, 0, v14
	v_cndmask_b32_e32 v13, v13, v16, vcc
	v_cndmask_b32_e32 v14, v14, v15, vcc
	v_lshlrev_b32_e32 v15, 24, v2
	v_mov_b32_e32 v16, 0x3b800000
	v_lshlrev_b32_e32 v13, 20, v13
	v_and_b32_e32 v15, 0x80000000, v15
	v_lshl_add_u32 v14, v14, 23, v16
	v_or3_b32 v13, v15, v14, v13
.LBB2_9352:
	s_or_b64 exec, exec, s[6:7]
	flat_load_dwordx4 a[0:3], v[10:11] offset:272
	s_movk_i32 s4, 0x7f
                                        ; implicit-def: $sgpr10
	s_waitcnt vmcnt(0) lgkmcnt(0)
	v_mfma_f32_16x16x4f32 a[0:3], v12, v13, a[0:3]
	v_lshrrev_b32_e32 v13, 8, v6
	v_cmp_gt_i16_sdwa s[6:7], v13, s4 src0_sel:BYTE_0 src1_sel:DWORD
	s_mov_b64 s[4:5], 0
	s_and_saveexec_b64 s[8:9], s[6:7]
	s_xor_b64 s[6:7], exec, s[8:9]
	s_cbranch_execz .LBB2_9353
; %bb.45193:
	s_getpc_b64 s[14:15]
.Lpost_getpc26180:
	s_add_u32 s14, s14, (.LBB2_23689-.Lpost_getpc26180)&4294967295
	s_addc_u32 s15, s15, (.LBB2_23689-.Lpost_getpc26180)>>32
	s_setpc_b64 s[14:15]
.LBB2_9353:
	s_or_saveexec_b64 s[6:7], s[6:7]
	v_mov_b32_e32 v12, s10
	s_xor_b64 exec, exec, s[6:7]
	s_cbranch_execz .LBB2_9354
; %bb.45195:
	s_getpc_b64 s[14:15]
.Lpost_getpc26181:
	s_add_u32 s14, s14, (.LBB2_23692-.Lpost_getpc26181)&4294967295
	s_addc_u32 s15, s15, (.LBB2_23692-.Lpost_getpc26181)>>32
	s_setpc_b64 s[14:15]
.LBB2_9354:
	s_or_b64 exec, exec, s[6:7]
	s_and_saveexec_b64 s[6:7], s[4:5]
	s_cbranch_execz .LBB2_9356
.LBB2_9355:
	v_bfe_u32 v12, v6, 8, 3
	v_ffbh_u32_e32 v15, v12
	v_min_u32_e32 v15, 32, v15
	v_lshrrev_b16_e32 v14, 3, v13
	v_subrev_u32_e32 v16, 28, v15
	v_and_b32_e32 v14, 15, v14
	v_lshlrev_b32_e32 v13, v16, v13
	v_sub_u32_e32 v15, 29, v15
	v_and_b32_e32 v13, 7, v13
	v_cmp_eq_u16_e32 vcc, 0, v14
	v_cndmask_b32_e32 v12, v12, v13, vcc
	v_cndmask_b32_e32 v13, v14, v15, vcc
	v_lshlrev_b32_e32 v14, 16, v6
	v_mov_b32_e32 v15, 0x3b800000
	v_lshlrev_b32_e32 v12, 20, v12
	v_and_b32_e32 v14, 0x80000000, v14
	v_lshl_add_u32 v13, v13, 23, v15
	v_or3_b32 v12, v14, v13, v12
.LBB2_9356:
	s_or_b64 exec, exec, s[6:7]
	v_lshrrev_b32_e32 v13, 8, v2
	s_movk_i32 s4, 0x7f
	v_cmp_gt_i16_sdwa s[6:7], v13, s4 src0_sel:BYTE_0 src1_sel:DWORD
	s_mov_b64 s[4:5], 0
                                        ; implicit-def: $sgpr10
	s_and_saveexec_b64 s[8:9], s[6:7]
	s_xor_b64 s[6:7], exec, s[8:9]
	s_cbranch_execz .LBB2_9357
; %bb.45197:
	s_getpc_b64 s[14:15]
.Lpost_getpc26182:
	s_add_u32 s14, s14, (.LBB2_23693-.Lpost_getpc26182)&4294967295
	s_addc_u32 s15, s15, (.LBB2_23693-.Lpost_getpc26182)>>32
	s_setpc_b64 s[14:15]
.LBB2_9357:
	s_or_saveexec_b64 s[6:7], s[6:7]
	v_mov_b32_e32 v14, s10
	s_xor_b64 exec, exec, s[6:7]
	s_cbranch_execz .LBB2_9358
; %bb.45199:
	s_getpc_b64 s[14:15]
.Lpost_getpc26183:
	s_add_u32 s14, s14, (.LBB2_23696-.Lpost_getpc26183)&4294967295
	s_addc_u32 s15, s15, (.LBB2_23696-.Lpost_getpc26183)>>32
	s_setpc_b64 s[14:15]
.LBB2_9358:
	s_or_b64 exec, exec, s[6:7]
	s_and_saveexec_b64 s[6:7], s[4:5]
	s_cbranch_execz .LBB2_9360
.LBB2_9359:
	v_bfe_u32 v14, v2, 8, 3
	v_ffbh_u32_e32 v16, v14
	v_min_u32_e32 v16, 32, v16
	v_lshrrev_b16_e32 v15, 3, v13
	v_subrev_u32_e32 v17, 28, v16
	v_and_b32_e32 v15, 15, v15
	v_lshlrev_b32_e32 v13, v17, v13
	v_sub_u32_e32 v16, 29, v16
	v_and_b32_e32 v13, 7, v13
	v_cmp_eq_u16_e32 vcc, 0, v15
	v_cndmask_b32_e32 v13, v14, v13, vcc
	v_cndmask_b32_e32 v14, v15, v16, vcc
	v_lshlrev_b32_e32 v15, 16, v2
	v_mov_b32_e32 v16, 0x3b800000
	v_lshlrev_b32_e32 v13, 20, v13
	v_and_b32_e32 v15, 0x80000000, v15
	v_lshl_add_u32 v14, v14, 23, v16
	v_or3_b32 v14, v15, v14, v13
.LBB2_9360:
	s_or_b64 exec, exec, s[6:7]
	s_nop 0
	v_mfma_f32_16x16x4f32 a[0:3], v12, v14, a[0:3]
	s_movk_i32 s4, 0xff
	v_and_b32_sdwa v13, v6, s4 dst_sel:DWORD dst_unused:UNUSED_PAD src0_sel:WORD_1 src1_sel:DWORD
	s_movk_i32 s4, 0x7f
	v_cmp_lt_i16_e32 vcc, s4, v13
	s_mov_b64 s[4:5], 0
                                        ; implicit-def: $sgpr10
	s_and_saveexec_b64 s[6:7], vcc
	s_xor_b64 s[6:7], exec, s[6:7]
	s_cbranch_execz .LBB2_9361
; %bb.45201:
	s_getpc_b64 s[14:15]
.Lpost_getpc26184:
	s_add_u32 s14, s14, (.LBB2_23697-.Lpost_getpc26184)&4294967295
	s_addc_u32 s15, s15, (.LBB2_23697-.Lpost_getpc26184)>>32
	s_setpc_b64 s[14:15]
.LBB2_9361:
	s_or_saveexec_b64 s[6:7], s[6:7]
	v_mov_b32_e32 v12, s10
	s_xor_b64 exec, exec, s[6:7]
	s_cbranch_execz .LBB2_9362
; %bb.45203:
	s_getpc_b64 s[14:15]
.Lpost_getpc26185:
	s_add_u32 s14, s14, (.LBB2_23700-.Lpost_getpc26185)&4294967295
	s_addc_u32 s15, s15, (.LBB2_23700-.Lpost_getpc26185)>>32
	s_setpc_b64 s[14:15]
.LBB2_9362:
	s_or_b64 exec, exec, s[6:7]
	s_and_saveexec_b64 s[6:7], s[4:5]
	s_cbranch_execz .LBB2_9364
.LBB2_9363:
	v_bfe_u32 v12, v6, 16, 3
	v_ffbh_u32_e32 v15, v12
	v_min_u32_e32 v15, 32, v15
	v_lshrrev_b32_e32 v13, 19, v6
	v_subrev_u32_e32 v16, 28, v15
	v_and_b32_e32 v13, 15, v13
	v_lshlrev_b32_sdwa v16, v16, v6 dst_sel:DWORD dst_unused:UNUSED_PAD src0_sel:DWORD src1_sel:WORD_1
	v_bfe_u32 v14, v6, 19, 4
	v_sub_u32_e32 v15, 29, v15
	v_and_b32_e32 v16, 7, v16
	v_cmp_eq_u16_e32 vcc, 0, v13
	v_cndmask_b32_e32 v12, v12, v16, vcc
	v_cndmask_b32_e32 v13, v14, v15, vcc
	v_lshlrev_b32_e32 v14, 8, v6
	v_mov_b32_e32 v15, 0x3b800000
	v_lshlrev_b32_e32 v12, 20, v12
	v_and_b32_e32 v14, 0x80000000, v14
	v_lshl_add_u32 v13, v13, 23, v15
	v_or3_b32 v12, v14, v13, v12
.LBB2_9364:
	s_or_b64 exec, exec, s[6:7]
	s_movk_i32 s4, 0xff
	v_and_b32_sdwa v13, v2, s4 dst_sel:DWORD dst_unused:UNUSED_PAD src0_sel:WORD_1 src1_sel:DWORD
	s_movk_i32 s4, 0x7f
	v_cmp_lt_i16_e32 vcc, s4, v13
	s_mov_b64 s[4:5], 0
                                        ; implicit-def: $sgpr10
	s_and_saveexec_b64 s[6:7], vcc
	s_xor_b64 s[6:7], exec, s[6:7]
	s_cbranch_execz .LBB2_9365
; %bb.45205:
	s_getpc_b64 s[14:15]
.Lpost_getpc26186:
	s_add_u32 s14, s14, (.LBB2_23701-.Lpost_getpc26186)&4294967295
	s_addc_u32 s15, s15, (.LBB2_23701-.Lpost_getpc26186)>>32
	s_setpc_b64 s[14:15]
.LBB2_9365:
	s_or_saveexec_b64 s[6:7], s[6:7]
	v_mov_b32_e32 v14, s10
	s_xor_b64 exec, exec, s[6:7]
	s_cbranch_execz .LBB2_9366
; %bb.45207:
	s_getpc_b64 s[14:15]
.Lpost_getpc26187:
	s_add_u32 s14, s14, (.LBB2_23704-.Lpost_getpc26187)&4294967295
	s_addc_u32 s15, s15, (.LBB2_23704-.Lpost_getpc26187)>>32
	s_setpc_b64 s[14:15]
.LBB2_9366:
	s_or_b64 exec, exec, s[6:7]
	s_and_saveexec_b64 s[6:7], s[4:5]
	s_cbranch_execz .LBB2_9368
.LBB2_9367:
	v_bfe_u32 v13, v2, 16, 3
	v_ffbh_u32_e32 v16, v13
	v_min_u32_e32 v16, 32, v16
	v_lshrrev_b32_e32 v14, 19, v2
	v_subrev_u32_e32 v17, 28, v16
	v_and_b32_e32 v14, 15, v14
	v_lshlrev_b32_sdwa v17, v17, v2 dst_sel:DWORD dst_unused:UNUSED_PAD src0_sel:DWORD src1_sel:WORD_1
	v_bfe_u32 v15, v2, 19, 4
	v_sub_u32_e32 v16, 29, v16
	v_and_b32_e32 v17, 7, v17
	v_cmp_eq_u16_e32 vcc, 0, v14
	v_cndmask_b32_e32 v13, v13, v17, vcc
	v_cndmask_b32_e32 v14, v15, v16, vcc
	v_lshlrev_b32_e32 v15, 8, v2
	v_mov_b32_e32 v16, 0x3b800000
	v_lshlrev_b32_e32 v13, 20, v13
	v_and_b32_e32 v15, 0x80000000, v15
	v_lshl_add_u32 v14, v14, 23, v16
	v_or3_b32 v14, v15, v14, v13
.LBB2_9368:
	s_or_b64 exec, exec, s[6:7]
	s_nop 0
	v_mfma_f32_16x16x4f32 a[0:3], v12, v14, a[0:3]
	s_movk_i32 s4, 0x7f
	v_cmp_gt_i16_sdwa s[6:7], v6, s4 src0_sel:BYTE_3 src1_sel:DWORD
	s_mov_b64 s[4:5], 0
                                        ; implicit-def: $sgpr10
	s_and_saveexec_b64 s[8:9], s[6:7]
	s_xor_b64 s[6:7], exec, s[8:9]
	s_cbranch_execz .LBB2_9369
; %bb.45209:
	s_getpc_b64 s[14:15]
.Lpost_getpc26188:
	s_add_u32 s14, s14, (.LBB2_23705-.Lpost_getpc26188)&4294967295
	s_addc_u32 s15, s15, (.LBB2_23705-.Lpost_getpc26188)>>32
	s_setpc_b64 s[14:15]
.LBB2_9369:
	s_or_saveexec_b64 s[6:7], s[6:7]
	v_mov_b32_e32 v12, s10
	s_xor_b64 exec, exec, s[6:7]
	s_cbranch_execz .LBB2_9370
; %bb.45211:
	s_getpc_b64 s[14:15]
.Lpost_getpc26189:
	s_add_u32 s14, s14, (.LBB2_23708-.Lpost_getpc26189)&4294967295
	s_addc_u32 s15, s15, (.LBB2_23708-.Lpost_getpc26189)>>32
	s_setpc_b64 s[14:15]
.LBB2_9370:
	s_or_b64 exec, exec, s[6:7]
	s_and_saveexec_b64 s[6:7], s[4:5]
	s_cbranch_execz .LBB2_9372
.LBB2_9371:
	v_bfe_u32 v12, v6, 24, 3
	v_ffbh_u32_e32 v16, v12
	v_min_u32_e32 v16, 32, v16
	v_lshrrev_b32_e32 v14, 27, v6
	v_subrev_u32_e32 v17, 28, v16
	v_and_b32_e32 v13, 0x80000000, v6
	v_and_b32_e32 v14, 15, v14
	v_bfe_u32 v15, v6, 27, 4
	v_lshlrev_b32_sdwa v6, v17, v6 dst_sel:DWORD dst_unused:UNUSED_PAD src0_sel:DWORD src1_sel:BYTE_3
	v_sub_u32_e32 v16, 29, v16
	v_and_b32_e32 v6, 7, v6
	v_cmp_eq_u16_e32 vcc, 0, v14
	v_cndmask_b32_e32 v6, v12, v6, vcc
	v_cndmask_b32_e32 v12, v15, v16, vcc
	v_mov_b32_e32 v14, 0x3b800000
	v_lshlrev_b32_e32 v6, 20, v6
	v_lshl_add_u32 v12, v12, 23, v14
	v_or3_b32 v12, v13, v12, v6
.LBB2_9372:
	s_or_b64 exec, exec, s[6:7]
	s_movk_i32 s4, 0x7f
	v_cmp_gt_i16_sdwa s[6:7], v2, s4 src0_sel:BYTE_3 src1_sel:DWORD
	s_mov_b64 s[4:5], 0
                                        ; implicit-def: $sgpr10
	s_and_saveexec_b64 s[8:9], s[6:7]
	s_xor_b64 s[6:7], exec, s[8:9]
	s_cbranch_execz .LBB2_9373
; %bb.45213:
	s_getpc_b64 s[14:15]
.Lpost_getpc26190:
	s_add_u32 s14, s14, (.LBB2_23709-.Lpost_getpc26190)&4294967295
	s_addc_u32 s15, s15, (.LBB2_23709-.Lpost_getpc26190)>>32
	s_setpc_b64 s[14:15]
.LBB2_9373:
	s_or_saveexec_b64 s[6:7], s[6:7]
	v_mov_b32_e32 v6, s10
	s_xor_b64 exec, exec, s[6:7]
	s_cbranch_execz .LBB2_9374
; %bb.45215:
	s_getpc_b64 s[14:15]
.Lpost_getpc26191:
	s_add_u32 s14, s14, (.LBB2_23712-.Lpost_getpc26191)&4294967295
	s_addc_u32 s15, s15, (.LBB2_23712-.Lpost_getpc26191)>>32
	s_setpc_b64 s[14:15]
.LBB2_9374:
	s_or_b64 exec, exec, s[6:7]
	s_and_saveexec_b64 s[6:7], s[4:5]
	s_cbranch_execz .LBB2_9376
.LBB2_9375:
	v_bfe_u32 v6, v2, 24, 3
	v_ffbh_u32_e32 v16, v6
	v_min_u32_e32 v16, 32, v16
	v_lshrrev_b32_e32 v14, 27, v2
	v_subrev_u32_e32 v17, 28, v16
	v_and_b32_e32 v13, 0x80000000, v2
	v_and_b32_e32 v14, 15, v14
	v_bfe_u32 v15, v2, 27, 4
	v_lshlrev_b32_sdwa v2, v17, v2 dst_sel:DWORD dst_unused:UNUSED_PAD src0_sel:DWORD src1_sel:BYTE_3
	v_sub_u32_e32 v16, 29, v16
	v_and_b32_e32 v2, 7, v2
	v_cmp_eq_u16_e32 vcc, 0, v14
	v_cndmask_b32_e32 v2, v6, v2, vcc
	v_cndmask_b32_e32 v6, v15, v16, vcc
	v_mov_b32_e32 v14, 0x3b800000
	v_lshlrev_b32_e32 v2, 20, v2
	v_lshl_add_u32 v6, v6, 23, v14
	v_or3_b32 v6, v13, v6, v2
.LBB2_9376:
	s_or_b64 exec, exec, s[6:7]
	s_nop 0
	v_mfma_f32_16x16x4f32 a[0:3], v12, v6, a[0:3]
	s_movk_i32 s4, 0x7f
	v_cmp_gt_i16_sdwa s[6:7], v7, s4 src0_sel:BYTE_0 src1_sel:DWORD
	s_mov_b64 s[4:5], 0
                                        ; implicit-def: $sgpr10
	s_and_saveexec_b64 s[8:9], s[6:7]
	s_xor_b64 s[6:7], exec, s[8:9]
	s_cbranch_execz .LBB2_9377
; %bb.45217:
	s_getpc_b64 s[14:15]
.Lpost_getpc26192:
	s_add_u32 s14, s14, (.LBB2_23713-.Lpost_getpc26192)&4294967295
	s_addc_u32 s15, s15, (.LBB2_23713-.Lpost_getpc26192)>>32
	s_setpc_b64 s[14:15]
.LBB2_9377:
	s_or_saveexec_b64 s[6:7], s[6:7]
	v_mov_b32_e32 v2, s10
	s_xor_b64 exec, exec, s[6:7]
	s_cbranch_execz .LBB2_9378
; %bb.45219:
	s_getpc_b64 s[14:15]
.Lpost_getpc26193:
	s_add_u32 s14, s14, (.LBB2_23716-.Lpost_getpc26193)&4294967295
	s_addc_u32 s15, s15, (.LBB2_23716-.Lpost_getpc26193)>>32
	s_setpc_b64 s[14:15]
.LBB2_9378:
	s_or_b64 exec, exec, s[6:7]
	s_and_saveexec_b64 s[6:7], s[4:5]
	s_cbranch_execz .LBB2_9380
.LBB2_9379:
	v_and_b32_e32 v2, 7, v7
	v_ffbh_u32_e32 v12, v2
	v_min_u32_e32 v12, 32, v12
	v_lshrrev_b16_e32 v6, 3, v7
	v_subrev_u32_e32 v13, 28, v12
	v_and_b32_e32 v6, 15, v6
	v_lshlrev_b32_e32 v13, v13, v7
	v_sub_u32_e32 v12, 29, v12
	v_and_b32_e32 v13, 7, v13
	v_cmp_eq_u16_e32 vcc, 0, v6
	v_cndmask_b32_e32 v2, v2, v13, vcc
	v_cndmask_b32_e32 v6, v6, v12, vcc
	v_lshlrev_b32_e32 v12, 24, v7
	v_mov_b32_e32 v13, 0x3b800000
	v_lshlrev_b32_e32 v2, 20, v2
	v_and_b32_e32 v12, 0x80000000, v12
	v_lshl_add_u32 v6, v6, 23, v13
	v_or3_b32 v2, v12, v6, v2
.LBB2_9380:
	s_or_b64 exec, exec, s[6:7]
	s_movk_i32 s4, 0x7f
	v_cmp_gt_i16_sdwa s[6:7], v3, s4 src0_sel:BYTE_0 src1_sel:DWORD
	s_mov_b64 s[4:5], 0
                                        ; implicit-def: $sgpr10
	s_and_saveexec_b64 s[8:9], s[6:7]
	s_xor_b64 s[6:7], exec, s[8:9]
	s_cbranch_execz .LBB2_9381
; %bb.45221:
	s_getpc_b64 s[14:15]
.Lpost_getpc26194:
	s_add_u32 s14, s14, (.LBB2_23717-.Lpost_getpc26194)&4294967295
	s_addc_u32 s15, s15, (.LBB2_23717-.Lpost_getpc26194)>>32
	s_setpc_b64 s[14:15]
.LBB2_9381:
	s_or_saveexec_b64 s[6:7], s[6:7]
	v_mov_b32_e32 v6, s10
	s_xor_b64 exec, exec, s[6:7]
	s_cbranch_execz .LBB2_9382
; %bb.45223:
	s_getpc_b64 s[14:15]
.Lpost_getpc26195:
	s_add_u32 s14, s14, (.LBB2_23720-.Lpost_getpc26195)&4294967295
	s_addc_u32 s15, s15, (.LBB2_23720-.Lpost_getpc26195)>>32
	s_setpc_b64 s[14:15]
.LBB2_9382:
	s_or_b64 exec, exec, s[6:7]
	s_and_saveexec_b64 s[6:7], s[4:5]
	s_cbranch_execz .LBB2_9384
.LBB2_9383:
	v_and_b32_e32 v6, 7, v3
	v_ffbh_u32_e32 v13, v6
	v_min_u32_e32 v13, 32, v13
	v_lshrrev_b16_e32 v12, 3, v3
	v_subrev_u32_e32 v14, 28, v13
	v_and_b32_e32 v12, 15, v12
	v_lshlrev_b32_e32 v14, v14, v3
	v_sub_u32_e32 v13, 29, v13
	v_and_b32_e32 v14, 7, v14
	v_cmp_eq_u16_e32 vcc, 0, v12
	v_cndmask_b32_e32 v6, v6, v14, vcc
	v_cndmask_b32_e32 v12, v12, v13, vcc
	v_lshlrev_b32_e32 v13, 24, v3
	v_mov_b32_e32 v14, 0x3b800000
	v_lshlrev_b32_e32 v6, 20, v6
	v_and_b32_e32 v13, 0x80000000, v13
	v_lshl_add_u32 v12, v12, 23, v14
	v_or3_b32 v6, v13, v12, v6
.LBB2_9384:
	s_or_b64 exec, exec, s[6:7]
	s_nop 0
	v_mfma_f32_16x16x4f32 a[0:3], v2, v6, a[0:3]
	v_lshrrev_b32_e32 v6, 8, v7
	s_movk_i32 s4, 0x7f
	v_cmp_gt_i16_sdwa s[6:7], v6, s4 src0_sel:BYTE_0 src1_sel:DWORD
	s_mov_b64 s[4:5], 0
                                        ; implicit-def: $sgpr10
	s_and_saveexec_b64 s[8:9], s[6:7]
	s_xor_b64 s[6:7], exec, s[8:9]
	s_cbranch_execz .LBB2_9385
; %bb.45225:
	s_getpc_b64 s[14:15]
.Lpost_getpc26196:
	s_add_u32 s14, s14, (.LBB2_23721-.Lpost_getpc26196)&4294967295
	s_addc_u32 s15, s15, (.LBB2_23721-.Lpost_getpc26196)>>32
	s_setpc_b64 s[14:15]
.LBB2_9385:
	s_or_saveexec_b64 s[6:7], s[6:7]
	v_mov_b32_e32 v2, s10
	s_xor_b64 exec, exec, s[6:7]
	s_cbranch_execz .LBB2_9386
; %bb.45227:
	s_getpc_b64 s[14:15]
.Lpost_getpc26197:
	s_add_u32 s14, s14, (.LBB2_23724-.Lpost_getpc26197)&4294967295
	s_addc_u32 s15, s15, (.LBB2_23724-.Lpost_getpc26197)>>32
	s_setpc_b64 s[14:15]
.LBB2_9386:
	s_or_b64 exec, exec, s[6:7]
	s_and_saveexec_b64 s[6:7], s[4:5]
	s_cbranch_execz .LBB2_9388
.LBB2_9387:
	v_bfe_u32 v2, v7, 8, 3
	v_ffbh_u32_e32 v13, v2
	v_min_u32_e32 v13, 32, v13
	v_lshrrev_b16_e32 v12, 3, v6
	v_subrev_u32_e32 v14, 28, v13
	v_and_b32_e32 v12, 15, v12
	v_lshlrev_b32_e32 v6, v14, v6
	v_sub_u32_e32 v13, 29, v13
	v_and_b32_e32 v6, 7, v6
	v_cmp_eq_u16_e32 vcc, 0, v12
	v_cndmask_b32_e32 v2, v2, v6, vcc
	v_cndmask_b32_e32 v6, v12, v13, vcc
	v_lshlrev_b32_e32 v12, 16, v7
	v_mov_b32_e32 v13, 0x3b800000
	v_lshlrev_b32_e32 v2, 20, v2
	v_and_b32_e32 v12, 0x80000000, v12
	v_lshl_add_u32 v6, v6, 23, v13
	v_or3_b32 v2, v12, v6, v2
.LBB2_9388:
	s_or_b64 exec, exec, s[6:7]
	v_lshrrev_b32_e32 v6, 8, v3
	s_movk_i32 s4, 0x7f
	v_cmp_gt_i16_sdwa s[6:7], v6, s4 src0_sel:BYTE_0 src1_sel:DWORD
	s_mov_b64 s[4:5], 0
                                        ; implicit-def: $sgpr10
	s_and_saveexec_b64 s[8:9], s[6:7]
	s_xor_b64 s[6:7], exec, s[8:9]
	s_cbranch_execz .LBB2_9389
; %bb.45229:
	s_getpc_b64 s[14:15]
.Lpost_getpc26198:
	s_add_u32 s14, s14, (.LBB2_23725-.Lpost_getpc26198)&4294967295
	s_addc_u32 s15, s15, (.LBB2_23725-.Lpost_getpc26198)>>32
	s_setpc_b64 s[14:15]
.LBB2_9389:
	s_or_saveexec_b64 s[6:7], s[6:7]
	v_mov_b32_e32 v12, s10
	s_xor_b64 exec, exec, s[6:7]
	s_cbranch_execz .LBB2_9390
; %bb.45231:
	s_getpc_b64 s[14:15]
.Lpost_getpc26199:
	s_add_u32 s14, s14, (.LBB2_23728-.Lpost_getpc26199)&4294967295
	s_addc_u32 s15, s15, (.LBB2_23728-.Lpost_getpc26199)>>32
	s_setpc_b64 s[14:15]
.LBB2_9390:
	s_or_b64 exec, exec, s[6:7]
	s_and_saveexec_b64 s[6:7], s[4:5]
	s_cbranch_execz .LBB2_9392
.LBB2_9391:
	v_bfe_u32 v12, v3, 8, 3
	v_ffbh_u32_e32 v14, v12
	v_min_u32_e32 v14, 32, v14
	v_lshrrev_b16_e32 v13, 3, v6
	v_subrev_u32_e32 v15, 28, v14
	v_and_b32_e32 v13, 15, v13
	v_lshlrev_b32_e32 v6, v15, v6
	v_sub_u32_e32 v14, 29, v14
	v_and_b32_e32 v6, 7, v6
	v_cmp_eq_u16_e32 vcc, 0, v13
	v_cndmask_b32_e32 v6, v12, v6, vcc
	v_cndmask_b32_e32 v12, v13, v14, vcc
	v_lshlrev_b32_e32 v13, 16, v3
	v_mov_b32_e32 v14, 0x3b800000
	v_lshlrev_b32_e32 v6, 20, v6
	v_and_b32_e32 v13, 0x80000000, v13
	v_lshl_add_u32 v12, v12, 23, v14
	v_or3_b32 v12, v13, v12, v6
.LBB2_9392:
	s_or_b64 exec, exec, s[6:7]
	s_nop 0
	v_mfma_f32_16x16x4f32 a[0:3], v2, v12, a[0:3]
	s_movk_i32 s4, 0xff
	v_and_b32_sdwa v6, v7, s4 dst_sel:DWORD dst_unused:UNUSED_PAD src0_sel:WORD_1 src1_sel:DWORD
	s_movk_i32 s4, 0x7f
	v_cmp_lt_i16_e32 vcc, s4, v6
	s_mov_b64 s[4:5], 0
                                        ; implicit-def: $sgpr10
	s_and_saveexec_b64 s[6:7], vcc
	s_xor_b64 s[6:7], exec, s[6:7]
	s_cbranch_execz .LBB2_9393
; %bb.45233:
	s_getpc_b64 s[14:15]
.Lpost_getpc26200:
	s_add_u32 s14, s14, (.LBB2_23729-.Lpost_getpc26200)&4294967295
	s_addc_u32 s15, s15, (.LBB2_23729-.Lpost_getpc26200)>>32
	s_setpc_b64 s[14:15]
.LBB2_9393:
	s_or_saveexec_b64 s[6:7], s[6:7]
	v_mov_b32_e32 v2, s10
	s_xor_b64 exec, exec, s[6:7]
	s_cbranch_execz .LBB2_9394
; %bb.45235:
	s_getpc_b64 s[14:15]
.Lpost_getpc26201:
	s_add_u32 s14, s14, (.LBB2_23732-.Lpost_getpc26201)&4294967295
	s_addc_u32 s15, s15, (.LBB2_23732-.Lpost_getpc26201)>>32
	s_setpc_b64 s[14:15]
.LBB2_9394:
	s_or_b64 exec, exec, s[6:7]
	s_and_saveexec_b64 s[6:7], s[4:5]
	s_cbranch_execz .LBB2_9396
.LBB2_9395:
	v_bfe_u32 v2, v7, 16, 3
	v_ffbh_u32_e32 v13, v2
	v_min_u32_e32 v13, 32, v13
	v_lshrrev_b32_e32 v6, 19, v7
	v_subrev_u32_e32 v14, 28, v13
	v_and_b32_e32 v6, 15, v6
	v_lshlrev_b32_sdwa v14, v14, v7 dst_sel:DWORD dst_unused:UNUSED_PAD src0_sel:DWORD src1_sel:WORD_1
	v_bfe_u32 v12, v7, 19, 4
	v_sub_u32_e32 v13, 29, v13
	v_and_b32_e32 v14, 7, v14
	v_cmp_eq_u16_e32 vcc, 0, v6
	v_cndmask_b32_e32 v2, v2, v14, vcc
	v_cndmask_b32_e32 v6, v12, v13, vcc
	v_lshlrev_b32_e32 v12, 8, v7
	v_mov_b32_e32 v13, 0x3b800000
	v_lshlrev_b32_e32 v2, 20, v2
	v_and_b32_e32 v12, 0x80000000, v12
	v_lshl_add_u32 v6, v6, 23, v13
	v_or3_b32 v2, v12, v6, v2
.LBB2_9396:
	s_or_b64 exec, exec, s[6:7]
	s_movk_i32 s4, 0xff
	v_and_b32_sdwa v6, v3, s4 dst_sel:DWORD dst_unused:UNUSED_PAD src0_sel:WORD_1 src1_sel:DWORD
	s_movk_i32 s4, 0x7f
	v_cmp_lt_i16_e32 vcc, s4, v6
	s_mov_b64 s[4:5], 0
                                        ; implicit-def: $sgpr10
	s_and_saveexec_b64 s[6:7], vcc
	s_xor_b64 s[6:7], exec, s[6:7]
	s_cbranch_execz .LBB2_9397
; %bb.45237:
	s_getpc_b64 s[14:15]
.Lpost_getpc26202:
	s_add_u32 s14, s14, (.LBB2_23733-.Lpost_getpc26202)&4294967295
	s_addc_u32 s15, s15, (.LBB2_23733-.Lpost_getpc26202)>>32
	s_setpc_b64 s[14:15]
.LBB2_9397:
	s_or_saveexec_b64 s[6:7], s[6:7]
	v_mov_b32_e32 v12, s10
	s_xor_b64 exec, exec, s[6:7]
	s_cbranch_execz .LBB2_9398
; %bb.45239:
	s_getpc_b64 s[14:15]
.Lpost_getpc26203:
	s_add_u32 s14, s14, (.LBB2_23736-.Lpost_getpc26203)&4294967295
	s_addc_u32 s15, s15, (.LBB2_23736-.Lpost_getpc26203)>>32
	s_setpc_b64 s[14:15]
.LBB2_9398:
	s_or_b64 exec, exec, s[6:7]
	s_and_saveexec_b64 s[6:7], s[4:5]
	s_cbranch_execz .LBB2_9400
.LBB2_9399:
	v_bfe_u32 v6, v3, 16, 3
	v_ffbh_u32_e32 v14, v6
	v_min_u32_e32 v14, 32, v14
	v_lshrrev_b32_e32 v12, 19, v3
	v_subrev_u32_e32 v15, 28, v14
	v_and_b32_e32 v12, 15, v12
	v_lshlrev_b32_sdwa v15, v15, v3 dst_sel:DWORD dst_unused:UNUSED_PAD src0_sel:DWORD src1_sel:WORD_1
	v_bfe_u32 v13, v3, 19, 4
	v_sub_u32_e32 v14, 29, v14
	v_and_b32_e32 v15, 7, v15
	v_cmp_eq_u16_e32 vcc, 0, v12
	v_cndmask_b32_e32 v6, v6, v15, vcc
	v_cndmask_b32_e32 v12, v13, v14, vcc
	v_lshlrev_b32_e32 v13, 8, v3
	v_mov_b32_e32 v14, 0x3b800000
	v_lshlrev_b32_e32 v6, 20, v6
	v_and_b32_e32 v13, 0x80000000, v13
	v_lshl_add_u32 v12, v12, 23, v14
	v_or3_b32 v12, v13, v12, v6
.LBB2_9400:
	s_or_b64 exec, exec, s[6:7]
	s_nop 0
	v_mfma_f32_16x16x4f32 a[0:3], v2, v12, a[0:3]
	s_movk_i32 s4, 0x7f
	v_cmp_gt_i16_sdwa s[6:7], v7, s4 src0_sel:BYTE_3 src1_sel:DWORD
	s_mov_b64 s[4:5], 0
                                        ; implicit-def: $sgpr10
	s_and_saveexec_b64 s[8:9], s[6:7]
	s_xor_b64 s[6:7], exec, s[8:9]
	s_cbranch_execz .LBB2_9401
; %bb.45241:
	s_getpc_b64 s[14:15]
.Lpost_getpc26204:
	s_add_u32 s14, s14, (.LBB2_23737-.Lpost_getpc26204)&4294967295
	s_addc_u32 s15, s15, (.LBB2_23737-.Lpost_getpc26204)>>32
	s_setpc_b64 s[14:15]
.LBB2_9401:
	s_or_saveexec_b64 s[6:7], s[6:7]
	v_mov_b32_e32 v2, s10
	s_xor_b64 exec, exec, s[6:7]
	s_cbranch_execz .LBB2_9402
; %bb.45243:
	s_getpc_b64 s[14:15]
.Lpost_getpc26205:
	s_add_u32 s14, s14, (.LBB2_23740-.Lpost_getpc26205)&4294967295
	s_addc_u32 s15, s15, (.LBB2_23740-.Lpost_getpc26205)>>32
	s_setpc_b64 s[14:15]
.LBB2_9402:
	s_or_b64 exec, exec, s[6:7]
	s_and_saveexec_b64 s[6:7], s[4:5]
	s_cbranch_execz .LBB2_9404
.LBB2_9403:
	v_bfe_u32 v2, v7, 24, 3
	v_ffbh_u32_e32 v14, v2
	v_min_u32_e32 v14, 32, v14
	v_lshrrev_b32_e32 v12, 27, v7
	v_subrev_u32_e32 v15, 28, v14
	v_and_b32_e32 v6, 0x80000000, v7
	v_and_b32_e32 v12, 15, v12
	v_bfe_u32 v13, v7, 27, 4
	v_lshlrev_b32_sdwa v7, v15, v7 dst_sel:DWORD dst_unused:UNUSED_PAD src0_sel:DWORD src1_sel:BYTE_3
	v_sub_u32_e32 v14, 29, v14
	v_and_b32_e32 v7, 7, v7
	v_cmp_eq_u16_e32 vcc, 0, v12
	v_cndmask_b32_e32 v2, v2, v7, vcc
	v_cndmask_b32_e32 v7, v13, v14, vcc
	v_mov_b32_e32 v12, 0x3b800000
	v_lshlrev_b32_e32 v2, 20, v2
	v_lshl_add_u32 v7, v7, 23, v12
	v_or3_b32 v2, v6, v7, v2
.LBB2_9404:
	s_or_b64 exec, exec, s[6:7]
	s_movk_i32 s4, 0x7f
	v_cmp_gt_i16_sdwa s[6:7], v3, s4 src0_sel:BYTE_3 src1_sel:DWORD
	s_mov_b64 s[4:5], 0
                                        ; implicit-def: $sgpr10
	s_and_saveexec_b64 s[8:9], s[6:7]
	s_xor_b64 s[6:7], exec, s[8:9]
	s_cbranch_execz .LBB2_9405
; %bb.45245:
	s_getpc_b64 s[14:15]
.Lpost_getpc26206:
	s_add_u32 s14, s14, (.LBB2_23741-.Lpost_getpc26206)&4294967295
	s_addc_u32 s15, s15, (.LBB2_23741-.Lpost_getpc26206)>>32
	s_setpc_b64 s[14:15]
.LBB2_9405:
	s_or_saveexec_b64 s[6:7], s[6:7]
	v_mov_b32_e32 v6, s10
	s_xor_b64 exec, exec, s[6:7]
	s_cbranch_execz .LBB2_9406
; %bb.45247:
	s_getpc_b64 s[14:15]
.Lpost_getpc26207:
	s_add_u32 s14, s14, (.LBB2_23744-.Lpost_getpc26207)&4294967295
	s_addc_u32 s15, s15, (.LBB2_23744-.Lpost_getpc26207)>>32
	s_setpc_b64 s[14:15]
.LBB2_9406:
	s_or_b64 exec, exec, s[6:7]
	s_and_saveexec_b64 s[6:7], s[4:5]
	s_cbranch_execz .LBB2_9408
.LBB2_9407:
	v_bfe_u32 v6, v3, 24, 3
	v_ffbh_u32_e32 v14, v6
	v_min_u32_e32 v14, 32, v14
	v_lshrrev_b32_e32 v12, 27, v3
	v_subrev_u32_e32 v15, 28, v14
	v_and_b32_e32 v7, 0x80000000, v3
	v_and_b32_e32 v12, 15, v12
	v_bfe_u32 v13, v3, 27, 4
	v_lshlrev_b32_sdwa v3, v15, v3 dst_sel:DWORD dst_unused:UNUSED_PAD src0_sel:DWORD src1_sel:BYTE_3
	v_sub_u32_e32 v14, 29, v14
	v_and_b32_e32 v3, 7, v3
	v_cmp_eq_u16_e32 vcc, 0, v12
	v_cndmask_b32_e32 v3, v6, v3, vcc
	v_cndmask_b32_e32 v6, v13, v14, vcc
	v_mov_b32_e32 v12, 0x3b800000
	v_lshlrev_b32_e32 v3, 20, v3
	v_lshl_add_u32 v6, v6, 23, v12
	v_or3_b32 v6, v7, v6, v3
.LBB2_9408:
	s_or_b64 exec, exec, s[6:7]
	s_nop 0
	v_mfma_f32_16x16x4f32 a[0:3], v2, v6, a[0:3]
	s_movk_i32 s4, 0x7f
	v_cmp_gt_i16_sdwa s[6:7], v8, s4 src0_sel:BYTE_0 src1_sel:DWORD
	s_mov_b64 s[4:5], 0
                                        ; implicit-def: $sgpr10
	s_and_saveexec_b64 s[8:9], s[6:7]
	s_xor_b64 s[6:7], exec, s[8:9]
	s_cbranch_execz .LBB2_9409
; %bb.45249:
	s_getpc_b64 s[14:15]
.Lpost_getpc26208:
	s_add_u32 s14, s14, (.LBB2_23745-.Lpost_getpc26208)&4294967295
	s_addc_u32 s15, s15, (.LBB2_23745-.Lpost_getpc26208)>>32
	s_setpc_b64 s[14:15]
.LBB2_9409:
	s_or_saveexec_b64 s[6:7], s[6:7]
	v_mov_b32_e32 v2, s10
	s_xor_b64 exec, exec, s[6:7]
	s_cbranch_execz .LBB2_9410
; %bb.45251:
	s_getpc_b64 s[14:15]
.Lpost_getpc26209:
	s_add_u32 s14, s14, (.LBB2_23748-.Lpost_getpc26209)&4294967295
	s_addc_u32 s15, s15, (.LBB2_23748-.Lpost_getpc26209)>>32
	s_setpc_b64 s[14:15]
.LBB2_9410:
	s_or_b64 exec, exec, s[6:7]
	s_and_saveexec_b64 s[6:7], s[4:5]
	s_cbranch_execz .LBB2_9412
.LBB2_9411:
	v_and_b32_e32 v2, 7, v8
	v_ffbh_u32_e32 v6, v2
	v_min_u32_e32 v6, 32, v6
	v_lshrrev_b16_e32 v3, 3, v8
	v_subrev_u32_e32 v7, 28, v6
	v_and_b32_e32 v3, 15, v3
	v_lshlrev_b32_e32 v7, v7, v8
	v_sub_u32_e32 v6, 29, v6
	v_and_b32_e32 v7, 7, v7
	v_cmp_eq_u16_e32 vcc, 0, v3
	v_cndmask_b32_e32 v2, v2, v7, vcc
	v_cndmask_b32_e32 v3, v3, v6, vcc
	v_lshlrev_b32_e32 v6, 24, v8
	v_mov_b32_e32 v7, 0x3b800000
	v_lshlrev_b32_e32 v2, 20, v2
	v_and_b32_e32 v6, 0x80000000, v6
	v_lshl_add_u32 v3, v3, 23, v7
	v_or3_b32 v2, v6, v3, v2
.LBB2_9412:
	s_or_b64 exec, exec, s[6:7]
	s_movk_i32 s4, 0x7f
	v_cmp_gt_i16_sdwa s[6:7], v4, s4 src0_sel:BYTE_0 src1_sel:DWORD
	s_mov_b64 s[4:5], 0
                                        ; implicit-def: $sgpr10
	s_and_saveexec_b64 s[8:9], s[6:7]
	s_xor_b64 s[6:7], exec, s[8:9]
	s_cbranch_execz .LBB2_9413
; %bb.45253:
	s_getpc_b64 s[14:15]
.Lpost_getpc26210:
	s_add_u32 s14, s14, (.LBB2_23749-.Lpost_getpc26210)&4294967295
	s_addc_u32 s15, s15, (.LBB2_23749-.Lpost_getpc26210)>>32
	s_setpc_b64 s[14:15]
.LBB2_9413:
	s_or_saveexec_b64 s[6:7], s[6:7]
	v_mov_b32_e32 v3, s10
	s_xor_b64 exec, exec, s[6:7]
	s_cbranch_execz .LBB2_9414
; %bb.45255:
	s_getpc_b64 s[14:15]
.Lpost_getpc26211:
	s_add_u32 s14, s14, (.LBB2_23752-.Lpost_getpc26211)&4294967295
	s_addc_u32 s15, s15, (.LBB2_23752-.Lpost_getpc26211)>>32
	s_setpc_b64 s[14:15]
.LBB2_9414:
	s_or_b64 exec, exec, s[6:7]
	s_and_saveexec_b64 s[6:7], s[4:5]
	s_cbranch_execz .LBB2_9416
.LBB2_9415:
	v_and_b32_e32 v3, 7, v4
	v_ffbh_u32_e32 v7, v3
	v_min_u32_e32 v7, 32, v7
	v_lshrrev_b16_e32 v6, 3, v4
	v_subrev_u32_e32 v12, 28, v7
	v_and_b32_e32 v6, 15, v6
	v_lshlrev_b32_e32 v12, v12, v4
	v_sub_u32_e32 v7, 29, v7
	v_and_b32_e32 v12, 7, v12
	v_cmp_eq_u16_e32 vcc, 0, v6
	v_cndmask_b32_e32 v3, v3, v12, vcc
	v_cndmask_b32_e32 v6, v6, v7, vcc
	v_lshlrev_b32_e32 v7, 24, v4
	v_mov_b32_e32 v12, 0x3b800000
	v_lshlrev_b32_e32 v3, 20, v3
	v_and_b32_e32 v7, 0x80000000, v7
	v_lshl_add_u32 v6, v6, 23, v12
	v_or3_b32 v3, v7, v6, v3
.LBB2_9416:
	s_or_b64 exec, exec, s[6:7]
	s_nop 0
	v_mfma_f32_16x16x4f32 a[0:3], v2, v3, a[0:3]
	v_lshrrev_b32_e32 v3, 8, v8
	s_movk_i32 s4, 0x7f
	v_cmp_gt_i16_sdwa s[6:7], v3, s4 src0_sel:BYTE_0 src1_sel:DWORD
	s_mov_b64 s[4:5], 0
                                        ; implicit-def: $sgpr10
	s_and_saveexec_b64 s[8:9], s[6:7]
	s_xor_b64 s[6:7], exec, s[8:9]
	s_cbranch_execz .LBB2_9417
; %bb.45257:
	s_getpc_b64 s[14:15]
.Lpost_getpc26212:
	s_add_u32 s14, s14, (.LBB2_23753-.Lpost_getpc26212)&4294967295
	s_addc_u32 s15, s15, (.LBB2_23753-.Lpost_getpc26212)>>32
	s_setpc_b64 s[14:15]
.LBB2_9417:
	s_or_saveexec_b64 s[6:7], s[6:7]
	v_mov_b32_e32 v2, s10
	s_xor_b64 exec, exec, s[6:7]
	s_cbranch_execz .LBB2_9418
; %bb.45259:
	s_getpc_b64 s[14:15]
.Lpost_getpc26213:
	s_add_u32 s14, s14, (.LBB2_23756-.Lpost_getpc26213)&4294967295
	s_addc_u32 s15, s15, (.LBB2_23756-.Lpost_getpc26213)>>32
	s_setpc_b64 s[14:15]
.LBB2_9418:
	s_or_b64 exec, exec, s[6:7]
	s_and_saveexec_b64 s[6:7], s[4:5]
	s_cbranch_execz .LBB2_9420
.LBB2_9419:
	v_bfe_u32 v2, v8, 8, 3
	v_ffbh_u32_e32 v7, v2
	v_min_u32_e32 v7, 32, v7
	v_lshrrev_b16_e32 v6, 3, v3
	v_subrev_u32_e32 v12, 28, v7
	v_and_b32_e32 v6, 15, v6
	v_lshlrev_b32_e32 v3, v12, v3
	v_sub_u32_e32 v7, 29, v7
	v_and_b32_e32 v3, 7, v3
	v_cmp_eq_u16_e32 vcc, 0, v6
	v_cndmask_b32_e32 v2, v2, v3, vcc
	v_cndmask_b32_e32 v3, v6, v7, vcc
	v_lshlrev_b32_e32 v6, 16, v8
	v_mov_b32_e32 v7, 0x3b800000
	v_lshlrev_b32_e32 v2, 20, v2
	v_and_b32_e32 v6, 0x80000000, v6
	v_lshl_add_u32 v3, v3, 23, v7
	v_or3_b32 v2, v6, v3, v2
.LBB2_9420:
	s_or_b64 exec, exec, s[6:7]
	v_lshrrev_b32_e32 v3, 8, v4
	s_movk_i32 s4, 0x7f
	v_cmp_gt_i16_sdwa s[6:7], v3, s4 src0_sel:BYTE_0 src1_sel:DWORD
	s_mov_b64 s[4:5], 0
                                        ; implicit-def: $sgpr10
	s_and_saveexec_b64 s[8:9], s[6:7]
	s_xor_b64 s[6:7], exec, s[8:9]
	s_cbranch_execz .LBB2_9421
; %bb.45261:
	s_getpc_b64 s[14:15]
.Lpost_getpc26214:
	s_add_u32 s14, s14, (.LBB2_23757-.Lpost_getpc26214)&4294967295
	s_addc_u32 s15, s15, (.LBB2_23757-.Lpost_getpc26214)>>32
	s_setpc_b64 s[14:15]
.LBB2_9421:
	s_or_saveexec_b64 s[6:7], s[6:7]
	v_mov_b32_e32 v6, s10
	s_xor_b64 exec, exec, s[6:7]
	s_cbranch_execz .LBB2_9422
; %bb.45263:
	s_getpc_b64 s[14:15]
.Lpost_getpc26215:
	s_add_u32 s14, s14, (.LBB2_23760-.Lpost_getpc26215)&4294967295
	s_addc_u32 s15, s15, (.LBB2_23760-.Lpost_getpc26215)>>32
	s_setpc_b64 s[14:15]
.LBB2_9422:
	s_or_b64 exec, exec, s[6:7]
	s_and_saveexec_b64 s[6:7], s[4:5]
	s_cbranch_execz .LBB2_9424
.LBB2_9423:
	v_bfe_u32 v6, v4, 8, 3
	v_ffbh_u32_e32 v12, v6
	v_min_u32_e32 v12, 32, v12
	v_lshrrev_b16_e32 v7, 3, v3
	v_subrev_u32_e32 v13, 28, v12
	v_and_b32_e32 v7, 15, v7
	v_lshlrev_b32_e32 v3, v13, v3
	v_sub_u32_e32 v12, 29, v12
	v_and_b32_e32 v3, 7, v3
	v_cmp_eq_u16_e32 vcc, 0, v7
	v_cndmask_b32_e32 v3, v6, v3, vcc
	v_cndmask_b32_e32 v6, v7, v12, vcc
	v_lshlrev_b32_e32 v7, 16, v4
	v_mov_b32_e32 v12, 0x3b800000
	v_lshlrev_b32_e32 v3, 20, v3
	v_and_b32_e32 v7, 0x80000000, v7
	v_lshl_add_u32 v6, v6, 23, v12
	v_or3_b32 v6, v7, v6, v3
.LBB2_9424:
	s_or_b64 exec, exec, s[6:7]
	s_nop 0
	v_mfma_f32_16x16x4f32 a[0:3], v2, v6, a[0:3]
	s_movk_i32 s4, 0xff
	v_and_b32_sdwa v3, v8, s4 dst_sel:DWORD dst_unused:UNUSED_PAD src0_sel:WORD_1 src1_sel:DWORD
	s_movk_i32 s4, 0x7f
	v_cmp_lt_i16_e32 vcc, s4, v3
	s_mov_b64 s[4:5], 0
                                        ; implicit-def: $sgpr10
	s_and_saveexec_b64 s[6:7], vcc
	s_xor_b64 s[6:7], exec, s[6:7]
	s_cbranch_execz .LBB2_9425
; %bb.45265:
	s_getpc_b64 s[14:15]
.Lpost_getpc26216:
	s_add_u32 s14, s14, (.LBB2_23761-.Lpost_getpc26216)&4294967295
	s_addc_u32 s15, s15, (.LBB2_23761-.Lpost_getpc26216)>>32
	s_setpc_b64 s[14:15]
.LBB2_9425:
	s_or_saveexec_b64 s[6:7], s[6:7]
	v_mov_b32_e32 v2, s10
	s_xor_b64 exec, exec, s[6:7]
	s_cbranch_execz .LBB2_9426
; %bb.45267:
	s_getpc_b64 s[14:15]
.Lpost_getpc26217:
	s_add_u32 s14, s14, (.LBB2_23764-.Lpost_getpc26217)&4294967295
	s_addc_u32 s15, s15, (.LBB2_23764-.Lpost_getpc26217)>>32
	s_setpc_b64 s[14:15]
.LBB2_9426:
	s_or_b64 exec, exec, s[6:7]
	s_and_saveexec_b64 s[6:7], s[4:5]
	s_cbranch_execz .LBB2_9428
.LBB2_9427:
	v_bfe_u32 v2, v8, 16, 3
	v_ffbh_u32_e32 v7, v2
	v_min_u32_e32 v7, 32, v7
	v_lshrrev_b32_e32 v3, 19, v8
	v_subrev_u32_e32 v12, 28, v7
	v_and_b32_e32 v3, 15, v3
	v_lshlrev_b32_sdwa v12, v12, v8 dst_sel:DWORD dst_unused:UNUSED_PAD src0_sel:DWORD src1_sel:WORD_1
	v_bfe_u32 v6, v8, 19, 4
	v_sub_u32_e32 v7, 29, v7
	v_and_b32_e32 v12, 7, v12
	v_cmp_eq_u16_e32 vcc, 0, v3
	v_cndmask_b32_e32 v2, v2, v12, vcc
	v_cndmask_b32_e32 v3, v6, v7, vcc
	v_lshlrev_b32_e32 v6, 8, v8
	v_mov_b32_e32 v7, 0x3b800000
	v_lshlrev_b32_e32 v2, 20, v2
	v_and_b32_e32 v6, 0x80000000, v6
	v_lshl_add_u32 v3, v3, 23, v7
	v_or3_b32 v2, v6, v3, v2
.LBB2_9428:
	s_or_b64 exec, exec, s[6:7]
	s_movk_i32 s4, 0xff
	v_and_b32_sdwa v3, v4, s4 dst_sel:DWORD dst_unused:UNUSED_PAD src0_sel:WORD_1 src1_sel:DWORD
	s_movk_i32 s4, 0x7f
	v_cmp_lt_i16_e32 vcc, s4, v3
	s_mov_b64 s[4:5], 0
                                        ; implicit-def: $sgpr10
	s_and_saveexec_b64 s[6:7], vcc
	s_xor_b64 s[6:7], exec, s[6:7]
	s_cbranch_execz .LBB2_9429
; %bb.45269:
	s_getpc_b64 s[14:15]
.Lpost_getpc26218:
	s_add_u32 s14, s14, (.LBB2_23765-.Lpost_getpc26218)&4294967295
	s_addc_u32 s15, s15, (.LBB2_23765-.Lpost_getpc26218)>>32
	s_setpc_b64 s[14:15]
.LBB2_9429:
	s_or_saveexec_b64 s[6:7], s[6:7]
	v_mov_b32_e32 v6, s10
	s_xor_b64 exec, exec, s[6:7]
	s_cbranch_execz .LBB2_9430
; %bb.45271:
	s_getpc_b64 s[14:15]
.Lpost_getpc26219:
	s_add_u32 s14, s14, (.LBB2_23768-.Lpost_getpc26219)&4294967295
	s_addc_u32 s15, s15, (.LBB2_23768-.Lpost_getpc26219)>>32
	s_setpc_b64 s[14:15]
.LBB2_9430:
	s_or_b64 exec, exec, s[6:7]
	s_and_saveexec_b64 s[6:7], s[4:5]
	s_cbranch_execz .LBB2_9432
.LBB2_9431:
	v_bfe_u32 v3, v4, 16, 3
	v_ffbh_u32_e32 v12, v3
	v_min_u32_e32 v12, 32, v12
	v_lshrrev_b32_e32 v6, 19, v4
	v_subrev_u32_e32 v13, 28, v12
	v_and_b32_e32 v6, 15, v6
	v_lshlrev_b32_sdwa v13, v13, v4 dst_sel:DWORD dst_unused:UNUSED_PAD src0_sel:DWORD src1_sel:WORD_1
	v_bfe_u32 v7, v4, 19, 4
	v_sub_u32_e32 v12, 29, v12
	v_and_b32_e32 v13, 7, v13
	v_cmp_eq_u16_e32 vcc, 0, v6
	v_cndmask_b32_e32 v3, v3, v13, vcc
	v_cndmask_b32_e32 v6, v7, v12, vcc
	v_lshlrev_b32_e32 v7, 8, v4
	v_mov_b32_e32 v12, 0x3b800000
	v_lshlrev_b32_e32 v3, 20, v3
	v_and_b32_e32 v7, 0x80000000, v7
	v_lshl_add_u32 v6, v6, 23, v12
	v_or3_b32 v6, v7, v6, v3
.LBB2_9432:
	s_or_b64 exec, exec, s[6:7]
	s_nop 0
	v_mfma_f32_16x16x4f32 a[0:3], v2, v6, a[0:3]
	s_movk_i32 s4, 0x7f
	v_cmp_gt_i16_sdwa s[6:7], v8, s4 src0_sel:BYTE_3 src1_sel:DWORD
	s_mov_b64 s[4:5], 0
                                        ; implicit-def: $sgpr10
	s_and_saveexec_b64 s[8:9], s[6:7]
	s_xor_b64 s[6:7], exec, s[8:9]
	s_cbranch_execz .LBB2_9433
; %bb.45273:
	s_getpc_b64 s[14:15]
.Lpost_getpc26220:
	s_add_u32 s14, s14, (.LBB2_23769-.Lpost_getpc26220)&4294967295
	s_addc_u32 s15, s15, (.LBB2_23769-.Lpost_getpc26220)>>32
	s_setpc_b64 s[14:15]
.LBB2_9433:
	s_or_saveexec_b64 s[6:7], s[6:7]
	v_mov_b32_e32 v2, s10
	s_xor_b64 exec, exec, s[6:7]
	s_cbranch_execz .LBB2_9434
; %bb.45275:
	s_getpc_b64 s[14:15]
.Lpost_getpc26221:
	s_add_u32 s14, s14, (.LBB2_23772-.Lpost_getpc26221)&4294967295
	s_addc_u32 s15, s15, (.LBB2_23772-.Lpost_getpc26221)>>32
	s_setpc_b64 s[14:15]
.LBB2_9434:
	s_or_b64 exec, exec, s[6:7]
	s_and_saveexec_b64 s[6:7], s[4:5]
	s_cbranch_execz .LBB2_9436
.LBB2_9435:
	v_bfe_u32 v2, v8, 24, 3
	v_ffbh_u32_e32 v12, v2
	v_min_u32_e32 v12, 32, v12
	v_lshrrev_b32_e32 v6, 27, v8
	v_subrev_u32_e32 v13, 28, v12
	v_and_b32_e32 v3, 0x80000000, v8
	v_and_b32_e32 v6, 15, v6
	v_bfe_u32 v7, v8, 27, 4
	v_lshlrev_b32_sdwa v8, v13, v8 dst_sel:DWORD dst_unused:UNUSED_PAD src0_sel:DWORD src1_sel:BYTE_3
	v_sub_u32_e32 v12, 29, v12
	v_and_b32_e32 v8, 7, v8
	v_cmp_eq_u16_e32 vcc, 0, v6
	v_cndmask_b32_e32 v2, v2, v8, vcc
	v_cndmask_b32_e32 v6, v7, v12, vcc
	v_mov_b32_e32 v7, 0x3b800000
	v_lshlrev_b32_e32 v2, 20, v2
	v_lshl_add_u32 v6, v6, 23, v7
	v_or3_b32 v2, v3, v6, v2
.LBB2_9436:
	s_or_b64 exec, exec, s[6:7]
	s_movk_i32 s4, 0x7f
	v_cmp_gt_i16_sdwa s[6:7], v4, s4 src0_sel:BYTE_3 src1_sel:DWORD
	s_mov_b64 s[4:5], 0
                                        ; implicit-def: $sgpr10
	s_and_saveexec_b64 s[8:9], s[6:7]
	s_xor_b64 s[6:7], exec, s[8:9]
	s_cbranch_execz .LBB2_9437
; %bb.45277:
	s_getpc_b64 s[14:15]
.Lpost_getpc26222:
	s_add_u32 s14, s14, (.LBB2_23773-.Lpost_getpc26222)&4294967295
	s_addc_u32 s15, s15, (.LBB2_23773-.Lpost_getpc26222)>>32
	s_setpc_b64 s[14:15]
.LBB2_9437:
	s_or_saveexec_b64 s[6:7], s[6:7]
	v_mov_b32_e32 v3, s10
	s_xor_b64 exec, exec, s[6:7]
	s_cbranch_execz .LBB2_9438
; %bb.45279:
	s_getpc_b64 s[14:15]
.Lpost_getpc26223:
	s_add_u32 s14, s14, (.LBB2_23776-.Lpost_getpc26223)&4294967295
	s_addc_u32 s15, s15, (.LBB2_23776-.Lpost_getpc26223)>>32
	s_setpc_b64 s[14:15]
.LBB2_9438:
	s_or_b64 exec, exec, s[6:7]
	s_and_saveexec_b64 s[6:7], s[4:5]
	s_cbranch_execz .LBB2_9440
.LBB2_9439:
	v_bfe_u32 v3, v4, 24, 3
	v_ffbh_u32_e32 v12, v3
	v_min_u32_e32 v12, 32, v12
	v_lshrrev_b32_e32 v7, 27, v4
	v_subrev_u32_e32 v13, 28, v12
	v_and_b32_e32 v6, 0x80000000, v4
	v_and_b32_e32 v7, 15, v7
	v_bfe_u32 v8, v4, 27, 4
	v_lshlrev_b32_sdwa v4, v13, v4 dst_sel:DWORD dst_unused:UNUSED_PAD src0_sel:DWORD src1_sel:BYTE_3
	v_sub_u32_e32 v12, 29, v12
	v_and_b32_e32 v4, 7, v4
	v_cmp_eq_u16_e32 vcc, 0, v7
	v_cndmask_b32_e32 v3, v3, v4, vcc
	v_cndmask_b32_e32 v4, v8, v12, vcc
	v_mov_b32_e32 v7, 0x3b800000
	v_lshlrev_b32_e32 v3, 20, v3
	v_lshl_add_u32 v4, v4, 23, v7
	v_or3_b32 v3, v6, v4, v3
.LBB2_9440:
	s_or_b64 exec, exec, s[6:7]
	s_nop 0
	v_mfma_f32_16x16x4f32 a[0:3], v2, v3, a[0:3]
	s_movk_i32 s4, 0x7f
	v_cmp_gt_i16_sdwa s[6:7], v9, s4 src0_sel:BYTE_0 src1_sel:DWORD
	s_mov_b64 s[4:5], 0
                                        ; implicit-def: $sgpr10
	s_and_saveexec_b64 s[8:9], s[6:7]
	s_xor_b64 s[6:7], exec, s[8:9]
	s_cbranch_execz .LBB2_9441
; %bb.45281:
	s_getpc_b64 s[14:15]
.Lpost_getpc26224:
	s_add_u32 s14, s14, (.LBB2_23777-.Lpost_getpc26224)&4294967295
	s_addc_u32 s15, s15, (.LBB2_23777-.Lpost_getpc26224)>>32
	s_setpc_b64 s[14:15]
.LBB2_9441:
	s_or_saveexec_b64 s[6:7], s[6:7]
	v_mov_b32_e32 v2, s10
	s_xor_b64 exec, exec, s[6:7]
	s_cbranch_execz .LBB2_9442
; %bb.45283:
	s_getpc_b64 s[14:15]
.Lpost_getpc26225:
	s_add_u32 s14, s14, (.LBB2_23780-.Lpost_getpc26225)&4294967295
	s_addc_u32 s15, s15, (.LBB2_23780-.Lpost_getpc26225)>>32
	s_setpc_b64 s[14:15]
.LBB2_9442:
	s_or_b64 exec, exec, s[6:7]
	s_and_saveexec_b64 s[6:7], s[4:5]
	s_cbranch_execz .LBB2_9444
.LBB2_9443:
	v_mov_b32_e32 v2, 8
	v_and_b32_e32 v3, 7, v9
	v_lshrrev_b32_sdwa v2, v2, v9 dst_sel:BYTE_1 dst_unused:UNUSED_PAD src0_sel:DWORD src1_sel:DWORD
	v_ffbh_u32_e32 v4, v3
	v_or_b32_sdwa v2, v9, v2 dst_sel:DWORD dst_unused:UNUSED_PAD src0_sel:BYTE_0 src1_sel:DWORD
	v_min_u32_e32 v4, 32, v4
	v_lshrrev_b16_e32 v2, 3, v2
	v_subrev_u32_e32 v6, 28, v4
	v_and_b32_e32 v2, 15, v2
	v_lshlrev_b32_e32 v6, v6, v9
	v_sub_u32_e32 v4, 29, v4
	v_and_b32_e32 v6, 7, v6
	v_cmp_eq_u16_e32 vcc, 0, v2
	v_cndmask_b32_e32 v3, v3, v6, vcc
	v_cndmask_b32_e32 v2, v2, v4, vcc
	v_lshlrev_b32_e32 v4, 24, v9
	v_mov_b32_e32 v6, 0x3b800000
	v_lshlrev_b32_e32 v3, 20, v3
	v_and_b32_e32 v4, 0x80000000, v4
	v_lshl_add_u32 v2, v2, 23, v6
	v_or3_b32 v2, v4, v2, v3
.LBB2_9444:
	s_or_b64 exec, exec, s[6:7]
	s_movk_i32 s4, 0x7f
	v_cmp_gt_i16_sdwa s[6:7], v5, s4 src0_sel:BYTE_0 src1_sel:DWORD
	s_mov_b64 s[4:5], 0
                                        ; implicit-def: $sgpr10
	s_and_saveexec_b64 s[8:9], s[6:7]
	s_xor_b64 s[6:7], exec, s[8:9]
	s_cbranch_execz .LBB2_9445
; %bb.45285:
	s_getpc_b64 s[14:15]
.Lpost_getpc26226:
	s_add_u32 s14, s14, (.LBB2_23781-.Lpost_getpc26226)&4294967295
	s_addc_u32 s15, s15, (.LBB2_23781-.Lpost_getpc26226)>>32
	s_setpc_b64 s[14:15]
.LBB2_9445:
	s_or_saveexec_b64 s[6:7], s[6:7]
	v_mov_b32_e32 v3, s10
	s_xor_b64 exec, exec, s[6:7]
	s_cbranch_execz .LBB2_9446
; %bb.45287:
	s_getpc_b64 s[14:15]
.Lpost_getpc26227:
	s_add_u32 s14, s14, (.LBB2_23784-.Lpost_getpc26227)&4294967295
	s_addc_u32 s15, s15, (.LBB2_23784-.Lpost_getpc26227)>>32
	s_setpc_b64 s[14:15]
.LBB2_9446:
	s_or_b64 exec, exec, s[6:7]
	s_and_saveexec_b64 s[6:7], s[4:5]
	s_cbranch_execz .LBB2_9448
.LBB2_9447:
	v_mov_b32_e32 v3, 8
	v_and_b32_e32 v4, 7, v5
	v_lshrrev_b32_sdwa v3, v3, v5 dst_sel:BYTE_1 dst_unused:UNUSED_PAD src0_sel:DWORD src1_sel:DWORD
	v_ffbh_u32_e32 v6, v4
	v_or_b32_sdwa v3, v5, v3 dst_sel:DWORD dst_unused:UNUSED_PAD src0_sel:BYTE_0 src1_sel:DWORD
	v_min_u32_e32 v6, 32, v6
	v_lshrrev_b16_e32 v3, 3, v3
	v_subrev_u32_e32 v7, 28, v6
	v_and_b32_e32 v3, 15, v3
	v_lshlrev_b32_e32 v7, v7, v5
	v_sub_u32_e32 v6, 29, v6
	v_and_b32_e32 v7, 7, v7
	v_cmp_eq_u16_e32 vcc, 0, v3
	v_cndmask_b32_e32 v4, v4, v7, vcc
	v_cndmask_b32_e32 v3, v3, v6, vcc
	v_lshlrev_b32_e32 v6, 24, v5
	v_mov_b32_e32 v7, 0x3b800000
	v_lshlrev_b32_e32 v4, 20, v4
	v_and_b32_e32 v6, 0x80000000, v6
	v_lshl_add_u32 v3, v3, 23, v7
	v_or3_b32 v3, v6, v3, v4
.LBB2_9448:
	s_or_b64 exec, exec, s[6:7]
	s_nop 0
	v_mfma_f32_16x16x4f32 a[0:3], v2, v3, a[0:3]
	v_lshrrev_b32_e32 v3, 8, v9
	s_movk_i32 s4, 0x7f
	v_cmp_gt_i16_sdwa s[6:7], v3, s4 src0_sel:BYTE_0 src1_sel:DWORD
	s_mov_b64 s[4:5], 0
                                        ; implicit-def: $sgpr10
	s_and_saveexec_b64 s[8:9], s[6:7]
	s_xor_b64 s[6:7], exec, s[8:9]
	s_cbranch_execz .LBB2_9449
; %bb.45289:
	s_getpc_b64 s[14:15]
.Lpost_getpc26228:
	s_add_u32 s14, s14, (.LBB2_23785-.Lpost_getpc26228)&4294967295
	s_addc_u32 s15, s15, (.LBB2_23785-.Lpost_getpc26228)>>32
	s_setpc_b64 s[14:15]
.LBB2_9449:
	s_or_saveexec_b64 s[6:7], s[6:7]
	v_mov_b32_e32 v2, s10
	s_xor_b64 exec, exec, s[6:7]
	s_cbranch_execz .LBB2_9450
; %bb.45291:
	s_getpc_b64 s[14:15]
.Lpost_getpc26229:
	s_add_u32 s14, s14, (.LBB2_23788-.Lpost_getpc26229)&4294967295
	s_addc_u32 s15, s15, (.LBB2_23788-.Lpost_getpc26229)>>32
	s_setpc_b64 s[14:15]
.LBB2_9450:
	s_or_b64 exec, exec, s[6:7]
	s_and_saveexec_b64 s[6:7], s[4:5]
	s_cbranch_execz .LBB2_9452
.LBB2_9451:
	v_bfe_u32 v2, v9, 8, 3
	v_ffbh_u32_e32 v6, v2
	v_min_u32_e32 v6, 32, v6
	v_lshrrev_b16_e32 v4, 3, v3
	v_subrev_u32_e32 v7, 28, v6
	v_and_b32_e32 v4, 15, v4
	v_lshlrev_b32_e32 v3, v7, v3
	v_sub_u32_e32 v6, 29, v6
	v_and_b32_e32 v3, 7, v3
	v_cmp_eq_u16_e32 vcc, 0, v4
	v_cndmask_b32_e32 v2, v2, v3, vcc
	v_cndmask_b32_e32 v3, v4, v6, vcc
	v_lshlrev_b32_e32 v4, 16, v9
	v_mov_b32_e32 v6, 0x3b800000
	v_lshlrev_b32_e32 v2, 20, v2
	v_and_b32_e32 v4, 0x80000000, v4
	v_lshl_add_u32 v3, v3, 23, v6
	v_or3_b32 v2, v4, v3, v2
.LBB2_9452:
	s_or_b64 exec, exec, s[6:7]
	v_lshrrev_b32_e32 v3, 8, v5
	s_movk_i32 s4, 0x7f
	v_cmp_gt_i16_sdwa s[6:7], v3, s4 src0_sel:BYTE_0 src1_sel:DWORD
	s_mov_b64 s[4:5], 0
                                        ; implicit-def: $sgpr10
	s_and_saveexec_b64 s[8:9], s[6:7]
	s_xor_b64 s[6:7], exec, s[8:9]
	s_cbranch_execz .LBB2_9453
; %bb.45293:
	s_getpc_b64 s[14:15]
.Lpost_getpc26230:
	s_add_u32 s14, s14, (.LBB2_23789-.Lpost_getpc26230)&4294967295
	s_addc_u32 s15, s15, (.LBB2_23789-.Lpost_getpc26230)>>32
	s_setpc_b64 s[14:15]
.LBB2_9453:
	s_or_saveexec_b64 s[6:7], s[6:7]
	v_mov_b32_e32 v4, s10
	s_xor_b64 exec, exec, s[6:7]
	s_cbranch_execz .LBB2_9454
; %bb.45295:
	s_getpc_b64 s[14:15]
.Lpost_getpc26231:
	s_add_u32 s14, s14, (.LBB2_23792-.Lpost_getpc26231)&4294967295
	s_addc_u32 s15, s15, (.LBB2_23792-.Lpost_getpc26231)>>32
	s_setpc_b64 s[14:15]
.LBB2_9454:
	s_or_b64 exec, exec, s[6:7]
	s_and_saveexec_b64 s[6:7], s[4:5]
	s_cbranch_execz .LBB2_9456
.LBB2_9455:
	v_bfe_u32 v4, v5, 8, 3
	v_ffbh_u32_e32 v7, v4
	v_min_u32_e32 v7, 32, v7
	v_lshrrev_b16_e32 v6, 3, v3
	v_subrev_u32_e32 v8, 28, v7
	v_and_b32_e32 v6, 15, v6
	v_lshlrev_b32_e32 v3, v8, v3
	v_sub_u32_e32 v7, 29, v7
	v_and_b32_e32 v3, 7, v3
	v_cmp_eq_u16_e32 vcc, 0, v6
	v_cndmask_b32_e32 v3, v4, v3, vcc
	v_cndmask_b32_e32 v4, v6, v7, vcc
	v_lshlrev_b32_e32 v6, 16, v5
	v_mov_b32_e32 v7, 0x3b800000
	v_lshlrev_b32_e32 v3, 20, v3
	v_and_b32_e32 v6, 0x80000000, v6
	v_lshl_add_u32 v4, v4, 23, v7
	v_or3_b32 v4, v6, v4, v3
.LBB2_9456:
	s_or_b64 exec, exec, s[6:7]
	s_nop 0
	v_mfma_f32_16x16x4f32 a[0:3], v2, v4, a[0:3]
	s_movk_i32 s4, 0xff
	v_and_b32_sdwa v3, v9, s4 dst_sel:DWORD dst_unused:UNUSED_PAD src0_sel:WORD_1 src1_sel:DWORD
	s_movk_i32 s4, 0x7f
	v_cmp_lt_i16_e32 vcc, s4, v3
	s_mov_b64 s[4:5], 0
                                        ; implicit-def: $sgpr10
	s_and_saveexec_b64 s[6:7], vcc
	s_xor_b64 s[6:7], exec, s[6:7]
	s_cbranch_execz .LBB2_9457
; %bb.45297:
	s_getpc_b64 s[14:15]
.Lpost_getpc26232:
	s_add_u32 s14, s14, (.LBB2_23793-.Lpost_getpc26232)&4294967295
	s_addc_u32 s15, s15, (.LBB2_23793-.Lpost_getpc26232)>>32
	s_setpc_b64 s[14:15]
.LBB2_9457:
	s_or_saveexec_b64 s[6:7], s[6:7]
	v_mov_b32_e32 v2, s10
	s_xor_b64 exec, exec, s[6:7]
	s_cbranch_execz .LBB2_9458
; %bb.45299:
	s_getpc_b64 s[14:15]
.Lpost_getpc26233:
	s_add_u32 s14, s14, (.LBB2_23796-.Lpost_getpc26233)&4294967295
	s_addc_u32 s15, s15, (.LBB2_23796-.Lpost_getpc26233)>>32
	s_setpc_b64 s[14:15]
.LBB2_9458:
	s_or_b64 exec, exec, s[6:7]
	s_and_saveexec_b64 s[6:7], s[4:5]
	s_cbranch_execz .LBB2_9460
.LBB2_9459:
	v_bfe_u32 v2, v9, 16, 3
	v_ffbh_u32_e32 v6, v2
	v_min_u32_e32 v6, 32, v6
	v_lshrrev_b32_e32 v3, 19, v9
	v_subrev_u32_e32 v7, 28, v6
	v_and_b32_e32 v3, 15, v3
	v_lshlrev_b32_sdwa v7, v7, v9 dst_sel:DWORD dst_unused:UNUSED_PAD src0_sel:DWORD src1_sel:WORD_1
	v_bfe_u32 v4, v9, 19, 4
	v_sub_u32_e32 v6, 29, v6
	v_and_b32_e32 v7, 7, v7
	v_cmp_eq_u16_e32 vcc, 0, v3
	v_cndmask_b32_e32 v2, v2, v7, vcc
	v_cndmask_b32_e32 v3, v4, v6, vcc
	v_lshlrev_b32_e32 v4, 8, v9
	v_mov_b32_e32 v6, 0x3b800000
	v_lshlrev_b32_e32 v2, 20, v2
	v_and_b32_e32 v4, 0x80000000, v4
	v_lshl_add_u32 v3, v3, 23, v6
	v_or3_b32 v2, v4, v3, v2
.LBB2_9460:
	s_or_b64 exec, exec, s[6:7]
	s_movk_i32 s4, 0xff
	v_and_b32_sdwa v3, v5, s4 dst_sel:DWORD dst_unused:UNUSED_PAD src0_sel:WORD_1 src1_sel:DWORD
	s_movk_i32 s4, 0x7f
	v_cmp_lt_i16_e32 vcc, s4, v3
	s_mov_b64 s[4:5], 0
                                        ; implicit-def: $sgpr10
	s_and_saveexec_b64 s[6:7], vcc
	s_xor_b64 s[6:7], exec, s[6:7]
	s_cbranch_execz .LBB2_9461
; %bb.45301:
	s_getpc_b64 s[14:15]
.Lpost_getpc26234:
	s_add_u32 s14, s14, (.LBB2_23797-.Lpost_getpc26234)&4294967295
	s_addc_u32 s15, s15, (.LBB2_23797-.Lpost_getpc26234)>>32
	s_setpc_b64 s[14:15]
.LBB2_9461:
	s_or_saveexec_b64 s[6:7], s[6:7]
	v_mov_b32_e32 v4, s10
	s_xor_b64 exec, exec, s[6:7]
	s_cbranch_execz .LBB2_9462
; %bb.45303:
	s_getpc_b64 s[14:15]
.Lpost_getpc26235:
	s_add_u32 s14, s14, (.LBB2_23800-.Lpost_getpc26235)&4294967295
	s_addc_u32 s15, s15, (.LBB2_23800-.Lpost_getpc26235)>>32
	s_setpc_b64 s[14:15]
.LBB2_9462:
	s_or_b64 exec, exec, s[6:7]
	s_and_saveexec_b64 s[6:7], s[4:5]
	s_cbranch_execz .LBB2_9464
.LBB2_9463:
	v_bfe_u32 v3, v5, 16, 3
	v_ffbh_u32_e32 v7, v3
	v_min_u32_e32 v7, 32, v7
	v_lshrrev_b32_e32 v4, 19, v5
	v_subrev_u32_e32 v8, 28, v7
	v_and_b32_e32 v4, 15, v4
	v_lshlrev_b32_sdwa v8, v8, v5 dst_sel:DWORD dst_unused:UNUSED_PAD src0_sel:DWORD src1_sel:WORD_1
	v_bfe_u32 v6, v5, 19, 4
	v_sub_u32_e32 v7, 29, v7
	v_and_b32_e32 v8, 7, v8
	v_cmp_eq_u16_e32 vcc, 0, v4
	v_cndmask_b32_e32 v3, v3, v8, vcc
	v_cndmask_b32_e32 v4, v6, v7, vcc
	v_lshlrev_b32_e32 v6, 8, v5
	v_mov_b32_e32 v7, 0x3b800000
	v_lshlrev_b32_e32 v3, 20, v3
	v_and_b32_e32 v6, 0x80000000, v6
	v_lshl_add_u32 v4, v4, 23, v7
	v_or3_b32 v4, v6, v4, v3
.LBB2_9464:
	s_or_b64 exec, exec, s[6:7]
	s_nop 0
	v_mfma_f32_16x16x4f32 a[0:3], v2, v4, a[0:3]
	s_movk_i32 s4, 0x7f
	v_cmp_gt_i16_sdwa s[6:7], v9, s4 src0_sel:BYTE_3 src1_sel:DWORD
	s_mov_b64 s[4:5], 0
                                        ; implicit-def: $sgpr10
	s_and_saveexec_b64 s[8:9], s[6:7]
	s_xor_b64 s[6:7], exec, s[8:9]
	s_cbranch_execz .LBB2_9465
; %bb.45305:
	s_getpc_b64 s[14:15]
.Lpost_getpc26236:
	s_add_u32 s14, s14, (.LBB2_23801-.Lpost_getpc26236)&4294967295
	s_addc_u32 s15, s15, (.LBB2_23801-.Lpost_getpc26236)>>32
	s_setpc_b64 s[14:15]
.LBB2_9465:
	s_or_saveexec_b64 s[6:7], s[6:7]
	v_mov_b32_e32 v2, s10
	s_xor_b64 exec, exec, s[6:7]
	s_cbranch_execz .LBB2_9466
; %bb.45307:
	s_getpc_b64 s[14:15]
.Lpost_getpc26237:
	s_add_u32 s14, s14, (.LBB2_23804-.Lpost_getpc26237)&4294967295
	s_addc_u32 s15, s15, (.LBB2_23804-.Lpost_getpc26237)>>32
	s_setpc_b64 s[14:15]
.LBB2_9466:
	s_or_b64 exec, exec, s[6:7]
	s_and_saveexec_b64 s[6:7], s[4:5]
	s_cbranch_execz .LBB2_9468
.LBB2_9467:
	v_bfe_u32 v2, v9, 24, 3
	v_ffbh_u32_e32 v7, v2
	v_min_u32_e32 v7, 32, v7
	v_lshrrev_b32_e32 v4, 27, v9
	v_subrev_u32_e32 v8, 28, v7
	v_and_b32_e32 v4, 15, v4
	v_lshlrev_b32_sdwa v8, v8, v9 dst_sel:DWORD dst_unused:UNUSED_PAD src0_sel:DWORD src1_sel:BYTE_3
	v_bfe_u32 v6, v9, 27, 4
	v_sub_u32_e32 v7, 29, v7
	v_and_b32_e32 v8, 7, v8
	v_cmp_eq_u16_e32 vcc, 0, v4
	v_cndmask_b32_e32 v2, v2, v8, vcc
	v_cndmask_b32_e32 v4, v6, v7, vcc
	v_mov_b32_e32 v6, 0x3b800000
	v_and_b32_e32 v3, 0x80000000, v9
	v_lshlrev_b32_e32 v2, 20, v2
	v_lshl_add_u32 v4, v4, 23, v6
	v_or3_b32 v2, v3, v4, v2
.LBB2_9468:
	s_or_b64 exec, exec, s[6:7]
	s_movk_i32 s4, 0x7f
	v_cmp_gt_i16_sdwa s[6:7], v5, s4 src0_sel:BYTE_3 src1_sel:DWORD
	s_mov_b64 s[4:5], 0
                                        ; implicit-def: $sgpr10
	s_and_saveexec_b64 s[8:9], s[6:7]
	s_xor_b64 s[6:7], exec, s[8:9]
	s_cbranch_execz .LBB2_9469
; %bb.45309:
	s_getpc_b64 s[14:15]
.Lpost_getpc26238:
	s_add_u32 s14, s14, (.LBB2_23805-.Lpost_getpc26238)&4294967295
	s_addc_u32 s15, s15, (.LBB2_23805-.Lpost_getpc26238)>>32
	s_setpc_b64 s[14:15]
.LBB2_9469:
	s_or_saveexec_b64 s[6:7], s[6:7]
	v_mov_b32_e32 v3, s10
	s_xor_b64 exec, exec, s[6:7]
	s_cbranch_execz .LBB2_9470
; %bb.45311:
	s_getpc_b64 s[14:15]
.Lpost_getpc26239:
	s_add_u32 s14, s14, (.LBB2_23808-.Lpost_getpc26239)&4294967295
	s_addc_u32 s15, s15, (.LBB2_23808-.Lpost_getpc26239)>>32
	s_setpc_b64 s[14:15]
.LBB2_9470:
	s_or_b64 exec, exec, s[6:7]
	s_and_saveexec_b64 s[6:7], s[4:5]
	s_cbranch_execz .LBB2_9472
.LBB2_9471:
	v_bfe_u32 v3, v5, 24, 3
	v_ffbh_u32_e32 v8, v3
	v_min_u32_e32 v8, 32, v8
	v_lshrrev_b32_e32 v6, 27, v5
	v_subrev_u32_e32 v9, 28, v8
	v_and_b32_e32 v4, 0x80000000, v5
	v_and_b32_e32 v6, 15, v6
	v_bfe_u32 v7, v5, 27, 4
	v_lshlrev_b32_sdwa v5, v9, v5 dst_sel:DWORD dst_unused:UNUSED_PAD src0_sel:DWORD src1_sel:BYTE_3
	v_sub_u32_e32 v8, 29, v8
	v_and_b32_e32 v5, 7, v5
	v_cmp_eq_u16_e32 vcc, 0, v6
	v_cndmask_b32_e32 v3, v3, v5, vcc
	v_cndmask_b32_e32 v5, v7, v8, vcc
	v_mov_b32_e32 v6, 0x3b800000
	v_lshlrev_b32_e32 v3, 20, v3
	v_lshl_add_u32 v5, v5, 23, v6
	v_or3_b32 v3, v4, v5, v3
.LBB2_9472:
	s_or_b64 exec, exec, s[6:7]
	s_nop 0
	v_mfma_f32_16x16x4f32 a[0:3], v2, v3, a[0:3]
	s_movk_i32 s4, 0x7f
                                        ; implicit-def: $sgpr10
	s_nop 7
	s_nop 1
	flat_store_dwordx4 v[10:11], a[0:3] offset:272
	flat_load_dwordx4 v[12:15], v[0:1]
	s_nop 0
	flat_load_dwordx2 v[10:11], v[0:1] offset:16
	s_waitcnt vmcnt(0) lgkmcnt(0)
	flat_load_dwordx4 v[6:9], v[12:13] offset:144
	flat_load_dwordx4 v[2:5], v[14:15] offset:160
	s_waitcnt vmcnt(0) lgkmcnt(0)
	v_cmp_gt_i16_sdwa s[6:7], v6, s4 src0_sel:BYTE_0 src1_sel:DWORD
	s_mov_b64 s[4:5], 0
	s_and_saveexec_b64 s[8:9], s[6:7]
	s_xor_b64 s[6:7], exec, s[8:9]
	s_cbranch_execz .LBB2_9473
; %bb.45313:
	s_getpc_b64 s[14:15]
.Lpost_getpc26240:
	s_add_u32 s14, s14, (.LBB2_23809-.Lpost_getpc26240)&4294967295
	s_addc_u32 s15, s15, (.LBB2_23809-.Lpost_getpc26240)>>32
	s_setpc_b64 s[14:15]
.LBB2_9473:
	s_or_saveexec_b64 s[6:7], s[6:7]
	v_mov_b32_e32 v12, s10
	s_xor_b64 exec, exec, s[6:7]
	s_cbranch_execz .LBB2_9474
; %bb.45315:
	s_getpc_b64 s[14:15]
.Lpost_getpc26241:
	s_add_u32 s14, s14, (.LBB2_23812-.Lpost_getpc26241)&4294967295
	s_addc_u32 s15, s15, (.LBB2_23812-.Lpost_getpc26241)>>32
	s_setpc_b64 s[14:15]
.LBB2_9474:
	s_or_b64 exec, exec, s[6:7]
	s_and_saveexec_b64 s[6:7], s[4:5]
	s_cbranch_execz .LBB2_9476
.LBB2_9475:
	v_and_b32_e32 v12, 7, v6
	v_ffbh_u32_e32 v14, v12
	v_min_u32_e32 v14, 32, v14
	v_lshrrev_b16_e32 v13, 3, v6
	v_subrev_u32_e32 v15, 28, v14
	v_and_b32_e32 v13, 15, v13
	v_lshlrev_b32_e32 v15, v15, v6
	v_sub_u32_e32 v14, 29, v14
	v_and_b32_e32 v15, 7, v15
	v_cmp_eq_u16_e32 vcc, 0, v13
	v_cndmask_b32_e32 v12, v12, v15, vcc
	v_cndmask_b32_e32 v13, v13, v14, vcc
	v_lshlrev_b32_e32 v14, 24, v6
	v_mov_b32_e32 v15, 0x3b800000
	v_lshlrev_b32_e32 v12, 20, v12
	v_and_b32_e32 v14, 0x80000000, v14
	v_lshl_add_u32 v13, v13, 23, v15
	v_or3_b32 v12, v14, v13, v12
.LBB2_9476:
	s_or_b64 exec, exec, s[6:7]
	s_movk_i32 s4, 0x7f
	v_cmp_gt_i16_sdwa s[6:7], v2, s4 src0_sel:BYTE_0 src1_sel:DWORD
	s_mov_b64 s[4:5], 0
                                        ; implicit-def: $sgpr10
	s_and_saveexec_b64 s[8:9], s[6:7]
	s_xor_b64 s[6:7], exec, s[8:9]
	s_cbranch_execz .LBB2_9477
; %bb.45317:
	s_getpc_b64 s[14:15]
.Lpost_getpc26242:
	s_add_u32 s14, s14, (.LBB2_23813-.Lpost_getpc26242)&4294967295
	s_addc_u32 s15, s15, (.LBB2_23813-.Lpost_getpc26242)>>32
	s_setpc_b64 s[14:15]
.LBB2_9477:
	s_or_saveexec_b64 s[6:7], s[6:7]
	v_mov_b32_e32 v13, s10
	s_xor_b64 exec, exec, s[6:7]
	s_cbranch_execz .LBB2_9478
; %bb.45319:
	s_getpc_b64 s[14:15]
.Lpost_getpc26243:
	s_add_u32 s14, s14, (.LBB2_23816-.Lpost_getpc26243)&4294967295
	s_addc_u32 s15, s15, (.LBB2_23816-.Lpost_getpc26243)>>32
	s_setpc_b64 s[14:15]
.LBB2_9478:
	s_or_b64 exec, exec, s[6:7]
	s_and_saveexec_b64 s[6:7], s[4:5]
	s_cbranch_execz .LBB2_9480
.LBB2_9479:
	v_and_b32_e32 v13, 7, v2
	v_ffbh_u32_e32 v15, v13
	v_min_u32_e32 v15, 32, v15
	v_lshrrev_b16_e32 v14, 3, v2
	v_subrev_u32_e32 v16, 28, v15
	v_and_b32_e32 v14, 15, v14
	v_lshlrev_b32_e32 v16, v16, v2
	v_sub_u32_e32 v15, 29, v15
	v_and_b32_e32 v16, 7, v16
	v_cmp_eq_u16_e32 vcc, 0, v14
	v_cndmask_b32_e32 v13, v13, v16, vcc
	v_cndmask_b32_e32 v14, v14, v15, vcc
	v_lshlrev_b32_e32 v15, 24, v2
	v_mov_b32_e32 v16, 0x3b800000
	v_lshlrev_b32_e32 v13, 20, v13
	v_and_b32_e32 v15, 0x80000000, v15
	v_lshl_add_u32 v14, v14, 23, v16
	v_or3_b32 v13, v15, v14, v13
.LBB2_9480:
	s_or_b64 exec, exec, s[6:7]
	flat_load_dwordx4 a[0:3], v[10:11] offset:288
	s_movk_i32 s4, 0x7f
                                        ; implicit-def: $sgpr10
	s_waitcnt vmcnt(0) lgkmcnt(0)
	v_mfma_f32_16x16x4f32 a[0:3], v12, v13, a[0:3]
	v_lshrrev_b32_e32 v13, 8, v6
	v_cmp_gt_i16_sdwa s[6:7], v13, s4 src0_sel:BYTE_0 src1_sel:DWORD
	s_mov_b64 s[4:5], 0
	s_and_saveexec_b64 s[8:9], s[6:7]
	s_xor_b64 s[6:7], exec, s[8:9]
	s_cbranch_execz .LBB2_9481
; %bb.45321:
	s_getpc_b64 s[14:15]
.Lpost_getpc26244:
	s_add_u32 s14, s14, (.LBB2_23817-.Lpost_getpc26244)&4294967295
	s_addc_u32 s15, s15, (.LBB2_23817-.Lpost_getpc26244)>>32
	s_setpc_b64 s[14:15]
.LBB2_9481:
	s_or_saveexec_b64 s[6:7], s[6:7]
	v_mov_b32_e32 v12, s10
	s_xor_b64 exec, exec, s[6:7]
	s_cbranch_execz .LBB2_9482
; %bb.45323:
	s_getpc_b64 s[14:15]
.Lpost_getpc26245:
	s_add_u32 s14, s14, (.LBB2_23820-.Lpost_getpc26245)&4294967295
	s_addc_u32 s15, s15, (.LBB2_23820-.Lpost_getpc26245)>>32
	s_setpc_b64 s[14:15]
.LBB2_9482:
	s_or_b64 exec, exec, s[6:7]
	s_and_saveexec_b64 s[6:7], s[4:5]
	s_cbranch_execz .LBB2_9484
.LBB2_9483:
	v_bfe_u32 v12, v6, 8, 3
	v_ffbh_u32_e32 v15, v12
	v_min_u32_e32 v15, 32, v15
	v_lshrrev_b16_e32 v14, 3, v13
	v_subrev_u32_e32 v16, 28, v15
	v_and_b32_e32 v14, 15, v14
	v_lshlrev_b32_e32 v13, v16, v13
	v_sub_u32_e32 v15, 29, v15
	v_and_b32_e32 v13, 7, v13
	v_cmp_eq_u16_e32 vcc, 0, v14
	v_cndmask_b32_e32 v12, v12, v13, vcc
	v_cndmask_b32_e32 v13, v14, v15, vcc
	v_lshlrev_b32_e32 v14, 16, v6
	v_mov_b32_e32 v15, 0x3b800000
	v_lshlrev_b32_e32 v12, 20, v12
	v_and_b32_e32 v14, 0x80000000, v14
	v_lshl_add_u32 v13, v13, 23, v15
	v_or3_b32 v12, v14, v13, v12
.LBB2_9484:
	s_or_b64 exec, exec, s[6:7]
	v_lshrrev_b32_e32 v13, 8, v2
	s_movk_i32 s4, 0x7f
	v_cmp_gt_i16_sdwa s[6:7], v13, s4 src0_sel:BYTE_0 src1_sel:DWORD
	s_mov_b64 s[4:5], 0
                                        ; implicit-def: $sgpr10
	s_and_saveexec_b64 s[8:9], s[6:7]
	s_xor_b64 s[6:7], exec, s[8:9]
	s_cbranch_execz .LBB2_9485
; %bb.45325:
	s_getpc_b64 s[14:15]
.Lpost_getpc26246:
	s_add_u32 s14, s14, (.LBB2_23821-.Lpost_getpc26246)&4294967295
	s_addc_u32 s15, s15, (.LBB2_23821-.Lpost_getpc26246)>>32
	s_setpc_b64 s[14:15]
.LBB2_9485:
	s_or_saveexec_b64 s[6:7], s[6:7]
	v_mov_b32_e32 v14, s10
	s_xor_b64 exec, exec, s[6:7]
	s_cbranch_execz .LBB2_9486
; %bb.45327:
	s_getpc_b64 s[14:15]
.Lpost_getpc26247:
	s_add_u32 s14, s14, (.LBB2_23824-.Lpost_getpc26247)&4294967295
	s_addc_u32 s15, s15, (.LBB2_23824-.Lpost_getpc26247)>>32
	s_setpc_b64 s[14:15]
.LBB2_9486:
	s_or_b64 exec, exec, s[6:7]
	s_and_saveexec_b64 s[6:7], s[4:5]
	s_cbranch_execz .LBB2_9488
.LBB2_9487:
	v_bfe_u32 v14, v2, 8, 3
	v_ffbh_u32_e32 v16, v14
	v_min_u32_e32 v16, 32, v16
	v_lshrrev_b16_e32 v15, 3, v13
	v_subrev_u32_e32 v17, 28, v16
	v_and_b32_e32 v15, 15, v15
	v_lshlrev_b32_e32 v13, v17, v13
	v_sub_u32_e32 v16, 29, v16
	v_and_b32_e32 v13, 7, v13
	v_cmp_eq_u16_e32 vcc, 0, v15
	v_cndmask_b32_e32 v13, v14, v13, vcc
	v_cndmask_b32_e32 v14, v15, v16, vcc
	v_lshlrev_b32_e32 v15, 16, v2
	v_mov_b32_e32 v16, 0x3b800000
	v_lshlrev_b32_e32 v13, 20, v13
	v_and_b32_e32 v15, 0x80000000, v15
	v_lshl_add_u32 v14, v14, 23, v16
	v_or3_b32 v14, v15, v14, v13
.LBB2_9488:
	s_or_b64 exec, exec, s[6:7]
	s_nop 0
	v_mfma_f32_16x16x4f32 a[0:3], v12, v14, a[0:3]
	s_movk_i32 s4, 0xff
	v_and_b32_sdwa v13, v6, s4 dst_sel:DWORD dst_unused:UNUSED_PAD src0_sel:WORD_1 src1_sel:DWORD
	s_movk_i32 s4, 0x7f
	v_cmp_lt_i16_e32 vcc, s4, v13
	s_mov_b64 s[4:5], 0
                                        ; implicit-def: $sgpr10
	s_and_saveexec_b64 s[6:7], vcc
	s_xor_b64 s[6:7], exec, s[6:7]
	s_cbranch_execz .LBB2_9489
; %bb.45329:
	s_getpc_b64 s[14:15]
.Lpost_getpc26248:
	s_add_u32 s14, s14, (.LBB2_23825-.Lpost_getpc26248)&4294967295
	s_addc_u32 s15, s15, (.LBB2_23825-.Lpost_getpc26248)>>32
	s_setpc_b64 s[14:15]
.LBB2_9489:
	s_or_saveexec_b64 s[6:7], s[6:7]
	v_mov_b32_e32 v12, s10
	s_xor_b64 exec, exec, s[6:7]
	s_cbranch_execz .LBB2_9490
; %bb.45331:
	s_getpc_b64 s[14:15]
.Lpost_getpc26249:
	s_add_u32 s14, s14, (.LBB2_23828-.Lpost_getpc26249)&4294967295
	s_addc_u32 s15, s15, (.LBB2_23828-.Lpost_getpc26249)>>32
	s_setpc_b64 s[14:15]
.LBB2_9490:
	s_or_b64 exec, exec, s[6:7]
	s_and_saveexec_b64 s[6:7], s[4:5]
	s_cbranch_execz .LBB2_9492
.LBB2_9491:
	v_bfe_u32 v12, v6, 16, 3
	v_ffbh_u32_e32 v15, v12
	v_min_u32_e32 v15, 32, v15
	v_lshrrev_b32_e32 v13, 19, v6
	v_subrev_u32_e32 v16, 28, v15
	v_and_b32_e32 v13, 15, v13
	v_lshlrev_b32_sdwa v16, v16, v6 dst_sel:DWORD dst_unused:UNUSED_PAD src0_sel:DWORD src1_sel:WORD_1
	v_bfe_u32 v14, v6, 19, 4
	v_sub_u32_e32 v15, 29, v15
	v_and_b32_e32 v16, 7, v16
	v_cmp_eq_u16_e32 vcc, 0, v13
	v_cndmask_b32_e32 v12, v12, v16, vcc
	v_cndmask_b32_e32 v13, v14, v15, vcc
	v_lshlrev_b32_e32 v14, 8, v6
	v_mov_b32_e32 v15, 0x3b800000
	v_lshlrev_b32_e32 v12, 20, v12
	v_and_b32_e32 v14, 0x80000000, v14
	v_lshl_add_u32 v13, v13, 23, v15
	v_or3_b32 v12, v14, v13, v12
.LBB2_9492:
	s_or_b64 exec, exec, s[6:7]
	s_movk_i32 s4, 0xff
	v_and_b32_sdwa v13, v2, s4 dst_sel:DWORD dst_unused:UNUSED_PAD src0_sel:WORD_1 src1_sel:DWORD
	s_movk_i32 s4, 0x7f
	v_cmp_lt_i16_e32 vcc, s4, v13
	s_mov_b64 s[4:5], 0
                                        ; implicit-def: $sgpr10
	s_and_saveexec_b64 s[6:7], vcc
	s_xor_b64 s[6:7], exec, s[6:7]
	s_cbranch_execz .LBB2_9493
; %bb.45333:
	s_getpc_b64 s[14:15]
.Lpost_getpc26250:
	s_add_u32 s14, s14, (.LBB2_23829-.Lpost_getpc26250)&4294967295
	s_addc_u32 s15, s15, (.LBB2_23829-.Lpost_getpc26250)>>32
	s_setpc_b64 s[14:15]
.LBB2_9493:
	s_or_saveexec_b64 s[6:7], s[6:7]
	v_mov_b32_e32 v14, s10
	s_xor_b64 exec, exec, s[6:7]
	s_cbranch_execz .LBB2_9494
; %bb.45335:
	s_getpc_b64 s[14:15]
.Lpost_getpc26251:
	s_add_u32 s14, s14, (.LBB2_23832-.Lpost_getpc26251)&4294967295
	s_addc_u32 s15, s15, (.LBB2_23832-.Lpost_getpc26251)>>32
	s_setpc_b64 s[14:15]
.LBB2_9494:
	s_or_b64 exec, exec, s[6:7]
	s_and_saveexec_b64 s[6:7], s[4:5]
	s_cbranch_execz .LBB2_9496
.LBB2_9495:
	v_bfe_u32 v13, v2, 16, 3
	v_ffbh_u32_e32 v16, v13
	v_min_u32_e32 v16, 32, v16
	v_lshrrev_b32_e32 v14, 19, v2
	v_subrev_u32_e32 v17, 28, v16
	v_and_b32_e32 v14, 15, v14
	v_lshlrev_b32_sdwa v17, v17, v2 dst_sel:DWORD dst_unused:UNUSED_PAD src0_sel:DWORD src1_sel:WORD_1
	v_bfe_u32 v15, v2, 19, 4
	v_sub_u32_e32 v16, 29, v16
	v_and_b32_e32 v17, 7, v17
	v_cmp_eq_u16_e32 vcc, 0, v14
	v_cndmask_b32_e32 v13, v13, v17, vcc
	v_cndmask_b32_e32 v14, v15, v16, vcc
	v_lshlrev_b32_e32 v15, 8, v2
	v_mov_b32_e32 v16, 0x3b800000
	v_lshlrev_b32_e32 v13, 20, v13
	v_and_b32_e32 v15, 0x80000000, v15
	v_lshl_add_u32 v14, v14, 23, v16
	v_or3_b32 v14, v15, v14, v13
.LBB2_9496:
	s_or_b64 exec, exec, s[6:7]
	s_nop 0
	v_mfma_f32_16x16x4f32 a[0:3], v12, v14, a[0:3]
	s_movk_i32 s4, 0x7f
	v_cmp_gt_i16_sdwa s[6:7], v6, s4 src0_sel:BYTE_3 src1_sel:DWORD
	s_mov_b64 s[4:5], 0
                                        ; implicit-def: $sgpr10
	s_and_saveexec_b64 s[8:9], s[6:7]
	s_xor_b64 s[6:7], exec, s[8:9]
	s_cbranch_execz .LBB2_9497
; %bb.45337:
	s_getpc_b64 s[14:15]
.Lpost_getpc26252:
	s_add_u32 s14, s14, (.LBB2_23833-.Lpost_getpc26252)&4294967295
	s_addc_u32 s15, s15, (.LBB2_23833-.Lpost_getpc26252)>>32
	s_setpc_b64 s[14:15]
.LBB2_9497:
	s_or_saveexec_b64 s[6:7], s[6:7]
	v_mov_b32_e32 v12, s10
	s_xor_b64 exec, exec, s[6:7]
	s_cbranch_execz .LBB2_9498
; %bb.45339:
	s_getpc_b64 s[14:15]
.Lpost_getpc26253:
	s_add_u32 s14, s14, (.LBB2_23836-.Lpost_getpc26253)&4294967295
	s_addc_u32 s15, s15, (.LBB2_23836-.Lpost_getpc26253)>>32
	s_setpc_b64 s[14:15]
.LBB2_9498:
	s_or_b64 exec, exec, s[6:7]
	s_and_saveexec_b64 s[6:7], s[4:5]
	s_cbranch_execz .LBB2_9500
.LBB2_9499:
	v_bfe_u32 v12, v6, 24, 3
	v_ffbh_u32_e32 v16, v12
	v_min_u32_e32 v16, 32, v16
	v_lshrrev_b32_e32 v14, 27, v6
	v_subrev_u32_e32 v17, 28, v16
	v_and_b32_e32 v13, 0x80000000, v6
	v_and_b32_e32 v14, 15, v14
	v_bfe_u32 v15, v6, 27, 4
	v_lshlrev_b32_sdwa v6, v17, v6 dst_sel:DWORD dst_unused:UNUSED_PAD src0_sel:DWORD src1_sel:BYTE_3
	v_sub_u32_e32 v16, 29, v16
	v_and_b32_e32 v6, 7, v6
	v_cmp_eq_u16_e32 vcc, 0, v14
	v_cndmask_b32_e32 v6, v12, v6, vcc
	v_cndmask_b32_e32 v12, v15, v16, vcc
	v_mov_b32_e32 v14, 0x3b800000
	v_lshlrev_b32_e32 v6, 20, v6
	v_lshl_add_u32 v12, v12, 23, v14
	v_or3_b32 v12, v13, v12, v6
.LBB2_9500:
	s_or_b64 exec, exec, s[6:7]
	s_movk_i32 s4, 0x7f
	v_cmp_gt_i16_sdwa s[6:7], v2, s4 src0_sel:BYTE_3 src1_sel:DWORD
	s_mov_b64 s[4:5], 0
                                        ; implicit-def: $sgpr10
	s_and_saveexec_b64 s[8:9], s[6:7]
	s_xor_b64 s[6:7], exec, s[8:9]
	s_cbranch_execz .LBB2_9501
; %bb.45341:
	s_getpc_b64 s[14:15]
.Lpost_getpc26254:
	s_add_u32 s14, s14, (.LBB2_23837-.Lpost_getpc26254)&4294967295
	s_addc_u32 s15, s15, (.LBB2_23837-.Lpost_getpc26254)>>32
	s_setpc_b64 s[14:15]
.LBB2_9501:
	s_or_saveexec_b64 s[6:7], s[6:7]
	v_mov_b32_e32 v6, s10
	s_xor_b64 exec, exec, s[6:7]
	s_cbranch_execz .LBB2_9502
; %bb.45343:
	s_getpc_b64 s[14:15]
.Lpost_getpc26255:
	s_add_u32 s14, s14, (.LBB2_23840-.Lpost_getpc26255)&4294967295
	s_addc_u32 s15, s15, (.LBB2_23840-.Lpost_getpc26255)>>32
	s_setpc_b64 s[14:15]
.LBB2_9502:
	s_or_b64 exec, exec, s[6:7]
	s_and_saveexec_b64 s[6:7], s[4:5]
	s_cbranch_execz .LBB2_9504
.LBB2_9503:
	v_bfe_u32 v6, v2, 24, 3
	v_ffbh_u32_e32 v16, v6
	v_min_u32_e32 v16, 32, v16
	v_lshrrev_b32_e32 v14, 27, v2
	v_subrev_u32_e32 v17, 28, v16
	v_and_b32_e32 v13, 0x80000000, v2
	v_and_b32_e32 v14, 15, v14
	v_bfe_u32 v15, v2, 27, 4
	v_lshlrev_b32_sdwa v2, v17, v2 dst_sel:DWORD dst_unused:UNUSED_PAD src0_sel:DWORD src1_sel:BYTE_3
	v_sub_u32_e32 v16, 29, v16
	v_and_b32_e32 v2, 7, v2
	v_cmp_eq_u16_e32 vcc, 0, v14
	v_cndmask_b32_e32 v2, v6, v2, vcc
	v_cndmask_b32_e32 v6, v15, v16, vcc
	v_mov_b32_e32 v14, 0x3b800000
	v_lshlrev_b32_e32 v2, 20, v2
	v_lshl_add_u32 v6, v6, 23, v14
	v_or3_b32 v6, v13, v6, v2
.LBB2_9504:
	s_or_b64 exec, exec, s[6:7]
	s_nop 0
	v_mfma_f32_16x16x4f32 a[0:3], v12, v6, a[0:3]
	s_movk_i32 s4, 0x7f
	v_cmp_gt_i16_sdwa s[6:7], v7, s4 src0_sel:BYTE_0 src1_sel:DWORD
	s_mov_b64 s[4:5], 0
                                        ; implicit-def: $sgpr10
	s_and_saveexec_b64 s[8:9], s[6:7]
	s_xor_b64 s[6:7], exec, s[8:9]
	s_cbranch_execz .LBB2_9505
; %bb.45345:
	s_getpc_b64 s[14:15]
.Lpost_getpc26256:
	s_add_u32 s14, s14, (.LBB2_23841-.Lpost_getpc26256)&4294967295
	s_addc_u32 s15, s15, (.LBB2_23841-.Lpost_getpc26256)>>32
	s_setpc_b64 s[14:15]
.LBB2_9505:
	s_or_saveexec_b64 s[6:7], s[6:7]
	v_mov_b32_e32 v2, s10
	s_xor_b64 exec, exec, s[6:7]
	s_cbranch_execz .LBB2_9506
; %bb.45347:
	s_getpc_b64 s[14:15]
.Lpost_getpc26257:
	s_add_u32 s14, s14, (.LBB2_23844-.Lpost_getpc26257)&4294967295
	s_addc_u32 s15, s15, (.LBB2_23844-.Lpost_getpc26257)>>32
	s_setpc_b64 s[14:15]
.LBB2_9506:
	s_or_b64 exec, exec, s[6:7]
	s_and_saveexec_b64 s[6:7], s[4:5]
	s_cbranch_execz .LBB2_9508
.LBB2_9507:
	v_and_b32_e32 v2, 7, v7
	v_ffbh_u32_e32 v12, v2
	v_min_u32_e32 v12, 32, v12
	v_lshrrev_b16_e32 v6, 3, v7
	v_subrev_u32_e32 v13, 28, v12
	v_and_b32_e32 v6, 15, v6
	v_lshlrev_b32_e32 v13, v13, v7
	v_sub_u32_e32 v12, 29, v12
	v_and_b32_e32 v13, 7, v13
	v_cmp_eq_u16_e32 vcc, 0, v6
	v_cndmask_b32_e32 v2, v2, v13, vcc
	v_cndmask_b32_e32 v6, v6, v12, vcc
	v_lshlrev_b32_e32 v12, 24, v7
	v_mov_b32_e32 v13, 0x3b800000
	v_lshlrev_b32_e32 v2, 20, v2
	v_and_b32_e32 v12, 0x80000000, v12
	v_lshl_add_u32 v6, v6, 23, v13
	v_or3_b32 v2, v12, v6, v2
.LBB2_9508:
	s_or_b64 exec, exec, s[6:7]
	s_movk_i32 s4, 0x7f
	v_cmp_gt_i16_sdwa s[6:7], v3, s4 src0_sel:BYTE_0 src1_sel:DWORD
	s_mov_b64 s[4:5], 0
                                        ; implicit-def: $sgpr10
	s_and_saveexec_b64 s[8:9], s[6:7]
	s_xor_b64 s[6:7], exec, s[8:9]
	s_cbranch_execz .LBB2_9509
; %bb.45349:
	s_getpc_b64 s[14:15]
.Lpost_getpc26258:
	s_add_u32 s14, s14, (.LBB2_23845-.Lpost_getpc26258)&4294967295
	s_addc_u32 s15, s15, (.LBB2_23845-.Lpost_getpc26258)>>32
	s_setpc_b64 s[14:15]
.LBB2_9509:
	s_or_saveexec_b64 s[6:7], s[6:7]
	v_mov_b32_e32 v6, s10
	s_xor_b64 exec, exec, s[6:7]
	s_cbranch_execz .LBB2_9510
; %bb.45351:
	s_getpc_b64 s[14:15]
.Lpost_getpc26259:
	s_add_u32 s14, s14, (.LBB2_23848-.Lpost_getpc26259)&4294967295
	s_addc_u32 s15, s15, (.LBB2_23848-.Lpost_getpc26259)>>32
	s_setpc_b64 s[14:15]
.LBB2_9510:
	s_or_b64 exec, exec, s[6:7]
	s_and_saveexec_b64 s[6:7], s[4:5]
	s_cbranch_execz .LBB2_9512
.LBB2_9511:
	v_and_b32_e32 v6, 7, v3
	v_ffbh_u32_e32 v13, v6
	v_min_u32_e32 v13, 32, v13
	v_lshrrev_b16_e32 v12, 3, v3
	v_subrev_u32_e32 v14, 28, v13
	v_and_b32_e32 v12, 15, v12
	v_lshlrev_b32_e32 v14, v14, v3
	v_sub_u32_e32 v13, 29, v13
	v_and_b32_e32 v14, 7, v14
	v_cmp_eq_u16_e32 vcc, 0, v12
	v_cndmask_b32_e32 v6, v6, v14, vcc
	v_cndmask_b32_e32 v12, v12, v13, vcc
	v_lshlrev_b32_e32 v13, 24, v3
	v_mov_b32_e32 v14, 0x3b800000
	v_lshlrev_b32_e32 v6, 20, v6
	v_and_b32_e32 v13, 0x80000000, v13
	v_lshl_add_u32 v12, v12, 23, v14
	v_or3_b32 v6, v13, v12, v6
.LBB2_9512:
	s_or_b64 exec, exec, s[6:7]
	s_nop 0
	v_mfma_f32_16x16x4f32 a[0:3], v2, v6, a[0:3]
	v_lshrrev_b32_e32 v6, 8, v7
	s_movk_i32 s4, 0x7f
	v_cmp_gt_i16_sdwa s[6:7], v6, s4 src0_sel:BYTE_0 src1_sel:DWORD
	s_mov_b64 s[4:5], 0
                                        ; implicit-def: $sgpr10
	s_and_saveexec_b64 s[8:9], s[6:7]
	s_xor_b64 s[6:7], exec, s[8:9]
	s_cbranch_execz .LBB2_9513
; %bb.45353:
	s_getpc_b64 s[14:15]
.Lpost_getpc26260:
	s_add_u32 s14, s14, (.LBB2_23849-.Lpost_getpc26260)&4294967295
	s_addc_u32 s15, s15, (.LBB2_23849-.Lpost_getpc26260)>>32
	s_setpc_b64 s[14:15]
.LBB2_9513:
	s_or_saveexec_b64 s[6:7], s[6:7]
	v_mov_b32_e32 v2, s10
	s_xor_b64 exec, exec, s[6:7]
	s_cbranch_execz .LBB2_9514
; %bb.45355:
	s_getpc_b64 s[14:15]
.Lpost_getpc26261:
	s_add_u32 s14, s14, (.LBB2_23852-.Lpost_getpc26261)&4294967295
	s_addc_u32 s15, s15, (.LBB2_23852-.Lpost_getpc26261)>>32
	s_setpc_b64 s[14:15]
.LBB2_9514:
	s_or_b64 exec, exec, s[6:7]
	s_and_saveexec_b64 s[6:7], s[4:5]
	s_cbranch_execz .LBB2_9516
.LBB2_9515:
	v_bfe_u32 v2, v7, 8, 3
	v_ffbh_u32_e32 v13, v2
	v_min_u32_e32 v13, 32, v13
	v_lshrrev_b16_e32 v12, 3, v6
	v_subrev_u32_e32 v14, 28, v13
	v_and_b32_e32 v12, 15, v12
	v_lshlrev_b32_e32 v6, v14, v6
	v_sub_u32_e32 v13, 29, v13
	v_and_b32_e32 v6, 7, v6
	v_cmp_eq_u16_e32 vcc, 0, v12
	v_cndmask_b32_e32 v2, v2, v6, vcc
	v_cndmask_b32_e32 v6, v12, v13, vcc
	v_lshlrev_b32_e32 v12, 16, v7
	v_mov_b32_e32 v13, 0x3b800000
	v_lshlrev_b32_e32 v2, 20, v2
	v_and_b32_e32 v12, 0x80000000, v12
	v_lshl_add_u32 v6, v6, 23, v13
	v_or3_b32 v2, v12, v6, v2
.LBB2_9516:
	s_or_b64 exec, exec, s[6:7]
	v_lshrrev_b32_e32 v6, 8, v3
	s_movk_i32 s4, 0x7f
	v_cmp_gt_i16_sdwa s[6:7], v6, s4 src0_sel:BYTE_0 src1_sel:DWORD
	s_mov_b64 s[4:5], 0
                                        ; implicit-def: $sgpr10
	s_and_saveexec_b64 s[8:9], s[6:7]
	s_xor_b64 s[6:7], exec, s[8:9]
	s_cbranch_execz .LBB2_9517
; %bb.45357:
	s_getpc_b64 s[14:15]
.Lpost_getpc26262:
	s_add_u32 s14, s14, (.LBB2_23853-.Lpost_getpc26262)&4294967295
	s_addc_u32 s15, s15, (.LBB2_23853-.Lpost_getpc26262)>>32
	s_setpc_b64 s[14:15]
.LBB2_9517:
	s_or_saveexec_b64 s[6:7], s[6:7]
	v_mov_b32_e32 v12, s10
	s_xor_b64 exec, exec, s[6:7]
	s_cbranch_execz .LBB2_9518
; %bb.45359:
	s_getpc_b64 s[14:15]
.Lpost_getpc26263:
	s_add_u32 s14, s14, (.LBB2_23856-.Lpost_getpc26263)&4294967295
	s_addc_u32 s15, s15, (.LBB2_23856-.Lpost_getpc26263)>>32
	s_setpc_b64 s[14:15]
.LBB2_9518:
	s_or_b64 exec, exec, s[6:7]
	s_and_saveexec_b64 s[6:7], s[4:5]
	s_cbranch_execz .LBB2_9520
.LBB2_9519:
	v_bfe_u32 v12, v3, 8, 3
	v_ffbh_u32_e32 v14, v12
	v_min_u32_e32 v14, 32, v14
	v_lshrrev_b16_e32 v13, 3, v6
	v_subrev_u32_e32 v15, 28, v14
	v_and_b32_e32 v13, 15, v13
	v_lshlrev_b32_e32 v6, v15, v6
	v_sub_u32_e32 v14, 29, v14
	v_and_b32_e32 v6, 7, v6
	v_cmp_eq_u16_e32 vcc, 0, v13
	v_cndmask_b32_e32 v6, v12, v6, vcc
	v_cndmask_b32_e32 v12, v13, v14, vcc
	v_lshlrev_b32_e32 v13, 16, v3
	v_mov_b32_e32 v14, 0x3b800000
	v_lshlrev_b32_e32 v6, 20, v6
	v_and_b32_e32 v13, 0x80000000, v13
	v_lshl_add_u32 v12, v12, 23, v14
	v_or3_b32 v12, v13, v12, v6
.LBB2_9520:
	s_or_b64 exec, exec, s[6:7]
	s_nop 0
	v_mfma_f32_16x16x4f32 a[0:3], v2, v12, a[0:3]
	s_movk_i32 s4, 0xff
	v_and_b32_sdwa v6, v7, s4 dst_sel:DWORD dst_unused:UNUSED_PAD src0_sel:WORD_1 src1_sel:DWORD
	s_movk_i32 s4, 0x7f
	v_cmp_lt_i16_e32 vcc, s4, v6
	s_mov_b64 s[4:5], 0
                                        ; implicit-def: $sgpr10
	s_and_saveexec_b64 s[6:7], vcc
	s_xor_b64 s[6:7], exec, s[6:7]
	s_cbranch_execz .LBB2_9521
; %bb.45361:
	s_getpc_b64 s[14:15]
.Lpost_getpc26264:
	s_add_u32 s14, s14, (.LBB2_23857-.Lpost_getpc26264)&4294967295
	s_addc_u32 s15, s15, (.LBB2_23857-.Lpost_getpc26264)>>32
	s_setpc_b64 s[14:15]
.LBB2_9521:
	s_or_saveexec_b64 s[6:7], s[6:7]
	v_mov_b32_e32 v2, s10
	s_xor_b64 exec, exec, s[6:7]
	s_cbranch_execz .LBB2_9522
; %bb.45363:
	s_getpc_b64 s[14:15]
.Lpost_getpc26265:
	s_add_u32 s14, s14, (.LBB2_23860-.Lpost_getpc26265)&4294967295
	s_addc_u32 s15, s15, (.LBB2_23860-.Lpost_getpc26265)>>32
	s_setpc_b64 s[14:15]
.LBB2_9522:
	s_or_b64 exec, exec, s[6:7]
	s_and_saveexec_b64 s[6:7], s[4:5]
	s_cbranch_execz .LBB2_9524
.LBB2_9523:
	v_bfe_u32 v2, v7, 16, 3
	v_ffbh_u32_e32 v13, v2
	v_min_u32_e32 v13, 32, v13
	v_lshrrev_b32_e32 v6, 19, v7
	v_subrev_u32_e32 v14, 28, v13
	v_and_b32_e32 v6, 15, v6
	v_lshlrev_b32_sdwa v14, v14, v7 dst_sel:DWORD dst_unused:UNUSED_PAD src0_sel:DWORD src1_sel:WORD_1
	v_bfe_u32 v12, v7, 19, 4
	v_sub_u32_e32 v13, 29, v13
	v_and_b32_e32 v14, 7, v14
	v_cmp_eq_u16_e32 vcc, 0, v6
	v_cndmask_b32_e32 v2, v2, v14, vcc
	v_cndmask_b32_e32 v6, v12, v13, vcc
	v_lshlrev_b32_e32 v12, 8, v7
	v_mov_b32_e32 v13, 0x3b800000
	v_lshlrev_b32_e32 v2, 20, v2
	v_and_b32_e32 v12, 0x80000000, v12
	v_lshl_add_u32 v6, v6, 23, v13
	v_or3_b32 v2, v12, v6, v2
.LBB2_9524:
	s_or_b64 exec, exec, s[6:7]
	s_movk_i32 s4, 0xff
	v_and_b32_sdwa v6, v3, s4 dst_sel:DWORD dst_unused:UNUSED_PAD src0_sel:WORD_1 src1_sel:DWORD
	s_movk_i32 s4, 0x7f
	v_cmp_lt_i16_e32 vcc, s4, v6
	s_mov_b64 s[4:5], 0
                                        ; implicit-def: $sgpr10
	s_and_saveexec_b64 s[6:7], vcc
	s_xor_b64 s[6:7], exec, s[6:7]
	s_cbranch_execz .LBB2_9525
; %bb.45365:
	s_getpc_b64 s[14:15]
.Lpost_getpc26266:
	s_add_u32 s14, s14, (.LBB2_23861-.Lpost_getpc26266)&4294967295
	s_addc_u32 s15, s15, (.LBB2_23861-.Lpost_getpc26266)>>32
	s_setpc_b64 s[14:15]
.LBB2_9525:
	s_or_saveexec_b64 s[6:7], s[6:7]
	v_mov_b32_e32 v12, s10
	s_xor_b64 exec, exec, s[6:7]
	s_cbranch_execz .LBB2_9526
; %bb.45367:
	s_getpc_b64 s[14:15]
.Lpost_getpc26267:
	s_add_u32 s14, s14, (.LBB2_23864-.Lpost_getpc26267)&4294967295
	s_addc_u32 s15, s15, (.LBB2_23864-.Lpost_getpc26267)>>32
	s_setpc_b64 s[14:15]
.LBB2_9526:
	s_or_b64 exec, exec, s[6:7]
	s_and_saveexec_b64 s[6:7], s[4:5]
	s_cbranch_execz .LBB2_9528
.LBB2_9527:
	v_bfe_u32 v6, v3, 16, 3
	v_ffbh_u32_e32 v14, v6
	v_min_u32_e32 v14, 32, v14
	v_lshrrev_b32_e32 v12, 19, v3
	v_subrev_u32_e32 v15, 28, v14
	v_and_b32_e32 v12, 15, v12
	v_lshlrev_b32_sdwa v15, v15, v3 dst_sel:DWORD dst_unused:UNUSED_PAD src0_sel:DWORD src1_sel:WORD_1
	v_bfe_u32 v13, v3, 19, 4
	v_sub_u32_e32 v14, 29, v14
	v_and_b32_e32 v15, 7, v15
	v_cmp_eq_u16_e32 vcc, 0, v12
	v_cndmask_b32_e32 v6, v6, v15, vcc
	v_cndmask_b32_e32 v12, v13, v14, vcc
	v_lshlrev_b32_e32 v13, 8, v3
	v_mov_b32_e32 v14, 0x3b800000
	v_lshlrev_b32_e32 v6, 20, v6
	v_and_b32_e32 v13, 0x80000000, v13
	v_lshl_add_u32 v12, v12, 23, v14
	v_or3_b32 v12, v13, v12, v6
.LBB2_9528:
	s_or_b64 exec, exec, s[6:7]
	s_nop 0
	v_mfma_f32_16x16x4f32 a[0:3], v2, v12, a[0:3]
	s_movk_i32 s4, 0x7f
	v_cmp_gt_i16_sdwa s[6:7], v7, s4 src0_sel:BYTE_3 src1_sel:DWORD
	s_mov_b64 s[4:5], 0
                                        ; implicit-def: $sgpr10
	s_and_saveexec_b64 s[8:9], s[6:7]
	s_xor_b64 s[6:7], exec, s[8:9]
	s_cbranch_execz .LBB2_9529
; %bb.45369:
	s_getpc_b64 s[14:15]
.Lpost_getpc26268:
	s_add_u32 s14, s14, (.LBB2_23865-.Lpost_getpc26268)&4294967295
	s_addc_u32 s15, s15, (.LBB2_23865-.Lpost_getpc26268)>>32
	s_setpc_b64 s[14:15]
.LBB2_9529:
	s_or_saveexec_b64 s[6:7], s[6:7]
	v_mov_b32_e32 v2, s10
	s_xor_b64 exec, exec, s[6:7]
	s_cbranch_execz .LBB2_9530
; %bb.45371:
	s_getpc_b64 s[14:15]
.Lpost_getpc26269:
	s_add_u32 s14, s14, (.LBB2_23868-.Lpost_getpc26269)&4294967295
	s_addc_u32 s15, s15, (.LBB2_23868-.Lpost_getpc26269)>>32
	s_setpc_b64 s[14:15]
.LBB2_9530:
	s_or_b64 exec, exec, s[6:7]
	s_and_saveexec_b64 s[6:7], s[4:5]
	s_cbranch_execz .LBB2_9532
.LBB2_9531:
	v_bfe_u32 v2, v7, 24, 3
	v_ffbh_u32_e32 v14, v2
	v_min_u32_e32 v14, 32, v14
	v_lshrrev_b32_e32 v12, 27, v7
	v_subrev_u32_e32 v15, 28, v14
	v_and_b32_e32 v6, 0x80000000, v7
	v_and_b32_e32 v12, 15, v12
	v_bfe_u32 v13, v7, 27, 4
	v_lshlrev_b32_sdwa v7, v15, v7 dst_sel:DWORD dst_unused:UNUSED_PAD src0_sel:DWORD src1_sel:BYTE_3
	v_sub_u32_e32 v14, 29, v14
	v_and_b32_e32 v7, 7, v7
	v_cmp_eq_u16_e32 vcc, 0, v12
	v_cndmask_b32_e32 v2, v2, v7, vcc
	v_cndmask_b32_e32 v7, v13, v14, vcc
	v_mov_b32_e32 v12, 0x3b800000
	v_lshlrev_b32_e32 v2, 20, v2
	v_lshl_add_u32 v7, v7, 23, v12
	v_or3_b32 v2, v6, v7, v2
.LBB2_9532:
	s_or_b64 exec, exec, s[6:7]
	s_movk_i32 s4, 0x7f
	v_cmp_gt_i16_sdwa s[6:7], v3, s4 src0_sel:BYTE_3 src1_sel:DWORD
	s_mov_b64 s[4:5], 0
                                        ; implicit-def: $sgpr10
	s_and_saveexec_b64 s[8:9], s[6:7]
	s_xor_b64 s[6:7], exec, s[8:9]
	s_cbranch_execz .LBB2_9533
; %bb.45373:
	s_getpc_b64 s[14:15]
.Lpost_getpc26270:
	s_add_u32 s14, s14, (.LBB2_23869-.Lpost_getpc26270)&4294967295
	s_addc_u32 s15, s15, (.LBB2_23869-.Lpost_getpc26270)>>32
	s_setpc_b64 s[14:15]
.LBB2_9533:
	s_or_saveexec_b64 s[6:7], s[6:7]
	v_mov_b32_e32 v6, s10
	s_xor_b64 exec, exec, s[6:7]
	s_cbranch_execz .LBB2_9534
; %bb.45375:
	s_getpc_b64 s[14:15]
.Lpost_getpc26271:
	s_add_u32 s14, s14, (.LBB2_23872-.Lpost_getpc26271)&4294967295
	s_addc_u32 s15, s15, (.LBB2_23872-.Lpost_getpc26271)>>32
	s_setpc_b64 s[14:15]
.LBB2_9534:
	s_or_b64 exec, exec, s[6:7]
	s_and_saveexec_b64 s[6:7], s[4:5]
	s_cbranch_execz .LBB2_9536
.LBB2_9535:
	v_bfe_u32 v6, v3, 24, 3
	v_ffbh_u32_e32 v14, v6
	v_min_u32_e32 v14, 32, v14
	v_lshrrev_b32_e32 v12, 27, v3
	v_subrev_u32_e32 v15, 28, v14
	v_and_b32_e32 v7, 0x80000000, v3
	v_and_b32_e32 v12, 15, v12
	v_bfe_u32 v13, v3, 27, 4
	v_lshlrev_b32_sdwa v3, v15, v3 dst_sel:DWORD dst_unused:UNUSED_PAD src0_sel:DWORD src1_sel:BYTE_3
	v_sub_u32_e32 v14, 29, v14
	v_and_b32_e32 v3, 7, v3
	v_cmp_eq_u16_e32 vcc, 0, v12
	v_cndmask_b32_e32 v3, v6, v3, vcc
	v_cndmask_b32_e32 v6, v13, v14, vcc
	v_mov_b32_e32 v12, 0x3b800000
	v_lshlrev_b32_e32 v3, 20, v3
	v_lshl_add_u32 v6, v6, 23, v12
	v_or3_b32 v6, v7, v6, v3
.LBB2_9536:
	s_or_b64 exec, exec, s[6:7]
	s_nop 0
	v_mfma_f32_16x16x4f32 a[0:3], v2, v6, a[0:3]
	s_movk_i32 s4, 0x7f
	v_cmp_gt_i16_sdwa s[6:7], v8, s4 src0_sel:BYTE_0 src1_sel:DWORD
	s_mov_b64 s[4:5], 0
                                        ; implicit-def: $sgpr10
	s_and_saveexec_b64 s[8:9], s[6:7]
	s_xor_b64 s[6:7], exec, s[8:9]
	s_cbranch_execz .LBB2_9537
; %bb.45377:
	s_getpc_b64 s[14:15]
.Lpost_getpc26272:
	s_add_u32 s14, s14, (.LBB2_23873-.Lpost_getpc26272)&4294967295
	s_addc_u32 s15, s15, (.LBB2_23873-.Lpost_getpc26272)>>32
	s_setpc_b64 s[14:15]
.LBB2_9537:
	s_or_saveexec_b64 s[6:7], s[6:7]
	v_mov_b32_e32 v2, s10
	s_xor_b64 exec, exec, s[6:7]
	s_cbranch_execz .LBB2_9538
; %bb.45379:
	s_getpc_b64 s[14:15]
.Lpost_getpc26273:
	s_add_u32 s14, s14, (.LBB2_23876-.Lpost_getpc26273)&4294967295
	s_addc_u32 s15, s15, (.LBB2_23876-.Lpost_getpc26273)>>32
	s_setpc_b64 s[14:15]
.LBB2_9538:
	s_or_b64 exec, exec, s[6:7]
	s_and_saveexec_b64 s[6:7], s[4:5]
	s_cbranch_execz .LBB2_9540
.LBB2_9539:
	v_and_b32_e32 v2, 7, v8
	v_ffbh_u32_e32 v6, v2
	v_min_u32_e32 v6, 32, v6
	v_lshrrev_b16_e32 v3, 3, v8
	v_subrev_u32_e32 v7, 28, v6
	v_and_b32_e32 v3, 15, v3
	v_lshlrev_b32_e32 v7, v7, v8
	v_sub_u32_e32 v6, 29, v6
	v_and_b32_e32 v7, 7, v7
	v_cmp_eq_u16_e32 vcc, 0, v3
	v_cndmask_b32_e32 v2, v2, v7, vcc
	v_cndmask_b32_e32 v3, v3, v6, vcc
	v_lshlrev_b32_e32 v6, 24, v8
	v_mov_b32_e32 v7, 0x3b800000
	v_lshlrev_b32_e32 v2, 20, v2
	v_and_b32_e32 v6, 0x80000000, v6
	v_lshl_add_u32 v3, v3, 23, v7
	v_or3_b32 v2, v6, v3, v2
.LBB2_9540:
	s_or_b64 exec, exec, s[6:7]
	s_movk_i32 s4, 0x7f
	v_cmp_gt_i16_sdwa s[6:7], v4, s4 src0_sel:BYTE_0 src1_sel:DWORD
	s_mov_b64 s[4:5], 0
                                        ; implicit-def: $sgpr10
	s_and_saveexec_b64 s[8:9], s[6:7]
	s_xor_b64 s[6:7], exec, s[8:9]
	s_cbranch_execz .LBB2_9541
; %bb.45381:
	s_getpc_b64 s[14:15]
.Lpost_getpc26274:
	s_add_u32 s14, s14, (.LBB2_23877-.Lpost_getpc26274)&4294967295
	s_addc_u32 s15, s15, (.LBB2_23877-.Lpost_getpc26274)>>32
	s_setpc_b64 s[14:15]
.LBB2_9541:
	s_or_saveexec_b64 s[6:7], s[6:7]
	v_mov_b32_e32 v3, s10
	s_xor_b64 exec, exec, s[6:7]
	s_cbranch_execz .LBB2_9542
; %bb.45383:
	s_getpc_b64 s[14:15]
.Lpost_getpc26275:
	s_add_u32 s14, s14, (.LBB2_23880-.Lpost_getpc26275)&4294967295
	s_addc_u32 s15, s15, (.LBB2_23880-.Lpost_getpc26275)>>32
	s_setpc_b64 s[14:15]
.LBB2_9542:
	s_or_b64 exec, exec, s[6:7]
	s_and_saveexec_b64 s[6:7], s[4:5]
	s_cbranch_execz .LBB2_9544
.LBB2_9543:
	v_and_b32_e32 v3, 7, v4
	v_ffbh_u32_e32 v7, v3
	v_min_u32_e32 v7, 32, v7
	v_lshrrev_b16_e32 v6, 3, v4
	v_subrev_u32_e32 v12, 28, v7
	v_and_b32_e32 v6, 15, v6
	v_lshlrev_b32_e32 v12, v12, v4
	v_sub_u32_e32 v7, 29, v7
	v_and_b32_e32 v12, 7, v12
	v_cmp_eq_u16_e32 vcc, 0, v6
	v_cndmask_b32_e32 v3, v3, v12, vcc
	v_cndmask_b32_e32 v6, v6, v7, vcc
	v_lshlrev_b32_e32 v7, 24, v4
	v_mov_b32_e32 v12, 0x3b800000
	v_lshlrev_b32_e32 v3, 20, v3
	v_and_b32_e32 v7, 0x80000000, v7
	v_lshl_add_u32 v6, v6, 23, v12
	v_or3_b32 v3, v7, v6, v3
.LBB2_9544:
	s_or_b64 exec, exec, s[6:7]
	s_nop 0
	v_mfma_f32_16x16x4f32 a[0:3], v2, v3, a[0:3]
	v_lshrrev_b32_e32 v3, 8, v8
	s_movk_i32 s4, 0x7f
	v_cmp_gt_i16_sdwa s[6:7], v3, s4 src0_sel:BYTE_0 src1_sel:DWORD
	s_mov_b64 s[4:5], 0
                                        ; implicit-def: $sgpr10
	s_and_saveexec_b64 s[8:9], s[6:7]
	s_xor_b64 s[6:7], exec, s[8:9]
	s_cbranch_execz .LBB2_9545
; %bb.45385:
	s_getpc_b64 s[14:15]
.Lpost_getpc26276:
	s_add_u32 s14, s14, (.LBB2_23881-.Lpost_getpc26276)&4294967295
	s_addc_u32 s15, s15, (.LBB2_23881-.Lpost_getpc26276)>>32
	s_setpc_b64 s[14:15]
.LBB2_9545:
	s_or_saveexec_b64 s[6:7], s[6:7]
	v_mov_b32_e32 v2, s10
	s_xor_b64 exec, exec, s[6:7]
	s_cbranch_execz .LBB2_9546
; %bb.45387:
	s_getpc_b64 s[14:15]
.Lpost_getpc26277:
	s_add_u32 s14, s14, (.LBB2_23884-.Lpost_getpc26277)&4294967295
	s_addc_u32 s15, s15, (.LBB2_23884-.Lpost_getpc26277)>>32
	s_setpc_b64 s[14:15]
.LBB2_9546:
	s_or_b64 exec, exec, s[6:7]
	s_and_saveexec_b64 s[6:7], s[4:5]
	s_cbranch_execz .LBB2_9548
.LBB2_9547:
	v_bfe_u32 v2, v8, 8, 3
	v_ffbh_u32_e32 v7, v2
	v_min_u32_e32 v7, 32, v7
	v_lshrrev_b16_e32 v6, 3, v3
	v_subrev_u32_e32 v12, 28, v7
	v_and_b32_e32 v6, 15, v6
	v_lshlrev_b32_e32 v3, v12, v3
	v_sub_u32_e32 v7, 29, v7
	v_and_b32_e32 v3, 7, v3
	v_cmp_eq_u16_e32 vcc, 0, v6
	v_cndmask_b32_e32 v2, v2, v3, vcc
	v_cndmask_b32_e32 v3, v6, v7, vcc
	v_lshlrev_b32_e32 v6, 16, v8
	v_mov_b32_e32 v7, 0x3b800000
	v_lshlrev_b32_e32 v2, 20, v2
	v_and_b32_e32 v6, 0x80000000, v6
	v_lshl_add_u32 v3, v3, 23, v7
	v_or3_b32 v2, v6, v3, v2
.LBB2_9548:
	s_or_b64 exec, exec, s[6:7]
	v_lshrrev_b32_e32 v3, 8, v4
	s_movk_i32 s4, 0x7f
	v_cmp_gt_i16_sdwa s[6:7], v3, s4 src0_sel:BYTE_0 src1_sel:DWORD
	s_mov_b64 s[4:5], 0
                                        ; implicit-def: $sgpr10
	s_and_saveexec_b64 s[8:9], s[6:7]
	s_xor_b64 s[6:7], exec, s[8:9]
	s_cbranch_execz .LBB2_9549
; %bb.45389:
	s_getpc_b64 s[14:15]
.Lpost_getpc26278:
	s_add_u32 s14, s14, (.LBB2_23885-.Lpost_getpc26278)&4294967295
	s_addc_u32 s15, s15, (.LBB2_23885-.Lpost_getpc26278)>>32
	s_setpc_b64 s[14:15]
.LBB2_9549:
	s_or_saveexec_b64 s[6:7], s[6:7]
	v_mov_b32_e32 v6, s10
	s_xor_b64 exec, exec, s[6:7]
	s_cbranch_execz .LBB2_9550
; %bb.45391:
	s_getpc_b64 s[14:15]
.Lpost_getpc26279:
	s_add_u32 s14, s14, (.LBB2_23888-.Lpost_getpc26279)&4294967295
	s_addc_u32 s15, s15, (.LBB2_23888-.Lpost_getpc26279)>>32
	s_setpc_b64 s[14:15]
.LBB2_9550:
	s_or_b64 exec, exec, s[6:7]
	s_and_saveexec_b64 s[6:7], s[4:5]
	s_cbranch_execz .LBB2_9552
.LBB2_9551:
	v_bfe_u32 v6, v4, 8, 3
	v_ffbh_u32_e32 v12, v6
	v_min_u32_e32 v12, 32, v12
	v_lshrrev_b16_e32 v7, 3, v3
	v_subrev_u32_e32 v13, 28, v12
	v_and_b32_e32 v7, 15, v7
	v_lshlrev_b32_e32 v3, v13, v3
	v_sub_u32_e32 v12, 29, v12
	v_and_b32_e32 v3, 7, v3
	v_cmp_eq_u16_e32 vcc, 0, v7
	v_cndmask_b32_e32 v3, v6, v3, vcc
	v_cndmask_b32_e32 v6, v7, v12, vcc
	v_lshlrev_b32_e32 v7, 16, v4
	v_mov_b32_e32 v12, 0x3b800000
	v_lshlrev_b32_e32 v3, 20, v3
	v_and_b32_e32 v7, 0x80000000, v7
	v_lshl_add_u32 v6, v6, 23, v12
	v_or3_b32 v6, v7, v6, v3
.LBB2_9552:
	s_or_b64 exec, exec, s[6:7]
	s_nop 0
	v_mfma_f32_16x16x4f32 a[0:3], v2, v6, a[0:3]
	s_movk_i32 s4, 0xff
	v_and_b32_sdwa v3, v8, s4 dst_sel:DWORD dst_unused:UNUSED_PAD src0_sel:WORD_1 src1_sel:DWORD
	s_movk_i32 s4, 0x7f
	v_cmp_lt_i16_e32 vcc, s4, v3
	s_mov_b64 s[4:5], 0
                                        ; implicit-def: $sgpr10
	s_and_saveexec_b64 s[6:7], vcc
	s_xor_b64 s[6:7], exec, s[6:7]
	s_cbranch_execz .LBB2_9553
; %bb.45393:
	s_getpc_b64 s[14:15]
.Lpost_getpc26280:
	s_add_u32 s14, s14, (.LBB2_23889-.Lpost_getpc26280)&4294967295
	s_addc_u32 s15, s15, (.LBB2_23889-.Lpost_getpc26280)>>32
	s_setpc_b64 s[14:15]
.LBB2_9553:
	s_or_saveexec_b64 s[6:7], s[6:7]
	v_mov_b32_e32 v2, s10
	s_xor_b64 exec, exec, s[6:7]
	s_cbranch_execz .LBB2_9554
; %bb.45395:
	s_getpc_b64 s[14:15]
.Lpost_getpc26281:
	s_add_u32 s14, s14, (.LBB2_23892-.Lpost_getpc26281)&4294967295
	s_addc_u32 s15, s15, (.LBB2_23892-.Lpost_getpc26281)>>32
	s_setpc_b64 s[14:15]
.LBB2_9554:
	s_or_b64 exec, exec, s[6:7]
	s_and_saveexec_b64 s[6:7], s[4:5]
	s_cbranch_execz .LBB2_9556
.LBB2_9555:
	v_bfe_u32 v2, v8, 16, 3
	v_ffbh_u32_e32 v7, v2
	v_min_u32_e32 v7, 32, v7
	v_lshrrev_b32_e32 v3, 19, v8
	v_subrev_u32_e32 v12, 28, v7
	v_and_b32_e32 v3, 15, v3
	v_lshlrev_b32_sdwa v12, v12, v8 dst_sel:DWORD dst_unused:UNUSED_PAD src0_sel:DWORD src1_sel:WORD_1
	v_bfe_u32 v6, v8, 19, 4
	v_sub_u32_e32 v7, 29, v7
	v_and_b32_e32 v12, 7, v12
	v_cmp_eq_u16_e32 vcc, 0, v3
	v_cndmask_b32_e32 v2, v2, v12, vcc
	v_cndmask_b32_e32 v3, v6, v7, vcc
	v_lshlrev_b32_e32 v6, 8, v8
	v_mov_b32_e32 v7, 0x3b800000
	v_lshlrev_b32_e32 v2, 20, v2
	v_and_b32_e32 v6, 0x80000000, v6
	v_lshl_add_u32 v3, v3, 23, v7
	v_or3_b32 v2, v6, v3, v2
.LBB2_9556:
	s_or_b64 exec, exec, s[6:7]
	s_movk_i32 s4, 0xff
	v_and_b32_sdwa v3, v4, s4 dst_sel:DWORD dst_unused:UNUSED_PAD src0_sel:WORD_1 src1_sel:DWORD
	s_movk_i32 s4, 0x7f
	v_cmp_lt_i16_e32 vcc, s4, v3
	s_mov_b64 s[4:5], 0
                                        ; implicit-def: $sgpr10
	s_and_saveexec_b64 s[6:7], vcc
	s_xor_b64 s[6:7], exec, s[6:7]
	s_cbranch_execz .LBB2_9557
; %bb.45397:
	s_getpc_b64 s[14:15]
.Lpost_getpc26282:
	s_add_u32 s14, s14, (.LBB2_23893-.Lpost_getpc26282)&4294967295
	s_addc_u32 s15, s15, (.LBB2_23893-.Lpost_getpc26282)>>32
	s_setpc_b64 s[14:15]
.LBB2_9557:
	s_or_saveexec_b64 s[6:7], s[6:7]
	v_mov_b32_e32 v6, s10
	s_xor_b64 exec, exec, s[6:7]
	s_cbranch_execz .LBB2_9558
; %bb.45399:
	s_getpc_b64 s[14:15]
.Lpost_getpc26283:
	s_add_u32 s14, s14, (.LBB2_23896-.Lpost_getpc26283)&4294967295
	s_addc_u32 s15, s15, (.LBB2_23896-.Lpost_getpc26283)>>32
	s_setpc_b64 s[14:15]
.LBB2_9558:
	s_or_b64 exec, exec, s[6:7]
	s_and_saveexec_b64 s[6:7], s[4:5]
	s_cbranch_execz .LBB2_9560
.LBB2_9559:
	v_bfe_u32 v3, v4, 16, 3
	v_ffbh_u32_e32 v12, v3
	v_min_u32_e32 v12, 32, v12
	v_lshrrev_b32_e32 v6, 19, v4
	v_subrev_u32_e32 v13, 28, v12
	v_and_b32_e32 v6, 15, v6
	v_lshlrev_b32_sdwa v13, v13, v4 dst_sel:DWORD dst_unused:UNUSED_PAD src0_sel:DWORD src1_sel:WORD_1
	v_bfe_u32 v7, v4, 19, 4
	v_sub_u32_e32 v12, 29, v12
	v_and_b32_e32 v13, 7, v13
	v_cmp_eq_u16_e32 vcc, 0, v6
	v_cndmask_b32_e32 v3, v3, v13, vcc
	v_cndmask_b32_e32 v6, v7, v12, vcc
	v_lshlrev_b32_e32 v7, 8, v4
	v_mov_b32_e32 v12, 0x3b800000
	v_lshlrev_b32_e32 v3, 20, v3
	v_and_b32_e32 v7, 0x80000000, v7
	v_lshl_add_u32 v6, v6, 23, v12
	v_or3_b32 v6, v7, v6, v3
.LBB2_9560:
	s_or_b64 exec, exec, s[6:7]
	s_nop 0
	v_mfma_f32_16x16x4f32 a[0:3], v2, v6, a[0:3]
	s_movk_i32 s4, 0x7f
	v_cmp_gt_i16_sdwa s[6:7], v8, s4 src0_sel:BYTE_3 src1_sel:DWORD
	s_mov_b64 s[4:5], 0
                                        ; implicit-def: $sgpr10
	s_and_saveexec_b64 s[8:9], s[6:7]
	s_xor_b64 s[6:7], exec, s[8:9]
	s_cbranch_execz .LBB2_9561
; %bb.45401:
	s_getpc_b64 s[14:15]
.Lpost_getpc26284:
	s_add_u32 s14, s14, (.LBB2_23897-.Lpost_getpc26284)&4294967295
	s_addc_u32 s15, s15, (.LBB2_23897-.Lpost_getpc26284)>>32
	s_setpc_b64 s[14:15]
.LBB2_9561:
	s_or_saveexec_b64 s[6:7], s[6:7]
	v_mov_b32_e32 v2, s10
	s_xor_b64 exec, exec, s[6:7]
	s_cbranch_execz .LBB2_9562
; %bb.45403:
	s_getpc_b64 s[14:15]
.Lpost_getpc26285:
	s_add_u32 s14, s14, (.LBB2_23900-.Lpost_getpc26285)&4294967295
	s_addc_u32 s15, s15, (.LBB2_23900-.Lpost_getpc26285)>>32
	s_setpc_b64 s[14:15]
.LBB2_9562:
	s_or_b64 exec, exec, s[6:7]
	s_and_saveexec_b64 s[6:7], s[4:5]
	s_cbranch_execz .LBB2_9564
.LBB2_9563:
	v_bfe_u32 v2, v8, 24, 3
	v_ffbh_u32_e32 v12, v2
	v_min_u32_e32 v12, 32, v12
	v_lshrrev_b32_e32 v6, 27, v8
	v_subrev_u32_e32 v13, 28, v12
	v_and_b32_e32 v3, 0x80000000, v8
	v_and_b32_e32 v6, 15, v6
	v_bfe_u32 v7, v8, 27, 4
	v_lshlrev_b32_sdwa v8, v13, v8 dst_sel:DWORD dst_unused:UNUSED_PAD src0_sel:DWORD src1_sel:BYTE_3
	v_sub_u32_e32 v12, 29, v12
	v_and_b32_e32 v8, 7, v8
	v_cmp_eq_u16_e32 vcc, 0, v6
	v_cndmask_b32_e32 v2, v2, v8, vcc
	v_cndmask_b32_e32 v6, v7, v12, vcc
	v_mov_b32_e32 v7, 0x3b800000
	v_lshlrev_b32_e32 v2, 20, v2
	v_lshl_add_u32 v6, v6, 23, v7
	v_or3_b32 v2, v3, v6, v2
.LBB2_9564:
	s_or_b64 exec, exec, s[6:7]
	s_movk_i32 s4, 0x7f
	v_cmp_gt_i16_sdwa s[6:7], v4, s4 src0_sel:BYTE_3 src1_sel:DWORD
	s_mov_b64 s[4:5], 0
                                        ; implicit-def: $sgpr10
	s_and_saveexec_b64 s[8:9], s[6:7]
	s_xor_b64 s[6:7], exec, s[8:9]
	s_cbranch_execz .LBB2_9565
; %bb.45405:
	s_getpc_b64 s[14:15]
.Lpost_getpc26286:
	s_add_u32 s14, s14, (.LBB2_23901-.Lpost_getpc26286)&4294967295
	s_addc_u32 s15, s15, (.LBB2_23901-.Lpost_getpc26286)>>32
	s_setpc_b64 s[14:15]
.LBB2_9565:
	s_or_saveexec_b64 s[6:7], s[6:7]
	v_mov_b32_e32 v3, s10
	s_xor_b64 exec, exec, s[6:7]
	s_cbranch_execz .LBB2_9566
; %bb.45407:
	s_getpc_b64 s[14:15]
.Lpost_getpc26287:
	s_add_u32 s14, s14, (.LBB2_23904-.Lpost_getpc26287)&4294967295
	s_addc_u32 s15, s15, (.LBB2_23904-.Lpost_getpc26287)>>32
	s_setpc_b64 s[14:15]
.LBB2_9566:
	s_or_b64 exec, exec, s[6:7]
	s_and_saveexec_b64 s[6:7], s[4:5]
	s_cbranch_execz .LBB2_9568
.LBB2_9567:
	v_bfe_u32 v3, v4, 24, 3
	v_ffbh_u32_e32 v12, v3
	v_min_u32_e32 v12, 32, v12
	v_lshrrev_b32_e32 v7, 27, v4
	v_subrev_u32_e32 v13, 28, v12
	v_and_b32_e32 v6, 0x80000000, v4
	v_and_b32_e32 v7, 15, v7
	v_bfe_u32 v8, v4, 27, 4
	v_lshlrev_b32_sdwa v4, v13, v4 dst_sel:DWORD dst_unused:UNUSED_PAD src0_sel:DWORD src1_sel:BYTE_3
	v_sub_u32_e32 v12, 29, v12
	v_and_b32_e32 v4, 7, v4
	v_cmp_eq_u16_e32 vcc, 0, v7
	v_cndmask_b32_e32 v3, v3, v4, vcc
	v_cndmask_b32_e32 v4, v8, v12, vcc
	v_mov_b32_e32 v7, 0x3b800000
	v_lshlrev_b32_e32 v3, 20, v3
	v_lshl_add_u32 v4, v4, 23, v7
	v_or3_b32 v3, v6, v4, v3
.LBB2_9568:
	s_or_b64 exec, exec, s[6:7]
	s_nop 0
	v_mfma_f32_16x16x4f32 a[0:3], v2, v3, a[0:3]
	s_movk_i32 s4, 0x7f
	v_cmp_gt_i16_sdwa s[6:7], v9, s4 src0_sel:BYTE_0 src1_sel:DWORD
	s_mov_b64 s[4:5], 0
                                        ; implicit-def: $sgpr10
	s_and_saveexec_b64 s[8:9], s[6:7]
	s_xor_b64 s[6:7], exec, s[8:9]
	s_cbranch_execz .LBB2_9569
; %bb.45409:
	s_getpc_b64 s[14:15]
.Lpost_getpc26288:
	s_add_u32 s14, s14, (.LBB2_23905-.Lpost_getpc26288)&4294967295
	s_addc_u32 s15, s15, (.LBB2_23905-.Lpost_getpc26288)>>32
	s_setpc_b64 s[14:15]
.LBB2_9569:
	s_or_saveexec_b64 s[6:7], s[6:7]
	v_mov_b32_e32 v2, s10
	s_xor_b64 exec, exec, s[6:7]
	s_cbranch_execz .LBB2_9570
; %bb.45411:
	s_getpc_b64 s[14:15]
.Lpost_getpc26289:
	s_add_u32 s14, s14, (.LBB2_23908-.Lpost_getpc26289)&4294967295
	s_addc_u32 s15, s15, (.LBB2_23908-.Lpost_getpc26289)>>32
	s_setpc_b64 s[14:15]
.LBB2_9570:
	s_or_b64 exec, exec, s[6:7]
	s_and_saveexec_b64 s[6:7], s[4:5]
	s_cbranch_execz .LBB2_9572
.LBB2_9571:
	v_mov_b32_e32 v2, 8
	v_and_b32_e32 v3, 7, v9
	v_lshrrev_b32_sdwa v2, v2, v9 dst_sel:BYTE_1 dst_unused:UNUSED_PAD src0_sel:DWORD src1_sel:DWORD
	v_ffbh_u32_e32 v4, v3
	v_or_b32_sdwa v2, v9, v2 dst_sel:DWORD dst_unused:UNUSED_PAD src0_sel:BYTE_0 src1_sel:DWORD
	v_min_u32_e32 v4, 32, v4
	v_lshrrev_b16_e32 v2, 3, v2
	v_subrev_u32_e32 v6, 28, v4
	v_and_b32_e32 v2, 15, v2
	v_lshlrev_b32_e32 v6, v6, v9
	v_sub_u32_e32 v4, 29, v4
	v_and_b32_e32 v6, 7, v6
	v_cmp_eq_u16_e32 vcc, 0, v2
	v_cndmask_b32_e32 v3, v3, v6, vcc
	v_cndmask_b32_e32 v2, v2, v4, vcc
	v_lshlrev_b32_e32 v4, 24, v9
	v_mov_b32_e32 v6, 0x3b800000
	v_lshlrev_b32_e32 v3, 20, v3
	v_and_b32_e32 v4, 0x80000000, v4
	v_lshl_add_u32 v2, v2, 23, v6
	v_or3_b32 v2, v4, v2, v3
.LBB2_9572:
	s_or_b64 exec, exec, s[6:7]
	s_movk_i32 s4, 0x7f
	v_cmp_gt_i16_sdwa s[6:7], v5, s4 src0_sel:BYTE_0 src1_sel:DWORD
	s_mov_b64 s[4:5], 0
                                        ; implicit-def: $sgpr10
	s_and_saveexec_b64 s[8:9], s[6:7]
	s_xor_b64 s[6:7], exec, s[8:9]
	s_cbranch_execz .LBB2_9573
; %bb.45413:
	s_getpc_b64 s[14:15]
.Lpost_getpc26290:
	s_add_u32 s14, s14, (.LBB2_23909-.Lpost_getpc26290)&4294967295
	s_addc_u32 s15, s15, (.LBB2_23909-.Lpost_getpc26290)>>32
	s_setpc_b64 s[14:15]
.LBB2_9573:
	s_or_saveexec_b64 s[6:7], s[6:7]
	v_mov_b32_e32 v3, s10
	s_xor_b64 exec, exec, s[6:7]
	s_cbranch_execz .LBB2_9574
; %bb.45415:
	s_getpc_b64 s[14:15]
.Lpost_getpc26291:
	s_add_u32 s14, s14, (.LBB2_23912-.Lpost_getpc26291)&4294967295
	s_addc_u32 s15, s15, (.LBB2_23912-.Lpost_getpc26291)>>32
	s_setpc_b64 s[14:15]
.LBB2_9574:
	s_or_b64 exec, exec, s[6:7]
	s_and_saveexec_b64 s[6:7], s[4:5]
	s_cbranch_execz .LBB2_9576
.LBB2_9575:
	v_mov_b32_e32 v3, 8
	v_and_b32_e32 v4, 7, v5
	v_lshrrev_b32_sdwa v3, v3, v5 dst_sel:BYTE_1 dst_unused:UNUSED_PAD src0_sel:DWORD src1_sel:DWORD
	v_ffbh_u32_e32 v6, v4
	v_or_b32_sdwa v3, v5, v3 dst_sel:DWORD dst_unused:UNUSED_PAD src0_sel:BYTE_0 src1_sel:DWORD
	v_min_u32_e32 v6, 32, v6
	v_lshrrev_b16_e32 v3, 3, v3
	v_subrev_u32_e32 v7, 28, v6
	v_and_b32_e32 v3, 15, v3
	v_lshlrev_b32_e32 v7, v7, v5
	v_sub_u32_e32 v6, 29, v6
	v_and_b32_e32 v7, 7, v7
	v_cmp_eq_u16_e32 vcc, 0, v3
	v_cndmask_b32_e32 v4, v4, v7, vcc
	v_cndmask_b32_e32 v3, v3, v6, vcc
	v_lshlrev_b32_e32 v6, 24, v5
	v_mov_b32_e32 v7, 0x3b800000
	v_lshlrev_b32_e32 v4, 20, v4
	v_and_b32_e32 v6, 0x80000000, v6
	v_lshl_add_u32 v3, v3, 23, v7
	v_or3_b32 v3, v6, v3, v4
.LBB2_9576:
	s_or_b64 exec, exec, s[6:7]
	s_nop 0
	v_mfma_f32_16x16x4f32 a[0:3], v2, v3, a[0:3]
	v_lshrrev_b32_e32 v3, 8, v9
	s_movk_i32 s4, 0x7f
	v_cmp_gt_i16_sdwa s[6:7], v3, s4 src0_sel:BYTE_0 src1_sel:DWORD
	s_mov_b64 s[4:5], 0
                                        ; implicit-def: $sgpr10
	s_and_saveexec_b64 s[8:9], s[6:7]
	s_xor_b64 s[6:7], exec, s[8:9]
	s_cbranch_execz .LBB2_9577
; %bb.45417:
	s_getpc_b64 s[14:15]
.Lpost_getpc26292:
	s_add_u32 s14, s14, (.LBB2_23913-.Lpost_getpc26292)&4294967295
	s_addc_u32 s15, s15, (.LBB2_23913-.Lpost_getpc26292)>>32
	s_setpc_b64 s[14:15]
.LBB2_9577:
	s_or_saveexec_b64 s[6:7], s[6:7]
	v_mov_b32_e32 v2, s10
	s_xor_b64 exec, exec, s[6:7]
	s_cbranch_execz .LBB2_9578
; %bb.45419:
	s_getpc_b64 s[14:15]
.Lpost_getpc26293:
	s_add_u32 s14, s14, (.LBB2_23916-.Lpost_getpc26293)&4294967295
	s_addc_u32 s15, s15, (.LBB2_23916-.Lpost_getpc26293)>>32
	s_setpc_b64 s[14:15]
.LBB2_9578:
	s_or_b64 exec, exec, s[6:7]
	s_and_saveexec_b64 s[6:7], s[4:5]
	s_cbranch_execz .LBB2_9580
.LBB2_9579:
	v_bfe_u32 v2, v9, 8, 3
	v_ffbh_u32_e32 v6, v2
	v_min_u32_e32 v6, 32, v6
	v_lshrrev_b16_e32 v4, 3, v3
	v_subrev_u32_e32 v7, 28, v6
	v_and_b32_e32 v4, 15, v4
	v_lshlrev_b32_e32 v3, v7, v3
	v_sub_u32_e32 v6, 29, v6
	v_and_b32_e32 v3, 7, v3
	v_cmp_eq_u16_e32 vcc, 0, v4
	v_cndmask_b32_e32 v2, v2, v3, vcc
	v_cndmask_b32_e32 v3, v4, v6, vcc
	v_lshlrev_b32_e32 v4, 16, v9
	v_mov_b32_e32 v6, 0x3b800000
	v_lshlrev_b32_e32 v2, 20, v2
	v_and_b32_e32 v4, 0x80000000, v4
	v_lshl_add_u32 v3, v3, 23, v6
	v_or3_b32 v2, v4, v3, v2
.LBB2_9580:
	s_or_b64 exec, exec, s[6:7]
	v_lshrrev_b32_e32 v3, 8, v5
	s_movk_i32 s4, 0x7f
	v_cmp_gt_i16_sdwa s[6:7], v3, s4 src0_sel:BYTE_0 src1_sel:DWORD
	s_mov_b64 s[4:5], 0
                                        ; implicit-def: $sgpr10
	s_and_saveexec_b64 s[8:9], s[6:7]
	s_xor_b64 s[6:7], exec, s[8:9]
	s_cbranch_execz .LBB2_9581
; %bb.45421:
	s_getpc_b64 s[14:15]
.Lpost_getpc26294:
	s_add_u32 s14, s14, (.LBB2_23917-.Lpost_getpc26294)&4294967295
	s_addc_u32 s15, s15, (.LBB2_23917-.Lpost_getpc26294)>>32
	s_setpc_b64 s[14:15]
.LBB2_9581:
	s_or_saveexec_b64 s[6:7], s[6:7]
	v_mov_b32_e32 v4, s10
	s_xor_b64 exec, exec, s[6:7]
	s_cbranch_execz .LBB2_9582
; %bb.45423:
	s_getpc_b64 s[14:15]
.Lpost_getpc26295:
	s_add_u32 s14, s14, (.LBB2_23920-.Lpost_getpc26295)&4294967295
	s_addc_u32 s15, s15, (.LBB2_23920-.Lpost_getpc26295)>>32
	s_setpc_b64 s[14:15]
.LBB2_9582:
	s_or_b64 exec, exec, s[6:7]
	s_and_saveexec_b64 s[6:7], s[4:5]
	s_cbranch_execz .LBB2_9584
.LBB2_9583:
	v_bfe_u32 v4, v5, 8, 3
	v_ffbh_u32_e32 v7, v4
	v_min_u32_e32 v7, 32, v7
	v_lshrrev_b16_e32 v6, 3, v3
	v_subrev_u32_e32 v8, 28, v7
	v_and_b32_e32 v6, 15, v6
	v_lshlrev_b32_e32 v3, v8, v3
	v_sub_u32_e32 v7, 29, v7
	v_and_b32_e32 v3, 7, v3
	v_cmp_eq_u16_e32 vcc, 0, v6
	v_cndmask_b32_e32 v3, v4, v3, vcc
	v_cndmask_b32_e32 v4, v6, v7, vcc
	v_lshlrev_b32_e32 v6, 16, v5
	v_mov_b32_e32 v7, 0x3b800000
	v_lshlrev_b32_e32 v3, 20, v3
	v_and_b32_e32 v6, 0x80000000, v6
	v_lshl_add_u32 v4, v4, 23, v7
	v_or3_b32 v4, v6, v4, v3
.LBB2_9584:
	s_or_b64 exec, exec, s[6:7]
	s_nop 0
	v_mfma_f32_16x16x4f32 a[0:3], v2, v4, a[0:3]
	s_movk_i32 s4, 0xff
	v_and_b32_sdwa v3, v9, s4 dst_sel:DWORD dst_unused:UNUSED_PAD src0_sel:WORD_1 src1_sel:DWORD
	s_movk_i32 s4, 0x7f
	v_cmp_lt_i16_e32 vcc, s4, v3
	s_mov_b64 s[4:5], 0
                                        ; implicit-def: $sgpr10
	s_and_saveexec_b64 s[6:7], vcc
	s_xor_b64 s[6:7], exec, s[6:7]
	s_cbranch_execz .LBB2_9585
; %bb.45425:
	s_getpc_b64 s[14:15]
.Lpost_getpc26296:
	s_add_u32 s14, s14, (.LBB2_23921-.Lpost_getpc26296)&4294967295
	s_addc_u32 s15, s15, (.LBB2_23921-.Lpost_getpc26296)>>32
	s_setpc_b64 s[14:15]
.LBB2_9585:
	s_or_saveexec_b64 s[6:7], s[6:7]
	v_mov_b32_e32 v2, s10
	s_xor_b64 exec, exec, s[6:7]
	s_cbranch_execz .LBB2_9586
; %bb.45427:
	s_getpc_b64 s[14:15]
.Lpost_getpc26297:
	s_add_u32 s14, s14, (.LBB2_23924-.Lpost_getpc26297)&4294967295
	s_addc_u32 s15, s15, (.LBB2_23924-.Lpost_getpc26297)>>32
	s_setpc_b64 s[14:15]
.LBB2_9586:
	s_or_b64 exec, exec, s[6:7]
	s_and_saveexec_b64 s[6:7], s[4:5]
	s_cbranch_execz .LBB2_9588
.LBB2_9587:
	v_bfe_u32 v2, v9, 16, 3
	v_ffbh_u32_e32 v6, v2
	v_min_u32_e32 v6, 32, v6
	v_lshrrev_b32_e32 v3, 19, v9
	v_subrev_u32_e32 v7, 28, v6
	v_and_b32_e32 v3, 15, v3
	v_lshlrev_b32_sdwa v7, v7, v9 dst_sel:DWORD dst_unused:UNUSED_PAD src0_sel:DWORD src1_sel:WORD_1
	v_bfe_u32 v4, v9, 19, 4
	v_sub_u32_e32 v6, 29, v6
	v_and_b32_e32 v7, 7, v7
	v_cmp_eq_u16_e32 vcc, 0, v3
	v_cndmask_b32_e32 v2, v2, v7, vcc
	v_cndmask_b32_e32 v3, v4, v6, vcc
	v_lshlrev_b32_e32 v4, 8, v9
	v_mov_b32_e32 v6, 0x3b800000
	v_lshlrev_b32_e32 v2, 20, v2
	v_and_b32_e32 v4, 0x80000000, v4
	v_lshl_add_u32 v3, v3, 23, v6
	v_or3_b32 v2, v4, v3, v2
.LBB2_9588:
	s_or_b64 exec, exec, s[6:7]
	s_movk_i32 s4, 0xff
	v_and_b32_sdwa v3, v5, s4 dst_sel:DWORD dst_unused:UNUSED_PAD src0_sel:WORD_1 src1_sel:DWORD
	s_movk_i32 s4, 0x7f
	v_cmp_lt_i16_e32 vcc, s4, v3
	s_mov_b64 s[4:5], 0
                                        ; implicit-def: $sgpr10
	s_and_saveexec_b64 s[6:7], vcc
	s_xor_b64 s[6:7], exec, s[6:7]
	s_cbranch_execz .LBB2_9589
; %bb.45429:
	s_getpc_b64 s[14:15]
.Lpost_getpc26298:
	s_add_u32 s14, s14, (.LBB2_23925-.Lpost_getpc26298)&4294967295
	s_addc_u32 s15, s15, (.LBB2_23925-.Lpost_getpc26298)>>32
	s_setpc_b64 s[14:15]
.LBB2_9589:
	s_or_saveexec_b64 s[6:7], s[6:7]
	v_mov_b32_e32 v4, s10
	s_xor_b64 exec, exec, s[6:7]
	s_cbranch_execz .LBB2_9590
; %bb.45431:
	s_getpc_b64 s[14:15]
.Lpost_getpc26299:
	s_add_u32 s14, s14, (.LBB2_23928-.Lpost_getpc26299)&4294967295
	s_addc_u32 s15, s15, (.LBB2_23928-.Lpost_getpc26299)>>32
	s_setpc_b64 s[14:15]
.LBB2_9590:
	s_or_b64 exec, exec, s[6:7]
	s_and_saveexec_b64 s[6:7], s[4:5]
	s_cbranch_execz .LBB2_9592
.LBB2_9591:
	v_bfe_u32 v3, v5, 16, 3
	v_ffbh_u32_e32 v7, v3
	v_min_u32_e32 v7, 32, v7
	v_lshrrev_b32_e32 v4, 19, v5
	v_subrev_u32_e32 v8, 28, v7
	v_and_b32_e32 v4, 15, v4
	v_lshlrev_b32_sdwa v8, v8, v5 dst_sel:DWORD dst_unused:UNUSED_PAD src0_sel:DWORD src1_sel:WORD_1
	v_bfe_u32 v6, v5, 19, 4
	v_sub_u32_e32 v7, 29, v7
	v_and_b32_e32 v8, 7, v8
	v_cmp_eq_u16_e32 vcc, 0, v4
	v_cndmask_b32_e32 v3, v3, v8, vcc
	v_cndmask_b32_e32 v4, v6, v7, vcc
	v_lshlrev_b32_e32 v6, 8, v5
	v_mov_b32_e32 v7, 0x3b800000
	v_lshlrev_b32_e32 v3, 20, v3
	v_and_b32_e32 v6, 0x80000000, v6
	v_lshl_add_u32 v4, v4, 23, v7
	v_or3_b32 v4, v6, v4, v3
.LBB2_9592:
	s_or_b64 exec, exec, s[6:7]
	s_nop 0
	v_mfma_f32_16x16x4f32 a[0:3], v2, v4, a[0:3]
	s_movk_i32 s4, 0x7f
	v_cmp_gt_i16_sdwa s[6:7], v9, s4 src0_sel:BYTE_3 src1_sel:DWORD
	s_mov_b64 s[4:5], 0
                                        ; implicit-def: $sgpr10
	s_and_saveexec_b64 s[8:9], s[6:7]
	s_xor_b64 s[6:7], exec, s[8:9]
	s_cbranch_execz .LBB2_9593
; %bb.45433:
	s_getpc_b64 s[14:15]
.Lpost_getpc26300:
	s_add_u32 s14, s14, (.LBB2_23929-.Lpost_getpc26300)&4294967295
	s_addc_u32 s15, s15, (.LBB2_23929-.Lpost_getpc26300)>>32
	s_setpc_b64 s[14:15]
.LBB2_9593:
	s_or_saveexec_b64 s[6:7], s[6:7]
	v_mov_b32_e32 v2, s10
	s_xor_b64 exec, exec, s[6:7]
	s_cbranch_execz .LBB2_9594
; %bb.45435:
	s_getpc_b64 s[14:15]
.Lpost_getpc26301:
	s_add_u32 s14, s14, (.LBB2_23932-.Lpost_getpc26301)&4294967295
	s_addc_u32 s15, s15, (.LBB2_23932-.Lpost_getpc26301)>>32
	s_setpc_b64 s[14:15]
.LBB2_9594:
	s_or_b64 exec, exec, s[6:7]
	s_and_saveexec_b64 s[6:7], s[4:5]
	s_cbranch_execz .LBB2_9596
.LBB2_9595:
	v_bfe_u32 v2, v9, 24, 3
	v_ffbh_u32_e32 v7, v2
	v_min_u32_e32 v7, 32, v7
	v_lshrrev_b32_e32 v4, 27, v9
	v_subrev_u32_e32 v8, 28, v7
	v_and_b32_e32 v4, 15, v4
	v_lshlrev_b32_sdwa v8, v8, v9 dst_sel:DWORD dst_unused:UNUSED_PAD src0_sel:DWORD src1_sel:BYTE_3
	v_bfe_u32 v6, v9, 27, 4
	v_sub_u32_e32 v7, 29, v7
	v_and_b32_e32 v8, 7, v8
	v_cmp_eq_u16_e32 vcc, 0, v4
	v_cndmask_b32_e32 v2, v2, v8, vcc
	v_cndmask_b32_e32 v4, v6, v7, vcc
	v_mov_b32_e32 v6, 0x3b800000
	v_and_b32_e32 v3, 0x80000000, v9
	v_lshlrev_b32_e32 v2, 20, v2
	v_lshl_add_u32 v4, v4, 23, v6
	v_or3_b32 v2, v3, v4, v2
.LBB2_9596:
	s_or_b64 exec, exec, s[6:7]
	s_movk_i32 s4, 0x7f
	v_cmp_gt_i16_sdwa s[6:7], v5, s4 src0_sel:BYTE_3 src1_sel:DWORD
	s_mov_b64 s[4:5], 0
                                        ; implicit-def: $sgpr10
	s_and_saveexec_b64 s[8:9], s[6:7]
	s_xor_b64 s[6:7], exec, s[8:9]
	s_cbranch_execz .LBB2_9597
; %bb.45437:
	s_getpc_b64 s[14:15]
.Lpost_getpc26302:
	s_add_u32 s14, s14, (.LBB2_23933-.Lpost_getpc26302)&4294967295
	s_addc_u32 s15, s15, (.LBB2_23933-.Lpost_getpc26302)>>32
	s_setpc_b64 s[14:15]
.LBB2_9597:
	s_or_saveexec_b64 s[6:7], s[6:7]
	v_mov_b32_e32 v3, s10
	s_xor_b64 exec, exec, s[6:7]
	s_cbranch_execz .LBB2_9598
; %bb.45439:
	s_getpc_b64 s[14:15]
.Lpost_getpc26303:
	s_add_u32 s14, s14, (.LBB2_23936-.Lpost_getpc26303)&4294967295
	s_addc_u32 s15, s15, (.LBB2_23936-.Lpost_getpc26303)>>32
	s_setpc_b64 s[14:15]
.LBB2_9598:
	s_or_b64 exec, exec, s[6:7]
	s_and_saveexec_b64 s[6:7], s[4:5]
	s_cbranch_execz .LBB2_9600
.LBB2_9599:
	v_bfe_u32 v3, v5, 24, 3
	v_ffbh_u32_e32 v8, v3
	v_min_u32_e32 v8, 32, v8
	v_lshrrev_b32_e32 v6, 27, v5
	v_subrev_u32_e32 v9, 28, v8
	v_and_b32_e32 v4, 0x80000000, v5
	v_and_b32_e32 v6, 15, v6
	v_bfe_u32 v7, v5, 27, 4
	v_lshlrev_b32_sdwa v5, v9, v5 dst_sel:DWORD dst_unused:UNUSED_PAD src0_sel:DWORD src1_sel:BYTE_3
	v_sub_u32_e32 v8, 29, v8
	v_and_b32_e32 v5, 7, v5
	v_cmp_eq_u16_e32 vcc, 0, v6
	v_cndmask_b32_e32 v3, v3, v5, vcc
	v_cndmask_b32_e32 v5, v7, v8, vcc
	v_mov_b32_e32 v6, 0x3b800000
	v_lshlrev_b32_e32 v3, 20, v3
	v_lshl_add_u32 v5, v5, 23, v6
	v_or3_b32 v3, v4, v5, v3
.LBB2_9600:
	s_or_b64 exec, exec, s[6:7]
	s_nop 0
	v_mfma_f32_16x16x4f32 a[0:3], v2, v3, a[0:3]
	s_movk_i32 s4, 0x7f
                                        ; implicit-def: $sgpr10
	s_nop 7
	s_nop 1
	flat_store_dwordx4 v[10:11], a[0:3] offset:288
	flat_load_dwordx4 v[12:15], v[0:1]
	s_nop 0
	flat_load_dwordx2 v[10:11], v[0:1] offset:16
	s_waitcnt vmcnt(0) lgkmcnt(0)
	flat_load_dwordx4 v[6:9], v[12:13] offset:144
	flat_load_dwordx4 v[2:5], v[14:15] offset:176
	s_waitcnt vmcnt(0) lgkmcnt(0)
	v_cmp_gt_i16_sdwa s[6:7], v6, s4 src0_sel:BYTE_0 src1_sel:DWORD
	s_mov_b64 s[4:5], 0
	s_and_saveexec_b64 s[8:9], s[6:7]
	s_xor_b64 s[6:7], exec, s[8:9]
	s_cbranch_execz .LBB2_9601
; %bb.45441:
	s_getpc_b64 s[14:15]
.Lpost_getpc26304:
	s_add_u32 s14, s14, (.LBB2_23937-.Lpost_getpc26304)&4294967295
	s_addc_u32 s15, s15, (.LBB2_23937-.Lpost_getpc26304)>>32
	s_setpc_b64 s[14:15]
.LBB2_9601:
	s_or_saveexec_b64 s[6:7], s[6:7]
	v_mov_b32_e32 v12, s10
	s_xor_b64 exec, exec, s[6:7]
	s_cbranch_execz .LBB2_9602
; %bb.45443:
	s_getpc_b64 s[14:15]
.Lpost_getpc26305:
	s_add_u32 s14, s14, (.LBB2_23940-.Lpost_getpc26305)&4294967295
	s_addc_u32 s15, s15, (.LBB2_23940-.Lpost_getpc26305)>>32
	s_setpc_b64 s[14:15]
.LBB2_9602:
	s_or_b64 exec, exec, s[6:7]
	s_and_saveexec_b64 s[6:7], s[4:5]
	s_cbranch_execz .LBB2_9604
.LBB2_9603:
	v_and_b32_e32 v12, 7, v6
	v_ffbh_u32_e32 v14, v12
	v_min_u32_e32 v14, 32, v14
	v_lshrrev_b16_e32 v13, 3, v6
	v_subrev_u32_e32 v15, 28, v14
	v_and_b32_e32 v13, 15, v13
	v_lshlrev_b32_e32 v15, v15, v6
	v_sub_u32_e32 v14, 29, v14
	v_and_b32_e32 v15, 7, v15
	v_cmp_eq_u16_e32 vcc, 0, v13
	v_cndmask_b32_e32 v12, v12, v15, vcc
	v_cndmask_b32_e32 v13, v13, v14, vcc
	v_lshlrev_b32_e32 v14, 24, v6
	v_mov_b32_e32 v15, 0x3b800000
	v_lshlrev_b32_e32 v12, 20, v12
	v_and_b32_e32 v14, 0x80000000, v14
	v_lshl_add_u32 v13, v13, 23, v15
	v_or3_b32 v12, v14, v13, v12
.LBB2_9604:
	s_or_b64 exec, exec, s[6:7]
	s_movk_i32 s4, 0x7f
	v_cmp_gt_i16_sdwa s[6:7], v2, s4 src0_sel:BYTE_0 src1_sel:DWORD
	s_mov_b64 s[4:5], 0
                                        ; implicit-def: $sgpr10
	s_and_saveexec_b64 s[8:9], s[6:7]
	s_xor_b64 s[6:7], exec, s[8:9]
	s_cbranch_execz .LBB2_9605
; %bb.45445:
	s_getpc_b64 s[14:15]
.Lpost_getpc26306:
	s_add_u32 s14, s14, (.LBB2_23941-.Lpost_getpc26306)&4294967295
	s_addc_u32 s15, s15, (.LBB2_23941-.Lpost_getpc26306)>>32
	s_setpc_b64 s[14:15]
.LBB2_9605:
	s_or_saveexec_b64 s[6:7], s[6:7]
	v_mov_b32_e32 v13, s10
	s_xor_b64 exec, exec, s[6:7]
	s_cbranch_execz .LBB2_9606
; %bb.45447:
	s_getpc_b64 s[14:15]
.Lpost_getpc26307:
	s_add_u32 s14, s14, (.LBB2_23944-.Lpost_getpc26307)&4294967295
	s_addc_u32 s15, s15, (.LBB2_23944-.Lpost_getpc26307)>>32
	s_setpc_b64 s[14:15]
.LBB2_9606:
	s_or_b64 exec, exec, s[6:7]
	s_and_saveexec_b64 s[6:7], s[4:5]
	s_cbranch_execz .LBB2_9608
.LBB2_9607:
	v_and_b32_e32 v13, 7, v2
	v_ffbh_u32_e32 v15, v13
	v_min_u32_e32 v15, 32, v15
	v_lshrrev_b16_e32 v14, 3, v2
	v_subrev_u32_e32 v16, 28, v15
	v_and_b32_e32 v14, 15, v14
	v_lshlrev_b32_e32 v16, v16, v2
	v_sub_u32_e32 v15, 29, v15
	v_and_b32_e32 v16, 7, v16
	v_cmp_eq_u16_e32 vcc, 0, v14
	v_cndmask_b32_e32 v13, v13, v16, vcc
	v_cndmask_b32_e32 v14, v14, v15, vcc
	v_lshlrev_b32_e32 v15, 24, v2
	v_mov_b32_e32 v16, 0x3b800000
	v_lshlrev_b32_e32 v13, 20, v13
	v_and_b32_e32 v15, 0x80000000, v15
	v_lshl_add_u32 v14, v14, 23, v16
	v_or3_b32 v13, v15, v14, v13
.LBB2_9608:
	s_or_b64 exec, exec, s[6:7]
	flat_load_dwordx4 a[0:3], v[10:11] offset:304
	s_movk_i32 s4, 0x7f
                                        ; implicit-def: $sgpr10
	s_waitcnt vmcnt(0) lgkmcnt(0)
	v_mfma_f32_16x16x4f32 a[0:3], v12, v13, a[0:3]
	v_lshrrev_b32_e32 v13, 8, v6
	v_cmp_gt_i16_sdwa s[6:7], v13, s4 src0_sel:BYTE_0 src1_sel:DWORD
	s_mov_b64 s[4:5], 0
	s_and_saveexec_b64 s[8:9], s[6:7]
	s_xor_b64 s[6:7], exec, s[8:9]
	s_cbranch_execz .LBB2_9609
; %bb.45449:
	s_getpc_b64 s[14:15]
.Lpost_getpc26308:
	s_add_u32 s14, s14, (.LBB2_23945-.Lpost_getpc26308)&4294967295
	s_addc_u32 s15, s15, (.LBB2_23945-.Lpost_getpc26308)>>32
	s_setpc_b64 s[14:15]
.LBB2_9609:
	s_or_saveexec_b64 s[6:7], s[6:7]
	v_mov_b32_e32 v12, s10
	s_xor_b64 exec, exec, s[6:7]
	s_cbranch_execz .LBB2_9610
; %bb.45451:
	s_getpc_b64 s[14:15]
.Lpost_getpc26309:
	s_add_u32 s14, s14, (.LBB2_23948-.Lpost_getpc26309)&4294967295
	s_addc_u32 s15, s15, (.LBB2_23948-.Lpost_getpc26309)>>32
	s_setpc_b64 s[14:15]
.LBB2_9610:
	s_or_b64 exec, exec, s[6:7]
	s_and_saveexec_b64 s[6:7], s[4:5]
	s_cbranch_execz .LBB2_9612
.LBB2_9611:
	v_bfe_u32 v12, v6, 8, 3
	v_ffbh_u32_e32 v15, v12
	v_min_u32_e32 v15, 32, v15
	v_lshrrev_b16_e32 v14, 3, v13
	v_subrev_u32_e32 v16, 28, v15
	v_and_b32_e32 v14, 15, v14
	v_lshlrev_b32_e32 v13, v16, v13
	v_sub_u32_e32 v15, 29, v15
	v_and_b32_e32 v13, 7, v13
	v_cmp_eq_u16_e32 vcc, 0, v14
	v_cndmask_b32_e32 v12, v12, v13, vcc
	v_cndmask_b32_e32 v13, v14, v15, vcc
	v_lshlrev_b32_e32 v14, 16, v6
	v_mov_b32_e32 v15, 0x3b800000
	v_lshlrev_b32_e32 v12, 20, v12
	v_and_b32_e32 v14, 0x80000000, v14
	v_lshl_add_u32 v13, v13, 23, v15
	v_or3_b32 v12, v14, v13, v12
.LBB2_9612:
	s_or_b64 exec, exec, s[6:7]
	v_lshrrev_b32_e32 v13, 8, v2
	s_movk_i32 s4, 0x7f
	v_cmp_gt_i16_sdwa s[6:7], v13, s4 src0_sel:BYTE_0 src1_sel:DWORD
	s_mov_b64 s[4:5], 0
                                        ; implicit-def: $sgpr10
	s_and_saveexec_b64 s[8:9], s[6:7]
	s_xor_b64 s[6:7], exec, s[8:9]
	s_cbranch_execz .LBB2_9613
; %bb.45453:
	s_getpc_b64 s[14:15]
.Lpost_getpc26310:
	s_add_u32 s14, s14, (.LBB2_23949-.Lpost_getpc26310)&4294967295
	s_addc_u32 s15, s15, (.LBB2_23949-.Lpost_getpc26310)>>32
	s_setpc_b64 s[14:15]
.LBB2_9613:
	s_or_saveexec_b64 s[6:7], s[6:7]
	v_mov_b32_e32 v14, s10
	s_xor_b64 exec, exec, s[6:7]
	s_cbranch_execz .LBB2_9614
; %bb.45455:
	s_getpc_b64 s[14:15]
.Lpost_getpc26311:
	s_add_u32 s14, s14, (.LBB2_23952-.Lpost_getpc26311)&4294967295
	s_addc_u32 s15, s15, (.LBB2_23952-.Lpost_getpc26311)>>32
	s_setpc_b64 s[14:15]
.LBB2_9614:
	s_or_b64 exec, exec, s[6:7]
	s_and_saveexec_b64 s[6:7], s[4:5]
	s_cbranch_execz .LBB2_9616
.LBB2_9615:
	v_bfe_u32 v14, v2, 8, 3
	v_ffbh_u32_e32 v16, v14
	v_min_u32_e32 v16, 32, v16
	v_lshrrev_b16_e32 v15, 3, v13
	v_subrev_u32_e32 v17, 28, v16
	v_and_b32_e32 v15, 15, v15
	v_lshlrev_b32_e32 v13, v17, v13
	v_sub_u32_e32 v16, 29, v16
	v_and_b32_e32 v13, 7, v13
	v_cmp_eq_u16_e32 vcc, 0, v15
	v_cndmask_b32_e32 v13, v14, v13, vcc
	v_cndmask_b32_e32 v14, v15, v16, vcc
	v_lshlrev_b32_e32 v15, 16, v2
	v_mov_b32_e32 v16, 0x3b800000
	v_lshlrev_b32_e32 v13, 20, v13
	v_and_b32_e32 v15, 0x80000000, v15
	v_lshl_add_u32 v14, v14, 23, v16
	v_or3_b32 v14, v15, v14, v13
.LBB2_9616:
	s_or_b64 exec, exec, s[6:7]
	s_nop 0
	v_mfma_f32_16x16x4f32 a[0:3], v12, v14, a[0:3]
	s_movk_i32 s4, 0xff
	v_and_b32_sdwa v13, v6, s4 dst_sel:DWORD dst_unused:UNUSED_PAD src0_sel:WORD_1 src1_sel:DWORD
	s_movk_i32 s4, 0x7f
	v_cmp_lt_i16_e32 vcc, s4, v13
	s_mov_b64 s[4:5], 0
                                        ; implicit-def: $sgpr10
	s_and_saveexec_b64 s[6:7], vcc
	s_xor_b64 s[6:7], exec, s[6:7]
	s_cbranch_execz .LBB2_9617
; %bb.45457:
	s_getpc_b64 s[14:15]
.Lpost_getpc26312:
	s_add_u32 s14, s14, (.LBB2_23953-.Lpost_getpc26312)&4294967295
	s_addc_u32 s15, s15, (.LBB2_23953-.Lpost_getpc26312)>>32
	s_setpc_b64 s[14:15]
.LBB2_9617:
	s_or_saveexec_b64 s[6:7], s[6:7]
	v_mov_b32_e32 v12, s10
	s_xor_b64 exec, exec, s[6:7]
	s_cbranch_execz .LBB2_9618
; %bb.45459:
	s_getpc_b64 s[14:15]
.Lpost_getpc26313:
	s_add_u32 s14, s14, (.LBB2_23956-.Lpost_getpc26313)&4294967295
	s_addc_u32 s15, s15, (.LBB2_23956-.Lpost_getpc26313)>>32
	s_setpc_b64 s[14:15]
.LBB2_9618:
	s_or_b64 exec, exec, s[6:7]
	s_and_saveexec_b64 s[6:7], s[4:5]
	s_cbranch_execz .LBB2_9620
.LBB2_9619:
	v_bfe_u32 v12, v6, 16, 3
	v_ffbh_u32_e32 v15, v12
	v_min_u32_e32 v15, 32, v15
	v_lshrrev_b32_e32 v13, 19, v6
	v_subrev_u32_e32 v16, 28, v15
	v_and_b32_e32 v13, 15, v13
	v_lshlrev_b32_sdwa v16, v16, v6 dst_sel:DWORD dst_unused:UNUSED_PAD src0_sel:DWORD src1_sel:WORD_1
	v_bfe_u32 v14, v6, 19, 4
	v_sub_u32_e32 v15, 29, v15
	v_and_b32_e32 v16, 7, v16
	v_cmp_eq_u16_e32 vcc, 0, v13
	v_cndmask_b32_e32 v12, v12, v16, vcc
	v_cndmask_b32_e32 v13, v14, v15, vcc
	v_lshlrev_b32_e32 v14, 8, v6
	v_mov_b32_e32 v15, 0x3b800000
	v_lshlrev_b32_e32 v12, 20, v12
	v_and_b32_e32 v14, 0x80000000, v14
	v_lshl_add_u32 v13, v13, 23, v15
	v_or3_b32 v12, v14, v13, v12
.LBB2_9620:
	s_or_b64 exec, exec, s[6:7]
	s_movk_i32 s4, 0xff
	v_and_b32_sdwa v13, v2, s4 dst_sel:DWORD dst_unused:UNUSED_PAD src0_sel:WORD_1 src1_sel:DWORD
	s_movk_i32 s4, 0x7f
	v_cmp_lt_i16_e32 vcc, s4, v13
	s_mov_b64 s[4:5], 0
                                        ; implicit-def: $sgpr10
	s_and_saveexec_b64 s[6:7], vcc
	s_xor_b64 s[6:7], exec, s[6:7]
	s_cbranch_execz .LBB2_9621
; %bb.45461:
	s_getpc_b64 s[14:15]
.Lpost_getpc26314:
	s_add_u32 s14, s14, (.LBB2_23957-.Lpost_getpc26314)&4294967295
	s_addc_u32 s15, s15, (.LBB2_23957-.Lpost_getpc26314)>>32
	s_setpc_b64 s[14:15]
.LBB2_9621:
	s_or_saveexec_b64 s[6:7], s[6:7]
	v_mov_b32_e32 v14, s10
	s_xor_b64 exec, exec, s[6:7]
	s_cbranch_execz .LBB2_9622
; %bb.45463:
	s_getpc_b64 s[14:15]
.Lpost_getpc26315:
	s_add_u32 s14, s14, (.LBB2_23960-.Lpost_getpc26315)&4294967295
	s_addc_u32 s15, s15, (.LBB2_23960-.Lpost_getpc26315)>>32
	s_setpc_b64 s[14:15]
.LBB2_9622:
	s_or_b64 exec, exec, s[6:7]
	s_and_saveexec_b64 s[6:7], s[4:5]
	s_cbranch_execz .LBB2_9624
.LBB2_9623:
	v_bfe_u32 v13, v2, 16, 3
	v_ffbh_u32_e32 v16, v13
	v_min_u32_e32 v16, 32, v16
	v_lshrrev_b32_e32 v14, 19, v2
	v_subrev_u32_e32 v17, 28, v16
	v_and_b32_e32 v14, 15, v14
	v_lshlrev_b32_sdwa v17, v17, v2 dst_sel:DWORD dst_unused:UNUSED_PAD src0_sel:DWORD src1_sel:WORD_1
	v_bfe_u32 v15, v2, 19, 4
	v_sub_u32_e32 v16, 29, v16
	v_and_b32_e32 v17, 7, v17
	v_cmp_eq_u16_e32 vcc, 0, v14
	v_cndmask_b32_e32 v13, v13, v17, vcc
	v_cndmask_b32_e32 v14, v15, v16, vcc
	v_lshlrev_b32_e32 v15, 8, v2
	v_mov_b32_e32 v16, 0x3b800000
	v_lshlrev_b32_e32 v13, 20, v13
	v_and_b32_e32 v15, 0x80000000, v15
	v_lshl_add_u32 v14, v14, 23, v16
	v_or3_b32 v14, v15, v14, v13
.LBB2_9624:
	s_or_b64 exec, exec, s[6:7]
	s_nop 0
	v_mfma_f32_16x16x4f32 a[0:3], v12, v14, a[0:3]
	s_movk_i32 s4, 0x7f
	v_cmp_gt_i16_sdwa s[6:7], v6, s4 src0_sel:BYTE_3 src1_sel:DWORD
	s_mov_b64 s[4:5], 0
                                        ; implicit-def: $sgpr10
	s_and_saveexec_b64 s[8:9], s[6:7]
	s_xor_b64 s[6:7], exec, s[8:9]
	s_cbranch_execz .LBB2_9625
; %bb.45465:
	s_getpc_b64 s[14:15]
.Lpost_getpc26316:
	s_add_u32 s14, s14, (.LBB2_23961-.Lpost_getpc26316)&4294967295
	s_addc_u32 s15, s15, (.LBB2_23961-.Lpost_getpc26316)>>32
	s_setpc_b64 s[14:15]
.LBB2_9625:
	s_or_saveexec_b64 s[6:7], s[6:7]
	v_mov_b32_e32 v12, s10
	s_xor_b64 exec, exec, s[6:7]
	s_cbranch_execz .LBB2_9626
; %bb.45467:
	s_getpc_b64 s[14:15]
.Lpost_getpc26317:
	s_add_u32 s14, s14, (.LBB2_23964-.Lpost_getpc26317)&4294967295
	s_addc_u32 s15, s15, (.LBB2_23964-.Lpost_getpc26317)>>32
	s_setpc_b64 s[14:15]
.LBB2_9626:
	s_or_b64 exec, exec, s[6:7]
	s_and_saveexec_b64 s[6:7], s[4:5]
	s_cbranch_execz .LBB2_9628
.LBB2_9627:
	v_bfe_u32 v12, v6, 24, 3
	v_ffbh_u32_e32 v16, v12
	v_min_u32_e32 v16, 32, v16
	v_lshrrev_b32_e32 v14, 27, v6
	v_subrev_u32_e32 v17, 28, v16
	v_and_b32_e32 v13, 0x80000000, v6
	v_and_b32_e32 v14, 15, v14
	v_bfe_u32 v15, v6, 27, 4
	v_lshlrev_b32_sdwa v6, v17, v6 dst_sel:DWORD dst_unused:UNUSED_PAD src0_sel:DWORD src1_sel:BYTE_3
	v_sub_u32_e32 v16, 29, v16
	v_and_b32_e32 v6, 7, v6
	v_cmp_eq_u16_e32 vcc, 0, v14
	v_cndmask_b32_e32 v6, v12, v6, vcc
	v_cndmask_b32_e32 v12, v15, v16, vcc
	v_mov_b32_e32 v14, 0x3b800000
	v_lshlrev_b32_e32 v6, 20, v6
	v_lshl_add_u32 v12, v12, 23, v14
	v_or3_b32 v12, v13, v12, v6
.LBB2_9628:
	s_or_b64 exec, exec, s[6:7]
	s_movk_i32 s4, 0x7f
	v_cmp_gt_i16_sdwa s[6:7], v2, s4 src0_sel:BYTE_3 src1_sel:DWORD
	s_mov_b64 s[4:5], 0
                                        ; implicit-def: $sgpr10
	s_and_saveexec_b64 s[8:9], s[6:7]
	s_xor_b64 s[6:7], exec, s[8:9]
	s_cbranch_execz .LBB2_9629
; %bb.45469:
	s_getpc_b64 s[14:15]
.Lpost_getpc26318:
	s_add_u32 s14, s14, (.LBB2_23965-.Lpost_getpc26318)&4294967295
	s_addc_u32 s15, s15, (.LBB2_23965-.Lpost_getpc26318)>>32
	s_setpc_b64 s[14:15]
.LBB2_9629:
	s_or_saveexec_b64 s[6:7], s[6:7]
	v_mov_b32_e32 v6, s10
	s_xor_b64 exec, exec, s[6:7]
	s_cbranch_execz .LBB2_9630
; %bb.45471:
	s_getpc_b64 s[14:15]
.Lpost_getpc26319:
	s_add_u32 s14, s14, (.LBB2_23968-.Lpost_getpc26319)&4294967295
	s_addc_u32 s15, s15, (.LBB2_23968-.Lpost_getpc26319)>>32
	s_setpc_b64 s[14:15]
.LBB2_9630:
	s_or_b64 exec, exec, s[6:7]
	s_and_saveexec_b64 s[6:7], s[4:5]
	s_cbranch_execz .LBB2_9632
.LBB2_9631:
	v_bfe_u32 v6, v2, 24, 3
	v_ffbh_u32_e32 v16, v6
	v_min_u32_e32 v16, 32, v16
	v_lshrrev_b32_e32 v14, 27, v2
	v_subrev_u32_e32 v17, 28, v16
	v_and_b32_e32 v13, 0x80000000, v2
	v_and_b32_e32 v14, 15, v14
	v_bfe_u32 v15, v2, 27, 4
	v_lshlrev_b32_sdwa v2, v17, v2 dst_sel:DWORD dst_unused:UNUSED_PAD src0_sel:DWORD src1_sel:BYTE_3
	v_sub_u32_e32 v16, 29, v16
	v_and_b32_e32 v2, 7, v2
	v_cmp_eq_u16_e32 vcc, 0, v14
	v_cndmask_b32_e32 v2, v6, v2, vcc
	v_cndmask_b32_e32 v6, v15, v16, vcc
	v_mov_b32_e32 v14, 0x3b800000
	v_lshlrev_b32_e32 v2, 20, v2
	v_lshl_add_u32 v6, v6, 23, v14
	v_or3_b32 v6, v13, v6, v2
.LBB2_9632:
	s_or_b64 exec, exec, s[6:7]
	s_nop 0
	v_mfma_f32_16x16x4f32 a[0:3], v12, v6, a[0:3]
	s_movk_i32 s4, 0x7f
	v_cmp_gt_i16_sdwa s[6:7], v7, s4 src0_sel:BYTE_0 src1_sel:DWORD
	s_mov_b64 s[4:5], 0
                                        ; implicit-def: $sgpr10
	s_and_saveexec_b64 s[8:9], s[6:7]
	s_xor_b64 s[6:7], exec, s[8:9]
	s_cbranch_execz .LBB2_9633
; %bb.45473:
	s_getpc_b64 s[14:15]
.Lpost_getpc26320:
	s_add_u32 s14, s14, (.LBB2_23969-.Lpost_getpc26320)&4294967295
	s_addc_u32 s15, s15, (.LBB2_23969-.Lpost_getpc26320)>>32
	s_setpc_b64 s[14:15]
.LBB2_9633:
	s_or_saveexec_b64 s[6:7], s[6:7]
	v_mov_b32_e32 v2, s10
	s_xor_b64 exec, exec, s[6:7]
	s_cbranch_execz .LBB2_9634
; %bb.45475:
	s_getpc_b64 s[14:15]
.Lpost_getpc26321:
	s_add_u32 s14, s14, (.LBB2_23972-.Lpost_getpc26321)&4294967295
	s_addc_u32 s15, s15, (.LBB2_23972-.Lpost_getpc26321)>>32
	s_setpc_b64 s[14:15]
.LBB2_9634:
	s_or_b64 exec, exec, s[6:7]
	s_and_saveexec_b64 s[6:7], s[4:5]
	s_cbranch_execz .LBB2_9636
.LBB2_9635:
	v_and_b32_e32 v2, 7, v7
	v_ffbh_u32_e32 v12, v2
	v_min_u32_e32 v12, 32, v12
	v_lshrrev_b16_e32 v6, 3, v7
	v_subrev_u32_e32 v13, 28, v12
	v_and_b32_e32 v6, 15, v6
	v_lshlrev_b32_e32 v13, v13, v7
	v_sub_u32_e32 v12, 29, v12
	v_and_b32_e32 v13, 7, v13
	v_cmp_eq_u16_e32 vcc, 0, v6
	v_cndmask_b32_e32 v2, v2, v13, vcc
	v_cndmask_b32_e32 v6, v6, v12, vcc
	v_lshlrev_b32_e32 v12, 24, v7
	v_mov_b32_e32 v13, 0x3b800000
	v_lshlrev_b32_e32 v2, 20, v2
	v_and_b32_e32 v12, 0x80000000, v12
	v_lshl_add_u32 v6, v6, 23, v13
	v_or3_b32 v2, v12, v6, v2
.LBB2_9636:
	s_or_b64 exec, exec, s[6:7]
	s_movk_i32 s4, 0x7f
	v_cmp_gt_i16_sdwa s[6:7], v3, s4 src0_sel:BYTE_0 src1_sel:DWORD
	s_mov_b64 s[4:5], 0
                                        ; implicit-def: $sgpr10
	s_and_saveexec_b64 s[8:9], s[6:7]
	s_xor_b64 s[6:7], exec, s[8:9]
	s_cbranch_execz .LBB2_9637
; %bb.45477:
	s_getpc_b64 s[14:15]
.Lpost_getpc26322:
	s_add_u32 s14, s14, (.LBB2_23973-.Lpost_getpc26322)&4294967295
	s_addc_u32 s15, s15, (.LBB2_23973-.Lpost_getpc26322)>>32
	s_setpc_b64 s[14:15]
.LBB2_9637:
	s_or_saveexec_b64 s[6:7], s[6:7]
	v_mov_b32_e32 v6, s10
	s_xor_b64 exec, exec, s[6:7]
	s_cbranch_execz .LBB2_9638
; %bb.45479:
	s_getpc_b64 s[14:15]
.Lpost_getpc26323:
	s_add_u32 s14, s14, (.LBB2_23976-.Lpost_getpc26323)&4294967295
	s_addc_u32 s15, s15, (.LBB2_23976-.Lpost_getpc26323)>>32
	s_setpc_b64 s[14:15]
.LBB2_9638:
	s_or_b64 exec, exec, s[6:7]
	s_and_saveexec_b64 s[6:7], s[4:5]
	s_cbranch_execz .LBB2_9640
.LBB2_9639:
	v_and_b32_e32 v6, 7, v3
	v_ffbh_u32_e32 v13, v6
	v_min_u32_e32 v13, 32, v13
	v_lshrrev_b16_e32 v12, 3, v3
	v_subrev_u32_e32 v14, 28, v13
	v_and_b32_e32 v12, 15, v12
	v_lshlrev_b32_e32 v14, v14, v3
	v_sub_u32_e32 v13, 29, v13
	v_and_b32_e32 v14, 7, v14
	v_cmp_eq_u16_e32 vcc, 0, v12
	v_cndmask_b32_e32 v6, v6, v14, vcc
	v_cndmask_b32_e32 v12, v12, v13, vcc
	v_lshlrev_b32_e32 v13, 24, v3
	v_mov_b32_e32 v14, 0x3b800000
	v_lshlrev_b32_e32 v6, 20, v6
	v_and_b32_e32 v13, 0x80000000, v13
	v_lshl_add_u32 v12, v12, 23, v14
	v_or3_b32 v6, v13, v12, v6
.LBB2_9640:
	s_or_b64 exec, exec, s[6:7]
	s_nop 0
	v_mfma_f32_16x16x4f32 a[0:3], v2, v6, a[0:3]
	v_lshrrev_b32_e32 v6, 8, v7
	s_movk_i32 s4, 0x7f
	v_cmp_gt_i16_sdwa s[6:7], v6, s4 src0_sel:BYTE_0 src1_sel:DWORD
	s_mov_b64 s[4:5], 0
                                        ; implicit-def: $sgpr10
	s_and_saveexec_b64 s[8:9], s[6:7]
	s_xor_b64 s[6:7], exec, s[8:9]
	s_cbranch_execz .LBB2_9641
; %bb.45481:
	s_getpc_b64 s[14:15]
.Lpost_getpc26324:
	s_add_u32 s14, s14, (.LBB2_23977-.Lpost_getpc26324)&4294967295
	s_addc_u32 s15, s15, (.LBB2_23977-.Lpost_getpc26324)>>32
	s_setpc_b64 s[14:15]
.LBB2_9641:
	s_or_saveexec_b64 s[6:7], s[6:7]
	v_mov_b32_e32 v2, s10
	s_xor_b64 exec, exec, s[6:7]
	s_cbranch_execz .LBB2_9642
; %bb.45483:
	s_getpc_b64 s[14:15]
.Lpost_getpc26325:
	s_add_u32 s14, s14, (.LBB2_23980-.Lpost_getpc26325)&4294967295
	s_addc_u32 s15, s15, (.LBB2_23980-.Lpost_getpc26325)>>32
	s_setpc_b64 s[14:15]
.LBB2_9642:
	s_or_b64 exec, exec, s[6:7]
	s_and_saveexec_b64 s[6:7], s[4:5]
	s_cbranch_execz .LBB2_9644
.LBB2_9643:
	v_bfe_u32 v2, v7, 8, 3
	v_ffbh_u32_e32 v13, v2
	v_min_u32_e32 v13, 32, v13
	v_lshrrev_b16_e32 v12, 3, v6
	v_subrev_u32_e32 v14, 28, v13
	v_and_b32_e32 v12, 15, v12
	v_lshlrev_b32_e32 v6, v14, v6
	v_sub_u32_e32 v13, 29, v13
	v_and_b32_e32 v6, 7, v6
	v_cmp_eq_u16_e32 vcc, 0, v12
	v_cndmask_b32_e32 v2, v2, v6, vcc
	v_cndmask_b32_e32 v6, v12, v13, vcc
	v_lshlrev_b32_e32 v12, 16, v7
	v_mov_b32_e32 v13, 0x3b800000
	v_lshlrev_b32_e32 v2, 20, v2
	v_and_b32_e32 v12, 0x80000000, v12
	v_lshl_add_u32 v6, v6, 23, v13
	v_or3_b32 v2, v12, v6, v2
.LBB2_9644:
	s_or_b64 exec, exec, s[6:7]
	v_lshrrev_b32_e32 v6, 8, v3
	s_movk_i32 s4, 0x7f
	v_cmp_gt_i16_sdwa s[6:7], v6, s4 src0_sel:BYTE_0 src1_sel:DWORD
	s_mov_b64 s[4:5], 0
                                        ; implicit-def: $sgpr10
	s_and_saveexec_b64 s[8:9], s[6:7]
	s_xor_b64 s[6:7], exec, s[8:9]
	s_cbranch_execz .LBB2_9645
; %bb.45485:
	s_getpc_b64 s[14:15]
.Lpost_getpc26326:
	s_add_u32 s14, s14, (.LBB2_23981-.Lpost_getpc26326)&4294967295
	s_addc_u32 s15, s15, (.LBB2_23981-.Lpost_getpc26326)>>32
	s_setpc_b64 s[14:15]
.LBB2_9645:
	s_or_saveexec_b64 s[6:7], s[6:7]
	v_mov_b32_e32 v12, s10
	s_xor_b64 exec, exec, s[6:7]
	s_cbranch_execz .LBB2_9646
; %bb.45487:
	s_getpc_b64 s[14:15]
.Lpost_getpc26327:
	s_add_u32 s14, s14, (.LBB2_23984-.Lpost_getpc26327)&4294967295
	s_addc_u32 s15, s15, (.LBB2_23984-.Lpost_getpc26327)>>32
	s_setpc_b64 s[14:15]
.LBB2_9646:
	s_or_b64 exec, exec, s[6:7]
	s_and_saveexec_b64 s[6:7], s[4:5]
	s_cbranch_execz .LBB2_9648
.LBB2_9647:
	v_bfe_u32 v12, v3, 8, 3
	v_ffbh_u32_e32 v14, v12
	v_min_u32_e32 v14, 32, v14
	v_lshrrev_b16_e32 v13, 3, v6
	v_subrev_u32_e32 v15, 28, v14
	v_and_b32_e32 v13, 15, v13
	v_lshlrev_b32_e32 v6, v15, v6
	v_sub_u32_e32 v14, 29, v14
	v_and_b32_e32 v6, 7, v6
	v_cmp_eq_u16_e32 vcc, 0, v13
	v_cndmask_b32_e32 v6, v12, v6, vcc
	v_cndmask_b32_e32 v12, v13, v14, vcc
	v_lshlrev_b32_e32 v13, 16, v3
	v_mov_b32_e32 v14, 0x3b800000
	v_lshlrev_b32_e32 v6, 20, v6
	v_and_b32_e32 v13, 0x80000000, v13
	v_lshl_add_u32 v12, v12, 23, v14
	v_or3_b32 v12, v13, v12, v6
.LBB2_9648:
	s_or_b64 exec, exec, s[6:7]
	s_nop 0
	v_mfma_f32_16x16x4f32 a[0:3], v2, v12, a[0:3]
	s_movk_i32 s4, 0xff
	v_and_b32_sdwa v6, v7, s4 dst_sel:DWORD dst_unused:UNUSED_PAD src0_sel:WORD_1 src1_sel:DWORD
	s_movk_i32 s4, 0x7f
	v_cmp_lt_i16_e32 vcc, s4, v6
	s_mov_b64 s[4:5], 0
                                        ; implicit-def: $sgpr10
	s_and_saveexec_b64 s[6:7], vcc
	s_xor_b64 s[6:7], exec, s[6:7]
	s_cbranch_execz .LBB2_9649
; %bb.45489:
	s_getpc_b64 s[14:15]
.Lpost_getpc26328:
	s_add_u32 s14, s14, (.LBB2_23985-.Lpost_getpc26328)&4294967295
	s_addc_u32 s15, s15, (.LBB2_23985-.Lpost_getpc26328)>>32
	s_setpc_b64 s[14:15]
.LBB2_9649:
	s_or_saveexec_b64 s[6:7], s[6:7]
	v_mov_b32_e32 v2, s10
	s_xor_b64 exec, exec, s[6:7]
	s_cbranch_execz .LBB2_9650
; %bb.45491:
	s_getpc_b64 s[14:15]
.Lpost_getpc26329:
	s_add_u32 s14, s14, (.LBB2_23988-.Lpost_getpc26329)&4294967295
	s_addc_u32 s15, s15, (.LBB2_23988-.Lpost_getpc26329)>>32
	s_setpc_b64 s[14:15]
.LBB2_9650:
	s_or_b64 exec, exec, s[6:7]
	s_and_saveexec_b64 s[6:7], s[4:5]
	s_cbranch_execz .LBB2_9652
.LBB2_9651:
	v_bfe_u32 v2, v7, 16, 3
	v_ffbh_u32_e32 v13, v2
	v_min_u32_e32 v13, 32, v13
	v_lshrrev_b32_e32 v6, 19, v7
	v_subrev_u32_e32 v14, 28, v13
	v_and_b32_e32 v6, 15, v6
	v_lshlrev_b32_sdwa v14, v14, v7 dst_sel:DWORD dst_unused:UNUSED_PAD src0_sel:DWORD src1_sel:WORD_1
	v_bfe_u32 v12, v7, 19, 4
	v_sub_u32_e32 v13, 29, v13
	v_and_b32_e32 v14, 7, v14
	v_cmp_eq_u16_e32 vcc, 0, v6
	v_cndmask_b32_e32 v2, v2, v14, vcc
	v_cndmask_b32_e32 v6, v12, v13, vcc
	v_lshlrev_b32_e32 v12, 8, v7
	v_mov_b32_e32 v13, 0x3b800000
	v_lshlrev_b32_e32 v2, 20, v2
	v_and_b32_e32 v12, 0x80000000, v12
	v_lshl_add_u32 v6, v6, 23, v13
	v_or3_b32 v2, v12, v6, v2
.LBB2_9652:
	s_or_b64 exec, exec, s[6:7]
	s_movk_i32 s4, 0xff
	v_and_b32_sdwa v6, v3, s4 dst_sel:DWORD dst_unused:UNUSED_PAD src0_sel:WORD_1 src1_sel:DWORD
	s_movk_i32 s4, 0x7f
	v_cmp_lt_i16_e32 vcc, s4, v6
	s_mov_b64 s[4:5], 0
                                        ; implicit-def: $sgpr10
	s_and_saveexec_b64 s[6:7], vcc
	s_xor_b64 s[6:7], exec, s[6:7]
	s_cbranch_execz .LBB2_9653
; %bb.45493:
	s_getpc_b64 s[14:15]
.Lpost_getpc26330:
	s_add_u32 s14, s14, (.LBB2_23989-.Lpost_getpc26330)&4294967295
	s_addc_u32 s15, s15, (.LBB2_23989-.Lpost_getpc26330)>>32
	s_setpc_b64 s[14:15]
.LBB2_9653:
	s_or_saveexec_b64 s[6:7], s[6:7]
	v_mov_b32_e32 v12, s10
	s_xor_b64 exec, exec, s[6:7]
	s_cbranch_execz .LBB2_9654
; %bb.45495:
	s_getpc_b64 s[14:15]
.Lpost_getpc26331:
	s_add_u32 s14, s14, (.LBB2_23992-.Lpost_getpc26331)&4294967295
	s_addc_u32 s15, s15, (.LBB2_23992-.Lpost_getpc26331)>>32
	s_setpc_b64 s[14:15]
.LBB2_9654:
	s_or_b64 exec, exec, s[6:7]
	s_and_saveexec_b64 s[6:7], s[4:5]
	s_cbranch_execz .LBB2_9656
.LBB2_9655:
	v_bfe_u32 v6, v3, 16, 3
	v_ffbh_u32_e32 v14, v6
	v_min_u32_e32 v14, 32, v14
	v_lshrrev_b32_e32 v12, 19, v3
	v_subrev_u32_e32 v15, 28, v14
	v_and_b32_e32 v12, 15, v12
	v_lshlrev_b32_sdwa v15, v15, v3 dst_sel:DWORD dst_unused:UNUSED_PAD src0_sel:DWORD src1_sel:WORD_1
	v_bfe_u32 v13, v3, 19, 4
	v_sub_u32_e32 v14, 29, v14
	v_and_b32_e32 v15, 7, v15
	v_cmp_eq_u16_e32 vcc, 0, v12
	v_cndmask_b32_e32 v6, v6, v15, vcc
	v_cndmask_b32_e32 v12, v13, v14, vcc
	v_lshlrev_b32_e32 v13, 8, v3
	v_mov_b32_e32 v14, 0x3b800000
	v_lshlrev_b32_e32 v6, 20, v6
	v_and_b32_e32 v13, 0x80000000, v13
	v_lshl_add_u32 v12, v12, 23, v14
	v_or3_b32 v12, v13, v12, v6
.LBB2_9656:
	s_or_b64 exec, exec, s[6:7]
	s_nop 0
	v_mfma_f32_16x16x4f32 a[0:3], v2, v12, a[0:3]
	s_movk_i32 s4, 0x7f
	v_cmp_gt_i16_sdwa s[6:7], v7, s4 src0_sel:BYTE_3 src1_sel:DWORD
	s_mov_b64 s[4:5], 0
                                        ; implicit-def: $sgpr10
	s_and_saveexec_b64 s[8:9], s[6:7]
	s_xor_b64 s[6:7], exec, s[8:9]
	s_cbranch_execz .LBB2_9657
; %bb.45497:
	s_getpc_b64 s[14:15]
.Lpost_getpc26332:
	s_add_u32 s14, s14, (.LBB2_23993-.Lpost_getpc26332)&4294967295
	s_addc_u32 s15, s15, (.LBB2_23993-.Lpost_getpc26332)>>32
	s_setpc_b64 s[14:15]
.LBB2_9657:
	s_or_saveexec_b64 s[6:7], s[6:7]
	v_mov_b32_e32 v2, s10
	s_xor_b64 exec, exec, s[6:7]
	s_cbranch_execz .LBB2_9658
; %bb.45499:
	s_getpc_b64 s[14:15]
.Lpost_getpc26333:
	s_add_u32 s14, s14, (.LBB2_23996-.Lpost_getpc26333)&4294967295
	s_addc_u32 s15, s15, (.LBB2_23996-.Lpost_getpc26333)>>32
	s_setpc_b64 s[14:15]
.LBB2_9658:
	s_or_b64 exec, exec, s[6:7]
	s_and_saveexec_b64 s[6:7], s[4:5]
	s_cbranch_execz .LBB2_9660
.LBB2_9659:
	v_bfe_u32 v2, v7, 24, 3
	v_ffbh_u32_e32 v14, v2
	v_min_u32_e32 v14, 32, v14
	v_lshrrev_b32_e32 v12, 27, v7
	v_subrev_u32_e32 v15, 28, v14
	v_and_b32_e32 v6, 0x80000000, v7
	v_and_b32_e32 v12, 15, v12
	v_bfe_u32 v13, v7, 27, 4
	v_lshlrev_b32_sdwa v7, v15, v7 dst_sel:DWORD dst_unused:UNUSED_PAD src0_sel:DWORD src1_sel:BYTE_3
	v_sub_u32_e32 v14, 29, v14
	v_and_b32_e32 v7, 7, v7
	v_cmp_eq_u16_e32 vcc, 0, v12
	v_cndmask_b32_e32 v2, v2, v7, vcc
	v_cndmask_b32_e32 v7, v13, v14, vcc
	v_mov_b32_e32 v12, 0x3b800000
	v_lshlrev_b32_e32 v2, 20, v2
	v_lshl_add_u32 v7, v7, 23, v12
	v_or3_b32 v2, v6, v7, v2
.LBB2_9660:
	s_or_b64 exec, exec, s[6:7]
	s_movk_i32 s4, 0x7f
	v_cmp_gt_i16_sdwa s[6:7], v3, s4 src0_sel:BYTE_3 src1_sel:DWORD
	s_mov_b64 s[4:5], 0
                                        ; implicit-def: $sgpr10
	s_and_saveexec_b64 s[8:9], s[6:7]
	s_xor_b64 s[6:7], exec, s[8:9]
	s_cbranch_execz .LBB2_9661
; %bb.45501:
	s_getpc_b64 s[14:15]
.Lpost_getpc26334:
	s_add_u32 s14, s14, (.LBB2_23997-.Lpost_getpc26334)&4294967295
	s_addc_u32 s15, s15, (.LBB2_23997-.Lpost_getpc26334)>>32
	s_setpc_b64 s[14:15]
.LBB2_9661:
	s_or_saveexec_b64 s[6:7], s[6:7]
	v_mov_b32_e32 v6, s10
	s_xor_b64 exec, exec, s[6:7]
	s_cbranch_execz .LBB2_9662
; %bb.45503:
	s_getpc_b64 s[14:15]
.Lpost_getpc26335:
	s_add_u32 s14, s14, (.LBB2_24000-.Lpost_getpc26335)&4294967295
	s_addc_u32 s15, s15, (.LBB2_24000-.Lpost_getpc26335)>>32
	s_setpc_b64 s[14:15]
.LBB2_9662:
	s_or_b64 exec, exec, s[6:7]
	s_and_saveexec_b64 s[6:7], s[4:5]
	s_cbranch_execz .LBB2_9664
.LBB2_9663:
	v_bfe_u32 v6, v3, 24, 3
	v_ffbh_u32_e32 v14, v6
	v_min_u32_e32 v14, 32, v14
	v_lshrrev_b32_e32 v12, 27, v3
	v_subrev_u32_e32 v15, 28, v14
	v_and_b32_e32 v7, 0x80000000, v3
	v_and_b32_e32 v12, 15, v12
	v_bfe_u32 v13, v3, 27, 4
	v_lshlrev_b32_sdwa v3, v15, v3 dst_sel:DWORD dst_unused:UNUSED_PAD src0_sel:DWORD src1_sel:BYTE_3
	v_sub_u32_e32 v14, 29, v14
	v_and_b32_e32 v3, 7, v3
	v_cmp_eq_u16_e32 vcc, 0, v12
	v_cndmask_b32_e32 v3, v6, v3, vcc
	v_cndmask_b32_e32 v6, v13, v14, vcc
	v_mov_b32_e32 v12, 0x3b800000
	v_lshlrev_b32_e32 v3, 20, v3
	v_lshl_add_u32 v6, v6, 23, v12
	v_or3_b32 v6, v7, v6, v3
.LBB2_9664:
	s_or_b64 exec, exec, s[6:7]
	s_nop 0
	v_mfma_f32_16x16x4f32 a[0:3], v2, v6, a[0:3]
	s_movk_i32 s4, 0x7f
	v_cmp_gt_i16_sdwa s[6:7], v8, s4 src0_sel:BYTE_0 src1_sel:DWORD
	s_mov_b64 s[4:5], 0
                                        ; implicit-def: $sgpr10
	s_and_saveexec_b64 s[8:9], s[6:7]
	s_xor_b64 s[6:7], exec, s[8:9]
	s_cbranch_execz .LBB2_9665
; %bb.45505:
	s_getpc_b64 s[14:15]
.Lpost_getpc26336:
	s_add_u32 s14, s14, (.LBB2_24001-.Lpost_getpc26336)&4294967295
	s_addc_u32 s15, s15, (.LBB2_24001-.Lpost_getpc26336)>>32
	s_setpc_b64 s[14:15]
.LBB2_9665:
	s_or_saveexec_b64 s[6:7], s[6:7]
	v_mov_b32_e32 v2, s10
	s_xor_b64 exec, exec, s[6:7]
	s_cbranch_execz .LBB2_9666
; %bb.45507:
	s_getpc_b64 s[14:15]
.Lpost_getpc26337:
	s_add_u32 s14, s14, (.LBB2_24004-.Lpost_getpc26337)&4294967295
	s_addc_u32 s15, s15, (.LBB2_24004-.Lpost_getpc26337)>>32
	s_setpc_b64 s[14:15]
.LBB2_9666:
	s_or_b64 exec, exec, s[6:7]
	s_and_saveexec_b64 s[6:7], s[4:5]
	s_cbranch_execz .LBB2_9668
.LBB2_9667:
	v_and_b32_e32 v2, 7, v8
	v_ffbh_u32_e32 v6, v2
	v_min_u32_e32 v6, 32, v6
	v_lshrrev_b16_e32 v3, 3, v8
	v_subrev_u32_e32 v7, 28, v6
	v_and_b32_e32 v3, 15, v3
	v_lshlrev_b32_e32 v7, v7, v8
	v_sub_u32_e32 v6, 29, v6
	v_and_b32_e32 v7, 7, v7
	v_cmp_eq_u16_e32 vcc, 0, v3
	v_cndmask_b32_e32 v2, v2, v7, vcc
	v_cndmask_b32_e32 v3, v3, v6, vcc
	v_lshlrev_b32_e32 v6, 24, v8
	v_mov_b32_e32 v7, 0x3b800000
	v_lshlrev_b32_e32 v2, 20, v2
	v_and_b32_e32 v6, 0x80000000, v6
	v_lshl_add_u32 v3, v3, 23, v7
	v_or3_b32 v2, v6, v3, v2
.LBB2_9668:
	s_or_b64 exec, exec, s[6:7]
	s_movk_i32 s4, 0x7f
	v_cmp_gt_i16_sdwa s[6:7], v4, s4 src0_sel:BYTE_0 src1_sel:DWORD
	s_mov_b64 s[4:5], 0
                                        ; implicit-def: $sgpr10
	s_and_saveexec_b64 s[8:9], s[6:7]
	s_xor_b64 s[6:7], exec, s[8:9]
	s_cbranch_execz .LBB2_9669
; %bb.45509:
	s_getpc_b64 s[14:15]
.Lpost_getpc26338:
	s_add_u32 s14, s14, (.LBB2_24005-.Lpost_getpc26338)&4294967295
	s_addc_u32 s15, s15, (.LBB2_24005-.Lpost_getpc26338)>>32
	s_setpc_b64 s[14:15]
.LBB2_9669:
	s_or_saveexec_b64 s[6:7], s[6:7]
	v_mov_b32_e32 v3, s10
	s_xor_b64 exec, exec, s[6:7]
	s_cbranch_execz .LBB2_9670
; %bb.45511:
	s_getpc_b64 s[14:15]
.Lpost_getpc26339:
	s_add_u32 s14, s14, (.LBB2_24008-.Lpost_getpc26339)&4294967295
	s_addc_u32 s15, s15, (.LBB2_24008-.Lpost_getpc26339)>>32
	s_setpc_b64 s[14:15]
.LBB2_9670:
	s_or_b64 exec, exec, s[6:7]
	s_and_saveexec_b64 s[6:7], s[4:5]
	s_cbranch_execz .LBB2_9672
.LBB2_9671:
	v_and_b32_e32 v3, 7, v4
	v_ffbh_u32_e32 v7, v3
	v_min_u32_e32 v7, 32, v7
	v_lshrrev_b16_e32 v6, 3, v4
	v_subrev_u32_e32 v12, 28, v7
	v_and_b32_e32 v6, 15, v6
	v_lshlrev_b32_e32 v12, v12, v4
	v_sub_u32_e32 v7, 29, v7
	v_and_b32_e32 v12, 7, v12
	v_cmp_eq_u16_e32 vcc, 0, v6
	v_cndmask_b32_e32 v3, v3, v12, vcc
	v_cndmask_b32_e32 v6, v6, v7, vcc
	v_lshlrev_b32_e32 v7, 24, v4
	v_mov_b32_e32 v12, 0x3b800000
	v_lshlrev_b32_e32 v3, 20, v3
	v_and_b32_e32 v7, 0x80000000, v7
	v_lshl_add_u32 v6, v6, 23, v12
	v_or3_b32 v3, v7, v6, v3
.LBB2_9672:
	s_or_b64 exec, exec, s[6:7]
	s_nop 0
	v_mfma_f32_16x16x4f32 a[0:3], v2, v3, a[0:3]
	v_lshrrev_b32_e32 v3, 8, v8
	s_movk_i32 s4, 0x7f
	v_cmp_gt_i16_sdwa s[6:7], v3, s4 src0_sel:BYTE_0 src1_sel:DWORD
	s_mov_b64 s[4:5], 0
                                        ; implicit-def: $sgpr10
	s_and_saveexec_b64 s[8:9], s[6:7]
	s_xor_b64 s[6:7], exec, s[8:9]
	s_cbranch_execz .LBB2_9673
; %bb.45513:
	s_getpc_b64 s[14:15]
.Lpost_getpc26340:
	s_add_u32 s14, s14, (.LBB2_24009-.Lpost_getpc26340)&4294967295
	s_addc_u32 s15, s15, (.LBB2_24009-.Lpost_getpc26340)>>32
	s_setpc_b64 s[14:15]
.LBB2_9673:
	s_or_saveexec_b64 s[6:7], s[6:7]
	v_mov_b32_e32 v2, s10
	s_xor_b64 exec, exec, s[6:7]
	s_cbranch_execz .LBB2_9674
; %bb.45515:
	s_getpc_b64 s[14:15]
.Lpost_getpc26341:
	s_add_u32 s14, s14, (.LBB2_24012-.Lpost_getpc26341)&4294967295
	s_addc_u32 s15, s15, (.LBB2_24012-.Lpost_getpc26341)>>32
	s_setpc_b64 s[14:15]
.LBB2_9674:
	s_or_b64 exec, exec, s[6:7]
	s_and_saveexec_b64 s[6:7], s[4:5]
	s_cbranch_execz .LBB2_9676
.LBB2_9675:
	v_bfe_u32 v2, v8, 8, 3
	v_ffbh_u32_e32 v7, v2
	v_min_u32_e32 v7, 32, v7
	v_lshrrev_b16_e32 v6, 3, v3
	v_subrev_u32_e32 v12, 28, v7
	v_and_b32_e32 v6, 15, v6
	v_lshlrev_b32_e32 v3, v12, v3
	v_sub_u32_e32 v7, 29, v7
	v_and_b32_e32 v3, 7, v3
	v_cmp_eq_u16_e32 vcc, 0, v6
	v_cndmask_b32_e32 v2, v2, v3, vcc
	v_cndmask_b32_e32 v3, v6, v7, vcc
	v_lshlrev_b32_e32 v6, 16, v8
	v_mov_b32_e32 v7, 0x3b800000
	v_lshlrev_b32_e32 v2, 20, v2
	v_and_b32_e32 v6, 0x80000000, v6
	v_lshl_add_u32 v3, v3, 23, v7
	v_or3_b32 v2, v6, v3, v2
.LBB2_9676:
	s_or_b64 exec, exec, s[6:7]
	v_lshrrev_b32_e32 v3, 8, v4
	s_movk_i32 s4, 0x7f
	v_cmp_gt_i16_sdwa s[6:7], v3, s4 src0_sel:BYTE_0 src1_sel:DWORD
	s_mov_b64 s[4:5], 0
                                        ; implicit-def: $sgpr10
	s_and_saveexec_b64 s[8:9], s[6:7]
	s_xor_b64 s[6:7], exec, s[8:9]
	s_cbranch_execz .LBB2_9677
; %bb.45517:
	s_getpc_b64 s[14:15]
.Lpost_getpc26342:
	s_add_u32 s14, s14, (.LBB2_24013-.Lpost_getpc26342)&4294967295
	s_addc_u32 s15, s15, (.LBB2_24013-.Lpost_getpc26342)>>32
	s_setpc_b64 s[14:15]
.LBB2_9677:
	s_or_saveexec_b64 s[6:7], s[6:7]
	v_mov_b32_e32 v6, s10
	s_xor_b64 exec, exec, s[6:7]
	s_cbranch_execz .LBB2_9678
; %bb.45519:
	s_getpc_b64 s[14:15]
.Lpost_getpc26343:
	s_add_u32 s14, s14, (.LBB2_24016-.Lpost_getpc26343)&4294967295
	s_addc_u32 s15, s15, (.LBB2_24016-.Lpost_getpc26343)>>32
	s_setpc_b64 s[14:15]
.LBB2_9678:
	s_or_b64 exec, exec, s[6:7]
	s_and_saveexec_b64 s[6:7], s[4:5]
	s_cbranch_execz .LBB2_9680
.LBB2_9679:
	v_bfe_u32 v6, v4, 8, 3
	v_ffbh_u32_e32 v12, v6
	v_min_u32_e32 v12, 32, v12
	v_lshrrev_b16_e32 v7, 3, v3
	v_subrev_u32_e32 v13, 28, v12
	v_and_b32_e32 v7, 15, v7
	v_lshlrev_b32_e32 v3, v13, v3
	v_sub_u32_e32 v12, 29, v12
	v_and_b32_e32 v3, 7, v3
	v_cmp_eq_u16_e32 vcc, 0, v7
	v_cndmask_b32_e32 v3, v6, v3, vcc
	v_cndmask_b32_e32 v6, v7, v12, vcc
	v_lshlrev_b32_e32 v7, 16, v4
	v_mov_b32_e32 v12, 0x3b800000
	v_lshlrev_b32_e32 v3, 20, v3
	v_and_b32_e32 v7, 0x80000000, v7
	v_lshl_add_u32 v6, v6, 23, v12
	v_or3_b32 v6, v7, v6, v3
.LBB2_9680:
	s_or_b64 exec, exec, s[6:7]
	s_nop 0
	v_mfma_f32_16x16x4f32 a[0:3], v2, v6, a[0:3]
	s_movk_i32 s4, 0xff
	v_and_b32_sdwa v3, v8, s4 dst_sel:DWORD dst_unused:UNUSED_PAD src0_sel:WORD_1 src1_sel:DWORD
	s_movk_i32 s4, 0x7f
	v_cmp_lt_i16_e32 vcc, s4, v3
	s_mov_b64 s[4:5], 0
                                        ; implicit-def: $sgpr10
	s_and_saveexec_b64 s[6:7], vcc
	s_xor_b64 s[6:7], exec, s[6:7]
	s_cbranch_execz .LBB2_9681
; %bb.45521:
	s_getpc_b64 s[14:15]
.Lpost_getpc26344:
	s_add_u32 s14, s14, (.LBB2_24017-.Lpost_getpc26344)&4294967295
	s_addc_u32 s15, s15, (.LBB2_24017-.Lpost_getpc26344)>>32
	s_setpc_b64 s[14:15]
.LBB2_9681:
	s_or_saveexec_b64 s[6:7], s[6:7]
	v_mov_b32_e32 v2, s10
	s_xor_b64 exec, exec, s[6:7]
	s_cbranch_execz .LBB2_9682
; %bb.45523:
	s_getpc_b64 s[14:15]
.Lpost_getpc26345:
	s_add_u32 s14, s14, (.LBB2_24020-.Lpost_getpc26345)&4294967295
	s_addc_u32 s15, s15, (.LBB2_24020-.Lpost_getpc26345)>>32
	s_setpc_b64 s[14:15]
.LBB2_9682:
	s_or_b64 exec, exec, s[6:7]
	s_and_saveexec_b64 s[6:7], s[4:5]
	s_cbranch_execz .LBB2_9684
.LBB2_9683:
	v_bfe_u32 v2, v8, 16, 3
	v_ffbh_u32_e32 v7, v2
	v_min_u32_e32 v7, 32, v7
	v_lshrrev_b32_e32 v3, 19, v8
	v_subrev_u32_e32 v12, 28, v7
	v_and_b32_e32 v3, 15, v3
	v_lshlrev_b32_sdwa v12, v12, v8 dst_sel:DWORD dst_unused:UNUSED_PAD src0_sel:DWORD src1_sel:WORD_1
	v_bfe_u32 v6, v8, 19, 4
	v_sub_u32_e32 v7, 29, v7
	v_and_b32_e32 v12, 7, v12
	v_cmp_eq_u16_e32 vcc, 0, v3
	v_cndmask_b32_e32 v2, v2, v12, vcc
	v_cndmask_b32_e32 v3, v6, v7, vcc
	v_lshlrev_b32_e32 v6, 8, v8
	v_mov_b32_e32 v7, 0x3b800000
	v_lshlrev_b32_e32 v2, 20, v2
	v_and_b32_e32 v6, 0x80000000, v6
	v_lshl_add_u32 v3, v3, 23, v7
	v_or3_b32 v2, v6, v3, v2
.LBB2_9684:
	s_or_b64 exec, exec, s[6:7]
	s_movk_i32 s4, 0xff
	v_and_b32_sdwa v3, v4, s4 dst_sel:DWORD dst_unused:UNUSED_PAD src0_sel:WORD_1 src1_sel:DWORD
	s_movk_i32 s4, 0x7f
	v_cmp_lt_i16_e32 vcc, s4, v3
	s_mov_b64 s[4:5], 0
                                        ; implicit-def: $sgpr10
	s_and_saveexec_b64 s[6:7], vcc
	s_xor_b64 s[6:7], exec, s[6:7]
	s_cbranch_execz .LBB2_9685
; %bb.45525:
	s_getpc_b64 s[14:15]
.Lpost_getpc26346:
	s_add_u32 s14, s14, (.LBB2_24021-.Lpost_getpc26346)&4294967295
	s_addc_u32 s15, s15, (.LBB2_24021-.Lpost_getpc26346)>>32
	s_setpc_b64 s[14:15]
.LBB2_9685:
	s_or_saveexec_b64 s[6:7], s[6:7]
	v_mov_b32_e32 v6, s10
	s_xor_b64 exec, exec, s[6:7]
	s_cbranch_execz .LBB2_9686
; %bb.45527:
	s_getpc_b64 s[14:15]
.Lpost_getpc26347:
	s_add_u32 s14, s14, (.LBB2_24024-.Lpost_getpc26347)&4294967295
	s_addc_u32 s15, s15, (.LBB2_24024-.Lpost_getpc26347)>>32
	s_setpc_b64 s[14:15]
.LBB2_9686:
	s_or_b64 exec, exec, s[6:7]
	s_and_saveexec_b64 s[6:7], s[4:5]
	s_cbranch_execz .LBB2_9688
.LBB2_9687:
	v_bfe_u32 v3, v4, 16, 3
	v_ffbh_u32_e32 v12, v3
	v_min_u32_e32 v12, 32, v12
	v_lshrrev_b32_e32 v6, 19, v4
	v_subrev_u32_e32 v13, 28, v12
	v_and_b32_e32 v6, 15, v6
	v_lshlrev_b32_sdwa v13, v13, v4 dst_sel:DWORD dst_unused:UNUSED_PAD src0_sel:DWORD src1_sel:WORD_1
	v_bfe_u32 v7, v4, 19, 4
	v_sub_u32_e32 v12, 29, v12
	v_and_b32_e32 v13, 7, v13
	v_cmp_eq_u16_e32 vcc, 0, v6
	v_cndmask_b32_e32 v3, v3, v13, vcc
	v_cndmask_b32_e32 v6, v7, v12, vcc
	v_lshlrev_b32_e32 v7, 8, v4
	v_mov_b32_e32 v12, 0x3b800000
	v_lshlrev_b32_e32 v3, 20, v3
	v_and_b32_e32 v7, 0x80000000, v7
	v_lshl_add_u32 v6, v6, 23, v12
	v_or3_b32 v6, v7, v6, v3
.LBB2_9688:
	s_or_b64 exec, exec, s[6:7]
	s_nop 0
	v_mfma_f32_16x16x4f32 a[0:3], v2, v6, a[0:3]
	s_movk_i32 s4, 0x7f
	v_cmp_gt_i16_sdwa s[6:7], v8, s4 src0_sel:BYTE_3 src1_sel:DWORD
	s_mov_b64 s[4:5], 0
                                        ; implicit-def: $sgpr10
	s_and_saveexec_b64 s[8:9], s[6:7]
	s_xor_b64 s[6:7], exec, s[8:9]
	s_cbranch_execz .LBB2_9689
; %bb.45529:
	s_getpc_b64 s[14:15]
.Lpost_getpc26348:
	s_add_u32 s14, s14, (.LBB2_24025-.Lpost_getpc26348)&4294967295
	s_addc_u32 s15, s15, (.LBB2_24025-.Lpost_getpc26348)>>32
	s_setpc_b64 s[14:15]
.LBB2_9689:
	s_or_saveexec_b64 s[6:7], s[6:7]
	v_mov_b32_e32 v2, s10
	s_xor_b64 exec, exec, s[6:7]
	s_cbranch_execz .LBB2_9690
; %bb.45531:
	s_getpc_b64 s[14:15]
.Lpost_getpc26349:
	s_add_u32 s14, s14, (.LBB2_24028-.Lpost_getpc26349)&4294967295
	s_addc_u32 s15, s15, (.LBB2_24028-.Lpost_getpc26349)>>32
	s_setpc_b64 s[14:15]
.LBB2_9690:
	s_or_b64 exec, exec, s[6:7]
	s_and_saveexec_b64 s[6:7], s[4:5]
	s_cbranch_execz .LBB2_9692
.LBB2_9691:
	v_bfe_u32 v2, v8, 24, 3
	v_ffbh_u32_e32 v12, v2
	v_min_u32_e32 v12, 32, v12
	v_lshrrev_b32_e32 v6, 27, v8
	v_subrev_u32_e32 v13, 28, v12
	v_and_b32_e32 v3, 0x80000000, v8
	v_and_b32_e32 v6, 15, v6
	v_bfe_u32 v7, v8, 27, 4
	v_lshlrev_b32_sdwa v8, v13, v8 dst_sel:DWORD dst_unused:UNUSED_PAD src0_sel:DWORD src1_sel:BYTE_3
	v_sub_u32_e32 v12, 29, v12
	v_and_b32_e32 v8, 7, v8
	v_cmp_eq_u16_e32 vcc, 0, v6
	v_cndmask_b32_e32 v2, v2, v8, vcc
	v_cndmask_b32_e32 v6, v7, v12, vcc
	v_mov_b32_e32 v7, 0x3b800000
	v_lshlrev_b32_e32 v2, 20, v2
	v_lshl_add_u32 v6, v6, 23, v7
	v_or3_b32 v2, v3, v6, v2
.LBB2_9692:
	s_or_b64 exec, exec, s[6:7]
	s_movk_i32 s4, 0x7f
	v_cmp_gt_i16_sdwa s[6:7], v4, s4 src0_sel:BYTE_3 src1_sel:DWORD
	s_mov_b64 s[4:5], 0
                                        ; implicit-def: $sgpr10
	s_and_saveexec_b64 s[8:9], s[6:7]
	s_xor_b64 s[6:7], exec, s[8:9]
	s_cbranch_execz .LBB2_9693
; %bb.45533:
	s_getpc_b64 s[14:15]
.Lpost_getpc26350:
	s_add_u32 s14, s14, (.LBB2_24029-.Lpost_getpc26350)&4294967295
	s_addc_u32 s15, s15, (.LBB2_24029-.Lpost_getpc26350)>>32
	s_setpc_b64 s[14:15]
.LBB2_9693:
	s_or_saveexec_b64 s[6:7], s[6:7]
	v_mov_b32_e32 v3, s10
	s_xor_b64 exec, exec, s[6:7]
	s_cbranch_execz .LBB2_9694
; %bb.45535:
	s_getpc_b64 s[14:15]
.Lpost_getpc26351:
	s_add_u32 s14, s14, (.LBB2_24032-.Lpost_getpc26351)&4294967295
	s_addc_u32 s15, s15, (.LBB2_24032-.Lpost_getpc26351)>>32
	s_setpc_b64 s[14:15]
.LBB2_9694:
	s_or_b64 exec, exec, s[6:7]
	s_and_saveexec_b64 s[6:7], s[4:5]
	s_cbranch_execz .LBB2_9696
.LBB2_9695:
	v_bfe_u32 v3, v4, 24, 3
	v_ffbh_u32_e32 v12, v3
	v_min_u32_e32 v12, 32, v12
	v_lshrrev_b32_e32 v7, 27, v4
	v_subrev_u32_e32 v13, 28, v12
	v_and_b32_e32 v6, 0x80000000, v4
	v_and_b32_e32 v7, 15, v7
	v_bfe_u32 v8, v4, 27, 4
	v_lshlrev_b32_sdwa v4, v13, v4 dst_sel:DWORD dst_unused:UNUSED_PAD src0_sel:DWORD src1_sel:BYTE_3
	v_sub_u32_e32 v12, 29, v12
	v_and_b32_e32 v4, 7, v4
	v_cmp_eq_u16_e32 vcc, 0, v7
	v_cndmask_b32_e32 v3, v3, v4, vcc
	v_cndmask_b32_e32 v4, v8, v12, vcc
	v_mov_b32_e32 v7, 0x3b800000
	v_lshlrev_b32_e32 v3, 20, v3
	v_lshl_add_u32 v4, v4, 23, v7
	v_or3_b32 v3, v6, v4, v3
.LBB2_9696:
	s_or_b64 exec, exec, s[6:7]
	s_nop 0
	v_mfma_f32_16x16x4f32 a[0:3], v2, v3, a[0:3]
	s_movk_i32 s4, 0x7f
	v_cmp_gt_i16_sdwa s[6:7], v9, s4 src0_sel:BYTE_0 src1_sel:DWORD
	s_mov_b64 s[4:5], 0
                                        ; implicit-def: $sgpr10
	s_and_saveexec_b64 s[8:9], s[6:7]
	s_xor_b64 s[6:7], exec, s[8:9]
	s_cbranch_execz .LBB2_9697
; %bb.45537:
	s_getpc_b64 s[14:15]
.Lpost_getpc26352:
	s_add_u32 s14, s14, (.LBB2_24033-.Lpost_getpc26352)&4294967295
	s_addc_u32 s15, s15, (.LBB2_24033-.Lpost_getpc26352)>>32
	s_setpc_b64 s[14:15]
.LBB2_9697:
	s_or_saveexec_b64 s[6:7], s[6:7]
	v_mov_b32_e32 v2, s10
	s_xor_b64 exec, exec, s[6:7]
	s_cbranch_execz .LBB2_9698
; %bb.45539:
	s_getpc_b64 s[14:15]
.Lpost_getpc26353:
	s_add_u32 s14, s14, (.LBB2_24036-.Lpost_getpc26353)&4294967295
	s_addc_u32 s15, s15, (.LBB2_24036-.Lpost_getpc26353)>>32
	s_setpc_b64 s[14:15]
.LBB2_9698:
	s_or_b64 exec, exec, s[6:7]
	s_and_saveexec_b64 s[6:7], s[4:5]
	s_cbranch_execz .LBB2_9700
.LBB2_9699:
	v_mov_b32_e32 v2, 8
	v_and_b32_e32 v3, 7, v9
	v_lshrrev_b32_sdwa v2, v2, v9 dst_sel:BYTE_1 dst_unused:UNUSED_PAD src0_sel:DWORD src1_sel:DWORD
	v_ffbh_u32_e32 v4, v3
	v_or_b32_sdwa v2, v9, v2 dst_sel:DWORD dst_unused:UNUSED_PAD src0_sel:BYTE_0 src1_sel:DWORD
	v_min_u32_e32 v4, 32, v4
	v_lshrrev_b16_e32 v2, 3, v2
	v_subrev_u32_e32 v6, 28, v4
	v_and_b32_e32 v2, 15, v2
	v_lshlrev_b32_e32 v6, v6, v9
	v_sub_u32_e32 v4, 29, v4
	v_and_b32_e32 v6, 7, v6
	v_cmp_eq_u16_e32 vcc, 0, v2
	v_cndmask_b32_e32 v3, v3, v6, vcc
	v_cndmask_b32_e32 v2, v2, v4, vcc
	v_lshlrev_b32_e32 v4, 24, v9
	v_mov_b32_e32 v6, 0x3b800000
	v_lshlrev_b32_e32 v3, 20, v3
	v_and_b32_e32 v4, 0x80000000, v4
	v_lshl_add_u32 v2, v2, 23, v6
	v_or3_b32 v2, v4, v2, v3
.LBB2_9700:
	s_or_b64 exec, exec, s[6:7]
	s_movk_i32 s4, 0x7f
	v_cmp_gt_i16_sdwa s[6:7], v5, s4 src0_sel:BYTE_0 src1_sel:DWORD
	s_mov_b64 s[4:5], 0
                                        ; implicit-def: $sgpr10
	s_and_saveexec_b64 s[8:9], s[6:7]
	s_xor_b64 s[6:7], exec, s[8:9]
	s_cbranch_execz .LBB2_9701
; %bb.45541:
	s_getpc_b64 s[14:15]
.Lpost_getpc26354:
	s_add_u32 s14, s14, (.LBB2_24037-.Lpost_getpc26354)&4294967295
	s_addc_u32 s15, s15, (.LBB2_24037-.Lpost_getpc26354)>>32
	s_setpc_b64 s[14:15]
.LBB2_9701:
	s_or_saveexec_b64 s[6:7], s[6:7]
	v_mov_b32_e32 v3, s10
	s_xor_b64 exec, exec, s[6:7]
	s_cbranch_execz .LBB2_9702
; %bb.45543:
	s_getpc_b64 s[14:15]
.Lpost_getpc26355:
	s_add_u32 s14, s14, (.LBB2_24040-.Lpost_getpc26355)&4294967295
	s_addc_u32 s15, s15, (.LBB2_24040-.Lpost_getpc26355)>>32
	s_setpc_b64 s[14:15]
.LBB2_9702:
	s_or_b64 exec, exec, s[6:7]
	s_and_saveexec_b64 s[6:7], s[4:5]
	s_cbranch_execz .LBB2_9704
.LBB2_9703:
	v_mov_b32_e32 v3, 8
	v_and_b32_e32 v4, 7, v5
	v_lshrrev_b32_sdwa v3, v3, v5 dst_sel:BYTE_1 dst_unused:UNUSED_PAD src0_sel:DWORD src1_sel:DWORD
	v_ffbh_u32_e32 v6, v4
	v_or_b32_sdwa v3, v5, v3 dst_sel:DWORD dst_unused:UNUSED_PAD src0_sel:BYTE_0 src1_sel:DWORD
	v_min_u32_e32 v6, 32, v6
	v_lshrrev_b16_e32 v3, 3, v3
	v_subrev_u32_e32 v7, 28, v6
	v_and_b32_e32 v3, 15, v3
	v_lshlrev_b32_e32 v7, v7, v5
	v_sub_u32_e32 v6, 29, v6
	v_and_b32_e32 v7, 7, v7
	v_cmp_eq_u16_e32 vcc, 0, v3
	v_cndmask_b32_e32 v4, v4, v7, vcc
	v_cndmask_b32_e32 v3, v3, v6, vcc
	v_lshlrev_b32_e32 v6, 24, v5
	v_mov_b32_e32 v7, 0x3b800000
	v_lshlrev_b32_e32 v4, 20, v4
	v_and_b32_e32 v6, 0x80000000, v6
	v_lshl_add_u32 v3, v3, 23, v7
	v_or3_b32 v3, v6, v3, v4
.LBB2_9704:
	s_or_b64 exec, exec, s[6:7]
	s_nop 0
	v_mfma_f32_16x16x4f32 a[0:3], v2, v3, a[0:3]
	v_lshrrev_b32_e32 v3, 8, v9
	s_movk_i32 s4, 0x7f
	v_cmp_gt_i16_sdwa s[6:7], v3, s4 src0_sel:BYTE_0 src1_sel:DWORD
	s_mov_b64 s[4:5], 0
                                        ; implicit-def: $sgpr10
	s_and_saveexec_b64 s[8:9], s[6:7]
	s_xor_b64 s[6:7], exec, s[8:9]
	s_cbranch_execz .LBB2_9705
; %bb.45545:
	s_getpc_b64 s[14:15]
.Lpost_getpc26356:
	s_add_u32 s14, s14, (.LBB2_24041-.Lpost_getpc26356)&4294967295
	s_addc_u32 s15, s15, (.LBB2_24041-.Lpost_getpc26356)>>32
	s_setpc_b64 s[14:15]
.LBB2_9705:
	s_or_saveexec_b64 s[6:7], s[6:7]
	v_mov_b32_e32 v2, s10
	s_xor_b64 exec, exec, s[6:7]
	s_cbranch_execz .LBB2_9706
; %bb.45547:
	s_getpc_b64 s[14:15]
.Lpost_getpc26357:
	s_add_u32 s14, s14, (.LBB2_24044-.Lpost_getpc26357)&4294967295
	s_addc_u32 s15, s15, (.LBB2_24044-.Lpost_getpc26357)>>32
	s_setpc_b64 s[14:15]
.LBB2_9706:
	s_or_b64 exec, exec, s[6:7]
	s_and_saveexec_b64 s[6:7], s[4:5]
	s_cbranch_execz .LBB2_9708
.LBB2_9707:
	v_bfe_u32 v2, v9, 8, 3
	v_ffbh_u32_e32 v6, v2
	v_min_u32_e32 v6, 32, v6
	v_lshrrev_b16_e32 v4, 3, v3
	v_subrev_u32_e32 v7, 28, v6
	v_and_b32_e32 v4, 15, v4
	v_lshlrev_b32_e32 v3, v7, v3
	v_sub_u32_e32 v6, 29, v6
	v_and_b32_e32 v3, 7, v3
	v_cmp_eq_u16_e32 vcc, 0, v4
	v_cndmask_b32_e32 v2, v2, v3, vcc
	v_cndmask_b32_e32 v3, v4, v6, vcc
	v_lshlrev_b32_e32 v4, 16, v9
	v_mov_b32_e32 v6, 0x3b800000
	v_lshlrev_b32_e32 v2, 20, v2
	v_and_b32_e32 v4, 0x80000000, v4
	v_lshl_add_u32 v3, v3, 23, v6
	v_or3_b32 v2, v4, v3, v2
.LBB2_9708:
	s_or_b64 exec, exec, s[6:7]
	v_lshrrev_b32_e32 v3, 8, v5
	s_movk_i32 s4, 0x7f
	v_cmp_gt_i16_sdwa s[6:7], v3, s4 src0_sel:BYTE_0 src1_sel:DWORD
	s_mov_b64 s[4:5], 0
                                        ; implicit-def: $sgpr10
	s_and_saveexec_b64 s[8:9], s[6:7]
	s_xor_b64 s[6:7], exec, s[8:9]
	s_cbranch_execz .LBB2_9709
; %bb.45549:
	s_getpc_b64 s[14:15]
.Lpost_getpc26358:
	s_add_u32 s14, s14, (.LBB2_24045-.Lpost_getpc26358)&4294967295
	s_addc_u32 s15, s15, (.LBB2_24045-.Lpost_getpc26358)>>32
	s_setpc_b64 s[14:15]
.LBB2_9709:
	s_or_saveexec_b64 s[6:7], s[6:7]
	v_mov_b32_e32 v4, s10
	s_xor_b64 exec, exec, s[6:7]
	s_cbranch_execz .LBB2_9710
; %bb.45551:
	s_getpc_b64 s[14:15]
.Lpost_getpc26359:
	s_add_u32 s14, s14, (.LBB2_24048-.Lpost_getpc26359)&4294967295
	s_addc_u32 s15, s15, (.LBB2_24048-.Lpost_getpc26359)>>32
	s_setpc_b64 s[14:15]
.LBB2_9710:
	s_or_b64 exec, exec, s[6:7]
	s_and_saveexec_b64 s[6:7], s[4:5]
	s_cbranch_execz .LBB2_9712
.LBB2_9711:
	v_bfe_u32 v4, v5, 8, 3
	v_ffbh_u32_e32 v7, v4
	v_min_u32_e32 v7, 32, v7
	v_lshrrev_b16_e32 v6, 3, v3
	v_subrev_u32_e32 v8, 28, v7
	v_and_b32_e32 v6, 15, v6
	v_lshlrev_b32_e32 v3, v8, v3
	v_sub_u32_e32 v7, 29, v7
	v_and_b32_e32 v3, 7, v3
	v_cmp_eq_u16_e32 vcc, 0, v6
	v_cndmask_b32_e32 v3, v4, v3, vcc
	v_cndmask_b32_e32 v4, v6, v7, vcc
	v_lshlrev_b32_e32 v6, 16, v5
	v_mov_b32_e32 v7, 0x3b800000
	v_lshlrev_b32_e32 v3, 20, v3
	v_and_b32_e32 v6, 0x80000000, v6
	v_lshl_add_u32 v4, v4, 23, v7
	v_or3_b32 v4, v6, v4, v3
.LBB2_9712:
	s_or_b64 exec, exec, s[6:7]
	s_nop 0
	v_mfma_f32_16x16x4f32 a[0:3], v2, v4, a[0:3]
	s_movk_i32 s4, 0xff
	v_and_b32_sdwa v3, v9, s4 dst_sel:DWORD dst_unused:UNUSED_PAD src0_sel:WORD_1 src1_sel:DWORD
	s_movk_i32 s4, 0x7f
	v_cmp_lt_i16_e32 vcc, s4, v3
	s_mov_b64 s[4:5], 0
                                        ; implicit-def: $sgpr10
	s_and_saveexec_b64 s[6:7], vcc
	s_xor_b64 s[6:7], exec, s[6:7]
	s_cbranch_execz .LBB2_9713
; %bb.45553:
	s_getpc_b64 s[14:15]
.Lpost_getpc26360:
	s_add_u32 s14, s14, (.LBB2_24049-.Lpost_getpc26360)&4294967295
	s_addc_u32 s15, s15, (.LBB2_24049-.Lpost_getpc26360)>>32
	s_setpc_b64 s[14:15]
.LBB2_9713:
	s_or_saveexec_b64 s[6:7], s[6:7]
	v_mov_b32_e32 v2, s10
	s_xor_b64 exec, exec, s[6:7]
	s_cbranch_execz .LBB2_9714
; %bb.45555:
	s_getpc_b64 s[14:15]
.Lpost_getpc26361:
	s_add_u32 s14, s14, (.LBB2_24052-.Lpost_getpc26361)&4294967295
	s_addc_u32 s15, s15, (.LBB2_24052-.Lpost_getpc26361)>>32
	s_setpc_b64 s[14:15]
.LBB2_9714:
	s_or_b64 exec, exec, s[6:7]
	s_and_saveexec_b64 s[6:7], s[4:5]
	s_cbranch_execz .LBB2_9716
.LBB2_9715:
	v_bfe_u32 v2, v9, 16, 3
	v_ffbh_u32_e32 v6, v2
	v_min_u32_e32 v6, 32, v6
	v_lshrrev_b32_e32 v3, 19, v9
	v_subrev_u32_e32 v7, 28, v6
	v_and_b32_e32 v3, 15, v3
	v_lshlrev_b32_sdwa v7, v7, v9 dst_sel:DWORD dst_unused:UNUSED_PAD src0_sel:DWORD src1_sel:WORD_1
	v_bfe_u32 v4, v9, 19, 4
	v_sub_u32_e32 v6, 29, v6
	v_and_b32_e32 v7, 7, v7
	v_cmp_eq_u16_e32 vcc, 0, v3
	v_cndmask_b32_e32 v2, v2, v7, vcc
	v_cndmask_b32_e32 v3, v4, v6, vcc
	v_lshlrev_b32_e32 v4, 8, v9
	v_mov_b32_e32 v6, 0x3b800000
	v_lshlrev_b32_e32 v2, 20, v2
	v_and_b32_e32 v4, 0x80000000, v4
	v_lshl_add_u32 v3, v3, 23, v6
	v_or3_b32 v2, v4, v3, v2
.LBB2_9716:
	s_or_b64 exec, exec, s[6:7]
	s_movk_i32 s4, 0xff
	v_and_b32_sdwa v3, v5, s4 dst_sel:DWORD dst_unused:UNUSED_PAD src0_sel:WORD_1 src1_sel:DWORD
	s_movk_i32 s4, 0x7f
	v_cmp_lt_i16_e32 vcc, s4, v3
	s_mov_b64 s[4:5], 0
                                        ; implicit-def: $sgpr10
	s_and_saveexec_b64 s[6:7], vcc
	s_xor_b64 s[6:7], exec, s[6:7]
	s_cbranch_execz .LBB2_9717
; %bb.45557:
	s_getpc_b64 s[14:15]
.Lpost_getpc26362:
	s_add_u32 s14, s14, (.LBB2_24053-.Lpost_getpc26362)&4294967295
	s_addc_u32 s15, s15, (.LBB2_24053-.Lpost_getpc26362)>>32
	s_setpc_b64 s[14:15]
.LBB2_9717:
	s_or_saveexec_b64 s[6:7], s[6:7]
	v_mov_b32_e32 v4, s10
	s_xor_b64 exec, exec, s[6:7]
	s_cbranch_execz .LBB2_9718
; %bb.45559:
	s_getpc_b64 s[14:15]
.Lpost_getpc26363:
	s_add_u32 s14, s14, (.LBB2_24056-.Lpost_getpc26363)&4294967295
	s_addc_u32 s15, s15, (.LBB2_24056-.Lpost_getpc26363)>>32
	s_setpc_b64 s[14:15]
.LBB2_9718:
	s_or_b64 exec, exec, s[6:7]
	s_and_saveexec_b64 s[6:7], s[4:5]
	s_cbranch_execz .LBB2_9720
.LBB2_9719:
	v_bfe_u32 v3, v5, 16, 3
	v_ffbh_u32_e32 v7, v3
	v_min_u32_e32 v7, 32, v7
	v_lshrrev_b32_e32 v4, 19, v5
	v_subrev_u32_e32 v8, 28, v7
	v_and_b32_e32 v4, 15, v4
	v_lshlrev_b32_sdwa v8, v8, v5 dst_sel:DWORD dst_unused:UNUSED_PAD src0_sel:DWORD src1_sel:WORD_1
	v_bfe_u32 v6, v5, 19, 4
	v_sub_u32_e32 v7, 29, v7
	v_and_b32_e32 v8, 7, v8
	v_cmp_eq_u16_e32 vcc, 0, v4
	v_cndmask_b32_e32 v3, v3, v8, vcc
	v_cndmask_b32_e32 v4, v6, v7, vcc
	v_lshlrev_b32_e32 v6, 8, v5
	v_mov_b32_e32 v7, 0x3b800000
	v_lshlrev_b32_e32 v3, 20, v3
	v_and_b32_e32 v6, 0x80000000, v6
	v_lshl_add_u32 v4, v4, 23, v7
	v_or3_b32 v4, v6, v4, v3
.LBB2_9720:
	s_or_b64 exec, exec, s[6:7]
	s_nop 0
	v_mfma_f32_16x16x4f32 a[0:3], v2, v4, a[0:3]
	s_movk_i32 s4, 0x7f
	v_cmp_gt_i16_sdwa s[6:7], v9, s4 src0_sel:BYTE_3 src1_sel:DWORD
	s_mov_b64 s[4:5], 0
                                        ; implicit-def: $sgpr10
	s_and_saveexec_b64 s[8:9], s[6:7]
	s_xor_b64 s[6:7], exec, s[8:9]
	s_cbranch_execz .LBB2_9721
; %bb.45561:
	s_getpc_b64 s[14:15]
.Lpost_getpc26364:
	s_add_u32 s14, s14, (.LBB2_24057-.Lpost_getpc26364)&4294967295
	s_addc_u32 s15, s15, (.LBB2_24057-.Lpost_getpc26364)>>32
	s_setpc_b64 s[14:15]
.LBB2_9721:
	s_or_saveexec_b64 s[6:7], s[6:7]
	v_mov_b32_e32 v2, s10
	s_xor_b64 exec, exec, s[6:7]
	s_cbranch_execz .LBB2_9722
; %bb.45563:
	s_getpc_b64 s[14:15]
.Lpost_getpc26365:
	s_add_u32 s14, s14, (.LBB2_24060-.Lpost_getpc26365)&4294967295
	s_addc_u32 s15, s15, (.LBB2_24060-.Lpost_getpc26365)>>32
	s_setpc_b64 s[14:15]
.LBB2_9722:
	s_or_b64 exec, exec, s[6:7]
	s_and_saveexec_b64 s[6:7], s[4:5]
	s_cbranch_execz .LBB2_9724
.LBB2_9723:
	v_bfe_u32 v2, v9, 24, 3
	v_ffbh_u32_e32 v7, v2
	v_min_u32_e32 v7, 32, v7
	v_lshrrev_b32_e32 v4, 27, v9
	v_subrev_u32_e32 v8, 28, v7
	v_and_b32_e32 v4, 15, v4
	v_lshlrev_b32_sdwa v8, v8, v9 dst_sel:DWORD dst_unused:UNUSED_PAD src0_sel:DWORD src1_sel:BYTE_3
	v_bfe_u32 v6, v9, 27, 4
	v_sub_u32_e32 v7, 29, v7
	v_and_b32_e32 v8, 7, v8
	v_cmp_eq_u16_e32 vcc, 0, v4
	v_cndmask_b32_e32 v2, v2, v8, vcc
	v_cndmask_b32_e32 v4, v6, v7, vcc
	v_mov_b32_e32 v6, 0x3b800000
	v_and_b32_e32 v3, 0x80000000, v9
	v_lshlrev_b32_e32 v2, 20, v2
	v_lshl_add_u32 v4, v4, 23, v6
	v_or3_b32 v2, v3, v4, v2
.LBB2_9724:
	s_or_b64 exec, exec, s[6:7]
	s_movk_i32 s4, 0x7f
	v_cmp_gt_i16_sdwa s[6:7], v5, s4 src0_sel:BYTE_3 src1_sel:DWORD
	s_mov_b64 s[4:5], 0
                                        ; implicit-def: $sgpr10
	s_and_saveexec_b64 s[8:9], s[6:7]
	s_xor_b64 s[6:7], exec, s[8:9]
	s_cbranch_execz .LBB2_9725
; %bb.45565:
	s_getpc_b64 s[14:15]
.Lpost_getpc26366:
	s_add_u32 s14, s14, (.LBB2_24061-.Lpost_getpc26366)&4294967295
	s_addc_u32 s15, s15, (.LBB2_24061-.Lpost_getpc26366)>>32
	s_setpc_b64 s[14:15]
.LBB2_9725:
	s_or_saveexec_b64 s[6:7], s[6:7]
	v_mov_b32_e32 v3, s10
	s_xor_b64 exec, exec, s[6:7]
	s_cbranch_execz .LBB2_9726
; %bb.45567:
	s_getpc_b64 s[14:15]
.Lpost_getpc26367:
	s_add_u32 s14, s14, (.LBB2_24064-.Lpost_getpc26367)&4294967295
	s_addc_u32 s15, s15, (.LBB2_24064-.Lpost_getpc26367)>>32
	s_setpc_b64 s[14:15]
.LBB2_9726:
	s_or_b64 exec, exec, s[6:7]
	s_and_saveexec_b64 s[6:7], s[4:5]
	s_cbranch_execz .LBB2_9728
.LBB2_9727:
	v_bfe_u32 v3, v5, 24, 3
	v_ffbh_u32_e32 v8, v3
	v_min_u32_e32 v8, 32, v8
	v_lshrrev_b32_e32 v6, 27, v5
	v_subrev_u32_e32 v9, 28, v8
	v_and_b32_e32 v4, 0x80000000, v5
	v_and_b32_e32 v6, 15, v6
	v_bfe_u32 v7, v5, 27, 4
	v_lshlrev_b32_sdwa v5, v9, v5 dst_sel:DWORD dst_unused:UNUSED_PAD src0_sel:DWORD src1_sel:BYTE_3
	v_sub_u32_e32 v8, 29, v8
	v_and_b32_e32 v5, 7, v5
	v_cmp_eq_u16_e32 vcc, 0, v6
	v_cndmask_b32_e32 v3, v3, v5, vcc
	v_cndmask_b32_e32 v5, v7, v8, vcc
	v_mov_b32_e32 v6, 0x3b800000
	v_lshlrev_b32_e32 v3, 20, v3
	v_lshl_add_u32 v5, v5, 23, v6
	v_or3_b32 v3, v4, v5, v3
.LBB2_9728:
	s_or_b64 exec, exec, s[6:7]
	s_nop 0
	v_mfma_f32_16x16x4f32 a[0:3], v2, v3, a[0:3]
	s_movk_i32 s4, 0x7f
                                        ; implicit-def: $sgpr10
	s_nop 7
	s_nop 1
	flat_store_dwordx4 v[10:11], a[0:3] offset:304
	flat_load_dwordx4 v[12:15], v[0:1]
	s_nop 0
	flat_load_dwordx2 v[10:11], v[0:1] offset:16
	s_waitcnt vmcnt(0) lgkmcnt(0)
	flat_load_dwordx4 v[6:9], v[12:13] offset:144
	flat_load_dwordx4 v[2:5], v[14:15] offset:192
	s_waitcnt vmcnt(0) lgkmcnt(0)
	v_cmp_gt_i16_sdwa s[6:7], v6, s4 src0_sel:BYTE_0 src1_sel:DWORD
	s_mov_b64 s[4:5], 0
	s_and_saveexec_b64 s[8:9], s[6:7]
	s_xor_b64 s[6:7], exec, s[8:9]
	s_cbranch_execz .LBB2_9729
; %bb.45569:
	s_getpc_b64 s[14:15]
.Lpost_getpc26368:
	s_add_u32 s14, s14, (.LBB2_24065-.Lpost_getpc26368)&4294967295
	s_addc_u32 s15, s15, (.LBB2_24065-.Lpost_getpc26368)>>32
	s_setpc_b64 s[14:15]
.LBB2_9729:
	s_or_saveexec_b64 s[6:7], s[6:7]
	v_mov_b32_e32 v12, s10
	s_xor_b64 exec, exec, s[6:7]
	s_cbranch_execz .LBB2_9730
; %bb.45571:
	s_getpc_b64 s[14:15]
.Lpost_getpc26369:
	s_add_u32 s14, s14, (.LBB2_24068-.Lpost_getpc26369)&4294967295
	s_addc_u32 s15, s15, (.LBB2_24068-.Lpost_getpc26369)>>32
	s_setpc_b64 s[14:15]
.LBB2_9730:
	s_or_b64 exec, exec, s[6:7]
	s_and_saveexec_b64 s[6:7], s[4:5]
	s_cbranch_execz .LBB2_9732
.LBB2_9731:
	v_and_b32_e32 v12, 7, v6
	v_ffbh_u32_e32 v14, v12
	v_min_u32_e32 v14, 32, v14
	v_lshrrev_b16_e32 v13, 3, v6
	v_subrev_u32_e32 v15, 28, v14
	v_and_b32_e32 v13, 15, v13
	v_lshlrev_b32_e32 v15, v15, v6
	v_sub_u32_e32 v14, 29, v14
	v_and_b32_e32 v15, 7, v15
	v_cmp_eq_u16_e32 vcc, 0, v13
	v_cndmask_b32_e32 v12, v12, v15, vcc
	v_cndmask_b32_e32 v13, v13, v14, vcc
	v_lshlrev_b32_e32 v14, 24, v6
	v_mov_b32_e32 v15, 0x3b800000
	v_lshlrev_b32_e32 v12, 20, v12
	v_and_b32_e32 v14, 0x80000000, v14
	v_lshl_add_u32 v13, v13, 23, v15
	v_or3_b32 v12, v14, v13, v12
.LBB2_9732:
	s_or_b64 exec, exec, s[6:7]
	s_movk_i32 s4, 0x7f
	v_cmp_gt_i16_sdwa s[6:7], v2, s4 src0_sel:BYTE_0 src1_sel:DWORD
	s_mov_b64 s[4:5], 0
                                        ; implicit-def: $sgpr10
	s_and_saveexec_b64 s[8:9], s[6:7]
	s_xor_b64 s[6:7], exec, s[8:9]
	s_cbranch_execz .LBB2_9733
; %bb.45573:
	s_getpc_b64 s[14:15]
.Lpost_getpc26370:
	s_add_u32 s14, s14, (.LBB2_24069-.Lpost_getpc26370)&4294967295
	s_addc_u32 s15, s15, (.LBB2_24069-.Lpost_getpc26370)>>32
	s_setpc_b64 s[14:15]
.LBB2_9733:
	s_or_saveexec_b64 s[6:7], s[6:7]
	v_mov_b32_e32 v13, s10
	s_xor_b64 exec, exec, s[6:7]
	s_cbranch_execz .LBB2_9734
; %bb.45575:
	s_getpc_b64 s[14:15]
.Lpost_getpc26371:
	s_add_u32 s14, s14, (.LBB2_24072-.Lpost_getpc26371)&4294967295
	s_addc_u32 s15, s15, (.LBB2_24072-.Lpost_getpc26371)>>32
	s_setpc_b64 s[14:15]
.LBB2_9734:
	s_or_b64 exec, exec, s[6:7]
	s_and_saveexec_b64 s[6:7], s[4:5]
	s_cbranch_execz .LBB2_9736
.LBB2_9735:
	v_and_b32_e32 v13, 7, v2
	v_ffbh_u32_e32 v15, v13
	v_min_u32_e32 v15, 32, v15
	v_lshrrev_b16_e32 v14, 3, v2
	v_subrev_u32_e32 v16, 28, v15
	v_and_b32_e32 v14, 15, v14
	v_lshlrev_b32_e32 v16, v16, v2
	v_sub_u32_e32 v15, 29, v15
	v_and_b32_e32 v16, 7, v16
	v_cmp_eq_u16_e32 vcc, 0, v14
	v_cndmask_b32_e32 v13, v13, v16, vcc
	v_cndmask_b32_e32 v14, v14, v15, vcc
	v_lshlrev_b32_e32 v15, 24, v2
	v_mov_b32_e32 v16, 0x3b800000
	v_lshlrev_b32_e32 v13, 20, v13
	v_and_b32_e32 v15, 0x80000000, v15
	v_lshl_add_u32 v14, v14, 23, v16
	v_or3_b32 v13, v15, v14, v13
.LBB2_9736:
	s_or_b64 exec, exec, s[6:7]
	flat_load_dwordx4 a[0:3], v[10:11] offset:320
	s_movk_i32 s4, 0x7f
                                        ; implicit-def: $sgpr10
	s_waitcnt vmcnt(0) lgkmcnt(0)
	v_mfma_f32_16x16x4f32 a[0:3], v12, v13, a[0:3]
	v_lshrrev_b32_e32 v13, 8, v6
	v_cmp_gt_i16_sdwa s[6:7], v13, s4 src0_sel:BYTE_0 src1_sel:DWORD
	s_mov_b64 s[4:5], 0
	s_and_saveexec_b64 s[8:9], s[6:7]
	s_xor_b64 s[6:7], exec, s[8:9]
	s_cbranch_execz .LBB2_9737
; %bb.45577:
	s_getpc_b64 s[14:15]
.Lpost_getpc26372:
	s_add_u32 s14, s14, (.LBB2_24073-.Lpost_getpc26372)&4294967295
	s_addc_u32 s15, s15, (.LBB2_24073-.Lpost_getpc26372)>>32
	s_setpc_b64 s[14:15]
.LBB2_9737:
	s_or_saveexec_b64 s[6:7], s[6:7]
	v_mov_b32_e32 v12, s10
	s_xor_b64 exec, exec, s[6:7]
	s_cbranch_execz .LBB2_9738
; %bb.45579:
	s_getpc_b64 s[14:15]
.Lpost_getpc26373:
	s_add_u32 s14, s14, (.LBB2_24076-.Lpost_getpc26373)&4294967295
	s_addc_u32 s15, s15, (.LBB2_24076-.Lpost_getpc26373)>>32
	s_setpc_b64 s[14:15]
.LBB2_9738:
	s_or_b64 exec, exec, s[6:7]
	s_and_saveexec_b64 s[6:7], s[4:5]
	s_cbranch_execz .LBB2_9740
.LBB2_9739:
	v_bfe_u32 v12, v6, 8, 3
	v_ffbh_u32_e32 v15, v12
	v_min_u32_e32 v15, 32, v15
	v_lshrrev_b16_e32 v14, 3, v13
	v_subrev_u32_e32 v16, 28, v15
	v_and_b32_e32 v14, 15, v14
	v_lshlrev_b32_e32 v13, v16, v13
	v_sub_u32_e32 v15, 29, v15
	v_and_b32_e32 v13, 7, v13
	v_cmp_eq_u16_e32 vcc, 0, v14
	v_cndmask_b32_e32 v12, v12, v13, vcc
	v_cndmask_b32_e32 v13, v14, v15, vcc
	v_lshlrev_b32_e32 v14, 16, v6
	v_mov_b32_e32 v15, 0x3b800000
	v_lshlrev_b32_e32 v12, 20, v12
	v_and_b32_e32 v14, 0x80000000, v14
	v_lshl_add_u32 v13, v13, 23, v15
	v_or3_b32 v12, v14, v13, v12
.LBB2_9740:
	s_or_b64 exec, exec, s[6:7]
	v_lshrrev_b32_e32 v13, 8, v2
	s_movk_i32 s4, 0x7f
	v_cmp_gt_i16_sdwa s[6:7], v13, s4 src0_sel:BYTE_0 src1_sel:DWORD
	s_mov_b64 s[4:5], 0
                                        ; implicit-def: $sgpr10
	s_and_saveexec_b64 s[8:9], s[6:7]
	s_xor_b64 s[6:7], exec, s[8:9]
	s_cbranch_execz .LBB2_9741
; %bb.45581:
	s_getpc_b64 s[14:15]
.Lpost_getpc26374:
	s_add_u32 s14, s14, (.LBB2_24077-.Lpost_getpc26374)&4294967295
	s_addc_u32 s15, s15, (.LBB2_24077-.Lpost_getpc26374)>>32
	s_setpc_b64 s[14:15]
.LBB2_9741:
	s_or_saveexec_b64 s[6:7], s[6:7]
	v_mov_b32_e32 v14, s10
	s_xor_b64 exec, exec, s[6:7]
	s_cbranch_execz .LBB2_9742
; %bb.45583:
	s_getpc_b64 s[14:15]
.Lpost_getpc26375:
	s_add_u32 s14, s14, (.LBB2_24080-.Lpost_getpc26375)&4294967295
	s_addc_u32 s15, s15, (.LBB2_24080-.Lpost_getpc26375)>>32
	s_setpc_b64 s[14:15]
.LBB2_9742:
	s_or_b64 exec, exec, s[6:7]
	s_and_saveexec_b64 s[6:7], s[4:5]
	s_cbranch_execz .LBB2_9744
.LBB2_9743:
	v_bfe_u32 v14, v2, 8, 3
	v_ffbh_u32_e32 v16, v14
	v_min_u32_e32 v16, 32, v16
	v_lshrrev_b16_e32 v15, 3, v13
	v_subrev_u32_e32 v17, 28, v16
	v_and_b32_e32 v15, 15, v15
	v_lshlrev_b32_e32 v13, v17, v13
	v_sub_u32_e32 v16, 29, v16
	v_and_b32_e32 v13, 7, v13
	v_cmp_eq_u16_e32 vcc, 0, v15
	v_cndmask_b32_e32 v13, v14, v13, vcc
	v_cndmask_b32_e32 v14, v15, v16, vcc
	v_lshlrev_b32_e32 v15, 16, v2
	v_mov_b32_e32 v16, 0x3b800000
	v_lshlrev_b32_e32 v13, 20, v13
	v_and_b32_e32 v15, 0x80000000, v15
	v_lshl_add_u32 v14, v14, 23, v16
	v_or3_b32 v14, v15, v14, v13
.LBB2_9744:
	s_or_b64 exec, exec, s[6:7]
	s_nop 0
	v_mfma_f32_16x16x4f32 a[0:3], v12, v14, a[0:3]
	s_movk_i32 s4, 0xff
	v_and_b32_sdwa v13, v6, s4 dst_sel:DWORD dst_unused:UNUSED_PAD src0_sel:WORD_1 src1_sel:DWORD
	s_movk_i32 s4, 0x7f
	v_cmp_lt_i16_e32 vcc, s4, v13
	s_mov_b64 s[4:5], 0
                                        ; implicit-def: $sgpr10
	s_and_saveexec_b64 s[6:7], vcc
	s_xor_b64 s[6:7], exec, s[6:7]
	s_cbranch_execz .LBB2_9745
; %bb.45585:
	s_getpc_b64 s[14:15]
.Lpost_getpc26376:
	s_add_u32 s14, s14, (.LBB2_24081-.Lpost_getpc26376)&4294967295
	s_addc_u32 s15, s15, (.LBB2_24081-.Lpost_getpc26376)>>32
	s_setpc_b64 s[14:15]
.LBB2_9745:
	s_or_saveexec_b64 s[6:7], s[6:7]
	v_mov_b32_e32 v12, s10
	s_xor_b64 exec, exec, s[6:7]
	s_cbranch_execz .LBB2_9746
; %bb.45587:
	s_getpc_b64 s[14:15]
.Lpost_getpc26377:
	s_add_u32 s14, s14, (.LBB2_24084-.Lpost_getpc26377)&4294967295
	s_addc_u32 s15, s15, (.LBB2_24084-.Lpost_getpc26377)>>32
	s_setpc_b64 s[14:15]
.LBB2_9746:
	s_or_b64 exec, exec, s[6:7]
	s_and_saveexec_b64 s[6:7], s[4:5]
	s_cbranch_execz .LBB2_9748
.LBB2_9747:
	v_bfe_u32 v12, v6, 16, 3
	v_ffbh_u32_e32 v15, v12
	v_min_u32_e32 v15, 32, v15
	v_lshrrev_b32_e32 v13, 19, v6
	v_subrev_u32_e32 v16, 28, v15
	v_and_b32_e32 v13, 15, v13
	v_lshlrev_b32_sdwa v16, v16, v6 dst_sel:DWORD dst_unused:UNUSED_PAD src0_sel:DWORD src1_sel:WORD_1
	v_bfe_u32 v14, v6, 19, 4
	v_sub_u32_e32 v15, 29, v15
	v_and_b32_e32 v16, 7, v16
	v_cmp_eq_u16_e32 vcc, 0, v13
	v_cndmask_b32_e32 v12, v12, v16, vcc
	v_cndmask_b32_e32 v13, v14, v15, vcc
	v_lshlrev_b32_e32 v14, 8, v6
	v_mov_b32_e32 v15, 0x3b800000
	v_lshlrev_b32_e32 v12, 20, v12
	v_and_b32_e32 v14, 0x80000000, v14
	v_lshl_add_u32 v13, v13, 23, v15
	v_or3_b32 v12, v14, v13, v12
.LBB2_9748:
	s_or_b64 exec, exec, s[6:7]
	s_movk_i32 s4, 0xff
	v_and_b32_sdwa v13, v2, s4 dst_sel:DWORD dst_unused:UNUSED_PAD src0_sel:WORD_1 src1_sel:DWORD
	s_movk_i32 s4, 0x7f
	v_cmp_lt_i16_e32 vcc, s4, v13
	s_mov_b64 s[4:5], 0
                                        ; implicit-def: $sgpr10
	s_and_saveexec_b64 s[6:7], vcc
	s_xor_b64 s[6:7], exec, s[6:7]
	s_cbranch_execz .LBB2_9749
; %bb.45589:
	s_getpc_b64 s[14:15]
.Lpost_getpc26378:
	s_add_u32 s14, s14, (.LBB2_24085-.Lpost_getpc26378)&4294967295
	s_addc_u32 s15, s15, (.LBB2_24085-.Lpost_getpc26378)>>32
	s_setpc_b64 s[14:15]
.LBB2_9749:
	s_or_saveexec_b64 s[6:7], s[6:7]
	v_mov_b32_e32 v14, s10
	s_xor_b64 exec, exec, s[6:7]
	s_cbranch_execz .LBB2_9750
; %bb.45591:
	s_getpc_b64 s[14:15]
.Lpost_getpc26379:
	s_add_u32 s14, s14, (.LBB2_24088-.Lpost_getpc26379)&4294967295
	s_addc_u32 s15, s15, (.LBB2_24088-.Lpost_getpc26379)>>32
	s_setpc_b64 s[14:15]
.LBB2_9750:
	s_or_b64 exec, exec, s[6:7]
	s_and_saveexec_b64 s[6:7], s[4:5]
	s_cbranch_execz .LBB2_9752
.LBB2_9751:
	v_bfe_u32 v13, v2, 16, 3
	v_ffbh_u32_e32 v16, v13
	v_min_u32_e32 v16, 32, v16
	v_lshrrev_b32_e32 v14, 19, v2
	v_subrev_u32_e32 v17, 28, v16
	v_and_b32_e32 v14, 15, v14
	v_lshlrev_b32_sdwa v17, v17, v2 dst_sel:DWORD dst_unused:UNUSED_PAD src0_sel:DWORD src1_sel:WORD_1
	v_bfe_u32 v15, v2, 19, 4
	v_sub_u32_e32 v16, 29, v16
	v_and_b32_e32 v17, 7, v17
	v_cmp_eq_u16_e32 vcc, 0, v14
	v_cndmask_b32_e32 v13, v13, v17, vcc
	v_cndmask_b32_e32 v14, v15, v16, vcc
	v_lshlrev_b32_e32 v15, 8, v2
	v_mov_b32_e32 v16, 0x3b800000
	v_lshlrev_b32_e32 v13, 20, v13
	v_and_b32_e32 v15, 0x80000000, v15
	v_lshl_add_u32 v14, v14, 23, v16
	v_or3_b32 v14, v15, v14, v13
.LBB2_9752:
	s_or_b64 exec, exec, s[6:7]
	s_nop 0
	v_mfma_f32_16x16x4f32 a[0:3], v12, v14, a[0:3]
	s_movk_i32 s4, 0x7f
	v_cmp_gt_i16_sdwa s[6:7], v6, s4 src0_sel:BYTE_3 src1_sel:DWORD
	s_mov_b64 s[4:5], 0
                                        ; implicit-def: $sgpr10
	s_and_saveexec_b64 s[8:9], s[6:7]
	s_xor_b64 s[6:7], exec, s[8:9]
	s_cbranch_execz .LBB2_9753
; %bb.45593:
	s_getpc_b64 s[14:15]
.Lpost_getpc26380:
	s_add_u32 s14, s14, (.LBB2_24089-.Lpost_getpc26380)&4294967295
	s_addc_u32 s15, s15, (.LBB2_24089-.Lpost_getpc26380)>>32
	s_setpc_b64 s[14:15]
.LBB2_9753:
	s_or_saveexec_b64 s[6:7], s[6:7]
	v_mov_b32_e32 v12, s10
	s_xor_b64 exec, exec, s[6:7]
	s_cbranch_execz .LBB2_9754
; %bb.45595:
	s_getpc_b64 s[14:15]
.Lpost_getpc26381:
	s_add_u32 s14, s14, (.LBB2_24092-.Lpost_getpc26381)&4294967295
	s_addc_u32 s15, s15, (.LBB2_24092-.Lpost_getpc26381)>>32
	s_setpc_b64 s[14:15]
.LBB2_9754:
	s_or_b64 exec, exec, s[6:7]
	s_and_saveexec_b64 s[6:7], s[4:5]
	s_cbranch_execz .LBB2_9756
.LBB2_9755:
	v_bfe_u32 v12, v6, 24, 3
	v_ffbh_u32_e32 v16, v12
	v_min_u32_e32 v16, 32, v16
	v_lshrrev_b32_e32 v14, 27, v6
	v_subrev_u32_e32 v17, 28, v16
	v_and_b32_e32 v13, 0x80000000, v6
	v_and_b32_e32 v14, 15, v14
	v_bfe_u32 v15, v6, 27, 4
	v_lshlrev_b32_sdwa v6, v17, v6 dst_sel:DWORD dst_unused:UNUSED_PAD src0_sel:DWORD src1_sel:BYTE_3
	v_sub_u32_e32 v16, 29, v16
	v_and_b32_e32 v6, 7, v6
	v_cmp_eq_u16_e32 vcc, 0, v14
	v_cndmask_b32_e32 v6, v12, v6, vcc
	v_cndmask_b32_e32 v12, v15, v16, vcc
	v_mov_b32_e32 v14, 0x3b800000
	v_lshlrev_b32_e32 v6, 20, v6
	v_lshl_add_u32 v12, v12, 23, v14
	v_or3_b32 v12, v13, v12, v6
.LBB2_9756:
	s_or_b64 exec, exec, s[6:7]
	s_movk_i32 s4, 0x7f
	v_cmp_gt_i16_sdwa s[6:7], v2, s4 src0_sel:BYTE_3 src1_sel:DWORD
	s_mov_b64 s[4:5], 0
                                        ; implicit-def: $sgpr10
	s_and_saveexec_b64 s[8:9], s[6:7]
	s_xor_b64 s[6:7], exec, s[8:9]
	s_cbranch_execz .LBB2_9757
; %bb.45597:
	s_getpc_b64 s[14:15]
.Lpost_getpc26382:
	s_add_u32 s14, s14, (.LBB2_24093-.Lpost_getpc26382)&4294967295
	s_addc_u32 s15, s15, (.LBB2_24093-.Lpost_getpc26382)>>32
	s_setpc_b64 s[14:15]
.LBB2_9757:
	s_or_saveexec_b64 s[6:7], s[6:7]
	v_mov_b32_e32 v6, s10
	s_xor_b64 exec, exec, s[6:7]
	s_cbranch_execz .LBB2_9758
; %bb.45599:
	s_getpc_b64 s[14:15]
.Lpost_getpc26383:
	s_add_u32 s14, s14, (.LBB2_24096-.Lpost_getpc26383)&4294967295
	s_addc_u32 s15, s15, (.LBB2_24096-.Lpost_getpc26383)>>32
	s_setpc_b64 s[14:15]
.LBB2_9758:
	s_or_b64 exec, exec, s[6:7]
	s_and_saveexec_b64 s[6:7], s[4:5]
	s_cbranch_execz .LBB2_9760
.LBB2_9759:
	v_bfe_u32 v6, v2, 24, 3
	v_ffbh_u32_e32 v16, v6
	v_min_u32_e32 v16, 32, v16
	v_lshrrev_b32_e32 v14, 27, v2
	v_subrev_u32_e32 v17, 28, v16
	v_and_b32_e32 v13, 0x80000000, v2
	v_and_b32_e32 v14, 15, v14
	v_bfe_u32 v15, v2, 27, 4
	v_lshlrev_b32_sdwa v2, v17, v2 dst_sel:DWORD dst_unused:UNUSED_PAD src0_sel:DWORD src1_sel:BYTE_3
	v_sub_u32_e32 v16, 29, v16
	v_and_b32_e32 v2, 7, v2
	v_cmp_eq_u16_e32 vcc, 0, v14
	v_cndmask_b32_e32 v2, v6, v2, vcc
	v_cndmask_b32_e32 v6, v15, v16, vcc
	v_mov_b32_e32 v14, 0x3b800000
	v_lshlrev_b32_e32 v2, 20, v2
	v_lshl_add_u32 v6, v6, 23, v14
	v_or3_b32 v6, v13, v6, v2
.LBB2_9760:
	s_or_b64 exec, exec, s[6:7]
	s_nop 0
	v_mfma_f32_16x16x4f32 a[0:3], v12, v6, a[0:3]
	s_movk_i32 s4, 0x7f
	v_cmp_gt_i16_sdwa s[6:7], v7, s4 src0_sel:BYTE_0 src1_sel:DWORD
	s_mov_b64 s[4:5], 0
                                        ; implicit-def: $sgpr10
	s_and_saveexec_b64 s[8:9], s[6:7]
	s_xor_b64 s[6:7], exec, s[8:9]
	s_cbranch_execz .LBB2_9761
; %bb.45601:
	s_getpc_b64 s[14:15]
.Lpost_getpc26384:
	s_add_u32 s14, s14, (.LBB2_24097-.Lpost_getpc26384)&4294967295
	s_addc_u32 s15, s15, (.LBB2_24097-.Lpost_getpc26384)>>32
	s_setpc_b64 s[14:15]
.LBB2_9761:
	s_or_saveexec_b64 s[6:7], s[6:7]
	v_mov_b32_e32 v2, s10
	s_xor_b64 exec, exec, s[6:7]
	s_cbranch_execz .LBB2_9762
; %bb.45603:
	s_getpc_b64 s[14:15]
.Lpost_getpc26385:
	s_add_u32 s14, s14, (.LBB2_24100-.Lpost_getpc26385)&4294967295
	s_addc_u32 s15, s15, (.LBB2_24100-.Lpost_getpc26385)>>32
	s_setpc_b64 s[14:15]
.LBB2_9762:
	s_or_b64 exec, exec, s[6:7]
	s_and_saveexec_b64 s[6:7], s[4:5]
	s_cbranch_execz .LBB2_9764
.LBB2_9763:
	v_and_b32_e32 v2, 7, v7
	v_ffbh_u32_e32 v12, v2
	v_min_u32_e32 v12, 32, v12
	v_lshrrev_b16_e32 v6, 3, v7
	v_subrev_u32_e32 v13, 28, v12
	v_and_b32_e32 v6, 15, v6
	v_lshlrev_b32_e32 v13, v13, v7
	v_sub_u32_e32 v12, 29, v12
	v_and_b32_e32 v13, 7, v13
	v_cmp_eq_u16_e32 vcc, 0, v6
	v_cndmask_b32_e32 v2, v2, v13, vcc
	v_cndmask_b32_e32 v6, v6, v12, vcc
	v_lshlrev_b32_e32 v12, 24, v7
	v_mov_b32_e32 v13, 0x3b800000
	v_lshlrev_b32_e32 v2, 20, v2
	v_and_b32_e32 v12, 0x80000000, v12
	v_lshl_add_u32 v6, v6, 23, v13
	v_or3_b32 v2, v12, v6, v2
.LBB2_9764:
	s_or_b64 exec, exec, s[6:7]
	s_movk_i32 s4, 0x7f
	v_cmp_gt_i16_sdwa s[6:7], v3, s4 src0_sel:BYTE_0 src1_sel:DWORD
	s_mov_b64 s[4:5], 0
                                        ; implicit-def: $sgpr10
	s_and_saveexec_b64 s[8:9], s[6:7]
	s_xor_b64 s[6:7], exec, s[8:9]
	s_cbranch_execz .LBB2_9765
; %bb.45605:
	s_getpc_b64 s[14:15]
.Lpost_getpc26386:
	s_add_u32 s14, s14, (.LBB2_24101-.Lpost_getpc26386)&4294967295
	s_addc_u32 s15, s15, (.LBB2_24101-.Lpost_getpc26386)>>32
	s_setpc_b64 s[14:15]
.LBB2_9765:
	s_or_saveexec_b64 s[6:7], s[6:7]
	v_mov_b32_e32 v6, s10
	s_xor_b64 exec, exec, s[6:7]
	s_cbranch_execz .LBB2_9766
; %bb.45607:
	s_getpc_b64 s[14:15]
.Lpost_getpc26387:
	s_add_u32 s14, s14, (.LBB2_24104-.Lpost_getpc26387)&4294967295
	s_addc_u32 s15, s15, (.LBB2_24104-.Lpost_getpc26387)>>32
	s_setpc_b64 s[14:15]
.LBB2_9766:
	s_or_b64 exec, exec, s[6:7]
	s_and_saveexec_b64 s[6:7], s[4:5]
	s_cbranch_execz .LBB2_9768
.LBB2_9767:
	v_and_b32_e32 v6, 7, v3
	v_ffbh_u32_e32 v13, v6
	v_min_u32_e32 v13, 32, v13
	v_lshrrev_b16_e32 v12, 3, v3
	v_subrev_u32_e32 v14, 28, v13
	v_and_b32_e32 v12, 15, v12
	v_lshlrev_b32_e32 v14, v14, v3
	v_sub_u32_e32 v13, 29, v13
	v_and_b32_e32 v14, 7, v14
	v_cmp_eq_u16_e32 vcc, 0, v12
	v_cndmask_b32_e32 v6, v6, v14, vcc
	v_cndmask_b32_e32 v12, v12, v13, vcc
	v_lshlrev_b32_e32 v13, 24, v3
	v_mov_b32_e32 v14, 0x3b800000
	v_lshlrev_b32_e32 v6, 20, v6
	v_and_b32_e32 v13, 0x80000000, v13
	v_lshl_add_u32 v12, v12, 23, v14
	v_or3_b32 v6, v13, v12, v6
.LBB2_9768:
	s_or_b64 exec, exec, s[6:7]
	s_nop 0
	v_mfma_f32_16x16x4f32 a[0:3], v2, v6, a[0:3]
	v_lshrrev_b32_e32 v6, 8, v7
	s_movk_i32 s4, 0x7f
	v_cmp_gt_i16_sdwa s[6:7], v6, s4 src0_sel:BYTE_0 src1_sel:DWORD
	s_mov_b64 s[4:5], 0
                                        ; implicit-def: $sgpr10
	s_and_saveexec_b64 s[8:9], s[6:7]
	s_xor_b64 s[6:7], exec, s[8:9]
	s_cbranch_execz .LBB2_9769
; %bb.45609:
	s_getpc_b64 s[14:15]
.Lpost_getpc26388:
	s_add_u32 s14, s14, (.LBB2_24105-.Lpost_getpc26388)&4294967295
	s_addc_u32 s15, s15, (.LBB2_24105-.Lpost_getpc26388)>>32
	s_setpc_b64 s[14:15]
.LBB2_9769:
	s_or_saveexec_b64 s[6:7], s[6:7]
	v_mov_b32_e32 v2, s10
	s_xor_b64 exec, exec, s[6:7]
	s_cbranch_execz .LBB2_9770
; %bb.45611:
	s_getpc_b64 s[14:15]
.Lpost_getpc26389:
	s_add_u32 s14, s14, (.LBB2_24108-.Lpost_getpc26389)&4294967295
	s_addc_u32 s15, s15, (.LBB2_24108-.Lpost_getpc26389)>>32
	s_setpc_b64 s[14:15]
.LBB2_9770:
	s_or_b64 exec, exec, s[6:7]
	s_and_saveexec_b64 s[6:7], s[4:5]
	s_cbranch_execz .LBB2_9772
.LBB2_9771:
	v_bfe_u32 v2, v7, 8, 3
	v_ffbh_u32_e32 v13, v2
	v_min_u32_e32 v13, 32, v13
	v_lshrrev_b16_e32 v12, 3, v6
	v_subrev_u32_e32 v14, 28, v13
	v_and_b32_e32 v12, 15, v12
	v_lshlrev_b32_e32 v6, v14, v6
	v_sub_u32_e32 v13, 29, v13
	v_and_b32_e32 v6, 7, v6
	v_cmp_eq_u16_e32 vcc, 0, v12
	v_cndmask_b32_e32 v2, v2, v6, vcc
	v_cndmask_b32_e32 v6, v12, v13, vcc
	v_lshlrev_b32_e32 v12, 16, v7
	v_mov_b32_e32 v13, 0x3b800000
	v_lshlrev_b32_e32 v2, 20, v2
	v_and_b32_e32 v12, 0x80000000, v12
	v_lshl_add_u32 v6, v6, 23, v13
	v_or3_b32 v2, v12, v6, v2
.LBB2_9772:
	s_or_b64 exec, exec, s[6:7]
	v_lshrrev_b32_e32 v6, 8, v3
	s_movk_i32 s4, 0x7f
	v_cmp_gt_i16_sdwa s[6:7], v6, s4 src0_sel:BYTE_0 src1_sel:DWORD
	s_mov_b64 s[4:5], 0
                                        ; implicit-def: $sgpr10
	s_and_saveexec_b64 s[8:9], s[6:7]
	s_xor_b64 s[6:7], exec, s[8:9]
	s_cbranch_execz .LBB2_9773
; %bb.45613:
	s_getpc_b64 s[14:15]
.Lpost_getpc26390:
	s_add_u32 s14, s14, (.LBB2_24109-.Lpost_getpc26390)&4294967295
	s_addc_u32 s15, s15, (.LBB2_24109-.Lpost_getpc26390)>>32
	s_setpc_b64 s[14:15]
.LBB2_9773:
	s_or_saveexec_b64 s[6:7], s[6:7]
	v_mov_b32_e32 v12, s10
	s_xor_b64 exec, exec, s[6:7]
	s_cbranch_execz .LBB2_9774
; %bb.45615:
	s_getpc_b64 s[14:15]
.Lpost_getpc26391:
	s_add_u32 s14, s14, (.LBB2_24112-.Lpost_getpc26391)&4294967295
	s_addc_u32 s15, s15, (.LBB2_24112-.Lpost_getpc26391)>>32
	s_setpc_b64 s[14:15]
.LBB2_9774:
	s_or_b64 exec, exec, s[6:7]
	s_and_saveexec_b64 s[6:7], s[4:5]
	s_cbranch_execz .LBB2_9776
.LBB2_9775:
	v_bfe_u32 v12, v3, 8, 3
	v_ffbh_u32_e32 v14, v12
	v_min_u32_e32 v14, 32, v14
	v_lshrrev_b16_e32 v13, 3, v6
	v_subrev_u32_e32 v15, 28, v14
	v_and_b32_e32 v13, 15, v13
	v_lshlrev_b32_e32 v6, v15, v6
	v_sub_u32_e32 v14, 29, v14
	v_and_b32_e32 v6, 7, v6
	v_cmp_eq_u16_e32 vcc, 0, v13
	v_cndmask_b32_e32 v6, v12, v6, vcc
	v_cndmask_b32_e32 v12, v13, v14, vcc
	v_lshlrev_b32_e32 v13, 16, v3
	v_mov_b32_e32 v14, 0x3b800000
	v_lshlrev_b32_e32 v6, 20, v6
	v_and_b32_e32 v13, 0x80000000, v13
	v_lshl_add_u32 v12, v12, 23, v14
	v_or3_b32 v12, v13, v12, v6
.LBB2_9776:
	s_or_b64 exec, exec, s[6:7]
	s_nop 0
	v_mfma_f32_16x16x4f32 a[0:3], v2, v12, a[0:3]
	s_movk_i32 s4, 0xff
	v_and_b32_sdwa v6, v7, s4 dst_sel:DWORD dst_unused:UNUSED_PAD src0_sel:WORD_1 src1_sel:DWORD
	s_movk_i32 s4, 0x7f
	v_cmp_lt_i16_e32 vcc, s4, v6
	s_mov_b64 s[4:5], 0
                                        ; implicit-def: $sgpr10
	s_and_saveexec_b64 s[6:7], vcc
	s_xor_b64 s[6:7], exec, s[6:7]
	s_cbranch_execz .LBB2_9777
; %bb.45617:
	s_getpc_b64 s[14:15]
.Lpost_getpc26392:
	s_add_u32 s14, s14, (.LBB2_24113-.Lpost_getpc26392)&4294967295
	s_addc_u32 s15, s15, (.LBB2_24113-.Lpost_getpc26392)>>32
	s_setpc_b64 s[14:15]
.LBB2_9777:
	s_or_saveexec_b64 s[6:7], s[6:7]
	v_mov_b32_e32 v2, s10
	s_xor_b64 exec, exec, s[6:7]
	s_cbranch_execz .LBB2_9778
; %bb.45619:
	s_getpc_b64 s[14:15]
.Lpost_getpc26393:
	s_add_u32 s14, s14, (.LBB2_24116-.Lpost_getpc26393)&4294967295
	s_addc_u32 s15, s15, (.LBB2_24116-.Lpost_getpc26393)>>32
	s_setpc_b64 s[14:15]
.LBB2_9778:
	s_or_b64 exec, exec, s[6:7]
	s_and_saveexec_b64 s[6:7], s[4:5]
	s_cbranch_execz .LBB2_9780
.LBB2_9779:
	v_bfe_u32 v2, v7, 16, 3
	v_ffbh_u32_e32 v13, v2
	v_min_u32_e32 v13, 32, v13
	v_lshrrev_b32_e32 v6, 19, v7
	v_subrev_u32_e32 v14, 28, v13
	v_and_b32_e32 v6, 15, v6
	v_lshlrev_b32_sdwa v14, v14, v7 dst_sel:DWORD dst_unused:UNUSED_PAD src0_sel:DWORD src1_sel:WORD_1
	v_bfe_u32 v12, v7, 19, 4
	v_sub_u32_e32 v13, 29, v13
	v_and_b32_e32 v14, 7, v14
	v_cmp_eq_u16_e32 vcc, 0, v6
	v_cndmask_b32_e32 v2, v2, v14, vcc
	v_cndmask_b32_e32 v6, v12, v13, vcc
	v_lshlrev_b32_e32 v12, 8, v7
	v_mov_b32_e32 v13, 0x3b800000
	v_lshlrev_b32_e32 v2, 20, v2
	v_and_b32_e32 v12, 0x80000000, v12
	v_lshl_add_u32 v6, v6, 23, v13
	v_or3_b32 v2, v12, v6, v2
.LBB2_9780:
	s_or_b64 exec, exec, s[6:7]
	s_movk_i32 s4, 0xff
	v_and_b32_sdwa v6, v3, s4 dst_sel:DWORD dst_unused:UNUSED_PAD src0_sel:WORD_1 src1_sel:DWORD
	s_movk_i32 s4, 0x7f
	v_cmp_lt_i16_e32 vcc, s4, v6
	s_mov_b64 s[4:5], 0
                                        ; implicit-def: $sgpr10
	s_and_saveexec_b64 s[6:7], vcc
	s_xor_b64 s[6:7], exec, s[6:7]
	s_cbranch_execz .LBB2_9781
; %bb.45621:
	s_getpc_b64 s[14:15]
.Lpost_getpc26394:
	s_add_u32 s14, s14, (.LBB2_24117-.Lpost_getpc26394)&4294967295
	s_addc_u32 s15, s15, (.LBB2_24117-.Lpost_getpc26394)>>32
	s_setpc_b64 s[14:15]
.LBB2_9781:
	s_or_saveexec_b64 s[6:7], s[6:7]
	v_mov_b32_e32 v12, s10
	s_xor_b64 exec, exec, s[6:7]
	s_cbranch_execz .LBB2_9782
; %bb.45623:
	s_getpc_b64 s[14:15]
.Lpost_getpc26395:
	s_add_u32 s14, s14, (.LBB2_24120-.Lpost_getpc26395)&4294967295
	s_addc_u32 s15, s15, (.LBB2_24120-.Lpost_getpc26395)>>32
	s_setpc_b64 s[14:15]
.LBB2_9782:
	s_or_b64 exec, exec, s[6:7]
	s_and_saveexec_b64 s[6:7], s[4:5]
	s_cbranch_execz .LBB2_9784
.LBB2_9783:
	v_bfe_u32 v6, v3, 16, 3
	v_ffbh_u32_e32 v14, v6
	v_min_u32_e32 v14, 32, v14
	v_lshrrev_b32_e32 v12, 19, v3
	v_subrev_u32_e32 v15, 28, v14
	v_and_b32_e32 v12, 15, v12
	v_lshlrev_b32_sdwa v15, v15, v3 dst_sel:DWORD dst_unused:UNUSED_PAD src0_sel:DWORD src1_sel:WORD_1
	v_bfe_u32 v13, v3, 19, 4
	v_sub_u32_e32 v14, 29, v14
	v_and_b32_e32 v15, 7, v15
	v_cmp_eq_u16_e32 vcc, 0, v12
	v_cndmask_b32_e32 v6, v6, v15, vcc
	v_cndmask_b32_e32 v12, v13, v14, vcc
	v_lshlrev_b32_e32 v13, 8, v3
	v_mov_b32_e32 v14, 0x3b800000
	v_lshlrev_b32_e32 v6, 20, v6
	v_and_b32_e32 v13, 0x80000000, v13
	v_lshl_add_u32 v12, v12, 23, v14
	v_or3_b32 v12, v13, v12, v6
.LBB2_9784:
	s_or_b64 exec, exec, s[6:7]
	s_nop 0
	v_mfma_f32_16x16x4f32 a[0:3], v2, v12, a[0:3]
	s_movk_i32 s4, 0x7f
	v_cmp_gt_i16_sdwa s[6:7], v7, s4 src0_sel:BYTE_3 src1_sel:DWORD
	s_mov_b64 s[4:5], 0
                                        ; implicit-def: $sgpr10
	s_and_saveexec_b64 s[8:9], s[6:7]
	s_xor_b64 s[6:7], exec, s[8:9]
	s_cbranch_execz .LBB2_9785
; %bb.45625:
	s_getpc_b64 s[14:15]
.Lpost_getpc26396:
	s_add_u32 s14, s14, (.LBB2_24121-.Lpost_getpc26396)&4294967295
	s_addc_u32 s15, s15, (.LBB2_24121-.Lpost_getpc26396)>>32
	s_setpc_b64 s[14:15]
.LBB2_9785:
	s_or_saveexec_b64 s[6:7], s[6:7]
	v_mov_b32_e32 v2, s10
	s_xor_b64 exec, exec, s[6:7]
	s_cbranch_execz .LBB2_9786
; %bb.45627:
	s_getpc_b64 s[14:15]
.Lpost_getpc26397:
	s_add_u32 s14, s14, (.LBB2_24124-.Lpost_getpc26397)&4294967295
	s_addc_u32 s15, s15, (.LBB2_24124-.Lpost_getpc26397)>>32
	s_setpc_b64 s[14:15]
.LBB2_9786:
	s_or_b64 exec, exec, s[6:7]
	s_and_saveexec_b64 s[6:7], s[4:5]
	s_cbranch_execz .LBB2_9788
.LBB2_9787:
	v_bfe_u32 v2, v7, 24, 3
	v_ffbh_u32_e32 v14, v2
	v_min_u32_e32 v14, 32, v14
	v_lshrrev_b32_e32 v12, 27, v7
	v_subrev_u32_e32 v15, 28, v14
	v_and_b32_e32 v6, 0x80000000, v7
	v_and_b32_e32 v12, 15, v12
	v_bfe_u32 v13, v7, 27, 4
	v_lshlrev_b32_sdwa v7, v15, v7 dst_sel:DWORD dst_unused:UNUSED_PAD src0_sel:DWORD src1_sel:BYTE_3
	v_sub_u32_e32 v14, 29, v14
	v_and_b32_e32 v7, 7, v7
	v_cmp_eq_u16_e32 vcc, 0, v12
	v_cndmask_b32_e32 v2, v2, v7, vcc
	v_cndmask_b32_e32 v7, v13, v14, vcc
	v_mov_b32_e32 v12, 0x3b800000
	v_lshlrev_b32_e32 v2, 20, v2
	v_lshl_add_u32 v7, v7, 23, v12
	v_or3_b32 v2, v6, v7, v2
.LBB2_9788:
	s_or_b64 exec, exec, s[6:7]
	s_movk_i32 s4, 0x7f
	v_cmp_gt_i16_sdwa s[6:7], v3, s4 src0_sel:BYTE_3 src1_sel:DWORD
	s_mov_b64 s[4:5], 0
                                        ; implicit-def: $sgpr10
	s_and_saveexec_b64 s[8:9], s[6:7]
	s_xor_b64 s[6:7], exec, s[8:9]
	s_cbranch_execz .LBB2_9789
; %bb.45629:
	s_getpc_b64 s[14:15]
.Lpost_getpc26398:
	s_add_u32 s14, s14, (.LBB2_24125-.Lpost_getpc26398)&4294967295
	s_addc_u32 s15, s15, (.LBB2_24125-.Lpost_getpc26398)>>32
	s_setpc_b64 s[14:15]
.LBB2_9789:
	s_or_saveexec_b64 s[6:7], s[6:7]
	v_mov_b32_e32 v6, s10
	s_xor_b64 exec, exec, s[6:7]
	s_cbranch_execz .LBB2_9790
; %bb.45631:
	s_getpc_b64 s[14:15]
.Lpost_getpc26399:
	s_add_u32 s14, s14, (.LBB2_24128-.Lpost_getpc26399)&4294967295
	s_addc_u32 s15, s15, (.LBB2_24128-.Lpost_getpc26399)>>32
	s_setpc_b64 s[14:15]
.LBB2_9790:
	s_or_b64 exec, exec, s[6:7]
	s_and_saveexec_b64 s[6:7], s[4:5]
	s_cbranch_execz .LBB2_9792
.LBB2_9791:
	v_bfe_u32 v6, v3, 24, 3
	v_ffbh_u32_e32 v14, v6
	v_min_u32_e32 v14, 32, v14
	v_lshrrev_b32_e32 v12, 27, v3
	v_subrev_u32_e32 v15, 28, v14
	v_and_b32_e32 v7, 0x80000000, v3
	v_and_b32_e32 v12, 15, v12
	v_bfe_u32 v13, v3, 27, 4
	v_lshlrev_b32_sdwa v3, v15, v3 dst_sel:DWORD dst_unused:UNUSED_PAD src0_sel:DWORD src1_sel:BYTE_3
	v_sub_u32_e32 v14, 29, v14
	v_and_b32_e32 v3, 7, v3
	v_cmp_eq_u16_e32 vcc, 0, v12
	v_cndmask_b32_e32 v3, v6, v3, vcc
	v_cndmask_b32_e32 v6, v13, v14, vcc
	v_mov_b32_e32 v12, 0x3b800000
	v_lshlrev_b32_e32 v3, 20, v3
	v_lshl_add_u32 v6, v6, 23, v12
	v_or3_b32 v6, v7, v6, v3
.LBB2_9792:
	s_or_b64 exec, exec, s[6:7]
	s_nop 0
	v_mfma_f32_16x16x4f32 a[0:3], v2, v6, a[0:3]
	s_movk_i32 s4, 0x7f
	v_cmp_gt_i16_sdwa s[6:7], v8, s4 src0_sel:BYTE_0 src1_sel:DWORD
	s_mov_b64 s[4:5], 0
                                        ; implicit-def: $sgpr10
	s_and_saveexec_b64 s[8:9], s[6:7]
	s_xor_b64 s[6:7], exec, s[8:9]
	s_cbranch_execz .LBB2_9793
; %bb.45633:
	s_getpc_b64 s[14:15]
.Lpost_getpc26400:
	s_add_u32 s14, s14, (.LBB2_24129-.Lpost_getpc26400)&4294967295
	s_addc_u32 s15, s15, (.LBB2_24129-.Lpost_getpc26400)>>32
	s_setpc_b64 s[14:15]
.LBB2_9793:
	s_or_saveexec_b64 s[6:7], s[6:7]
	v_mov_b32_e32 v2, s10
	s_xor_b64 exec, exec, s[6:7]
	s_cbranch_execz .LBB2_9794
; %bb.45635:
	s_getpc_b64 s[14:15]
.Lpost_getpc26401:
	s_add_u32 s14, s14, (.LBB2_24132-.Lpost_getpc26401)&4294967295
	s_addc_u32 s15, s15, (.LBB2_24132-.Lpost_getpc26401)>>32
	s_setpc_b64 s[14:15]
.LBB2_9794:
	s_or_b64 exec, exec, s[6:7]
	s_and_saveexec_b64 s[6:7], s[4:5]
	s_cbranch_execz .LBB2_9796
.LBB2_9795:
	v_and_b32_e32 v2, 7, v8
	v_ffbh_u32_e32 v6, v2
	v_min_u32_e32 v6, 32, v6
	v_lshrrev_b16_e32 v3, 3, v8
	v_subrev_u32_e32 v7, 28, v6
	v_and_b32_e32 v3, 15, v3
	v_lshlrev_b32_e32 v7, v7, v8
	v_sub_u32_e32 v6, 29, v6
	v_and_b32_e32 v7, 7, v7
	v_cmp_eq_u16_e32 vcc, 0, v3
	v_cndmask_b32_e32 v2, v2, v7, vcc
	v_cndmask_b32_e32 v3, v3, v6, vcc
	v_lshlrev_b32_e32 v6, 24, v8
	v_mov_b32_e32 v7, 0x3b800000
	v_lshlrev_b32_e32 v2, 20, v2
	v_and_b32_e32 v6, 0x80000000, v6
	v_lshl_add_u32 v3, v3, 23, v7
	v_or3_b32 v2, v6, v3, v2
.LBB2_9796:
	s_or_b64 exec, exec, s[6:7]
	s_movk_i32 s4, 0x7f
	v_cmp_gt_i16_sdwa s[6:7], v4, s4 src0_sel:BYTE_0 src1_sel:DWORD
	s_mov_b64 s[4:5], 0
                                        ; implicit-def: $sgpr10
	s_and_saveexec_b64 s[8:9], s[6:7]
	s_xor_b64 s[6:7], exec, s[8:9]
	s_cbranch_execz .LBB2_9797
; %bb.45637:
	s_getpc_b64 s[14:15]
.Lpost_getpc26402:
	s_add_u32 s14, s14, (.LBB2_24133-.Lpost_getpc26402)&4294967295
	s_addc_u32 s15, s15, (.LBB2_24133-.Lpost_getpc26402)>>32
	s_setpc_b64 s[14:15]
.LBB2_9797:
	s_or_saveexec_b64 s[6:7], s[6:7]
	v_mov_b32_e32 v3, s10
	s_xor_b64 exec, exec, s[6:7]
	s_cbranch_execz .LBB2_9798
; %bb.45639:
	s_getpc_b64 s[14:15]
.Lpost_getpc26403:
	s_add_u32 s14, s14, (.LBB2_24136-.Lpost_getpc26403)&4294967295
	s_addc_u32 s15, s15, (.LBB2_24136-.Lpost_getpc26403)>>32
	s_setpc_b64 s[14:15]
.LBB2_9798:
	s_or_b64 exec, exec, s[6:7]
	s_and_saveexec_b64 s[6:7], s[4:5]
	s_cbranch_execz .LBB2_9800
.LBB2_9799:
	v_and_b32_e32 v3, 7, v4
	v_ffbh_u32_e32 v7, v3
	v_min_u32_e32 v7, 32, v7
	v_lshrrev_b16_e32 v6, 3, v4
	v_subrev_u32_e32 v12, 28, v7
	v_and_b32_e32 v6, 15, v6
	v_lshlrev_b32_e32 v12, v12, v4
	v_sub_u32_e32 v7, 29, v7
	v_and_b32_e32 v12, 7, v12
	v_cmp_eq_u16_e32 vcc, 0, v6
	v_cndmask_b32_e32 v3, v3, v12, vcc
	v_cndmask_b32_e32 v6, v6, v7, vcc
	v_lshlrev_b32_e32 v7, 24, v4
	v_mov_b32_e32 v12, 0x3b800000
	v_lshlrev_b32_e32 v3, 20, v3
	v_and_b32_e32 v7, 0x80000000, v7
	v_lshl_add_u32 v6, v6, 23, v12
	v_or3_b32 v3, v7, v6, v3
.LBB2_9800:
	s_or_b64 exec, exec, s[6:7]
	s_nop 0
	v_mfma_f32_16x16x4f32 a[0:3], v2, v3, a[0:3]
	v_lshrrev_b32_e32 v3, 8, v8
	s_movk_i32 s4, 0x7f
	v_cmp_gt_i16_sdwa s[6:7], v3, s4 src0_sel:BYTE_0 src1_sel:DWORD
	s_mov_b64 s[4:5], 0
                                        ; implicit-def: $sgpr10
	s_and_saveexec_b64 s[8:9], s[6:7]
	s_xor_b64 s[6:7], exec, s[8:9]
	s_cbranch_execz .LBB2_9801
; %bb.45641:
	s_getpc_b64 s[14:15]
.Lpost_getpc26404:
	s_add_u32 s14, s14, (.LBB2_24137-.Lpost_getpc26404)&4294967295
	s_addc_u32 s15, s15, (.LBB2_24137-.Lpost_getpc26404)>>32
	s_setpc_b64 s[14:15]
.LBB2_9801:
	s_or_saveexec_b64 s[6:7], s[6:7]
	v_mov_b32_e32 v2, s10
	s_xor_b64 exec, exec, s[6:7]
	s_cbranch_execz .LBB2_9802
; %bb.45643:
	s_getpc_b64 s[14:15]
.Lpost_getpc26405:
	s_add_u32 s14, s14, (.LBB2_24140-.Lpost_getpc26405)&4294967295
	s_addc_u32 s15, s15, (.LBB2_24140-.Lpost_getpc26405)>>32
	s_setpc_b64 s[14:15]
.LBB2_9802:
	s_or_b64 exec, exec, s[6:7]
	s_and_saveexec_b64 s[6:7], s[4:5]
	s_cbranch_execz .LBB2_9804
.LBB2_9803:
	v_bfe_u32 v2, v8, 8, 3
	v_ffbh_u32_e32 v7, v2
	v_min_u32_e32 v7, 32, v7
	v_lshrrev_b16_e32 v6, 3, v3
	v_subrev_u32_e32 v12, 28, v7
	v_and_b32_e32 v6, 15, v6
	v_lshlrev_b32_e32 v3, v12, v3
	v_sub_u32_e32 v7, 29, v7
	v_and_b32_e32 v3, 7, v3
	v_cmp_eq_u16_e32 vcc, 0, v6
	v_cndmask_b32_e32 v2, v2, v3, vcc
	v_cndmask_b32_e32 v3, v6, v7, vcc
	v_lshlrev_b32_e32 v6, 16, v8
	v_mov_b32_e32 v7, 0x3b800000
	v_lshlrev_b32_e32 v2, 20, v2
	v_and_b32_e32 v6, 0x80000000, v6
	v_lshl_add_u32 v3, v3, 23, v7
	v_or3_b32 v2, v6, v3, v2
.LBB2_9804:
	s_or_b64 exec, exec, s[6:7]
	v_lshrrev_b32_e32 v3, 8, v4
	s_movk_i32 s4, 0x7f
	v_cmp_gt_i16_sdwa s[6:7], v3, s4 src0_sel:BYTE_0 src1_sel:DWORD
	s_mov_b64 s[4:5], 0
                                        ; implicit-def: $sgpr10
	s_and_saveexec_b64 s[8:9], s[6:7]
	s_xor_b64 s[6:7], exec, s[8:9]
	s_cbranch_execz .LBB2_9805
; %bb.45645:
	s_getpc_b64 s[14:15]
.Lpost_getpc26406:
	s_add_u32 s14, s14, (.LBB2_24141-.Lpost_getpc26406)&4294967295
	s_addc_u32 s15, s15, (.LBB2_24141-.Lpost_getpc26406)>>32
	s_setpc_b64 s[14:15]
.LBB2_9805:
	s_or_saveexec_b64 s[6:7], s[6:7]
	v_mov_b32_e32 v6, s10
	s_xor_b64 exec, exec, s[6:7]
	s_cbranch_execz .LBB2_9806
; %bb.45647:
	s_getpc_b64 s[14:15]
.Lpost_getpc26407:
	s_add_u32 s14, s14, (.LBB2_24144-.Lpost_getpc26407)&4294967295
	s_addc_u32 s15, s15, (.LBB2_24144-.Lpost_getpc26407)>>32
	s_setpc_b64 s[14:15]
.LBB2_9806:
	s_or_b64 exec, exec, s[6:7]
	s_and_saveexec_b64 s[6:7], s[4:5]
	s_cbranch_execz .LBB2_9808
.LBB2_9807:
	v_bfe_u32 v6, v4, 8, 3
	v_ffbh_u32_e32 v12, v6
	v_min_u32_e32 v12, 32, v12
	v_lshrrev_b16_e32 v7, 3, v3
	v_subrev_u32_e32 v13, 28, v12
	v_and_b32_e32 v7, 15, v7
	v_lshlrev_b32_e32 v3, v13, v3
	v_sub_u32_e32 v12, 29, v12
	v_and_b32_e32 v3, 7, v3
	v_cmp_eq_u16_e32 vcc, 0, v7
	v_cndmask_b32_e32 v3, v6, v3, vcc
	v_cndmask_b32_e32 v6, v7, v12, vcc
	v_lshlrev_b32_e32 v7, 16, v4
	v_mov_b32_e32 v12, 0x3b800000
	v_lshlrev_b32_e32 v3, 20, v3
	v_and_b32_e32 v7, 0x80000000, v7
	v_lshl_add_u32 v6, v6, 23, v12
	v_or3_b32 v6, v7, v6, v3
.LBB2_9808:
	s_or_b64 exec, exec, s[6:7]
	s_nop 0
	v_mfma_f32_16x16x4f32 a[0:3], v2, v6, a[0:3]
	s_movk_i32 s4, 0xff
	v_and_b32_sdwa v3, v8, s4 dst_sel:DWORD dst_unused:UNUSED_PAD src0_sel:WORD_1 src1_sel:DWORD
	s_movk_i32 s4, 0x7f
	v_cmp_lt_i16_e32 vcc, s4, v3
	s_mov_b64 s[4:5], 0
                                        ; implicit-def: $sgpr10
	s_and_saveexec_b64 s[6:7], vcc
	s_xor_b64 s[6:7], exec, s[6:7]
	s_cbranch_execz .LBB2_9809
; %bb.45649:
	s_getpc_b64 s[14:15]
.Lpost_getpc26408:
	s_add_u32 s14, s14, (.LBB2_24145-.Lpost_getpc26408)&4294967295
	s_addc_u32 s15, s15, (.LBB2_24145-.Lpost_getpc26408)>>32
	s_setpc_b64 s[14:15]
.LBB2_9809:
	s_or_saveexec_b64 s[6:7], s[6:7]
	v_mov_b32_e32 v2, s10
	s_xor_b64 exec, exec, s[6:7]
	s_cbranch_execz .LBB2_9810
; %bb.45651:
	s_getpc_b64 s[14:15]
.Lpost_getpc26409:
	s_add_u32 s14, s14, (.LBB2_24148-.Lpost_getpc26409)&4294967295
	s_addc_u32 s15, s15, (.LBB2_24148-.Lpost_getpc26409)>>32
	s_setpc_b64 s[14:15]
.LBB2_9810:
	s_or_b64 exec, exec, s[6:7]
	s_and_saveexec_b64 s[6:7], s[4:5]
	s_cbranch_execz .LBB2_9812
.LBB2_9811:
	v_bfe_u32 v2, v8, 16, 3
	v_ffbh_u32_e32 v7, v2
	v_min_u32_e32 v7, 32, v7
	v_lshrrev_b32_e32 v3, 19, v8
	v_subrev_u32_e32 v12, 28, v7
	v_and_b32_e32 v3, 15, v3
	v_lshlrev_b32_sdwa v12, v12, v8 dst_sel:DWORD dst_unused:UNUSED_PAD src0_sel:DWORD src1_sel:WORD_1
	v_bfe_u32 v6, v8, 19, 4
	v_sub_u32_e32 v7, 29, v7
	v_and_b32_e32 v12, 7, v12
	v_cmp_eq_u16_e32 vcc, 0, v3
	v_cndmask_b32_e32 v2, v2, v12, vcc
	v_cndmask_b32_e32 v3, v6, v7, vcc
	v_lshlrev_b32_e32 v6, 8, v8
	v_mov_b32_e32 v7, 0x3b800000
	v_lshlrev_b32_e32 v2, 20, v2
	v_and_b32_e32 v6, 0x80000000, v6
	v_lshl_add_u32 v3, v3, 23, v7
	v_or3_b32 v2, v6, v3, v2
.LBB2_9812:
	s_or_b64 exec, exec, s[6:7]
	s_movk_i32 s4, 0xff
	v_and_b32_sdwa v3, v4, s4 dst_sel:DWORD dst_unused:UNUSED_PAD src0_sel:WORD_1 src1_sel:DWORD
	s_movk_i32 s4, 0x7f
	v_cmp_lt_i16_e32 vcc, s4, v3
	s_mov_b64 s[4:5], 0
                                        ; implicit-def: $sgpr10
	s_and_saveexec_b64 s[6:7], vcc
	s_xor_b64 s[6:7], exec, s[6:7]
	s_cbranch_execz .LBB2_9813
; %bb.45653:
	s_getpc_b64 s[14:15]
.Lpost_getpc26410:
	s_add_u32 s14, s14, (.LBB2_24149-.Lpost_getpc26410)&4294967295
	s_addc_u32 s15, s15, (.LBB2_24149-.Lpost_getpc26410)>>32
	s_setpc_b64 s[14:15]
.LBB2_9813:
	s_or_saveexec_b64 s[6:7], s[6:7]
	v_mov_b32_e32 v6, s10
	s_xor_b64 exec, exec, s[6:7]
	s_cbranch_execz .LBB2_9814
; %bb.45655:
	s_getpc_b64 s[14:15]
.Lpost_getpc26411:
	s_add_u32 s14, s14, (.LBB2_24152-.Lpost_getpc26411)&4294967295
	s_addc_u32 s15, s15, (.LBB2_24152-.Lpost_getpc26411)>>32
	s_setpc_b64 s[14:15]
.LBB2_9814:
	s_or_b64 exec, exec, s[6:7]
	s_and_saveexec_b64 s[6:7], s[4:5]
	s_cbranch_execz .LBB2_9816
.LBB2_9815:
	v_bfe_u32 v3, v4, 16, 3
	v_ffbh_u32_e32 v12, v3
	v_min_u32_e32 v12, 32, v12
	v_lshrrev_b32_e32 v6, 19, v4
	v_subrev_u32_e32 v13, 28, v12
	v_and_b32_e32 v6, 15, v6
	v_lshlrev_b32_sdwa v13, v13, v4 dst_sel:DWORD dst_unused:UNUSED_PAD src0_sel:DWORD src1_sel:WORD_1
	v_bfe_u32 v7, v4, 19, 4
	v_sub_u32_e32 v12, 29, v12
	v_and_b32_e32 v13, 7, v13
	v_cmp_eq_u16_e32 vcc, 0, v6
	v_cndmask_b32_e32 v3, v3, v13, vcc
	v_cndmask_b32_e32 v6, v7, v12, vcc
	v_lshlrev_b32_e32 v7, 8, v4
	v_mov_b32_e32 v12, 0x3b800000
	v_lshlrev_b32_e32 v3, 20, v3
	v_and_b32_e32 v7, 0x80000000, v7
	v_lshl_add_u32 v6, v6, 23, v12
	v_or3_b32 v6, v7, v6, v3
.LBB2_9816:
	s_or_b64 exec, exec, s[6:7]
	s_nop 0
	v_mfma_f32_16x16x4f32 a[0:3], v2, v6, a[0:3]
	s_movk_i32 s4, 0x7f
	v_cmp_gt_i16_sdwa s[6:7], v8, s4 src0_sel:BYTE_3 src1_sel:DWORD
	s_mov_b64 s[4:5], 0
                                        ; implicit-def: $sgpr10
	s_and_saveexec_b64 s[8:9], s[6:7]
	s_xor_b64 s[6:7], exec, s[8:9]
	s_cbranch_execz .LBB2_9817
; %bb.45657:
	s_getpc_b64 s[14:15]
.Lpost_getpc26412:
	s_add_u32 s14, s14, (.LBB2_24153-.Lpost_getpc26412)&4294967295
	s_addc_u32 s15, s15, (.LBB2_24153-.Lpost_getpc26412)>>32
	s_setpc_b64 s[14:15]
.LBB2_9817:
	s_or_saveexec_b64 s[6:7], s[6:7]
	v_mov_b32_e32 v2, s10
	s_xor_b64 exec, exec, s[6:7]
	s_cbranch_execz .LBB2_9818
; %bb.45659:
	s_getpc_b64 s[14:15]
.Lpost_getpc26413:
	s_add_u32 s14, s14, (.LBB2_24156-.Lpost_getpc26413)&4294967295
	s_addc_u32 s15, s15, (.LBB2_24156-.Lpost_getpc26413)>>32
	s_setpc_b64 s[14:15]
.LBB2_9818:
	s_or_b64 exec, exec, s[6:7]
	s_and_saveexec_b64 s[6:7], s[4:5]
	s_cbranch_execz .LBB2_9820
.LBB2_9819:
	v_bfe_u32 v2, v8, 24, 3
	v_ffbh_u32_e32 v12, v2
	v_min_u32_e32 v12, 32, v12
	v_lshrrev_b32_e32 v6, 27, v8
	v_subrev_u32_e32 v13, 28, v12
	v_and_b32_e32 v3, 0x80000000, v8
	v_and_b32_e32 v6, 15, v6
	v_bfe_u32 v7, v8, 27, 4
	v_lshlrev_b32_sdwa v8, v13, v8 dst_sel:DWORD dst_unused:UNUSED_PAD src0_sel:DWORD src1_sel:BYTE_3
	v_sub_u32_e32 v12, 29, v12
	v_and_b32_e32 v8, 7, v8
	v_cmp_eq_u16_e32 vcc, 0, v6
	v_cndmask_b32_e32 v2, v2, v8, vcc
	v_cndmask_b32_e32 v6, v7, v12, vcc
	v_mov_b32_e32 v7, 0x3b800000
	v_lshlrev_b32_e32 v2, 20, v2
	v_lshl_add_u32 v6, v6, 23, v7
	v_or3_b32 v2, v3, v6, v2
.LBB2_9820:
	s_or_b64 exec, exec, s[6:7]
	s_movk_i32 s4, 0x7f
	v_cmp_gt_i16_sdwa s[6:7], v4, s4 src0_sel:BYTE_3 src1_sel:DWORD
	s_mov_b64 s[4:5], 0
                                        ; implicit-def: $sgpr10
	s_and_saveexec_b64 s[8:9], s[6:7]
	s_xor_b64 s[6:7], exec, s[8:9]
	s_cbranch_execz .LBB2_9821
; %bb.45661:
	s_getpc_b64 s[14:15]
.Lpost_getpc26414:
	s_add_u32 s14, s14, (.LBB2_24157-.Lpost_getpc26414)&4294967295
	s_addc_u32 s15, s15, (.LBB2_24157-.Lpost_getpc26414)>>32
	s_setpc_b64 s[14:15]
.LBB2_9821:
	s_or_saveexec_b64 s[6:7], s[6:7]
	v_mov_b32_e32 v3, s10
	s_xor_b64 exec, exec, s[6:7]
	s_cbranch_execz .LBB2_9822
; %bb.45663:
	s_getpc_b64 s[14:15]
.Lpost_getpc26415:
	s_add_u32 s14, s14, (.LBB2_24160-.Lpost_getpc26415)&4294967295
	s_addc_u32 s15, s15, (.LBB2_24160-.Lpost_getpc26415)>>32
	s_setpc_b64 s[14:15]
.LBB2_9822:
	s_or_b64 exec, exec, s[6:7]
	s_and_saveexec_b64 s[6:7], s[4:5]
	s_cbranch_execz .LBB2_9824
.LBB2_9823:
	v_bfe_u32 v3, v4, 24, 3
	v_ffbh_u32_e32 v12, v3
	v_min_u32_e32 v12, 32, v12
	v_lshrrev_b32_e32 v7, 27, v4
	v_subrev_u32_e32 v13, 28, v12
	v_and_b32_e32 v6, 0x80000000, v4
	v_and_b32_e32 v7, 15, v7
	v_bfe_u32 v8, v4, 27, 4
	v_lshlrev_b32_sdwa v4, v13, v4 dst_sel:DWORD dst_unused:UNUSED_PAD src0_sel:DWORD src1_sel:BYTE_3
	v_sub_u32_e32 v12, 29, v12
	v_and_b32_e32 v4, 7, v4
	v_cmp_eq_u16_e32 vcc, 0, v7
	v_cndmask_b32_e32 v3, v3, v4, vcc
	v_cndmask_b32_e32 v4, v8, v12, vcc
	v_mov_b32_e32 v7, 0x3b800000
	v_lshlrev_b32_e32 v3, 20, v3
	v_lshl_add_u32 v4, v4, 23, v7
	v_or3_b32 v3, v6, v4, v3
.LBB2_9824:
	s_or_b64 exec, exec, s[6:7]
	s_nop 0
	v_mfma_f32_16x16x4f32 a[0:3], v2, v3, a[0:3]
	s_movk_i32 s4, 0x7f
	v_cmp_gt_i16_sdwa s[6:7], v9, s4 src0_sel:BYTE_0 src1_sel:DWORD
	s_mov_b64 s[4:5], 0
                                        ; implicit-def: $sgpr10
	s_and_saveexec_b64 s[8:9], s[6:7]
	s_xor_b64 s[6:7], exec, s[8:9]
	s_cbranch_execz .LBB2_9825
; %bb.45665:
	s_getpc_b64 s[14:15]
.Lpost_getpc26416:
	s_add_u32 s14, s14, (.LBB2_24161-.Lpost_getpc26416)&4294967295
	s_addc_u32 s15, s15, (.LBB2_24161-.Lpost_getpc26416)>>32
	s_setpc_b64 s[14:15]
.LBB2_9825:
	s_or_saveexec_b64 s[6:7], s[6:7]
	v_mov_b32_e32 v2, s10
	s_xor_b64 exec, exec, s[6:7]
	s_cbranch_execz .LBB2_9826
; %bb.45667:
	s_getpc_b64 s[14:15]
.Lpost_getpc26417:
	s_add_u32 s14, s14, (.LBB2_24164-.Lpost_getpc26417)&4294967295
	s_addc_u32 s15, s15, (.LBB2_24164-.Lpost_getpc26417)>>32
	s_setpc_b64 s[14:15]
.LBB2_9826:
	s_or_b64 exec, exec, s[6:7]
	s_and_saveexec_b64 s[6:7], s[4:5]
	s_cbranch_execz .LBB2_9828
.LBB2_9827:
	v_mov_b32_e32 v2, 8
	v_and_b32_e32 v3, 7, v9
	v_lshrrev_b32_sdwa v2, v2, v9 dst_sel:BYTE_1 dst_unused:UNUSED_PAD src0_sel:DWORD src1_sel:DWORD
	v_ffbh_u32_e32 v4, v3
	v_or_b32_sdwa v2, v9, v2 dst_sel:DWORD dst_unused:UNUSED_PAD src0_sel:BYTE_0 src1_sel:DWORD
	v_min_u32_e32 v4, 32, v4
	v_lshrrev_b16_e32 v2, 3, v2
	v_subrev_u32_e32 v6, 28, v4
	v_and_b32_e32 v2, 15, v2
	v_lshlrev_b32_e32 v6, v6, v9
	v_sub_u32_e32 v4, 29, v4
	v_and_b32_e32 v6, 7, v6
	v_cmp_eq_u16_e32 vcc, 0, v2
	v_cndmask_b32_e32 v3, v3, v6, vcc
	v_cndmask_b32_e32 v2, v2, v4, vcc
	v_lshlrev_b32_e32 v4, 24, v9
	v_mov_b32_e32 v6, 0x3b800000
	v_lshlrev_b32_e32 v3, 20, v3
	v_and_b32_e32 v4, 0x80000000, v4
	v_lshl_add_u32 v2, v2, 23, v6
	v_or3_b32 v2, v4, v2, v3
.LBB2_9828:
	s_or_b64 exec, exec, s[6:7]
	s_movk_i32 s4, 0x7f
	v_cmp_gt_i16_sdwa s[6:7], v5, s4 src0_sel:BYTE_0 src1_sel:DWORD
	s_mov_b64 s[4:5], 0
                                        ; implicit-def: $sgpr10
	s_and_saveexec_b64 s[8:9], s[6:7]
	s_xor_b64 s[6:7], exec, s[8:9]
	s_cbranch_execz .LBB2_9829
; %bb.45669:
	s_getpc_b64 s[14:15]
.Lpost_getpc26418:
	s_add_u32 s14, s14, (.LBB2_24165-.Lpost_getpc26418)&4294967295
	s_addc_u32 s15, s15, (.LBB2_24165-.Lpost_getpc26418)>>32
	s_setpc_b64 s[14:15]
.LBB2_9829:
	s_or_saveexec_b64 s[6:7], s[6:7]
	v_mov_b32_e32 v3, s10
	s_xor_b64 exec, exec, s[6:7]
	s_cbranch_execz .LBB2_9830
; %bb.45671:
	s_getpc_b64 s[14:15]
.Lpost_getpc26419:
	s_add_u32 s14, s14, (.LBB2_24168-.Lpost_getpc26419)&4294967295
	s_addc_u32 s15, s15, (.LBB2_24168-.Lpost_getpc26419)>>32
	s_setpc_b64 s[14:15]
.LBB2_9830:
	s_or_b64 exec, exec, s[6:7]
	s_and_saveexec_b64 s[6:7], s[4:5]
	s_cbranch_execz .LBB2_9832
.LBB2_9831:
	v_mov_b32_e32 v3, 8
	v_and_b32_e32 v4, 7, v5
	v_lshrrev_b32_sdwa v3, v3, v5 dst_sel:BYTE_1 dst_unused:UNUSED_PAD src0_sel:DWORD src1_sel:DWORD
	v_ffbh_u32_e32 v6, v4
	v_or_b32_sdwa v3, v5, v3 dst_sel:DWORD dst_unused:UNUSED_PAD src0_sel:BYTE_0 src1_sel:DWORD
	v_min_u32_e32 v6, 32, v6
	v_lshrrev_b16_e32 v3, 3, v3
	v_subrev_u32_e32 v7, 28, v6
	v_and_b32_e32 v3, 15, v3
	v_lshlrev_b32_e32 v7, v7, v5
	v_sub_u32_e32 v6, 29, v6
	v_and_b32_e32 v7, 7, v7
	v_cmp_eq_u16_e32 vcc, 0, v3
	v_cndmask_b32_e32 v4, v4, v7, vcc
	v_cndmask_b32_e32 v3, v3, v6, vcc
	v_lshlrev_b32_e32 v6, 24, v5
	v_mov_b32_e32 v7, 0x3b800000
	v_lshlrev_b32_e32 v4, 20, v4
	v_and_b32_e32 v6, 0x80000000, v6
	v_lshl_add_u32 v3, v3, 23, v7
	v_or3_b32 v3, v6, v3, v4
.LBB2_9832:
	s_or_b64 exec, exec, s[6:7]
	s_nop 0
	v_mfma_f32_16x16x4f32 a[0:3], v2, v3, a[0:3]
	v_lshrrev_b32_e32 v3, 8, v9
	s_movk_i32 s4, 0x7f
	v_cmp_gt_i16_sdwa s[6:7], v3, s4 src0_sel:BYTE_0 src1_sel:DWORD
	s_mov_b64 s[4:5], 0
                                        ; implicit-def: $sgpr10
	s_and_saveexec_b64 s[8:9], s[6:7]
	s_xor_b64 s[6:7], exec, s[8:9]
	s_cbranch_execz .LBB2_9833
; %bb.45673:
	s_getpc_b64 s[14:15]
.Lpost_getpc26420:
	s_add_u32 s14, s14, (.LBB2_24169-.Lpost_getpc26420)&4294967295
	s_addc_u32 s15, s15, (.LBB2_24169-.Lpost_getpc26420)>>32
	s_setpc_b64 s[14:15]
.LBB2_9833:
	s_or_saveexec_b64 s[6:7], s[6:7]
	v_mov_b32_e32 v2, s10
	s_xor_b64 exec, exec, s[6:7]
	s_cbranch_execz .LBB2_9834
; %bb.45675:
	s_getpc_b64 s[14:15]
.Lpost_getpc26421:
	s_add_u32 s14, s14, (.LBB2_24172-.Lpost_getpc26421)&4294967295
	s_addc_u32 s15, s15, (.LBB2_24172-.Lpost_getpc26421)>>32
	s_setpc_b64 s[14:15]
.LBB2_9834:
	s_or_b64 exec, exec, s[6:7]
	s_and_saveexec_b64 s[6:7], s[4:5]
	s_cbranch_execz .LBB2_9836
.LBB2_9835:
	v_bfe_u32 v2, v9, 8, 3
	v_ffbh_u32_e32 v6, v2
	v_min_u32_e32 v6, 32, v6
	v_lshrrev_b16_e32 v4, 3, v3
	v_subrev_u32_e32 v7, 28, v6
	v_and_b32_e32 v4, 15, v4
	v_lshlrev_b32_e32 v3, v7, v3
	v_sub_u32_e32 v6, 29, v6
	v_and_b32_e32 v3, 7, v3
	v_cmp_eq_u16_e32 vcc, 0, v4
	v_cndmask_b32_e32 v2, v2, v3, vcc
	v_cndmask_b32_e32 v3, v4, v6, vcc
	v_lshlrev_b32_e32 v4, 16, v9
	v_mov_b32_e32 v6, 0x3b800000
	v_lshlrev_b32_e32 v2, 20, v2
	v_and_b32_e32 v4, 0x80000000, v4
	v_lshl_add_u32 v3, v3, 23, v6
	v_or3_b32 v2, v4, v3, v2
.LBB2_9836:
	s_or_b64 exec, exec, s[6:7]
	v_lshrrev_b32_e32 v3, 8, v5
	s_movk_i32 s4, 0x7f
	v_cmp_gt_i16_sdwa s[6:7], v3, s4 src0_sel:BYTE_0 src1_sel:DWORD
	s_mov_b64 s[4:5], 0
                                        ; implicit-def: $sgpr10
	s_and_saveexec_b64 s[8:9], s[6:7]
	s_xor_b64 s[6:7], exec, s[8:9]
	s_cbranch_execz .LBB2_9837
; %bb.45677:
	s_getpc_b64 s[14:15]
.Lpost_getpc26422:
	s_add_u32 s14, s14, (.LBB2_24173-.Lpost_getpc26422)&4294967295
	s_addc_u32 s15, s15, (.LBB2_24173-.Lpost_getpc26422)>>32
	s_setpc_b64 s[14:15]
.LBB2_9837:
	s_or_saveexec_b64 s[6:7], s[6:7]
	v_mov_b32_e32 v4, s10
	s_xor_b64 exec, exec, s[6:7]
	s_cbranch_execz .LBB2_9838
; %bb.45679:
	s_getpc_b64 s[14:15]
.Lpost_getpc26423:
	s_add_u32 s14, s14, (.LBB2_24176-.Lpost_getpc26423)&4294967295
	s_addc_u32 s15, s15, (.LBB2_24176-.Lpost_getpc26423)>>32
	s_setpc_b64 s[14:15]
.LBB2_9838:
	s_or_b64 exec, exec, s[6:7]
	s_and_saveexec_b64 s[6:7], s[4:5]
	s_cbranch_execz .LBB2_9840
.LBB2_9839:
	v_bfe_u32 v4, v5, 8, 3
	v_ffbh_u32_e32 v7, v4
	v_min_u32_e32 v7, 32, v7
	v_lshrrev_b16_e32 v6, 3, v3
	v_subrev_u32_e32 v8, 28, v7
	v_and_b32_e32 v6, 15, v6
	v_lshlrev_b32_e32 v3, v8, v3
	v_sub_u32_e32 v7, 29, v7
	v_and_b32_e32 v3, 7, v3
	v_cmp_eq_u16_e32 vcc, 0, v6
	v_cndmask_b32_e32 v3, v4, v3, vcc
	v_cndmask_b32_e32 v4, v6, v7, vcc
	v_lshlrev_b32_e32 v6, 16, v5
	v_mov_b32_e32 v7, 0x3b800000
	v_lshlrev_b32_e32 v3, 20, v3
	v_and_b32_e32 v6, 0x80000000, v6
	v_lshl_add_u32 v4, v4, 23, v7
	v_or3_b32 v4, v6, v4, v3
.LBB2_9840:
	s_or_b64 exec, exec, s[6:7]
	s_nop 0
	v_mfma_f32_16x16x4f32 a[0:3], v2, v4, a[0:3]
	s_movk_i32 s4, 0xff
	v_and_b32_sdwa v3, v9, s4 dst_sel:DWORD dst_unused:UNUSED_PAD src0_sel:WORD_1 src1_sel:DWORD
	s_movk_i32 s4, 0x7f
	v_cmp_lt_i16_e32 vcc, s4, v3
	s_mov_b64 s[4:5], 0
                                        ; implicit-def: $sgpr10
	s_and_saveexec_b64 s[6:7], vcc
	s_xor_b64 s[6:7], exec, s[6:7]
	s_cbranch_execz .LBB2_9841
; %bb.45681:
	s_getpc_b64 s[14:15]
.Lpost_getpc26424:
	s_add_u32 s14, s14, (.LBB2_24177-.Lpost_getpc26424)&4294967295
	s_addc_u32 s15, s15, (.LBB2_24177-.Lpost_getpc26424)>>32
	s_setpc_b64 s[14:15]
.LBB2_9841:
	s_or_saveexec_b64 s[6:7], s[6:7]
	v_mov_b32_e32 v2, s10
	s_xor_b64 exec, exec, s[6:7]
	s_cbranch_execz .LBB2_9842
; %bb.45683:
	s_getpc_b64 s[14:15]
.Lpost_getpc26425:
	s_add_u32 s14, s14, (.LBB2_24180-.Lpost_getpc26425)&4294967295
	s_addc_u32 s15, s15, (.LBB2_24180-.Lpost_getpc26425)>>32
	s_setpc_b64 s[14:15]
.LBB2_9842:
	s_or_b64 exec, exec, s[6:7]
	s_and_saveexec_b64 s[6:7], s[4:5]
	s_cbranch_execz .LBB2_9844
.LBB2_9843:
	v_bfe_u32 v2, v9, 16, 3
	v_ffbh_u32_e32 v6, v2
	v_min_u32_e32 v6, 32, v6
	v_lshrrev_b32_e32 v3, 19, v9
	v_subrev_u32_e32 v7, 28, v6
	v_and_b32_e32 v3, 15, v3
	v_lshlrev_b32_sdwa v7, v7, v9 dst_sel:DWORD dst_unused:UNUSED_PAD src0_sel:DWORD src1_sel:WORD_1
	v_bfe_u32 v4, v9, 19, 4
	v_sub_u32_e32 v6, 29, v6
	v_and_b32_e32 v7, 7, v7
	v_cmp_eq_u16_e32 vcc, 0, v3
	v_cndmask_b32_e32 v2, v2, v7, vcc
	v_cndmask_b32_e32 v3, v4, v6, vcc
	v_lshlrev_b32_e32 v4, 8, v9
	v_mov_b32_e32 v6, 0x3b800000
	v_lshlrev_b32_e32 v2, 20, v2
	v_and_b32_e32 v4, 0x80000000, v4
	v_lshl_add_u32 v3, v3, 23, v6
	v_or3_b32 v2, v4, v3, v2
.LBB2_9844:
	s_or_b64 exec, exec, s[6:7]
	s_movk_i32 s4, 0xff
	v_and_b32_sdwa v3, v5, s4 dst_sel:DWORD dst_unused:UNUSED_PAD src0_sel:WORD_1 src1_sel:DWORD
	s_movk_i32 s4, 0x7f
	v_cmp_lt_i16_e32 vcc, s4, v3
	s_mov_b64 s[4:5], 0
                                        ; implicit-def: $sgpr10
	s_and_saveexec_b64 s[6:7], vcc
	s_xor_b64 s[6:7], exec, s[6:7]
	s_cbranch_execz .LBB2_9845
; %bb.45685:
	s_getpc_b64 s[14:15]
.Lpost_getpc26426:
	s_add_u32 s14, s14, (.LBB2_24181-.Lpost_getpc26426)&4294967295
	s_addc_u32 s15, s15, (.LBB2_24181-.Lpost_getpc26426)>>32
	s_setpc_b64 s[14:15]
.LBB2_9845:
	s_or_saveexec_b64 s[6:7], s[6:7]
	v_mov_b32_e32 v4, s10
	s_xor_b64 exec, exec, s[6:7]
	s_cbranch_execz .LBB2_9846
; %bb.45687:
	s_getpc_b64 s[14:15]
.Lpost_getpc26427:
	s_add_u32 s14, s14, (.LBB2_24184-.Lpost_getpc26427)&4294967295
	s_addc_u32 s15, s15, (.LBB2_24184-.Lpost_getpc26427)>>32
	s_setpc_b64 s[14:15]
.LBB2_9846:
	s_or_b64 exec, exec, s[6:7]
	s_and_saveexec_b64 s[6:7], s[4:5]
	s_cbranch_execz .LBB2_9848
.LBB2_9847:
	v_bfe_u32 v3, v5, 16, 3
	v_ffbh_u32_e32 v7, v3
	v_min_u32_e32 v7, 32, v7
	v_lshrrev_b32_e32 v4, 19, v5
	v_subrev_u32_e32 v8, 28, v7
	v_and_b32_e32 v4, 15, v4
	v_lshlrev_b32_sdwa v8, v8, v5 dst_sel:DWORD dst_unused:UNUSED_PAD src0_sel:DWORD src1_sel:WORD_1
	v_bfe_u32 v6, v5, 19, 4
	v_sub_u32_e32 v7, 29, v7
	v_and_b32_e32 v8, 7, v8
	v_cmp_eq_u16_e32 vcc, 0, v4
	v_cndmask_b32_e32 v3, v3, v8, vcc
	v_cndmask_b32_e32 v4, v6, v7, vcc
	v_lshlrev_b32_e32 v6, 8, v5
	v_mov_b32_e32 v7, 0x3b800000
	v_lshlrev_b32_e32 v3, 20, v3
	v_and_b32_e32 v6, 0x80000000, v6
	v_lshl_add_u32 v4, v4, 23, v7
	v_or3_b32 v4, v6, v4, v3
.LBB2_9848:
	s_or_b64 exec, exec, s[6:7]
	s_nop 0
	v_mfma_f32_16x16x4f32 a[0:3], v2, v4, a[0:3]
	s_movk_i32 s4, 0x7f
	v_cmp_gt_i16_sdwa s[6:7], v9, s4 src0_sel:BYTE_3 src1_sel:DWORD
	s_mov_b64 s[4:5], 0
                                        ; implicit-def: $sgpr10
	s_and_saveexec_b64 s[8:9], s[6:7]
	s_xor_b64 s[6:7], exec, s[8:9]
	s_cbranch_execz .LBB2_9849
; %bb.45689:
	s_getpc_b64 s[14:15]
.Lpost_getpc26428:
	s_add_u32 s14, s14, (.LBB2_24185-.Lpost_getpc26428)&4294967295
	s_addc_u32 s15, s15, (.LBB2_24185-.Lpost_getpc26428)>>32
	s_setpc_b64 s[14:15]
.LBB2_9849:
	s_or_saveexec_b64 s[6:7], s[6:7]
	v_mov_b32_e32 v2, s10
	s_xor_b64 exec, exec, s[6:7]
	s_cbranch_execz .LBB2_9850
; %bb.45691:
	s_getpc_b64 s[14:15]
.Lpost_getpc26429:
	s_add_u32 s14, s14, (.LBB2_24188-.Lpost_getpc26429)&4294967295
	s_addc_u32 s15, s15, (.LBB2_24188-.Lpost_getpc26429)>>32
	s_setpc_b64 s[14:15]
.LBB2_9850:
	s_or_b64 exec, exec, s[6:7]
	s_and_saveexec_b64 s[6:7], s[4:5]
	s_cbranch_execz .LBB2_9852
.LBB2_9851:
	v_bfe_u32 v2, v9, 24, 3
	v_ffbh_u32_e32 v7, v2
	v_min_u32_e32 v7, 32, v7
	v_lshrrev_b32_e32 v4, 27, v9
	v_subrev_u32_e32 v8, 28, v7
	v_and_b32_e32 v4, 15, v4
	v_lshlrev_b32_sdwa v8, v8, v9 dst_sel:DWORD dst_unused:UNUSED_PAD src0_sel:DWORD src1_sel:BYTE_3
	v_bfe_u32 v6, v9, 27, 4
	v_sub_u32_e32 v7, 29, v7
	v_and_b32_e32 v8, 7, v8
	v_cmp_eq_u16_e32 vcc, 0, v4
	v_cndmask_b32_e32 v2, v2, v8, vcc
	v_cndmask_b32_e32 v4, v6, v7, vcc
	v_mov_b32_e32 v6, 0x3b800000
	v_and_b32_e32 v3, 0x80000000, v9
	v_lshlrev_b32_e32 v2, 20, v2
	v_lshl_add_u32 v4, v4, 23, v6
	v_or3_b32 v2, v3, v4, v2
.LBB2_9852:
	s_or_b64 exec, exec, s[6:7]
	s_movk_i32 s4, 0x7f
	v_cmp_gt_i16_sdwa s[6:7], v5, s4 src0_sel:BYTE_3 src1_sel:DWORD
	s_mov_b64 s[4:5], 0
                                        ; implicit-def: $sgpr10
	s_and_saveexec_b64 s[8:9], s[6:7]
	s_xor_b64 s[6:7], exec, s[8:9]
	s_cbranch_execz .LBB2_9853
; %bb.45693:
	s_getpc_b64 s[14:15]
.Lpost_getpc26430:
	s_add_u32 s14, s14, (.LBB2_24189-.Lpost_getpc26430)&4294967295
	s_addc_u32 s15, s15, (.LBB2_24189-.Lpost_getpc26430)>>32
	s_setpc_b64 s[14:15]
.LBB2_9853:
	s_or_saveexec_b64 s[6:7], s[6:7]
	v_mov_b32_e32 v3, s10
	s_xor_b64 exec, exec, s[6:7]
	s_cbranch_execz .LBB2_9854
; %bb.45695:
	s_getpc_b64 s[14:15]
.Lpost_getpc26431:
	s_add_u32 s14, s14, (.LBB2_24192-.Lpost_getpc26431)&4294967295
	s_addc_u32 s15, s15, (.LBB2_24192-.Lpost_getpc26431)>>32
	s_setpc_b64 s[14:15]
.LBB2_9854:
	s_or_b64 exec, exec, s[6:7]
	s_and_saveexec_b64 s[6:7], s[4:5]
	s_cbranch_execz .LBB2_9856
.LBB2_9855:
	v_bfe_u32 v3, v5, 24, 3
	v_ffbh_u32_e32 v8, v3
	v_min_u32_e32 v8, 32, v8
	v_lshrrev_b32_e32 v6, 27, v5
	v_subrev_u32_e32 v9, 28, v8
	v_and_b32_e32 v4, 0x80000000, v5
	v_and_b32_e32 v6, 15, v6
	v_bfe_u32 v7, v5, 27, 4
	v_lshlrev_b32_sdwa v5, v9, v5 dst_sel:DWORD dst_unused:UNUSED_PAD src0_sel:DWORD src1_sel:BYTE_3
	v_sub_u32_e32 v8, 29, v8
	v_and_b32_e32 v5, 7, v5
	v_cmp_eq_u16_e32 vcc, 0, v6
	v_cndmask_b32_e32 v3, v3, v5, vcc
	v_cndmask_b32_e32 v5, v7, v8, vcc
	v_mov_b32_e32 v6, 0x3b800000
	v_lshlrev_b32_e32 v3, 20, v3
	v_lshl_add_u32 v5, v5, 23, v6
	v_or3_b32 v3, v4, v5, v3
.LBB2_9856:
	s_or_b64 exec, exec, s[6:7]
	s_nop 0
	v_mfma_f32_16x16x4f32 a[0:3], v2, v3, a[0:3]
	s_movk_i32 s4, 0x7f
                                        ; implicit-def: $sgpr10
	s_nop 7
	s_nop 1
	flat_store_dwordx4 v[10:11], a[0:3] offset:320
	flat_load_dwordx4 v[12:15], v[0:1]
	s_nop 0
	flat_load_dwordx2 v[10:11], v[0:1] offset:16
	s_waitcnt vmcnt(0) lgkmcnt(0)
	flat_load_dwordx4 v[6:9], v[12:13] offset:144
	flat_load_dwordx4 v[2:5], v[14:15] offset:208
	s_waitcnt vmcnt(0) lgkmcnt(0)
	v_cmp_gt_i16_sdwa s[6:7], v6, s4 src0_sel:BYTE_0 src1_sel:DWORD
	s_mov_b64 s[4:5], 0
	s_and_saveexec_b64 s[8:9], s[6:7]
	s_xor_b64 s[6:7], exec, s[8:9]
	s_cbranch_execz .LBB2_9857
; %bb.45697:
	s_getpc_b64 s[14:15]
.Lpost_getpc26432:
	s_add_u32 s14, s14, (.LBB2_24193-.Lpost_getpc26432)&4294967295
	s_addc_u32 s15, s15, (.LBB2_24193-.Lpost_getpc26432)>>32
	s_setpc_b64 s[14:15]
.LBB2_9857:
	s_or_saveexec_b64 s[6:7], s[6:7]
	v_mov_b32_e32 v12, s10
	s_xor_b64 exec, exec, s[6:7]
	s_cbranch_execz .LBB2_9858
; %bb.45699:
	s_getpc_b64 s[14:15]
.Lpost_getpc26433:
	s_add_u32 s14, s14, (.LBB2_24196-.Lpost_getpc26433)&4294967295
	s_addc_u32 s15, s15, (.LBB2_24196-.Lpost_getpc26433)>>32
	s_setpc_b64 s[14:15]
.LBB2_9858:
	s_or_b64 exec, exec, s[6:7]
	s_and_saveexec_b64 s[6:7], s[4:5]
	s_cbranch_execz .LBB2_9860
.LBB2_9859:
	v_and_b32_e32 v12, 7, v6
	v_ffbh_u32_e32 v14, v12
	v_min_u32_e32 v14, 32, v14
	v_lshrrev_b16_e32 v13, 3, v6
	v_subrev_u32_e32 v15, 28, v14
	v_and_b32_e32 v13, 15, v13
	v_lshlrev_b32_e32 v15, v15, v6
	v_sub_u32_e32 v14, 29, v14
	v_and_b32_e32 v15, 7, v15
	v_cmp_eq_u16_e32 vcc, 0, v13
	v_cndmask_b32_e32 v12, v12, v15, vcc
	v_cndmask_b32_e32 v13, v13, v14, vcc
	v_lshlrev_b32_e32 v14, 24, v6
	v_mov_b32_e32 v15, 0x3b800000
	v_lshlrev_b32_e32 v12, 20, v12
	v_and_b32_e32 v14, 0x80000000, v14
	v_lshl_add_u32 v13, v13, 23, v15
	v_or3_b32 v12, v14, v13, v12
.LBB2_9860:
	s_or_b64 exec, exec, s[6:7]
	s_movk_i32 s4, 0x7f
	v_cmp_gt_i16_sdwa s[6:7], v2, s4 src0_sel:BYTE_0 src1_sel:DWORD
	s_mov_b64 s[4:5], 0
                                        ; implicit-def: $sgpr10
	s_and_saveexec_b64 s[8:9], s[6:7]
	s_xor_b64 s[6:7], exec, s[8:9]
	s_cbranch_execz .LBB2_9861
; %bb.45701:
	s_getpc_b64 s[14:15]
.Lpost_getpc26434:
	s_add_u32 s14, s14, (.LBB2_24197-.Lpost_getpc26434)&4294967295
	s_addc_u32 s15, s15, (.LBB2_24197-.Lpost_getpc26434)>>32
	s_setpc_b64 s[14:15]
.LBB2_9861:
	s_or_saveexec_b64 s[6:7], s[6:7]
	v_mov_b32_e32 v13, s10
	s_xor_b64 exec, exec, s[6:7]
	s_cbranch_execz .LBB2_9862
; %bb.45703:
	s_getpc_b64 s[14:15]
.Lpost_getpc26435:
	s_add_u32 s14, s14, (.LBB2_24200-.Lpost_getpc26435)&4294967295
	s_addc_u32 s15, s15, (.LBB2_24200-.Lpost_getpc26435)>>32
	s_setpc_b64 s[14:15]
.LBB2_9862:
	s_or_b64 exec, exec, s[6:7]
	s_and_saveexec_b64 s[6:7], s[4:5]
	s_cbranch_execz .LBB2_9864
.LBB2_9863:
	v_and_b32_e32 v13, 7, v2
	v_ffbh_u32_e32 v15, v13
	v_min_u32_e32 v15, 32, v15
	v_lshrrev_b16_e32 v14, 3, v2
	v_subrev_u32_e32 v16, 28, v15
	v_and_b32_e32 v14, 15, v14
	v_lshlrev_b32_e32 v16, v16, v2
	v_sub_u32_e32 v15, 29, v15
	v_and_b32_e32 v16, 7, v16
	v_cmp_eq_u16_e32 vcc, 0, v14
	v_cndmask_b32_e32 v13, v13, v16, vcc
	v_cndmask_b32_e32 v14, v14, v15, vcc
	v_lshlrev_b32_e32 v15, 24, v2
	v_mov_b32_e32 v16, 0x3b800000
	v_lshlrev_b32_e32 v13, 20, v13
	v_and_b32_e32 v15, 0x80000000, v15
	v_lshl_add_u32 v14, v14, 23, v16
	v_or3_b32 v13, v15, v14, v13
.LBB2_9864:
	s_or_b64 exec, exec, s[6:7]
	flat_load_dwordx4 a[0:3], v[10:11] offset:336
	s_movk_i32 s4, 0x7f
                                        ; implicit-def: $sgpr10
	s_waitcnt vmcnt(0) lgkmcnt(0)
	v_mfma_f32_16x16x4f32 a[0:3], v12, v13, a[0:3]
	v_lshrrev_b32_e32 v13, 8, v6
	v_cmp_gt_i16_sdwa s[6:7], v13, s4 src0_sel:BYTE_0 src1_sel:DWORD
	s_mov_b64 s[4:5], 0
	s_and_saveexec_b64 s[8:9], s[6:7]
	s_xor_b64 s[6:7], exec, s[8:9]
	s_cbranch_execz .LBB2_9865
; %bb.45705:
	s_getpc_b64 s[14:15]
.Lpost_getpc26436:
	s_add_u32 s14, s14, (.LBB2_24201-.Lpost_getpc26436)&4294967295
	s_addc_u32 s15, s15, (.LBB2_24201-.Lpost_getpc26436)>>32
	s_setpc_b64 s[14:15]
.LBB2_9865:
	s_or_saveexec_b64 s[6:7], s[6:7]
	v_mov_b32_e32 v12, s10
	s_xor_b64 exec, exec, s[6:7]
	s_cbranch_execz .LBB2_9866
; %bb.45707:
	s_getpc_b64 s[14:15]
.Lpost_getpc26437:
	s_add_u32 s14, s14, (.LBB2_24204-.Lpost_getpc26437)&4294967295
	s_addc_u32 s15, s15, (.LBB2_24204-.Lpost_getpc26437)>>32
	s_setpc_b64 s[14:15]
.LBB2_9866:
	s_or_b64 exec, exec, s[6:7]
	s_and_saveexec_b64 s[6:7], s[4:5]
	s_cbranch_execz .LBB2_9868
.LBB2_9867:
	v_bfe_u32 v12, v6, 8, 3
	v_ffbh_u32_e32 v15, v12
	v_min_u32_e32 v15, 32, v15
	v_lshrrev_b16_e32 v14, 3, v13
	v_subrev_u32_e32 v16, 28, v15
	v_and_b32_e32 v14, 15, v14
	v_lshlrev_b32_e32 v13, v16, v13
	v_sub_u32_e32 v15, 29, v15
	v_and_b32_e32 v13, 7, v13
	v_cmp_eq_u16_e32 vcc, 0, v14
	v_cndmask_b32_e32 v12, v12, v13, vcc
	v_cndmask_b32_e32 v13, v14, v15, vcc
	v_lshlrev_b32_e32 v14, 16, v6
	v_mov_b32_e32 v15, 0x3b800000
	v_lshlrev_b32_e32 v12, 20, v12
	v_and_b32_e32 v14, 0x80000000, v14
	v_lshl_add_u32 v13, v13, 23, v15
	v_or3_b32 v12, v14, v13, v12
.LBB2_9868:
	s_or_b64 exec, exec, s[6:7]
	v_lshrrev_b32_e32 v13, 8, v2
	s_movk_i32 s4, 0x7f
	v_cmp_gt_i16_sdwa s[6:7], v13, s4 src0_sel:BYTE_0 src1_sel:DWORD
	s_mov_b64 s[4:5], 0
                                        ; implicit-def: $sgpr10
	s_and_saveexec_b64 s[8:9], s[6:7]
	s_xor_b64 s[6:7], exec, s[8:9]
	s_cbranch_execz .LBB2_9869
; %bb.45709:
	s_getpc_b64 s[14:15]
.Lpost_getpc26438:
	s_add_u32 s14, s14, (.LBB2_24205-.Lpost_getpc26438)&4294967295
	s_addc_u32 s15, s15, (.LBB2_24205-.Lpost_getpc26438)>>32
	s_setpc_b64 s[14:15]
.LBB2_9869:
	s_or_saveexec_b64 s[6:7], s[6:7]
	v_mov_b32_e32 v14, s10
	s_xor_b64 exec, exec, s[6:7]
	s_cbranch_execz .LBB2_9870
; %bb.45711:
	s_getpc_b64 s[14:15]
.Lpost_getpc26439:
	s_add_u32 s14, s14, (.LBB2_24208-.Lpost_getpc26439)&4294967295
	s_addc_u32 s15, s15, (.LBB2_24208-.Lpost_getpc26439)>>32
	s_setpc_b64 s[14:15]
.LBB2_9870:
	s_or_b64 exec, exec, s[6:7]
	s_and_saveexec_b64 s[6:7], s[4:5]
	s_cbranch_execz .LBB2_9872
.LBB2_9871:
	v_bfe_u32 v14, v2, 8, 3
	v_ffbh_u32_e32 v16, v14
	v_min_u32_e32 v16, 32, v16
	v_lshrrev_b16_e32 v15, 3, v13
	v_subrev_u32_e32 v17, 28, v16
	v_and_b32_e32 v15, 15, v15
	v_lshlrev_b32_e32 v13, v17, v13
	v_sub_u32_e32 v16, 29, v16
	v_and_b32_e32 v13, 7, v13
	v_cmp_eq_u16_e32 vcc, 0, v15
	v_cndmask_b32_e32 v13, v14, v13, vcc
	v_cndmask_b32_e32 v14, v15, v16, vcc
	v_lshlrev_b32_e32 v15, 16, v2
	v_mov_b32_e32 v16, 0x3b800000
	v_lshlrev_b32_e32 v13, 20, v13
	v_and_b32_e32 v15, 0x80000000, v15
	v_lshl_add_u32 v14, v14, 23, v16
	v_or3_b32 v14, v15, v14, v13
.LBB2_9872:
	s_or_b64 exec, exec, s[6:7]
	s_nop 0
	v_mfma_f32_16x16x4f32 a[0:3], v12, v14, a[0:3]
	s_movk_i32 s4, 0xff
	v_and_b32_sdwa v13, v6, s4 dst_sel:DWORD dst_unused:UNUSED_PAD src0_sel:WORD_1 src1_sel:DWORD
	s_movk_i32 s4, 0x7f
	v_cmp_lt_i16_e32 vcc, s4, v13
	s_mov_b64 s[4:5], 0
                                        ; implicit-def: $sgpr10
	s_and_saveexec_b64 s[6:7], vcc
	s_xor_b64 s[6:7], exec, s[6:7]
	s_cbranch_execz .LBB2_9873
; %bb.45713:
	s_getpc_b64 s[14:15]
.Lpost_getpc26440:
	s_add_u32 s14, s14, (.LBB2_24209-.Lpost_getpc26440)&4294967295
	s_addc_u32 s15, s15, (.LBB2_24209-.Lpost_getpc26440)>>32
	s_setpc_b64 s[14:15]
.LBB2_9873:
	s_or_saveexec_b64 s[6:7], s[6:7]
	v_mov_b32_e32 v12, s10
	s_xor_b64 exec, exec, s[6:7]
	s_cbranch_execz .LBB2_9874
; %bb.45715:
	s_getpc_b64 s[14:15]
.Lpost_getpc26441:
	s_add_u32 s14, s14, (.LBB2_24212-.Lpost_getpc26441)&4294967295
	s_addc_u32 s15, s15, (.LBB2_24212-.Lpost_getpc26441)>>32
	s_setpc_b64 s[14:15]
.LBB2_9874:
	s_or_b64 exec, exec, s[6:7]
	s_and_saveexec_b64 s[6:7], s[4:5]
	s_cbranch_execz .LBB2_9876
.LBB2_9875:
	v_bfe_u32 v12, v6, 16, 3
	v_ffbh_u32_e32 v15, v12
	v_min_u32_e32 v15, 32, v15
	v_lshrrev_b32_e32 v13, 19, v6
	v_subrev_u32_e32 v16, 28, v15
	v_and_b32_e32 v13, 15, v13
	v_lshlrev_b32_sdwa v16, v16, v6 dst_sel:DWORD dst_unused:UNUSED_PAD src0_sel:DWORD src1_sel:WORD_1
	v_bfe_u32 v14, v6, 19, 4
	v_sub_u32_e32 v15, 29, v15
	v_and_b32_e32 v16, 7, v16
	v_cmp_eq_u16_e32 vcc, 0, v13
	v_cndmask_b32_e32 v12, v12, v16, vcc
	v_cndmask_b32_e32 v13, v14, v15, vcc
	v_lshlrev_b32_e32 v14, 8, v6
	v_mov_b32_e32 v15, 0x3b800000
	v_lshlrev_b32_e32 v12, 20, v12
	v_and_b32_e32 v14, 0x80000000, v14
	v_lshl_add_u32 v13, v13, 23, v15
	v_or3_b32 v12, v14, v13, v12
.LBB2_9876:
	s_or_b64 exec, exec, s[6:7]
	s_movk_i32 s4, 0xff
	v_and_b32_sdwa v13, v2, s4 dst_sel:DWORD dst_unused:UNUSED_PAD src0_sel:WORD_1 src1_sel:DWORD
	s_movk_i32 s4, 0x7f
	v_cmp_lt_i16_e32 vcc, s4, v13
	s_mov_b64 s[4:5], 0
                                        ; implicit-def: $sgpr10
	s_and_saveexec_b64 s[6:7], vcc
	s_xor_b64 s[6:7], exec, s[6:7]
	s_cbranch_execz .LBB2_9877
; %bb.45717:
	s_getpc_b64 s[14:15]
.Lpost_getpc26442:
	s_add_u32 s14, s14, (.LBB2_24213-.Lpost_getpc26442)&4294967295
	s_addc_u32 s15, s15, (.LBB2_24213-.Lpost_getpc26442)>>32
	s_setpc_b64 s[14:15]
.LBB2_9877:
	s_or_saveexec_b64 s[6:7], s[6:7]
	v_mov_b32_e32 v14, s10
	s_xor_b64 exec, exec, s[6:7]
	s_cbranch_execz .LBB2_9878
; %bb.45719:
	s_getpc_b64 s[14:15]
.Lpost_getpc26443:
	s_add_u32 s14, s14, (.LBB2_24216-.Lpost_getpc26443)&4294967295
	s_addc_u32 s15, s15, (.LBB2_24216-.Lpost_getpc26443)>>32
	s_setpc_b64 s[14:15]
.LBB2_9878:
	s_or_b64 exec, exec, s[6:7]
	s_and_saveexec_b64 s[6:7], s[4:5]
	s_cbranch_execz .LBB2_9880
.LBB2_9879:
	v_bfe_u32 v13, v2, 16, 3
	v_ffbh_u32_e32 v16, v13
	v_min_u32_e32 v16, 32, v16
	v_lshrrev_b32_e32 v14, 19, v2
	v_subrev_u32_e32 v17, 28, v16
	v_and_b32_e32 v14, 15, v14
	v_lshlrev_b32_sdwa v17, v17, v2 dst_sel:DWORD dst_unused:UNUSED_PAD src0_sel:DWORD src1_sel:WORD_1
	v_bfe_u32 v15, v2, 19, 4
	v_sub_u32_e32 v16, 29, v16
	v_and_b32_e32 v17, 7, v17
	v_cmp_eq_u16_e32 vcc, 0, v14
	v_cndmask_b32_e32 v13, v13, v17, vcc
	v_cndmask_b32_e32 v14, v15, v16, vcc
	v_lshlrev_b32_e32 v15, 8, v2
	v_mov_b32_e32 v16, 0x3b800000
	v_lshlrev_b32_e32 v13, 20, v13
	v_and_b32_e32 v15, 0x80000000, v15
	v_lshl_add_u32 v14, v14, 23, v16
	v_or3_b32 v14, v15, v14, v13
.LBB2_9880:
	s_or_b64 exec, exec, s[6:7]
	s_nop 0
	v_mfma_f32_16x16x4f32 a[0:3], v12, v14, a[0:3]
	s_movk_i32 s4, 0x7f
	v_cmp_gt_i16_sdwa s[6:7], v6, s4 src0_sel:BYTE_3 src1_sel:DWORD
	s_mov_b64 s[4:5], 0
                                        ; implicit-def: $sgpr10
	s_and_saveexec_b64 s[8:9], s[6:7]
	s_xor_b64 s[6:7], exec, s[8:9]
	s_cbranch_execz .LBB2_9881
; %bb.45721:
	s_getpc_b64 s[14:15]
.Lpost_getpc26444:
	s_add_u32 s14, s14, (.LBB2_24217-.Lpost_getpc26444)&4294967295
	s_addc_u32 s15, s15, (.LBB2_24217-.Lpost_getpc26444)>>32
	s_setpc_b64 s[14:15]
.LBB2_9881:
	s_or_saveexec_b64 s[6:7], s[6:7]
	v_mov_b32_e32 v12, s10
	s_xor_b64 exec, exec, s[6:7]
	s_cbranch_execz .LBB2_9882
; %bb.45723:
	s_getpc_b64 s[14:15]
.Lpost_getpc26445:
	s_add_u32 s14, s14, (.LBB2_24220-.Lpost_getpc26445)&4294967295
	s_addc_u32 s15, s15, (.LBB2_24220-.Lpost_getpc26445)>>32
	s_setpc_b64 s[14:15]
.LBB2_9882:
	s_or_b64 exec, exec, s[6:7]
	s_and_saveexec_b64 s[6:7], s[4:5]
	s_cbranch_execz .LBB2_9884
.LBB2_9883:
	v_bfe_u32 v12, v6, 24, 3
	v_ffbh_u32_e32 v16, v12
	v_min_u32_e32 v16, 32, v16
	v_lshrrev_b32_e32 v14, 27, v6
	v_subrev_u32_e32 v17, 28, v16
	v_and_b32_e32 v13, 0x80000000, v6
	v_and_b32_e32 v14, 15, v14
	v_bfe_u32 v15, v6, 27, 4
	v_lshlrev_b32_sdwa v6, v17, v6 dst_sel:DWORD dst_unused:UNUSED_PAD src0_sel:DWORD src1_sel:BYTE_3
	v_sub_u32_e32 v16, 29, v16
	v_and_b32_e32 v6, 7, v6
	v_cmp_eq_u16_e32 vcc, 0, v14
	v_cndmask_b32_e32 v6, v12, v6, vcc
	v_cndmask_b32_e32 v12, v15, v16, vcc
	v_mov_b32_e32 v14, 0x3b800000
	v_lshlrev_b32_e32 v6, 20, v6
	v_lshl_add_u32 v12, v12, 23, v14
	v_or3_b32 v12, v13, v12, v6
.LBB2_9884:
	s_or_b64 exec, exec, s[6:7]
	s_movk_i32 s4, 0x7f
	v_cmp_gt_i16_sdwa s[6:7], v2, s4 src0_sel:BYTE_3 src1_sel:DWORD
	s_mov_b64 s[4:5], 0
                                        ; implicit-def: $sgpr10
	s_and_saveexec_b64 s[8:9], s[6:7]
	s_xor_b64 s[6:7], exec, s[8:9]
	s_cbranch_execz .LBB2_9885
; %bb.45725:
	s_getpc_b64 s[14:15]
.Lpost_getpc26446:
	s_add_u32 s14, s14, (.LBB2_24221-.Lpost_getpc26446)&4294967295
	s_addc_u32 s15, s15, (.LBB2_24221-.Lpost_getpc26446)>>32
	s_setpc_b64 s[14:15]
.LBB2_9885:
	s_or_saveexec_b64 s[6:7], s[6:7]
	v_mov_b32_e32 v6, s10
	s_xor_b64 exec, exec, s[6:7]
	s_cbranch_execz .LBB2_9886
; %bb.45727:
	s_getpc_b64 s[14:15]
.Lpost_getpc26447:
	s_add_u32 s14, s14, (.LBB2_24224-.Lpost_getpc26447)&4294967295
	s_addc_u32 s15, s15, (.LBB2_24224-.Lpost_getpc26447)>>32
	s_setpc_b64 s[14:15]
.LBB2_9886:
	s_or_b64 exec, exec, s[6:7]
	s_and_saveexec_b64 s[6:7], s[4:5]
	s_cbranch_execz .LBB2_9888
.LBB2_9887:
	v_bfe_u32 v6, v2, 24, 3
	v_ffbh_u32_e32 v16, v6
	v_min_u32_e32 v16, 32, v16
	v_lshrrev_b32_e32 v14, 27, v2
	v_subrev_u32_e32 v17, 28, v16
	v_and_b32_e32 v13, 0x80000000, v2
	v_and_b32_e32 v14, 15, v14
	v_bfe_u32 v15, v2, 27, 4
	v_lshlrev_b32_sdwa v2, v17, v2 dst_sel:DWORD dst_unused:UNUSED_PAD src0_sel:DWORD src1_sel:BYTE_3
	v_sub_u32_e32 v16, 29, v16
	v_and_b32_e32 v2, 7, v2
	v_cmp_eq_u16_e32 vcc, 0, v14
	v_cndmask_b32_e32 v2, v6, v2, vcc
	v_cndmask_b32_e32 v6, v15, v16, vcc
	v_mov_b32_e32 v14, 0x3b800000
	v_lshlrev_b32_e32 v2, 20, v2
	v_lshl_add_u32 v6, v6, 23, v14
	v_or3_b32 v6, v13, v6, v2
.LBB2_9888:
	s_or_b64 exec, exec, s[6:7]
	s_nop 0
	v_mfma_f32_16x16x4f32 a[0:3], v12, v6, a[0:3]
	s_movk_i32 s4, 0x7f
	v_cmp_gt_i16_sdwa s[6:7], v7, s4 src0_sel:BYTE_0 src1_sel:DWORD
	s_mov_b64 s[4:5], 0
                                        ; implicit-def: $sgpr10
	s_and_saveexec_b64 s[8:9], s[6:7]
	s_xor_b64 s[6:7], exec, s[8:9]
	s_cbranch_execz .LBB2_9889
; %bb.45729:
	s_getpc_b64 s[14:15]
.Lpost_getpc26448:
	s_add_u32 s14, s14, (.LBB2_24225-.Lpost_getpc26448)&4294967295
	s_addc_u32 s15, s15, (.LBB2_24225-.Lpost_getpc26448)>>32
	s_setpc_b64 s[14:15]
.LBB2_9889:
	s_or_saveexec_b64 s[6:7], s[6:7]
	v_mov_b32_e32 v2, s10
	s_xor_b64 exec, exec, s[6:7]
	s_cbranch_execz .LBB2_9890
; %bb.45731:
	s_getpc_b64 s[14:15]
.Lpost_getpc26449:
	s_add_u32 s14, s14, (.LBB2_24228-.Lpost_getpc26449)&4294967295
	s_addc_u32 s15, s15, (.LBB2_24228-.Lpost_getpc26449)>>32
	s_setpc_b64 s[14:15]
.LBB2_9890:
	s_or_b64 exec, exec, s[6:7]
	s_and_saveexec_b64 s[6:7], s[4:5]
	s_cbranch_execz .LBB2_9892
.LBB2_9891:
	v_and_b32_e32 v2, 7, v7
	v_ffbh_u32_e32 v12, v2
	v_min_u32_e32 v12, 32, v12
	v_lshrrev_b16_e32 v6, 3, v7
	v_subrev_u32_e32 v13, 28, v12
	v_and_b32_e32 v6, 15, v6
	v_lshlrev_b32_e32 v13, v13, v7
	v_sub_u32_e32 v12, 29, v12
	v_and_b32_e32 v13, 7, v13
	v_cmp_eq_u16_e32 vcc, 0, v6
	v_cndmask_b32_e32 v2, v2, v13, vcc
	v_cndmask_b32_e32 v6, v6, v12, vcc
	v_lshlrev_b32_e32 v12, 24, v7
	v_mov_b32_e32 v13, 0x3b800000
	v_lshlrev_b32_e32 v2, 20, v2
	v_and_b32_e32 v12, 0x80000000, v12
	v_lshl_add_u32 v6, v6, 23, v13
	v_or3_b32 v2, v12, v6, v2
.LBB2_9892:
	s_or_b64 exec, exec, s[6:7]
	s_movk_i32 s4, 0x7f
	v_cmp_gt_i16_sdwa s[6:7], v3, s4 src0_sel:BYTE_0 src1_sel:DWORD
	s_mov_b64 s[4:5], 0
                                        ; implicit-def: $sgpr10
	s_and_saveexec_b64 s[8:9], s[6:7]
	s_xor_b64 s[6:7], exec, s[8:9]
	s_cbranch_execz .LBB2_9893
; %bb.45733:
	s_getpc_b64 s[14:15]
.Lpost_getpc26450:
	s_add_u32 s14, s14, (.LBB2_24229-.Lpost_getpc26450)&4294967295
	s_addc_u32 s15, s15, (.LBB2_24229-.Lpost_getpc26450)>>32
	s_setpc_b64 s[14:15]
.LBB2_9893:
	s_or_saveexec_b64 s[6:7], s[6:7]
	v_mov_b32_e32 v6, s10
	s_xor_b64 exec, exec, s[6:7]
	s_cbranch_execz .LBB2_9894
; %bb.45735:
	s_getpc_b64 s[14:15]
.Lpost_getpc26451:
	s_add_u32 s14, s14, (.LBB2_24232-.Lpost_getpc26451)&4294967295
	s_addc_u32 s15, s15, (.LBB2_24232-.Lpost_getpc26451)>>32
	s_setpc_b64 s[14:15]
.LBB2_9894:
	s_or_b64 exec, exec, s[6:7]
	s_and_saveexec_b64 s[6:7], s[4:5]
	s_cbranch_execz .LBB2_9896
.LBB2_9895:
	v_and_b32_e32 v6, 7, v3
	v_ffbh_u32_e32 v13, v6
	v_min_u32_e32 v13, 32, v13
	v_lshrrev_b16_e32 v12, 3, v3
	v_subrev_u32_e32 v14, 28, v13
	v_and_b32_e32 v12, 15, v12
	v_lshlrev_b32_e32 v14, v14, v3
	v_sub_u32_e32 v13, 29, v13
	v_and_b32_e32 v14, 7, v14
	v_cmp_eq_u16_e32 vcc, 0, v12
	v_cndmask_b32_e32 v6, v6, v14, vcc
	v_cndmask_b32_e32 v12, v12, v13, vcc
	v_lshlrev_b32_e32 v13, 24, v3
	v_mov_b32_e32 v14, 0x3b800000
	v_lshlrev_b32_e32 v6, 20, v6
	v_and_b32_e32 v13, 0x80000000, v13
	v_lshl_add_u32 v12, v12, 23, v14
	v_or3_b32 v6, v13, v12, v6
.LBB2_9896:
	s_or_b64 exec, exec, s[6:7]
	s_nop 0
	v_mfma_f32_16x16x4f32 a[0:3], v2, v6, a[0:3]
	v_lshrrev_b32_e32 v6, 8, v7
	s_movk_i32 s4, 0x7f
	v_cmp_gt_i16_sdwa s[6:7], v6, s4 src0_sel:BYTE_0 src1_sel:DWORD
	s_mov_b64 s[4:5], 0
                                        ; implicit-def: $sgpr10
	s_and_saveexec_b64 s[8:9], s[6:7]
	s_xor_b64 s[6:7], exec, s[8:9]
	s_cbranch_execz .LBB2_9897
; %bb.45737:
	s_getpc_b64 s[14:15]
.Lpost_getpc26452:
	s_add_u32 s14, s14, (.LBB2_24233-.Lpost_getpc26452)&4294967295
	s_addc_u32 s15, s15, (.LBB2_24233-.Lpost_getpc26452)>>32
	s_setpc_b64 s[14:15]
.LBB2_9897:
	s_or_saveexec_b64 s[6:7], s[6:7]
	v_mov_b32_e32 v2, s10
	s_xor_b64 exec, exec, s[6:7]
	s_cbranch_execz .LBB2_9898
; %bb.45739:
	s_getpc_b64 s[14:15]
.Lpost_getpc26453:
	s_add_u32 s14, s14, (.LBB2_24236-.Lpost_getpc26453)&4294967295
	s_addc_u32 s15, s15, (.LBB2_24236-.Lpost_getpc26453)>>32
	s_setpc_b64 s[14:15]
.LBB2_9898:
	s_or_b64 exec, exec, s[6:7]
	s_and_saveexec_b64 s[6:7], s[4:5]
	s_cbranch_execz .LBB2_9900
.LBB2_9899:
	v_bfe_u32 v2, v7, 8, 3
	v_ffbh_u32_e32 v13, v2
	v_min_u32_e32 v13, 32, v13
	v_lshrrev_b16_e32 v12, 3, v6
	v_subrev_u32_e32 v14, 28, v13
	v_and_b32_e32 v12, 15, v12
	v_lshlrev_b32_e32 v6, v14, v6
	v_sub_u32_e32 v13, 29, v13
	v_and_b32_e32 v6, 7, v6
	v_cmp_eq_u16_e32 vcc, 0, v12
	v_cndmask_b32_e32 v2, v2, v6, vcc
	v_cndmask_b32_e32 v6, v12, v13, vcc
	v_lshlrev_b32_e32 v12, 16, v7
	v_mov_b32_e32 v13, 0x3b800000
	v_lshlrev_b32_e32 v2, 20, v2
	v_and_b32_e32 v12, 0x80000000, v12
	v_lshl_add_u32 v6, v6, 23, v13
	v_or3_b32 v2, v12, v6, v2
.LBB2_9900:
	s_or_b64 exec, exec, s[6:7]
	v_lshrrev_b32_e32 v6, 8, v3
	s_movk_i32 s4, 0x7f
	v_cmp_gt_i16_sdwa s[6:7], v6, s4 src0_sel:BYTE_0 src1_sel:DWORD
	s_mov_b64 s[4:5], 0
                                        ; implicit-def: $sgpr10
	s_and_saveexec_b64 s[8:9], s[6:7]
	s_xor_b64 s[6:7], exec, s[8:9]
	s_cbranch_execz .LBB2_9901
; %bb.45741:
	s_getpc_b64 s[14:15]
.Lpost_getpc26454:
	s_add_u32 s14, s14, (.LBB2_24237-.Lpost_getpc26454)&4294967295
	s_addc_u32 s15, s15, (.LBB2_24237-.Lpost_getpc26454)>>32
	s_setpc_b64 s[14:15]
.LBB2_9901:
	s_or_saveexec_b64 s[6:7], s[6:7]
	v_mov_b32_e32 v12, s10
	s_xor_b64 exec, exec, s[6:7]
	s_cbranch_execz .LBB2_9902
; %bb.45743:
	s_getpc_b64 s[14:15]
.Lpost_getpc26455:
	s_add_u32 s14, s14, (.LBB2_24240-.Lpost_getpc26455)&4294967295
	s_addc_u32 s15, s15, (.LBB2_24240-.Lpost_getpc26455)>>32
	s_setpc_b64 s[14:15]
.LBB2_9902:
	s_or_b64 exec, exec, s[6:7]
	s_and_saveexec_b64 s[6:7], s[4:5]
	s_cbranch_execz .LBB2_9904
.LBB2_9903:
	v_bfe_u32 v12, v3, 8, 3
	v_ffbh_u32_e32 v14, v12
	v_min_u32_e32 v14, 32, v14
	v_lshrrev_b16_e32 v13, 3, v6
	v_subrev_u32_e32 v15, 28, v14
	v_and_b32_e32 v13, 15, v13
	v_lshlrev_b32_e32 v6, v15, v6
	v_sub_u32_e32 v14, 29, v14
	v_and_b32_e32 v6, 7, v6
	v_cmp_eq_u16_e32 vcc, 0, v13
	v_cndmask_b32_e32 v6, v12, v6, vcc
	v_cndmask_b32_e32 v12, v13, v14, vcc
	v_lshlrev_b32_e32 v13, 16, v3
	v_mov_b32_e32 v14, 0x3b800000
	v_lshlrev_b32_e32 v6, 20, v6
	v_and_b32_e32 v13, 0x80000000, v13
	v_lshl_add_u32 v12, v12, 23, v14
	v_or3_b32 v12, v13, v12, v6
.LBB2_9904:
	s_or_b64 exec, exec, s[6:7]
	s_nop 0
	v_mfma_f32_16x16x4f32 a[0:3], v2, v12, a[0:3]
	s_movk_i32 s4, 0xff
	v_and_b32_sdwa v6, v7, s4 dst_sel:DWORD dst_unused:UNUSED_PAD src0_sel:WORD_1 src1_sel:DWORD
	s_movk_i32 s4, 0x7f
	v_cmp_lt_i16_e32 vcc, s4, v6
	s_mov_b64 s[4:5], 0
                                        ; implicit-def: $sgpr10
	s_and_saveexec_b64 s[6:7], vcc
	s_xor_b64 s[6:7], exec, s[6:7]
	s_cbranch_execz .LBB2_9905
; %bb.45745:
	s_getpc_b64 s[14:15]
.Lpost_getpc26456:
	s_add_u32 s14, s14, (.LBB2_24241-.Lpost_getpc26456)&4294967295
	s_addc_u32 s15, s15, (.LBB2_24241-.Lpost_getpc26456)>>32
	s_setpc_b64 s[14:15]
.LBB2_9905:
	s_or_saveexec_b64 s[6:7], s[6:7]
	v_mov_b32_e32 v2, s10
	s_xor_b64 exec, exec, s[6:7]
	s_cbranch_execz .LBB2_9906
; %bb.45747:
	s_getpc_b64 s[14:15]
.Lpost_getpc26457:
	s_add_u32 s14, s14, (.LBB2_24244-.Lpost_getpc26457)&4294967295
	s_addc_u32 s15, s15, (.LBB2_24244-.Lpost_getpc26457)>>32
	s_setpc_b64 s[14:15]
.LBB2_9906:
	s_or_b64 exec, exec, s[6:7]
	s_and_saveexec_b64 s[6:7], s[4:5]
	s_cbranch_execz .LBB2_9908
.LBB2_9907:
	v_bfe_u32 v2, v7, 16, 3
	v_ffbh_u32_e32 v13, v2
	v_min_u32_e32 v13, 32, v13
	v_lshrrev_b32_e32 v6, 19, v7
	v_subrev_u32_e32 v14, 28, v13
	v_and_b32_e32 v6, 15, v6
	v_lshlrev_b32_sdwa v14, v14, v7 dst_sel:DWORD dst_unused:UNUSED_PAD src0_sel:DWORD src1_sel:WORD_1
	v_bfe_u32 v12, v7, 19, 4
	v_sub_u32_e32 v13, 29, v13
	v_and_b32_e32 v14, 7, v14
	v_cmp_eq_u16_e32 vcc, 0, v6
	v_cndmask_b32_e32 v2, v2, v14, vcc
	v_cndmask_b32_e32 v6, v12, v13, vcc
	v_lshlrev_b32_e32 v12, 8, v7
	v_mov_b32_e32 v13, 0x3b800000
	v_lshlrev_b32_e32 v2, 20, v2
	v_and_b32_e32 v12, 0x80000000, v12
	v_lshl_add_u32 v6, v6, 23, v13
	v_or3_b32 v2, v12, v6, v2
.LBB2_9908:
	s_or_b64 exec, exec, s[6:7]
	s_movk_i32 s4, 0xff
	v_and_b32_sdwa v6, v3, s4 dst_sel:DWORD dst_unused:UNUSED_PAD src0_sel:WORD_1 src1_sel:DWORD
	s_movk_i32 s4, 0x7f
	v_cmp_lt_i16_e32 vcc, s4, v6
	s_mov_b64 s[4:5], 0
                                        ; implicit-def: $sgpr10
	s_and_saveexec_b64 s[6:7], vcc
	s_xor_b64 s[6:7], exec, s[6:7]
	s_cbranch_execz .LBB2_9909
; %bb.45749:
	s_getpc_b64 s[14:15]
.Lpost_getpc26458:
	s_add_u32 s14, s14, (.LBB2_24245-.Lpost_getpc26458)&4294967295
	s_addc_u32 s15, s15, (.LBB2_24245-.Lpost_getpc26458)>>32
	s_setpc_b64 s[14:15]
.LBB2_9909:
	s_or_saveexec_b64 s[6:7], s[6:7]
	v_mov_b32_e32 v12, s10
	s_xor_b64 exec, exec, s[6:7]
	s_cbranch_execz .LBB2_9910
; %bb.45751:
	s_getpc_b64 s[14:15]
.Lpost_getpc26459:
	s_add_u32 s14, s14, (.LBB2_24248-.Lpost_getpc26459)&4294967295
	s_addc_u32 s15, s15, (.LBB2_24248-.Lpost_getpc26459)>>32
	s_setpc_b64 s[14:15]
.LBB2_9910:
	s_or_b64 exec, exec, s[6:7]
	s_and_saveexec_b64 s[6:7], s[4:5]
	s_cbranch_execz .LBB2_9912
.LBB2_9911:
	v_bfe_u32 v6, v3, 16, 3
	v_ffbh_u32_e32 v14, v6
	v_min_u32_e32 v14, 32, v14
	v_lshrrev_b32_e32 v12, 19, v3
	v_subrev_u32_e32 v15, 28, v14
	v_and_b32_e32 v12, 15, v12
	v_lshlrev_b32_sdwa v15, v15, v3 dst_sel:DWORD dst_unused:UNUSED_PAD src0_sel:DWORD src1_sel:WORD_1
	v_bfe_u32 v13, v3, 19, 4
	v_sub_u32_e32 v14, 29, v14
	v_and_b32_e32 v15, 7, v15
	v_cmp_eq_u16_e32 vcc, 0, v12
	v_cndmask_b32_e32 v6, v6, v15, vcc
	v_cndmask_b32_e32 v12, v13, v14, vcc
	v_lshlrev_b32_e32 v13, 8, v3
	v_mov_b32_e32 v14, 0x3b800000
	v_lshlrev_b32_e32 v6, 20, v6
	v_and_b32_e32 v13, 0x80000000, v13
	v_lshl_add_u32 v12, v12, 23, v14
	v_or3_b32 v12, v13, v12, v6
.LBB2_9912:
	s_or_b64 exec, exec, s[6:7]
	s_nop 0
	v_mfma_f32_16x16x4f32 a[0:3], v2, v12, a[0:3]
	s_movk_i32 s4, 0x7f
	v_cmp_gt_i16_sdwa s[6:7], v7, s4 src0_sel:BYTE_3 src1_sel:DWORD
	s_mov_b64 s[4:5], 0
                                        ; implicit-def: $sgpr10
	s_and_saveexec_b64 s[8:9], s[6:7]
	s_xor_b64 s[6:7], exec, s[8:9]
	s_cbranch_execz .LBB2_9913
; %bb.45753:
	s_getpc_b64 s[14:15]
.Lpost_getpc26460:
	s_add_u32 s14, s14, (.LBB2_24249-.Lpost_getpc26460)&4294967295
	s_addc_u32 s15, s15, (.LBB2_24249-.Lpost_getpc26460)>>32
	s_setpc_b64 s[14:15]
.LBB2_9913:
	s_or_saveexec_b64 s[6:7], s[6:7]
	v_mov_b32_e32 v2, s10
	s_xor_b64 exec, exec, s[6:7]
	s_cbranch_execz .LBB2_9914
; %bb.45755:
	s_getpc_b64 s[14:15]
.Lpost_getpc26461:
	s_add_u32 s14, s14, (.LBB2_24252-.Lpost_getpc26461)&4294967295
	s_addc_u32 s15, s15, (.LBB2_24252-.Lpost_getpc26461)>>32
	s_setpc_b64 s[14:15]
.LBB2_9914:
	s_or_b64 exec, exec, s[6:7]
	s_and_saveexec_b64 s[6:7], s[4:5]
	s_cbranch_execz .LBB2_9916
.LBB2_9915:
	v_bfe_u32 v2, v7, 24, 3
	v_ffbh_u32_e32 v14, v2
	v_min_u32_e32 v14, 32, v14
	v_lshrrev_b32_e32 v12, 27, v7
	v_subrev_u32_e32 v15, 28, v14
	v_and_b32_e32 v6, 0x80000000, v7
	v_and_b32_e32 v12, 15, v12
	v_bfe_u32 v13, v7, 27, 4
	v_lshlrev_b32_sdwa v7, v15, v7 dst_sel:DWORD dst_unused:UNUSED_PAD src0_sel:DWORD src1_sel:BYTE_3
	v_sub_u32_e32 v14, 29, v14
	v_and_b32_e32 v7, 7, v7
	v_cmp_eq_u16_e32 vcc, 0, v12
	v_cndmask_b32_e32 v2, v2, v7, vcc
	v_cndmask_b32_e32 v7, v13, v14, vcc
	v_mov_b32_e32 v12, 0x3b800000
	v_lshlrev_b32_e32 v2, 20, v2
	v_lshl_add_u32 v7, v7, 23, v12
	v_or3_b32 v2, v6, v7, v2
.LBB2_9916:
	s_or_b64 exec, exec, s[6:7]
	s_movk_i32 s4, 0x7f
	v_cmp_gt_i16_sdwa s[6:7], v3, s4 src0_sel:BYTE_3 src1_sel:DWORD
	s_mov_b64 s[4:5], 0
                                        ; implicit-def: $sgpr10
	s_and_saveexec_b64 s[8:9], s[6:7]
	s_xor_b64 s[6:7], exec, s[8:9]
	s_cbranch_execz .LBB2_9917
; %bb.45757:
	s_getpc_b64 s[14:15]
.Lpost_getpc26462:
	s_add_u32 s14, s14, (.LBB2_24253-.Lpost_getpc26462)&4294967295
	s_addc_u32 s15, s15, (.LBB2_24253-.Lpost_getpc26462)>>32
	s_setpc_b64 s[14:15]
.LBB2_9917:
	s_or_saveexec_b64 s[6:7], s[6:7]
	v_mov_b32_e32 v6, s10
	s_xor_b64 exec, exec, s[6:7]
	s_cbranch_execz .LBB2_9918
; %bb.45759:
	s_getpc_b64 s[14:15]
.Lpost_getpc26463:
	s_add_u32 s14, s14, (.LBB2_24256-.Lpost_getpc26463)&4294967295
	s_addc_u32 s15, s15, (.LBB2_24256-.Lpost_getpc26463)>>32
	s_setpc_b64 s[14:15]
.LBB2_9918:
	s_or_b64 exec, exec, s[6:7]
	s_and_saveexec_b64 s[6:7], s[4:5]
	s_cbranch_execz .LBB2_9920
.LBB2_9919:
	v_bfe_u32 v6, v3, 24, 3
	v_ffbh_u32_e32 v14, v6
	v_min_u32_e32 v14, 32, v14
	v_lshrrev_b32_e32 v12, 27, v3
	v_subrev_u32_e32 v15, 28, v14
	v_and_b32_e32 v7, 0x80000000, v3
	v_and_b32_e32 v12, 15, v12
	v_bfe_u32 v13, v3, 27, 4
	v_lshlrev_b32_sdwa v3, v15, v3 dst_sel:DWORD dst_unused:UNUSED_PAD src0_sel:DWORD src1_sel:BYTE_3
	v_sub_u32_e32 v14, 29, v14
	v_and_b32_e32 v3, 7, v3
	v_cmp_eq_u16_e32 vcc, 0, v12
	v_cndmask_b32_e32 v3, v6, v3, vcc
	v_cndmask_b32_e32 v6, v13, v14, vcc
	v_mov_b32_e32 v12, 0x3b800000
	v_lshlrev_b32_e32 v3, 20, v3
	v_lshl_add_u32 v6, v6, 23, v12
	v_or3_b32 v6, v7, v6, v3
.LBB2_9920:
	s_or_b64 exec, exec, s[6:7]
	s_nop 0
	v_mfma_f32_16x16x4f32 a[0:3], v2, v6, a[0:3]
	s_movk_i32 s4, 0x7f
	v_cmp_gt_i16_sdwa s[6:7], v8, s4 src0_sel:BYTE_0 src1_sel:DWORD
	s_mov_b64 s[4:5], 0
                                        ; implicit-def: $sgpr10
	s_and_saveexec_b64 s[8:9], s[6:7]
	s_xor_b64 s[6:7], exec, s[8:9]
	s_cbranch_execz .LBB2_9921
; %bb.45761:
	s_getpc_b64 s[14:15]
.Lpost_getpc26464:
	s_add_u32 s14, s14, (.LBB2_24257-.Lpost_getpc26464)&4294967295
	s_addc_u32 s15, s15, (.LBB2_24257-.Lpost_getpc26464)>>32
	s_setpc_b64 s[14:15]
.LBB2_9921:
	s_or_saveexec_b64 s[6:7], s[6:7]
	v_mov_b32_e32 v2, s10
	s_xor_b64 exec, exec, s[6:7]
	s_cbranch_execz .LBB2_9922
; %bb.45763:
	s_getpc_b64 s[14:15]
.Lpost_getpc26465:
	s_add_u32 s14, s14, (.LBB2_24260-.Lpost_getpc26465)&4294967295
	s_addc_u32 s15, s15, (.LBB2_24260-.Lpost_getpc26465)>>32
	s_setpc_b64 s[14:15]
.LBB2_9922:
	s_or_b64 exec, exec, s[6:7]
	s_and_saveexec_b64 s[6:7], s[4:5]
	s_cbranch_execz .LBB2_9924
.LBB2_9923:
	v_and_b32_e32 v2, 7, v8
	v_ffbh_u32_e32 v6, v2
	v_min_u32_e32 v6, 32, v6
	v_lshrrev_b16_e32 v3, 3, v8
	v_subrev_u32_e32 v7, 28, v6
	v_and_b32_e32 v3, 15, v3
	v_lshlrev_b32_e32 v7, v7, v8
	v_sub_u32_e32 v6, 29, v6
	v_and_b32_e32 v7, 7, v7
	v_cmp_eq_u16_e32 vcc, 0, v3
	v_cndmask_b32_e32 v2, v2, v7, vcc
	v_cndmask_b32_e32 v3, v3, v6, vcc
	v_lshlrev_b32_e32 v6, 24, v8
	v_mov_b32_e32 v7, 0x3b800000
	v_lshlrev_b32_e32 v2, 20, v2
	v_and_b32_e32 v6, 0x80000000, v6
	v_lshl_add_u32 v3, v3, 23, v7
	v_or3_b32 v2, v6, v3, v2
.LBB2_9924:
	s_or_b64 exec, exec, s[6:7]
	s_movk_i32 s4, 0x7f
	v_cmp_gt_i16_sdwa s[6:7], v4, s4 src0_sel:BYTE_0 src1_sel:DWORD
	s_mov_b64 s[4:5], 0
                                        ; implicit-def: $sgpr10
	s_and_saveexec_b64 s[8:9], s[6:7]
	s_xor_b64 s[6:7], exec, s[8:9]
	s_cbranch_execz .LBB2_9925
; %bb.45765:
	s_getpc_b64 s[14:15]
.Lpost_getpc26466:
	s_add_u32 s14, s14, (.LBB2_24261-.Lpost_getpc26466)&4294967295
	s_addc_u32 s15, s15, (.LBB2_24261-.Lpost_getpc26466)>>32
	s_setpc_b64 s[14:15]
.LBB2_9925:
	s_or_saveexec_b64 s[6:7], s[6:7]
	v_mov_b32_e32 v3, s10
	s_xor_b64 exec, exec, s[6:7]
	s_cbranch_execz .LBB2_9926
; %bb.45767:
	s_getpc_b64 s[14:15]
.Lpost_getpc26467:
	s_add_u32 s14, s14, (.LBB2_24264-.Lpost_getpc26467)&4294967295
	s_addc_u32 s15, s15, (.LBB2_24264-.Lpost_getpc26467)>>32
	s_setpc_b64 s[14:15]
.LBB2_9926:
	s_or_b64 exec, exec, s[6:7]
	s_and_saveexec_b64 s[6:7], s[4:5]
	s_cbranch_execz .LBB2_9928
.LBB2_9927:
	v_and_b32_e32 v3, 7, v4
	v_ffbh_u32_e32 v7, v3
	v_min_u32_e32 v7, 32, v7
	v_lshrrev_b16_e32 v6, 3, v4
	v_subrev_u32_e32 v12, 28, v7
	v_and_b32_e32 v6, 15, v6
	v_lshlrev_b32_e32 v12, v12, v4
	v_sub_u32_e32 v7, 29, v7
	v_and_b32_e32 v12, 7, v12
	v_cmp_eq_u16_e32 vcc, 0, v6
	v_cndmask_b32_e32 v3, v3, v12, vcc
	v_cndmask_b32_e32 v6, v6, v7, vcc
	v_lshlrev_b32_e32 v7, 24, v4
	v_mov_b32_e32 v12, 0x3b800000
	v_lshlrev_b32_e32 v3, 20, v3
	v_and_b32_e32 v7, 0x80000000, v7
	v_lshl_add_u32 v6, v6, 23, v12
	v_or3_b32 v3, v7, v6, v3
.LBB2_9928:
	s_or_b64 exec, exec, s[6:7]
	s_nop 0
	v_mfma_f32_16x16x4f32 a[0:3], v2, v3, a[0:3]
	v_lshrrev_b32_e32 v3, 8, v8
	s_movk_i32 s4, 0x7f
	v_cmp_gt_i16_sdwa s[6:7], v3, s4 src0_sel:BYTE_0 src1_sel:DWORD
	s_mov_b64 s[4:5], 0
                                        ; implicit-def: $sgpr10
	s_and_saveexec_b64 s[8:9], s[6:7]
	s_xor_b64 s[6:7], exec, s[8:9]
	s_cbranch_execz .LBB2_9929
; %bb.45769:
	s_getpc_b64 s[14:15]
.Lpost_getpc26468:
	s_add_u32 s14, s14, (.LBB2_24265-.Lpost_getpc26468)&4294967295
	s_addc_u32 s15, s15, (.LBB2_24265-.Lpost_getpc26468)>>32
	s_setpc_b64 s[14:15]
.LBB2_9929:
	s_or_saveexec_b64 s[6:7], s[6:7]
	v_mov_b32_e32 v2, s10
	s_xor_b64 exec, exec, s[6:7]
	s_cbranch_execz .LBB2_9930
; %bb.45771:
	s_getpc_b64 s[14:15]
.Lpost_getpc26469:
	s_add_u32 s14, s14, (.LBB2_24268-.Lpost_getpc26469)&4294967295
	s_addc_u32 s15, s15, (.LBB2_24268-.Lpost_getpc26469)>>32
	s_setpc_b64 s[14:15]
.LBB2_9930:
	s_or_b64 exec, exec, s[6:7]
	s_and_saveexec_b64 s[6:7], s[4:5]
	s_cbranch_execz .LBB2_9932
.LBB2_9931:
	v_bfe_u32 v2, v8, 8, 3
	v_ffbh_u32_e32 v7, v2
	v_min_u32_e32 v7, 32, v7
	v_lshrrev_b16_e32 v6, 3, v3
	v_subrev_u32_e32 v12, 28, v7
	v_and_b32_e32 v6, 15, v6
	v_lshlrev_b32_e32 v3, v12, v3
	v_sub_u32_e32 v7, 29, v7
	v_and_b32_e32 v3, 7, v3
	v_cmp_eq_u16_e32 vcc, 0, v6
	v_cndmask_b32_e32 v2, v2, v3, vcc
	v_cndmask_b32_e32 v3, v6, v7, vcc
	v_lshlrev_b32_e32 v6, 16, v8
	v_mov_b32_e32 v7, 0x3b800000
	v_lshlrev_b32_e32 v2, 20, v2
	v_and_b32_e32 v6, 0x80000000, v6
	v_lshl_add_u32 v3, v3, 23, v7
	v_or3_b32 v2, v6, v3, v2
.LBB2_9932:
	s_or_b64 exec, exec, s[6:7]
	v_lshrrev_b32_e32 v3, 8, v4
	s_movk_i32 s4, 0x7f
	v_cmp_gt_i16_sdwa s[6:7], v3, s4 src0_sel:BYTE_0 src1_sel:DWORD
	s_mov_b64 s[4:5], 0
                                        ; implicit-def: $sgpr10
	s_and_saveexec_b64 s[8:9], s[6:7]
	s_xor_b64 s[6:7], exec, s[8:9]
	s_cbranch_execz .LBB2_9933
; %bb.45773:
	s_getpc_b64 s[14:15]
.Lpost_getpc26470:
	s_add_u32 s14, s14, (.LBB2_24269-.Lpost_getpc26470)&4294967295
	s_addc_u32 s15, s15, (.LBB2_24269-.Lpost_getpc26470)>>32
	s_setpc_b64 s[14:15]
.LBB2_9933:
	s_or_saveexec_b64 s[6:7], s[6:7]
	v_mov_b32_e32 v6, s10
	s_xor_b64 exec, exec, s[6:7]
	s_cbranch_execz .LBB2_9934
; %bb.45775:
	s_getpc_b64 s[14:15]
.Lpost_getpc26471:
	s_add_u32 s14, s14, (.LBB2_24272-.Lpost_getpc26471)&4294967295
	s_addc_u32 s15, s15, (.LBB2_24272-.Lpost_getpc26471)>>32
	s_setpc_b64 s[14:15]
.LBB2_9934:
	s_or_b64 exec, exec, s[6:7]
	s_and_saveexec_b64 s[6:7], s[4:5]
	s_cbranch_execz .LBB2_9936
.LBB2_9935:
	v_bfe_u32 v6, v4, 8, 3
	v_ffbh_u32_e32 v12, v6
	v_min_u32_e32 v12, 32, v12
	v_lshrrev_b16_e32 v7, 3, v3
	v_subrev_u32_e32 v13, 28, v12
	v_and_b32_e32 v7, 15, v7
	v_lshlrev_b32_e32 v3, v13, v3
	v_sub_u32_e32 v12, 29, v12
	v_and_b32_e32 v3, 7, v3
	v_cmp_eq_u16_e32 vcc, 0, v7
	v_cndmask_b32_e32 v3, v6, v3, vcc
	v_cndmask_b32_e32 v6, v7, v12, vcc
	v_lshlrev_b32_e32 v7, 16, v4
	v_mov_b32_e32 v12, 0x3b800000
	v_lshlrev_b32_e32 v3, 20, v3
	v_and_b32_e32 v7, 0x80000000, v7
	v_lshl_add_u32 v6, v6, 23, v12
	v_or3_b32 v6, v7, v6, v3
.LBB2_9936:
	s_or_b64 exec, exec, s[6:7]
	s_nop 0
	v_mfma_f32_16x16x4f32 a[0:3], v2, v6, a[0:3]
	s_movk_i32 s4, 0xff
	v_and_b32_sdwa v3, v8, s4 dst_sel:DWORD dst_unused:UNUSED_PAD src0_sel:WORD_1 src1_sel:DWORD
	s_movk_i32 s4, 0x7f
	v_cmp_lt_i16_e32 vcc, s4, v3
	s_mov_b64 s[4:5], 0
                                        ; implicit-def: $sgpr10
	s_and_saveexec_b64 s[6:7], vcc
	s_xor_b64 s[6:7], exec, s[6:7]
	s_cbranch_execz .LBB2_9937
; %bb.45777:
	s_getpc_b64 s[14:15]
.Lpost_getpc26472:
	s_add_u32 s14, s14, (.LBB2_24273-.Lpost_getpc26472)&4294967295
	s_addc_u32 s15, s15, (.LBB2_24273-.Lpost_getpc26472)>>32
	s_setpc_b64 s[14:15]
.LBB2_9937:
	s_or_saveexec_b64 s[6:7], s[6:7]
	v_mov_b32_e32 v2, s10
	s_xor_b64 exec, exec, s[6:7]
	s_cbranch_execz .LBB2_9938
; %bb.45779:
	s_getpc_b64 s[14:15]
.Lpost_getpc26473:
	s_add_u32 s14, s14, (.LBB2_24276-.Lpost_getpc26473)&4294967295
	s_addc_u32 s15, s15, (.LBB2_24276-.Lpost_getpc26473)>>32
	s_setpc_b64 s[14:15]
.LBB2_9938:
	s_or_b64 exec, exec, s[6:7]
	s_and_saveexec_b64 s[6:7], s[4:5]
	s_cbranch_execz .LBB2_9940
.LBB2_9939:
	v_bfe_u32 v2, v8, 16, 3
	v_ffbh_u32_e32 v7, v2
	v_min_u32_e32 v7, 32, v7
	v_lshrrev_b32_e32 v3, 19, v8
	v_subrev_u32_e32 v12, 28, v7
	v_and_b32_e32 v3, 15, v3
	v_lshlrev_b32_sdwa v12, v12, v8 dst_sel:DWORD dst_unused:UNUSED_PAD src0_sel:DWORD src1_sel:WORD_1
	v_bfe_u32 v6, v8, 19, 4
	v_sub_u32_e32 v7, 29, v7
	v_and_b32_e32 v12, 7, v12
	v_cmp_eq_u16_e32 vcc, 0, v3
	v_cndmask_b32_e32 v2, v2, v12, vcc
	v_cndmask_b32_e32 v3, v6, v7, vcc
	v_lshlrev_b32_e32 v6, 8, v8
	v_mov_b32_e32 v7, 0x3b800000
	v_lshlrev_b32_e32 v2, 20, v2
	v_and_b32_e32 v6, 0x80000000, v6
	v_lshl_add_u32 v3, v3, 23, v7
	v_or3_b32 v2, v6, v3, v2
.LBB2_9940:
	s_or_b64 exec, exec, s[6:7]
	s_movk_i32 s4, 0xff
	v_and_b32_sdwa v3, v4, s4 dst_sel:DWORD dst_unused:UNUSED_PAD src0_sel:WORD_1 src1_sel:DWORD
	s_movk_i32 s4, 0x7f
	v_cmp_lt_i16_e32 vcc, s4, v3
	s_mov_b64 s[4:5], 0
                                        ; implicit-def: $sgpr10
	s_and_saveexec_b64 s[6:7], vcc
	s_xor_b64 s[6:7], exec, s[6:7]
	s_cbranch_execz .LBB2_9941
; %bb.45781:
	s_getpc_b64 s[14:15]
.Lpost_getpc26474:
	s_add_u32 s14, s14, (.LBB2_24277-.Lpost_getpc26474)&4294967295
	s_addc_u32 s15, s15, (.LBB2_24277-.Lpost_getpc26474)>>32
	s_setpc_b64 s[14:15]
.LBB2_9941:
	s_or_saveexec_b64 s[6:7], s[6:7]
	v_mov_b32_e32 v6, s10
	s_xor_b64 exec, exec, s[6:7]
	s_cbranch_execz .LBB2_9942
; %bb.45783:
	s_getpc_b64 s[14:15]
.Lpost_getpc26475:
	s_add_u32 s14, s14, (.LBB2_24280-.Lpost_getpc26475)&4294967295
	s_addc_u32 s15, s15, (.LBB2_24280-.Lpost_getpc26475)>>32
	s_setpc_b64 s[14:15]
.LBB2_9942:
	s_or_b64 exec, exec, s[6:7]
	s_and_saveexec_b64 s[6:7], s[4:5]
	s_cbranch_execz .LBB2_9944
.LBB2_9943:
	v_bfe_u32 v3, v4, 16, 3
	v_ffbh_u32_e32 v12, v3
	v_min_u32_e32 v12, 32, v12
	v_lshrrev_b32_e32 v6, 19, v4
	v_subrev_u32_e32 v13, 28, v12
	v_and_b32_e32 v6, 15, v6
	v_lshlrev_b32_sdwa v13, v13, v4 dst_sel:DWORD dst_unused:UNUSED_PAD src0_sel:DWORD src1_sel:WORD_1
	v_bfe_u32 v7, v4, 19, 4
	v_sub_u32_e32 v12, 29, v12
	v_and_b32_e32 v13, 7, v13
	v_cmp_eq_u16_e32 vcc, 0, v6
	v_cndmask_b32_e32 v3, v3, v13, vcc
	v_cndmask_b32_e32 v6, v7, v12, vcc
	v_lshlrev_b32_e32 v7, 8, v4
	v_mov_b32_e32 v12, 0x3b800000
	v_lshlrev_b32_e32 v3, 20, v3
	v_and_b32_e32 v7, 0x80000000, v7
	v_lshl_add_u32 v6, v6, 23, v12
	v_or3_b32 v6, v7, v6, v3
.LBB2_9944:
	s_or_b64 exec, exec, s[6:7]
	s_nop 0
	v_mfma_f32_16x16x4f32 a[0:3], v2, v6, a[0:3]
	s_movk_i32 s4, 0x7f
	v_cmp_gt_i16_sdwa s[6:7], v8, s4 src0_sel:BYTE_3 src1_sel:DWORD
	s_mov_b64 s[4:5], 0
                                        ; implicit-def: $sgpr10
	s_and_saveexec_b64 s[8:9], s[6:7]
	s_xor_b64 s[6:7], exec, s[8:9]
	s_cbranch_execz .LBB2_9945
; %bb.45785:
	s_getpc_b64 s[14:15]
.Lpost_getpc26476:
	s_add_u32 s14, s14, (.LBB2_24281-.Lpost_getpc26476)&4294967295
	s_addc_u32 s15, s15, (.LBB2_24281-.Lpost_getpc26476)>>32
	s_setpc_b64 s[14:15]
.LBB2_9945:
	s_or_saveexec_b64 s[6:7], s[6:7]
	v_mov_b32_e32 v2, s10
	s_xor_b64 exec, exec, s[6:7]
	s_cbranch_execz .LBB2_9946
; %bb.45787:
	s_getpc_b64 s[14:15]
.Lpost_getpc26477:
	s_add_u32 s14, s14, (.LBB2_24284-.Lpost_getpc26477)&4294967295
	s_addc_u32 s15, s15, (.LBB2_24284-.Lpost_getpc26477)>>32
	s_setpc_b64 s[14:15]
.LBB2_9946:
	s_or_b64 exec, exec, s[6:7]
	s_and_saveexec_b64 s[6:7], s[4:5]
	s_cbranch_execz .LBB2_9948
.LBB2_9947:
	v_bfe_u32 v2, v8, 24, 3
	v_ffbh_u32_e32 v12, v2
	v_min_u32_e32 v12, 32, v12
	v_lshrrev_b32_e32 v6, 27, v8
	v_subrev_u32_e32 v13, 28, v12
	v_and_b32_e32 v3, 0x80000000, v8
	v_and_b32_e32 v6, 15, v6
	v_bfe_u32 v7, v8, 27, 4
	v_lshlrev_b32_sdwa v8, v13, v8 dst_sel:DWORD dst_unused:UNUSED_PAD src0_sel:DWORD src1_sel:BYTE_3
	v_sub_u32_e32 v12, 29, v12
	v_and_b32_e32 v8, 7, v8
	v_cmp_eq_u16_e32 vcc, 0, v6
	v_cndmask_b32_e32 v2, v2, v8, vcc
	v_cndmask_b32_e32 v6, v7, v12, vcc
	v_mov_b32_e32 v7, 0x3b800000
	v_lshlrev_b32_e32 v2, 20, v2
	v_lshl_add_u32 v6, v6, 23, v7
	v_or3_b32 v2, v3, v6, v2
.LBB2_9948:
	s_or_b64 exec, exec, s[6:7]
	s_movk_i32 s4, 0x7f
	v_cmp_gt_i16_sdwa s[6:7], v4, s4 src0_sel:BYTE_3 src1_sel:DWORD
	s_mov_b64 s[4:5], 0
                                        ; implicit-def: $sgpr10
	s_and_saveexec_b64 s[8:9], s[6:7]
	s_xor_b64 s[6:7], exec, s[8:9]
	s_cbranch_execz .LBB2_9949
; %bb.45789:
	s_getpc_b64 s[14:15]
.Lpost_getpc26478:
	s_add_u32 s14, s14, (.LBB2_24285-.Lpost_getpc26478)&4294967295
	s_addc_u32 s15, s15, (.LBB2_24285-.Lpost_getpc26478)>>32
	s_setpc_b64 s[14:15]
.LBB2_9949:
	s_or_saveexec_b64 s[6:7], s[6:7]
	v_mov_b32_e32 v3, s10
	s_xor_b64 exec, exec, s[6:7]
	s_cbranch_execz .LBB2_9950
; %bb.45791:
	s_getpc_b64 s[14:15]
.Lpost_getpc26479:
	s_add_u32 s14, s14, (.LBB2_24288-.Lpost_getpc26479)&4294967295
	s_addc_u32 s15, s15, (.LBB2_24288-.Lpost_getpc26479)>>32
	s_setpc_b64 s[14:15]
.LBB2_9950:
	s_or_b64 exec, exec, s[6:7]
	s_and_saveexec_b64 s[6:7], s[4:5]
	s_cbranch_execz .LBB2_9952
.LBB2_9951:
	v_bfe_u32 v3, v4, 24, 3
	v_ffbh_u32_e32 v12, v3
	v_min_u32_e32 v12, 32, v12
	v_lshrrev_b32_e32 v7, 27, v4
	v_subrev_u32_e32 v13, 28, v12
	v_and_b32_e32 v6, 0x80000000, v4
	v_and_b32_e32 v7, 15, v7
	v_bfe_u32 v8, v4, 27, 4
	v_lshlrev_b32_sdwa v4, v13, v4 dst_sel:DWORD dst_unused:UNUSED_PAD src0_sel:DWORD src1_sel:BYTE_3
	v_sub_u32_e32 v12, 29, v12
	v_and_b32_e32 v4, 7, v4
	v_cmp_eq_u16_e32 vcc, 0, v7
	v_cndmask_b32_e32 v3, v3, v4, vcc
	v_cndmask_b32_e32 v4, v8, v12, vcc
	v_mov_b32_e32 v7, 0x3b800000
	v_lshlrev_b32_e32 v3, 20, v3
	v_lshl_add_u32 v4, v4, 23, v7
	v_or3_b32 v3, v6, v4, v3
.LBB2_9952:
	s_or_b64 exec, exec, s[6:7]
	s_nop 0
	v_mfma_f32_16x16x4f32 a[0:3], v2, v3, a[0:3]
	s_movk_i32 s4, 0x7f
	v_cmp_gt_i16_sdwa s[6:7], v9, s4 src0_sel:BYTE_0 src1_sel:DWORD
	s_mov_b64 s[4:5], 0
                                        ; implicit-def: $sgpr10
	s_and_saveexec_b64 s[8:9], s[6:7]
	s_xor_b64 s[6:7], exec, s[8:9]
	s_cbranch_execz .LBB2_9953
; %bb.45793:
	s_getpc_b64 s[14:15]
.Lpost_getpc26480:
	s_add_u32 s14, s14, (.LBB2_24289-.Lpost_getpc26480)&4294967295
	s_addc_u32 s15, s15, (.LBB2_24289-.Lpost_getpc26480)>>32
	s_setpc_b64 s[14:15]
.LBB2_9953:
	s_or_saveexec_b64 s[6:7], s[6:7]
	v_mov_b32_e32 v2, s10
	s_xor_b64 exec, exec, s[6:7]
	s_cbranch_execz .LBB2_9954
; %bb.45795:
	s_getpc_b64 s[14:15]
.Lpost_getpc26481:
	s_add_u32 s14, s14, (.LBB2_24292-.Lpost_getpc26481)&4294967295
	s_addc_u32 s15, s15, (.LBB2_24292-.Lpost_getpc26481)>>32
	s_setpc_b64 s[14:15]
.LBB2_9954:
	s_or_b64 exec, exec, s[6:7]
	s_and_saveexec_b64 s[6:7], s[4:5]
	s_cbranch_execz .LBB2_9956
.LBB2_9955:
	v_mov_b32_e32 v2, 8
	v_and_b32_e32 v3, 7, v9
	v_lshrrev_b32_sdwa v2, v2, v9 dst_sel:BYTE_1 dst_unused:UNUSED_PAD src0_sel:DWORD src1_sel:DWORD
	v_ffbh_u32_e32 v4, v3
	v_or_b32_sdwa v2, v9, v2 dst_sel:DWORD dst_unused:UNUSED_PAD src0_sel:BYTE_0 src1_sel:DWORD
	v_min_u32_e32 v4, 32, v4
	v_lshrrev_b16_e32 v2, 3, v2
	v_subrev_u32_e32 v6, 28, v4
	v_and_b32_e32 v2, 15, v2
	v_lshlrev_b32_e32 v6, v6, v9
	v_sub_u32_e32 v4, 29, v4
	v_and_b32_e32 v6, 7, v6
	v_cmp_eq_u16_e32 vcc, 0, v2
	v_cndmask_b32_e32 v3, v3, v6, vcc
	v_cndmask_b32_e32 v2, v2, v4, vcc
	v_lshlrev_b32_e32 v4, 24, v9
	v_mov_b32_e32 v6, 0x3b800000
	v_lshlrev_b32_e32 v3, 20, v3
	v_and_b32_e32 v4, 0x80000000, v4
	v_lshl_add_u32 v2, v2, 23, v6
	v_or3_b32 v2, v4, v2, v3
.LBB2_9956:
	s_or_b64 exec, exec, s[6:7]
	s_movk_i32 s4, 0x7f
	v_cmp_gt_i16_sdwa s[6:7], v5, s4 src0_sel:BYTE_0 src1_sel:DWORD
	s_mov_b64 s[4:5], 0
                                        ; implicit-def: $sgpr10
	s_and_saveexec_b64 s[8:9], s[6:7]
	s_xor_b64 s[6:7], exec, s[8:9]
	s_cbranch_execz .LBB2_9957
; %bb.45797:
	s_getpc_b64 s[14:15]
.Lpost_getpc26482:
	s_add_u32 s14, s14, (.LBB2_24293-.Lpost_getpc26482)&4294967295
	s_addc_u32 s15, s15, (.LBB2_24293-.Lpost_getpc26482)>>32
	s_setpc_b64 s[14:15]
.LBB2_9957:
	s_or_saveexec_b64 s[6:7], s[6:7]
	v_mov_b32_e32 v3, s10
	s_xor_b64 exec, exec, s[6:7]
	s_cbranch_execz .LBB2_9958
; %bb.45799:
	s_getpc_b64 s[14:15]
.Lpost_getpc26483:
	s_add_u32 s14, s14, (.LBB2_24296-.Lpost_getpc26483)&4294967295
	s_addc_u32 s15, s15, (.LBB2_24296-.Lpost_getpc26483)>>32
	s_setpc_b64 s[14:15]
.LBB2_9958:
	s_or_b64 exec, exec, s[6:7]
	s_and_saveexec_b64 s[6:7], s[4:5]
	s_cbranch_execz .LBB2_9960
.LBB2_9959:
	v_mov_b32_e32 v3, 8
	v_and_b32_e32 v4, 7, v5
	v_lshrrev_b32_sdwa v3, v3, v5 dst_sel:BYTE_1 dst_unused:UNUSED_PAD src0_sel:DWORD src1_sel:DWORD
	v_ffbh_u32_e32 v6, v4
	v_or_b32_sdwa v3, v5, v3 dst_sel:DWORD dst_unused:UNUSED_PAD src0_sel:BYTE_0 src1_sel:DWORD
	v_min_u32_e32 v6, 32, v6
	v_lshrrev_b16_e32 v3, 3, v3
	v_subrev_u32_e32 v7, 28, v6
	v_and_b32_e32 v3, 15, v3
	v_lshlrev_b32_e32 v7, v7, v5
	v_sub_u32_e32 v6, 29, v6
	v_and_b32_e32 v7, 7, v7
	v_cmp_eq_u16_e32 vcc, 0, v3
	v_cndmask_b32_e32 v4, v4, v7, vcc
	v_cndmask_b32_e32 v3, v3, v6, vcc
	v_lshlrev_b32_e32 v6, 24, v5
	v_mov_b32_e32 v7, 0x3b800000
	v_lshlrev_b32_e32 v4, 20, v4
	v_and_b32_e32 v6, 0x80000000, v6
	v_lshl_add_u32 v3, v3, 23, v7
	v_or3_b32 v3, v6, v3, v4
.LBB2_9960:
	s_or_b64 exec, exec, s[6:7]
	s_nop 0
	v_mfma_f32_16x16x4f32 a[0:3], v2, v3, a[0:3]
	v_lshrrev_b32_e32 v3, 8, v9
	s_movk_i32 s4, 0x7f
	v_cmp_gt_i16_sdwa s[6:7], v3, s4 src0_sel:BYTE_0 src1_sel:DWORD
	s_mov_b64 s[4:5], 0
                                        ; implicit-def: $sgpr10
	s_and_saveexec_b64 s[8:9], s[6:7]
	s_xor_b64 s[6:7], exec, s[8:9]
	s_cbranch_execz .LBB2_9961
; %bb.45801:
	s_getpc_b64 s[14:15]
.Lpost_getpc26484:
	s_add_u32 s14, s14, (.LBB2_24297-.Lpost_getpc26484)&4294967295
	s_addc_u32 s15, s15, (.LBB2_24297-.Lpost_getpc26484)>>32
	s_setpc_b64 s[14:15]
.LBB2_9961:
	s_or_saveexec_b64 s[6:7], s[6:7]
	v_mov_b32_e32 v2, s10
	s_xor_b64 exec, exec, s[6:7]
	s_cbranch_execz .LBB2_9962
; %bb.45803:
	s_getpc_b64 s[14:15]
.Lpost_getpc26485:
	s_add_u32 s14, s14, (.LBB2_24300-.Lpost_getpc26485)&4294967295
	s_addc_u32 s15, s15, (.LBB2_24300-.Lpost_getpc26485)>>32
	s_setpc_b64 s[14:15]
.LBB2_9962:
	s_or_b64 exec, exec, s[6:7]
	s_and_saveexec_b64 s[6:7], s[4:5]
	s_cbranch_execz .LBB2_9964
.LBB2_9963:
	v_bfe_u32 v2, v9, 8, 3
	v_ffbh_u32_e32 v6, v2
	v_min_u32_e32 v6, 32, v6
	v_lshrrev_b16_e32 v4, 3, v3
	v_subrev_u32_e32 v7, 28, v6
	v_and_b32_e32 v4, 15, v4
	v_lshlrev_b32_e32 v3, v7, v3
	v_sub_u32_e32 v6, 29, v6
	v_and_b32_e32 v3, 7, v3
	v_cmp_eq_u16_e32 vcc, 0, v4
	v_cndmask_b32_e32 v2, v2, v3, vcc
	v_cndmask_b32_e32 v3, v4, v6, vcc
	v_lshlrev_b32_e32 v4, 16, v9
	v_mov_b32_e32 v6, 0x3b800000
	v_lshlrev_b32_e32 v2, 20, v2
	v_and_b32_e32 v4, 0x80000000, v4
	v_lshl_add_u32 v3, v3, 23, v6
	v_or3_b32 v2, v4, v3, v2
.LBB2_9964:
	s_or_b64 exec, exec, s[6:7]
	v_lshrrev_b32_e32 v3, 8, v5
	s_movk_i32 s4, 0x7f
	v_cmp_gt_i16_sdwa s[6:7], v3, s4 src0_sel:BYTE_0 src1_sel:DWORD
	s_mov_b64 s[4:5], 0
                                        ; implicit-def: $sgpr10
	s_and_saveexec_b64 s[8:9], s[6:7]
	s_xor_b64 s[6:7], exec, s[8:9]
	s_cbranch_execz .LBB2_9965
; %bb.45805:
	s_getpc_b64 s[14:15]
.Lpost_getpc26486:
	s_add_u32 s14, s14, (.LBB2_24301-.Lpost_getpc26486)&4294967295
	s_addc_u32 s15, s15, (.LBB2_24301-.Lpost_getpc26486)>>32
	s_setpc_b64 s[14:15]
.LBB2_9965:
	s_or_saveexec_b64 s[6:7], s[6:7]
	v_mov_b32_e32 v4, s10
	s_xor_b64 exec, exec, s[6:7]
	s_cbranch_execz .LBB2_9966
; %bb.45807:
	s_getpc_b64 s[14:15]
.Lpost_getpc26487:
	s_add_u32 s14, s14, (.LBB2_24304-.Lpost_getpc26487)&4294967295
	s_addc_u32 s15, s15, (.LBB2_24304-.Lpost_getpc26487)>>32
	s_setpc_b64 s[14:15]
.LBB2_9966:
	s_or_b64 exec, exec, s[6:7]
	s_and_saveexec_b64 s[6:7], s[4:5]
	s_cbranch_execz .LBB2_9968
.LBB2_9967:
	v_bfe_u32 v4, v5, 8, 3
	v_ffbh_u32_e32 v7, v4
	v_min_u32_e32 v7, 32, v7
	v_lshrrev_b16_e32 v6, 3, v3
	v_subrev_u32_e32 v8, 28, v7
	v_and_b32_e32 v6, 15, v6
	v_lshlrev_b32_e32 v3, v8, v3
	v_sub_u32_e32 v7, 29, v7
	v_and_b32_e32 v3, 7, v3
	v_cmp_eq_u16_e32 vcc, 0, v6
	v_cndmask_b32_e32 v3, v4, v3, vcc
	v_cndmask_b32_e32 v4, v6, v7, vcc
	v_lshlrev_b32_e32 v6, 16, v5
	v_mov_b32_e32 v7, 0x3b800000
	v_lshlrev_b32_e32 v3, 20, v3
	v_and_b32_e32 v6, 0x80000000, v6
	v_lshl_add_u32 v4, v4, 23, v7
	v_or3_b32 v4, v6, v4, v3
.LBB2_9968:
	s_or_b64 exec, exec, s[6:7]
	s_nop 0
	v_mfma_f32_16x16x4f32 a[0:3], v2, v4, a[0:3]
	s_movk_i32 s4, 0xff
	v_and_b32_sdwa v3, v9, s4 dst_sel:DWORD dst_unused:UNUSED_PAD src0_sel:WORD_1 src1_sel:DWORD
	s_movk_i32 s4, 0x7f
	v_cmp_lt_i16_e32 vcc, s4, v3
	s_mov_b64 s[4:5], 0
                                        ; implicit-def: $sgpr10
	s_and_saveexec_b64 s[6:7], vcc
	s_xor_b64 s[6:7], exec, s[6:7]
	s_cbranch_execz .LBB2_9969
; %bb.45809:
	s_getpc_b64 s[14:15]
.Lpost_getpc26488:
	s_add_u32 s14, s14, (.LBB2_24305-.Lpost_getpc26488)&4294967295
	s_addc_u32 s15, s15, (.LBB2_24305-.Lpost_getpc26488)>>32
	s_setpc_b64 s[14:15]
.LBB2_9969:
	s_or_saveexec_b64 s[6:7], s[6:7]
	v_mov_b32_e32 v2, s10
	s_xor_b64 exec, exec, s[6:7]
	s_cbranch_execz .LBB2_9970
; %bb.45811:
	s_getpc_b64 s[14:15]
.Lpost_getpc26489:
	s_add_u32 s14, s14, (.LBB2_24308-.Lpost_getpc26489)&4294967295
	s_addc_u32 s15, s15, (.LBB2_24308-.Lpost_getpc26489)>>32
	s_setpc_b64 s[14:15]
.LBB2_9970:
	s_or_b64 exec, exec, s[6:7]
	s_and_saveexec_b64 s[6:7], s[4:5]
	s_cbranch_execz .LBB2_9972
.LBB2_9971:
	v_bfe_u32 v2, v9, 16, 3
	v_ffbh_u32_e32 v6, v2
	v_min_u32_e32 v6, 32, v6
	v_lshrrev_b32_e32 v3, 19, v9
	v_subrev_u32_e32 v7, 28, v6
	v_and_b32_e32 v3, 15, v3
	v_lshlrev_b32_sdwa v7, v7, v9 dst_sel:DWORD dst_unused:UNUSED_PAD src0_sel:DWORD src1_sel:WORD_1
	v_bfe_u32 v4, v9, 19, 4
	v_sub_u32_e32 v6, 29, v6
	v_and_b32_e32 v7, 7, v7
	v_cmp_eq_u16_e32 vcc, 0, v3
	v_cndmask_b32_e32 v2, v2, v7, vcc
	v_cndmask_b32_e32 v3, v4, v6, vcc
	v_lshlrev_b32_e32 v4, 8, v9
	v_mov_b32_e32 v6, 0x3b800000
	v_lshlrev_b32_e32 v2, 20, v2
	v_and_b32_e32 v4, 0x80000000, v4
	v_lshl_add_u32 v3, v3, 23, v6
	v_or3_b32 v2, v4, v3, v2
.LBB2_9972:
	s_or_b64 exec, exec, s[6:7]
	s_movk_i32 s4, 0xff
	v_and_b32_sdwa v3, v5, s4 dst_sel:DWORD dst_unused:UNUSED_PAD src0_sel:WORD_1 src1_sel:DWORD
	s_movk_i32 s4, 0x7f
	v_cmp_lt_i16_e32 vcc, s4, v3
	s_mov_b64 s[4:5], 0
                                        ; implicit-def: $sgpr10
	s_and_saveexec_b64 s[6:7], vcc
	s_xor_b64 s[6:7], exec, s[6:7]
	s_cbranch_execz .LBB2_9973
; %bb.45813:
	s_getpc_b64 s[14:15]
.Lpost_getpc26490:
	s_add_u32 s14, s14, (.LBB2_24309-.Lpost_getpc26490)&4294967295
	s_addc_u32 s15, s15, (.LBB2_24309-.Lpost_getpc26490)>>32
	s_setpc_b64 s[14:15]
.LBB2_9973:
	s_or_saveexec_b64 s[6:7], s[6:7]
	v_mov_b32_e32 v4, s10
	s_xor_b64 exec, exec, s[6:7]
	s_cbranch_execz .LBB2_9974
; %bb.45815:
	s_getpc_b64 s[14:15]
.Lpost_getpc26491:
	s_add_u32 s14, s14, (.LBB2_24312-.Lpost_getpc26491)&4294967295
	s_addc_u32 s15, s15, (.LBB2_24312-.Lpost_getpc26491)>>32
	s_setpc_b64 s[14:15]
.LBB2_9974:
	s_or_b64 exec, exec, s[6:7]
	s_and_saveexec_b64 s[6:7], s[4:5]
	s_cbranch_execz .LBB2_9976
.LBB2_9975:
	v_bfe_u32 v3, v5, 16, 3
	v_ffbh_u32_e32 v7, v3
	v_min_u32_e32 v7, 32, v7
	v_lshrrev_b32_e32 v4, 19, v5
	v_subrev_u32_e32 v8, 28, v7
	v_and_b32_e32 v4, 15, v4
	v_lshlrev_b32_sdwa v8, v8, v5 dst_sel:DWORD dst_unused:UNUSED_PAD src0_sel:DWORD src1_sel:WORD_1
	v_bfe_u32 v6, v5, 19, 4
	v_sub_u32_e32 v7, 29, v7
	v_and_b32_e32 v8, 7, v8
	v_cmp_eq_u16_e32 vcc, 0, v4
	v_cndmask_b32_e32 v3, v3, v8, vcc
	v_cndmask_b32_e32 v4, v6, v7, vcc
	v_lshlrev_b32_e32 v6, 8, v5
	v_mov_b32_e32 v7, 0x3b800000
	v_lshlrev_b32_e32 v3, 20, v3
	v_and_b32_e32 v6, 0x80000000, v6
	v_lshl_add_u32 v4, v4, 23, v7
	v_or3_b32 v4, v6, v4, v3
.LBB2_9976:
	s_or_b64 exec, exec, s[6:7]
	s_nop 0
	v_mfma_f32_16x16x4f32 a[0:3], v2, v4, a[0:3]
	s_movk_i32 s4, 0x7f
	v_cmp_gt_i16_sdwa s[6:7], v9, s4 src0_sel:BYTE_3 src1_sel:DWORD
	s_mov_b64 s[4:5], 0
                                        ; implicit-def: $sgpr10
	s_and_saveexec_b64 s[8:9], s[6:7]
	s_xor_b64 s[6:7], exec, s[8:9]
	s_cbranch_execz .LBB2_9977
; %bb.45817:
	s_getpc_b64 s[14:15]
.Lpost_getpc26492:
	s_add_u32 s14, s14, (.LBB2_24313-.Lpost_getpc26492)&4294967295
	s_addc_u32 s15, s15, (.LBB2_24313-.Lpost_getpc26492)>>32
	s_setpc_b64 s[14:15]
.LBB2_9977:
	s_or_saveexec_b64 s[6:7], s[6:7]
	v_mov_b32_e32 v2, s10
	s_xor_b64 exec, exec, s[6:7]
	s_cbranch_execz .LBB2_9978
; %bb.45819:
	s_getpc_b64 s[14:15]
.Lpost_getpc26493:
	s_add_u32 s14, s14, (.LBB2_24316-.Lpost_getpc26493)&4294967295
	s_addc_u32 s15, s15, (.LBB2_24316-.Lpost_getpc26493)>>32
	s_setpc_b64 s[14:15]
.LBB2_9978:
	s_or_b64 exec, exec, s[6:7]
	s_and_saveexec_b64 s[6:7], s[4:5]
	s_cbranch_execz .LBB2_9980
.LBB2_9979:
	v_bfe_u32 v2, v9, 24, 3
	v_ffbh_u32_e32 v7, v2
	v_min_u32_e32 v7, 32, v7
	v_lshrrev_b32_e32 v4, 27, v9
	v_subrev_u32_e32 v8, 28, v7
	v_and_b32_e32 v4, 15, v4
	v_lshlrev_b32_sdwa v8, v8, v9 dst_sel:DWORD dst_unused:UNUSED_PAD src0_sel:DWORD src1_sel:BYTE_3
	v_bfe_u32 v6, v9, 27, 4
	v_sub_u32_e32 v7, 29, v7
	v_and_b32_e32 v8, 7, v8
	v_cmp_eq_u16_e32 vcc, 0, v4
	v_cndmask_b32_e32 v2, v2, v8, vcc
	v_cndmask_b32_e32 v4, v6, v7, vcc
	v_mov_b32_e32 v6, 0x3b800000
	v_and_b32_e32 v3, 0x80000000, v9
	v_lshlrev_b32_e32 v2, 20, v2
	v_lshl_add_u32 v4, v4, 23, v6
	v_or3_b32 v2, v3, v4, v2
.LBB2_9980:
	s_or_b64 exec, exec, s[6:7]
	s_movk_i32 s4, 0x7f
	v_cmp_gt_i16_sdwa s[6:7], v5, s4 src0_sel:BYTE_3 src1_sel:DWORD
	s_mov_b64 s[4:5], 0
                                        ; implicit-def: $sgpr10
	s_and_saveexec_b64 s[8:9], s[6:7]
	s_xor_b64 s[6:7], exec, s[8:9]
	s_cbranch_execz .LBB2_9981
; %bb.45821:
	s_getpc_b64 s[14:15]
.Lpost_getpc26494:
	s_add_u32 s14, s14, (.LBB2_24317-.Lpost_getpc26494)&4294967295
	s_addc_u32 s15, s15, (.LBB2_24317-.Lpost_getpc26494)>>32
	s_setpc_b64 s[14:15]
.LBB2_9981:
	s_or_saveexec_b64 s[6:7], s[6:7]
	v_mov_b32_e32 v3, s10
	s_xor_b64 exec, exec, s[6:7]
	s_cbranch_execz .LBB2_9982
; %bb.45823:
	s_getpc_b64 s[14:15]
.Lpost_getpc26495:
	s_add_u32 s14, s14, (.LBB2_24320-.Lpost_getpc26495)&4294967295
	s_addc_u32 s15, s15, (.LBB2_24320-.Lpost_getpc26495)>>32
	s_setpc_b64 s[14:15]
.LBB2_9982:
	s_or_b64 exec, exec, s[6:7]
	s_and_saveexec_b64 s[6:7], s[4:5]
	s_cbranch_execz .LBB2_9984
.LBB2_9983:
	v_bfe_u32 v3, v5, 24, 3
	v_ffbh_u32_e32 v8, v3
	v_min_u32_e32 v8, 32, v8
	v_lshrrev_b32_e32 v6, 27, v5
	v_subrev_u32_e32 v9, 28, v8
	v_and_b32_e32 v4, 0x80000000, v5
	v_and_b32_e32 v6, 15, v6
	v_bfe_u32 v7, v5, 27, 4
	v_lshlrev_b32_sdwa v5, v9, v5 dst_sel:DWORD dst_unused:UNUSED_PAD src0_sel:DWORD src1_sel:BYTE_3
	v_sub_u32_e32 v8, 29, v8
	v_and_b32_e32 v5, 7, v5
	v_cmp_eq_u16_e32 vcc, 0, v6
	v_cndmask_b32_e32 v3, v3, v5, vcc
	v_cndmask_b32_e32 v5, v7, v8, vcc
	v_mov_b32_e32 v6, 0x3b800000
	v_lshlrev_b32_e32 v3, 20, v3
	v_lshl_add_u32 v5, v5, 23, v6
	v_or3_b32 v3, v4, v5, v3
.LBB2_9984:
	s_or_b64 exec, exec, s[6:7]
	s_nop 0
	v_mfma_f32_16x16x4f32 a[0:3], v2, v3, a[0:3]
	s_movk_i32 s4, 0x7f
                                        ; implicit-def: $sgpr10
	s_nop 7
	s_nop 1
	flat_store_dwordx4 v[10:11], a[0:3] offset:336
	flat_load_dwordx4 v[12:15], v[0:1]
	s_nop 0
	flat_load_dwordx2 v[10:11], v[0:1] offset:16
	s_waitcnt vmcnt(0) lgkmcnt(0)
	flat_load_dwordx4 v[6:9], v[12:13] offset:144
	flat_load_dwordx4 v[2:5], v[14:15] offset:224
	s_waitcnt vmcnt(0) lgkmcnt(0)
	v_cmp_gt_i16_sdwa s[6:7], v6, s4 src0_sel:BYTE_0 src1_sel:DWORD
	s_mov_b64 s[4:5], 0
	s_and_saveexec_b64 s[8:9], s[6:7]
	s_xor_b64 s[6:7], exec, s[8:9]
	s_cbranch_execz .LBB2_9985
; %bb.45825:
	s_getpc_b64 s[14:15]
.Lpost_getpc26496:
	s_add_u32 s14, s14, (.LBB2_24321-.Lpost_getpc26496)&4294967295
	s_addc_u32 s15, s15, (.LBB2_24321-.Lpost_getpc26496)>>32
	s_setpc_b64 s[14:15]
.LBB2_9985:
	s_or_saveexec_b64 s[6:7], s[6:7]
	v_mov_b32_e32 v12, s10
	s_xor_b64 exec, exec, s[6:7]
	s_cbranch_execz .LBB2_9986
; %bb.45827:
	s_getpc_b64 s[14:15]
.Lpost_getpc26497:
	s_add_u32 s14, s14, (.LBB2_24324-.Lpost_getpc26497)&4294967295
	s_addc_u32 s15, s15, (.LBB2_24324-.Lpost_getpc26497)>>32
	s_setpc_b64 s[14:15]
.LBB2_9986:
	s_or_b64 exec, exec, s[6:7]
	s_and_saveexec_b64 s[6:7], s[4:5]
	s_cbranch_execz .LBB2_9988
.LBB2_9987:
	v_and_b32_e32 v12, 7, v6
	v_ffbh_u32_e32 v14, v12
	v_min_u32_e32 v14, 32, v14
	v_lshrrev_b16_e32 v13, 3, v6
	v_subrev_u32_e32 v15, 28, v14
	v_and_b32_e32 v13, 15, v13
	v_lshlrev_b32_e32 v15, v15, v6
	v_sub_u32_e32 v14, 29, v14
	v_and_b32_e32 v15, 7, v15
	v_cmp_eq_u16_e32 vcc, 0, v13
	v_cndmask_b32_e32 v12, v12, v15, vcc
	v_cndmask_b32_e32 v13, v13, v14, vcc
	v_lshlrev_b32_e32 v14, 24, v6
	v_mov_b32_e32 v15, 0x3b800000
	v_lshlrev_b32_e32 v12, 20, v12
	v_and_b32_e32 v14, 0x80000000, v14
	v_lshl_add_u32 v13, v13, 23, v15
	v_or3_b32 v12, v14, v13, v12
.LBB2_9988:
	s_or_b64 exec, exec, s[6:7]
	s_movk_i32 s4, 0x7f
	v_cmp_gt_i16_sdwa s[6:7], v2, s4 src0_sel:BYTE_0 src1_sel:DWORD
	s_mov_b64 s[4:5], 0
                                        ; implicit-def: $sgpr10
	s_and_saveexec_b64 s[8:9], s[6:7]
	s_xor_b64 s[6:7], exec, s[8:9]
	s_cbranch_execz .LBB2_9989
; %bb.45829:
	s_getpc_b64 s[14:15]
.Lpost_getpc26498:
	s_add_u32 s14, s14, (.LBB2_24325-.Lpost_getpc26498)&4294967295
	s_addc_u32 s15, s15, (.LBB2_24325-.Lpost_getpc26498)>>32
	s_setpc_b64 s[14:15]
.LBB2_9989:
	s_or_saveexec_b64 s[6:7], s[6:7]
	v_mov_b32_e32 v13, s10
	s_xor_b64 exec, exec, s[6:7]
	s_cbranch_execz .LBB2_9990
; %bb.45831:
	s_getpc_b64 s[14:15]
.Lpost_getpc26499:
	s_add_u32 s14, s14, (.LBB2_24328-.Lpost_getpc26499)&4294967295
	s_addc_u32 s15, s15, (.LBB2_24328-.Lpost_getpc26499)>>32
	s_setpc_b64 s[14:15]
.LBB2_9990:
	s_or_b64 exec, exec, s[6:7]
	s_and_saveexec_b64 s[6:7], s[4:5]
	s_cbranch_execz .LBB2_9992
.LBB2_9991:
	v_and_b32_e32 v13, 7, v2
	v_ffbh_u32_e32 v15, v13
	v_min_u32_e32 v15, 32, v15
	v_lshrrev_b16_e32 v14, 3, v2
	v_subrev_u32_e32 v16, 28, v15
	v_and_b32_e32 v14, 15, v14
	v_lshlrev_b32_e32 v16, v16, v2
	v_sub_u32_e32 v15, 29, v15
	v_and_b32_e32 v16, 7, v16
	v_cmp_eq_u16_e32 vcc, 0, v14
	v_cndmask_b32_e32 v13, v13, v16, vcc
	v_cndmask_b32_e32 v14, v14, v15, vcc
	v_lshlrev_b32_e32 v15, 24, v2
	v_mov_b32_e32 v16, 0x3b800000
	v_lshlrev_b32_e32 v13, 20, v13
	v_and_b32_e32 v15, 0x80000000, v15
	v_lshl_add_u32 v14, v14, 23, v16
	v_or3_b32 v13, v15, v14, v13
.LBB2_9992:
	s_or_b64 exec, exec, s[6:7]
	flat_load_dwordx4 a[0:3], v[10:11] offset:352
	s_movk_i32 s4, 0x7f
                                        ; implicit-def: $sgpr10
	s_waitcnt vmcnt(0) lgkmcnt(0)
	v_mfma_f32_16x16x4f32 a[0:3], v12, v13, a[0:3]
	v_lshrrev_b32_e32 v13, 8, v6
	v_cmp_gt_i16_sdwa s[6:7], v13, s4 src0_sel:BYTE_0 src1_sel:DWORD
	s_mov_b64 s[4:5], 0
	s_and_saveexec_b64 s[8:9], s[6:7]
	s_xor_b64 s[6:7], exec, s[8:9]
	s_cbranch_execz .LBB2_9993
; %bb.45833:
	s_getpc_b64 s[14:15]
.Lpost_getpc26500:
	s_add_u32 s14, s14, (.LBB2_24329-.Lpost_getpc26500)&4294967295
	s_addc_u32 s15, s15, (.LBB2_24329-.Lpost_getpc26500)>>32
	s_setpc_b64 s[14:15]
.LBB2_9993:
	s_or_saveexec_b64 s[6:7], s[6:7]
	v_mov_b32_e32 v12, s10
	s_xor_b64 exec, exec, s[6:7]
	s_cbranch_execz .LBB2_9994
; %bb.45835:
	s_getpc_b64 s[14:15]
.Lpost_getpc26501:
	s_add_u32 s14, s14, (.LBB2_24332-.Lpost_getpc26501)&4294967295
	s_addc_u32 s15, s15, (.LBB2_24332-.Lpost_getpc26501)>>32
	s_setpc_b64 s[14:15]
.LBB2_9994:
	s_or_b64 exec, exec, s[6:7]
	s_and_saveexec_b64 s[6:7], s[4:5]
	s_cbranch_execz .LBB2_9996
.LBB2_9995:
	v_bfe_u32 v12, v6, 8, 3
	v_ffbh_u32_e32 v15, v12
	v_min_u32_e32 v15, 32, v15
	v_lshrrev_b16_e32 v14, 3, v13
	v_subrev_u32_e32 v16, 28, v15
	v_and_b32_e32 v14, 15, v14
	v_lshlrev_b32_e32 v13, v16, v13
	v_sub_u32_e32 v15, 29, v15
	v_and_b32_e32 v13, 7, v13
	v_cmp_eq_u16_e32 vcc, 0, v14
	v_cndmask_b32_e32 v12, v12, v13, vcc
	v_cndmask_b32_e32 v13, v14, v15, vcc
	v_lshlrev_b32_e32 v14, 16, v6
	v_mov_b32_e32 v15, 0x3b800000
	v_lshlrev_b32_e32 v12, 20, v12
	v_and_b32_e32 v14, 0x80000000, v14
	v_lshl_add_u32 v13, v13, 23, v15
	v_or3_b32 v12, v14, v13, v12
.LBB2_9996:
	s_or_b64 exec, exec, s[6:7]
	v_lshrrev_b32_e32 v13, 8, v2
	s_movk_i32 s4, 0x7f
	v_cmp_gt_i16_sdwa s[6:7], v13, s4 src0_sel:BYTE_0 src1_sel:DWORD
	s_mov_b64 s[4:5], 0
                                        ; implicit-def: $sgpr10
	s_and_saveexec_b64 s[8:9], s[6:7]
	s_xor_b64 s[6:7], exec, s[8:9]
	s_cbranch_execz .LBB2_9997
; %bb.45837:
	s_getpc_b64 s[14:15]
.Lpost_getpc26502:
	s_add_u32 s14, s14, (.LBB2_24333-.Lpost_getpc26502)&4294967295
	s_addc_u32 s15, s15, (.LBB2_24333-.Lpost_getpc26502)>>32
	s_setpc_b64 s[14:15]
.LBB2_9997:
	s_or_saveexec_b64 s[6:7], s[6:7]
	v_mov_b32_e32 v14, s10
	s_xor_b64 exec, exec, s[6:7]
	s_cbranch_execz .LBB2_9998
; %bb.45839:
	s_getpc_b64 s[14:15]
.Lpost_getpc26503:
	s_add_u32 s14, s14, (.LBB2_24336-.Lpost_getpc26503)&4294967295
	s_addc_u32 s15, s15, (.LBB2_24336-.Lpost_getpc26503)>>32
	s_setpc_b64 s[14:15]
.LBB2_9998:
	s_or_b64 exec, exec, s[6:7]
	s_and_saveexec_b64 s[6:7], s[4:5]
	s_cbranch_execz .LBB2_10000
.LBB2_9999:
	v_bfe_u32 v14, v2, 8, 3
	v_ffbh_u32_e32 v16, v14
	v_min_u32_e32 v16, 32, v16
	v_lshrrev_b16_e32 v15, 3, v13
	v_subrev_u32_e32 v17, 28, v16
	v_and_b32_e32 v15, 15, v15
	v_lshlrev_b32_e32 v13, v17, v13
	v_sub_u32_e32 v16, 29, v16
	v_and_b32_e32 v13, 7, v13
	v_cmp_eq_u16_e32 vcc, 0, v15
	v_cndmask_b32_e32 v13, v14, v13, vcc
	v_cndmask_b32_e32 v14, v15, v16, vcc
	v_lshlrev_b32_e32 v15, 16, v2
	v_mov_b32_e32 v16, 0x3b800000
	v_lshlrev_b32_e32 v13, 20, v13
	v_and_b32_e32 v15, 0x80000000, v15
	v_lshl_add_u32 v14, v14, 23, v16
	v_or3_b32 v14, v15, v14, v13
.LBB2_10000:
	s_or_b64 exec, exec, s[6:7]
	s_nop 0
	v_mfma_f32_16x16x4f32 a[0:3], v12, v14, a[0:3]
	s_movk_i32 s4, 0xff
	v_and_b32_sdwa v13, v6, s4 dst_sel:DWORD dst_unused:UNUSED_PAD src0_sel:WORD_1 src1_sel:DWORD
	s_movk_i32 s4, 0x7f
	v_cmp_lt_i16_e32 vcc, s4, v13
	s_mov_b64 s[4:5], 0
                                        ; implicit-def: $sgpr10
	s_and_saveexec_b64 s[6:7], vcc
	s_xor_b64 s[6:7], exec, s[6:7]
	s_cbranch_execz .LBB2_10001
; %bb.45841:
	s_getpc_b64 s[14:15]
.Lpost_getpc26504:
	s_add_u32 s14, s14, (.LBB2_24337-.Lpost_getpc26504)&4294967295
	s_addc_u32 s15, s15, (.LBB2_24337-.Lpost_getpc26504)>>32
	s_setpc_b64 s[14:15]
.LBB2_10001:
	s_or_saveexec_b64 s[6:7], s[6:7]
	v_mov_b32_e32 v12, s10
	s_xor_b64 exec, exec, s[6:7]
	s_cbranch_execz .LBB2_10002
; %bb.45843:
	s_getpc_b64 s[14:15]
.Lpost_getpc26505:
	s_add_u32 s14, s14, (.LBB2_24340-.Lpost_getpc26505)&4294967295
	s_addc_u32 s15, s15, (.LBB2_24340-.Lpost_getpc26505)>>32
	s_setpc_b64 s[14:15]
.LBB2_10002:
	s_or_b64 exec, exec, s[6:7]
	s_and_saveexec_b64 s[6:7], s[4:5]
	s_cbranch_execz .LBB2_10004
.LBB2_10003:
	v_bfe_u32 v12, v6, 16, 3
	v_ffbh_u32_e32 v15, v12
	v_min_u32_e32 v15, 32, v15
	v_lshrrev_b32_e32 v13, 19, v6
	v_subrev_u32_e32 v16, 28, v15
	v_and_b32_e32 v13, 15, v13
	v_lshlrev_b32_sdwa v16, v16, v6 dst_sel:DWORD dst_unused:UNUSED_PAD src0_sel:DWORD src1_sel:WORD_1
	v_bfe_u32 v14, v6, 19, 4
	v_sub_u32_e32 v15, 29, v15
	v_and_b32_e32 v16, 7, v16
	v_cmp_eq_u16_e32 vcc, 0, v13
	v_cndmask_b32_e32 v12, v12, v16, vcc
	v_cndmask_b32_e32 v13, v14, v15, vcc
	v_lshlrev_b32_e32 v14, 8, v6
	v_mov_b32_e32 v15, 0x3b800000
	v_lshlrev_b32_e32 v12, 20, v12
	v_and_b32_e32 v14, 0x80000000, v14
	v_lshl_add_u32 v13, v13, 23, v15
	v_or3_b32 v12, v14, v13, v12
.LBB2_10004:
	s_or_b64 exec, exec, s[6:7]
	s_movk_i32 s4, 0xff
	v_and_b32_sdwa v13, v2, s4 dst_sel:DWORD dst_unused:UNUSED_PAD src0_sel:WORD_1 src1_sel:DWORD
	s_movk_i32 s4, 0x7f
	v_cmp_lt_i16_e32 vcc, s4, v13
	s_mov_b64 s[4:5], 0
                                        ; implicit-def: $sgpr10
	s_and_saveexec_b64 s[6:7], vcc
	s_xor_b64 s[6:7], exec, s[6:7]
	s_cbranch_execz .LBB2_10005
; %bb.45845:
	s_getpc_b64 s[14:15]
.Lpost_getpc26506:
	s_add_u32 s14, s14, (.LBB2_24341-.Lpost_getpc26506)&4294967295
	s_addc_u32 s15, s15, (.LBB2_24341-.Lpost_getpc26506)>>32
	s_setpc_b64 s[14:15]
.LBB2_10005:
	s_or_saveexec_b64 s[6:7], s[6:7]
	v_mov_b32_e32 v14, s10
	s_xor_b64 exec, exec, s[6:7]
	s_cbranch_execz .LBB2_10006
; %bb.45847:
	s_getpc_b64 s[14:15]
.Lpost_getpc26507:
	s_add_u32 s14, s14, (.LBB2_24344-.Lpost_getpc26507)&4294967295
	s_addc_u32 s15, s15, (.LBB2_24344-.Lpost_getpc26507)>>32
	s_setpc_b64 s[14:15]
.LBB2_10006:
	s_or_b64 exec, exec, s[6:7]
	s_and_saveexec_b64 s[6:7], s[4:5]
	s_cbranch_execz .LBB2_10008
.LBB2_10007:
	v_bfe_u32 v13, v2, 16, 3
	v_ffbh_u32_e32 v16, v13
	v_min_u32_e32 v16, 32, v16
	v_lshrrev_b32_e32 v14, 19, v2
	v_subrev_u32_e32 v17, 28, v16
	v_and_b32_e32 v14, 15, v14
	v_lshlrev_b32_sdwa v17, v17, v2 dst_sel:DWORD dst_unused:UNUSED_PAD src0_sel:DWORD src1_sel:WORD_1
	v_bfe_u32 v15, v2, 19, 4
	v_sub_u32_e32 v16, 29, v16
	v_and_b32_e32 v17, 7, v17
	v_cmp_eq_u16_e32 vcc, 0, v14
	v_cndmask_b32_e32 v13, v13, v17, vcc
	v_cndmask_b32_e32 v14, v15, v16, vcc
	v_lshlrev_b32_e32 v15, 8, v2
	v_mov_b32_e32 v16, 0x3b800000
	v_lshlrev_b32_e32 v13, 20, v13
	v_and_b32_e32 v15, 0x80000000, v15
	v_lshl_add_u32 v14, v14, 23, v16
	v_or3_b32 v14, v15, v14, v13
.LBB2_10008:
	s_or_b64 exec, exec, s[6:7]
	s_nop 0
	v_mfma_f32_16x16x4f32 a[0:3], v12, v14, a[0:3]
	s_movk_i32 s4, 0x7f
	v_cmp_gt_i16_sdwa s[6:7], v6, s4 src0_sel:BYTE_3 src1_sel:DWORD
	s_mov_b64 s[4:5], 0
                                        ; implicit-def: $sgpr10
	s_and_saveexec_b64 s[8:9], s[6:7]
	s_xor_b64 s[6:7], exec, s[8:9]
	s_cbranch_execz .LBB2_10009
; %bb.45849:
	s_getpc_b64 s[14:15]
.Lpost_getpc26508:
	s_add_u32 s14, s14, (.LBB2_24345-.Lpost_getpc26508)&4294967295
	s_addc_u32 s15, s15, (.LBB2_24345-.Lpost_getpc26508)>>32
	s_setpc_b64 s[14:15]
.LBB2_10009:
	s_or_saveexec_b64 s[6:7], s[6:7]
	v_mov_b32_e32 v12, s10
	s_xor_b64 exec, exec, s[6:7]
	s_cbranch_execz .LBB2_10010
; %bb.45851:
	s_getpc_b64 s[14:15]
.Lpost_getpc26509:
	s_add_u32 s14, s14, (.LBB2_24348-.Lpost_getpc26509)&4294967295
	s_addc_u32 s15, s15, (.LBB2_24348-.Lpost_getpc26509)>>32
	s_setpc_b64 s[14:15]
.LBB2_10010:
	s_or_b64 exec, exec, s[6:7]
	s_and_saveexec_b64 s[6:7], s[4:5]
	s_cbranch_execz .LBB2_10012
.LBB2_10011:
	v_bfe_u32 v12, v6, 24, 3
	v_ffbh_u32_e32 v16, v12
	v_min_u32_e32 v16, 32, v16
	v_lshrrev_b32_e32 v14, 27, v6
	v_subrev_u32_e32 v17, 28, v16
	v_and_b32_e32 v13, 0x80000000, v6
	v_and_b32_e32 v14, 15, v14
	v_bfe_u32 v15, v6, 27, 4
	v_lshlrev_b32_sdwa v6, v17, v6 dst_sel:DWORD dst_unused:UNUSED_PAD src0_sel:DWORD src1_sel:BYTE_3
	v_sub_u32_e32 v16, 29, v16
	v_and_b32_e32 v6, 7, v6
	v_cmp_eq_u16_e32 vcc, 0, v14
	v_cndmask_b32_e32 v6, v12, v6, vcc
	v_cndmask_b32_e32 v12, v15, v16, vcc
	v_mov_b32_e32 v14, 0x3b800000
	v_lshlrev_b32_e32 v6, 20, v6
	v_lshl_add_u32 v12, v12, 23, v14
	v_or3_b32 v12, v13, v12, v6
.LBB2_10012:
	s_or_b64 exec, exec, s[6:7]
	s_movk_i32 s4, 0x7f
	v_cmp_gt_i16_sdwa s[6:7], v2, s4 src0_sel:BYTE_3 src1_sel:DWORD
	s_mov_b64 s[4:5], 0
                                        ; implicit-def: $sgpr10
	s_and_saveexec_b64 s[8:9], s[6:7]
	s_xor_b64 s[6:7], exec, s[8:9]
	s_cbranch_execz .LBB2_10013
; %bb.45853:
	s_getpc_b64 s[14:15]
.Lpost_getpc26510:
	s_add_u32 s14, s14, (.LBB2_24349-.Lpost_getpc26510)&4294967295
	s_addc_u32 s15, s15, (.LBB2_24349-.Lpost_getpc26510)>>32
	s_setpc_b64 s[14:15]
.LBB2_10013:
	s_or_saveexec_b64 s[6:7], s[6:7]
	v_mov_b32_e32 v6, s10
	s_xor_b64 exec, exec, s[6:7]
	s_cbranch_execz .LBB2_10014
; %bb.45855:
	s_getpc_b64 s[14:15]
.Lpost_getpc26511:
	s_add_u32 s14, s14, (.LBB2_24352-.Lpost_getpc26511)&4294967295
	s_addc_u32 s15, s15, (.LBB2_24352-.Lpost_getpc26511)>>32
	s_setpc_b64 s[14:15]
.LBB2_10014:
	s_or_b64 exec, exec, s[6:7]
	s_and_saveexec_b64 s[6:7], s[4:5]
	s_cbranch_execz .LBB2_10016
.LBB2_10015:
	v_bfe_u32 v6, v2, 24, 3
	v_ffbh_u32_e32 v16, v6
	v_min_u32_e32 v16, 32, v16
	v_lshrrev_b32_e32 v14, 27, v2
	v_subrev_u32_e32 v17, 28, v16
	v_and_b32_e32 v13, 0x80000000, v2
	v_and_b32_e32 v14, 15, v14
	v_bfe_u32 v15, v2, 27, 4
	v_lshlrev_b32_sdwa v2, v17, v2 dst_sel:DWORD dst_unused:UNUSED_PAD src0_sel:DWORD src1_sel:BYTE_3
	v_sub_u32_e32 v16, 29, v16
	v_and_b32_e32 v2, 7, v2
	v_cmp_eq_u16_e32 vcc, 0, v14
	v_cndmask_b32_e32 v2, v6, v2, vcc
	v_cndmask_b32_e32 v6, v15, v16, vcc
	v_mov_b32_e32 v14, 0x3b800000
	v_lshlrev_b32_e32 v2, 20, v2
	v_lshl_add_u32 v6, v6, 23, v14
	v_or3_b32 v6, v13, v6, v2
.LBB2_10016:
	s_or_b64 exec, exec, s[6:7]
	s_nop 0
	v_mfma_f32_16x16x4f32 a[0:3], v12, v6, a[0:3]
	s_movk_i32 s4, 0x7f
	v_cmp_gt_i16_sdwa s[6:7], v7, s4 src0_sel:BYTE_0 src1_sel:DWORD
	s_mov_b64 s[4:5], 0
                                        ; implicit-def: $sgpr10
	s_and_saveexec_b64 s[8:9], s[6:7]
	s_xor_b64 s[6:7], exec, s[8:9]
	s_cbranch_execz .LBB2_10017
; %bb.45857:
	s_getpc_b64 s[14:15]
.Lpost_getpc26512:
	s_add_u32 s14, s14, (.LBB2_24353-.Lpost_getpc26512)&4294967295
	s_addc_u32 s15, s15, (.LBB2_24353-.Lpost_getpc26512)>>32
	s_setpc_b64 s[14:15]
.LBB2_10017:
	s_or_saveexec_b64 s[6:7], s[6:7]
	v_mov_b32_e32 v2, s10
	s_xor_b64 exec, exec, s[6:7]
	s_cbranch_execz .LBB2_10018
; %bb.45859:
	s_getpc_b64 s[14:15]
.Lpost_getpc26513:
	s_add_u32 s14, s14, (.LBB2_24356-.Lpost_getpc26513)&4294967295
	s_addc_u32 s15, s15, (.LBB2_24356-.Lpost_getpc26513)>>32
	s_setpc_b64 s[14:15]
.LBB2_10018:
	s_or_b64 exec, exec, s[6:7]
	s_and_saveexec_b64 s[6:7], s[4:5]
	s_cbranch_execz .LBB2_10020
.LBB2_10019:
	v_and_b32_e32 v2, 7, v7
	v_ffbh_u32_e32 v12, v2
	v_min_u32_e32 v12, 32, v12
	v_lshrrev_b16_e32 v6, 3, v7
	v_subrev_u32_e32 v13, 28, v12
	v_and_b32_e32 v6, 15, v6
	v_lshlrev_b32_e32 v13, v13, v7
	v_sub_u32_e32 v12, 29, v12
	v_and_b32_e32 v13, 7, v13
	v_cmp_eq_u16_e32 vcc, 0, v6
	v_cndmask_b32_e32 v2, v2, v13, vcc
	v_cndmask_b32_e32 v6, v6, v12, vcc
	v_lshlrev_b32_e32 v12, 24, v7
	v_mov_b32_e32 v13, 0x3b800000
	v_lshlrev_b32_e32 v2, 20, v2
	v_and_b32_e32 v12, 0x80000000, v12
	v_lshl_add_u32 v6, v6, 23, v13
	v_or3_b32 v2, v12, v6, v2
.LBB2_10020:
	s_or_b64 exec, exec, s[6:7]
	s_movk_i32 s4, 0x7f
	v_cmp_gt_i16_sdwa s[6:7], v3, s4 src0_sel:BYTE_0 src1_sel:DWORD
	s_mov_b64 s[4:5], 0
                                        ; implicit-def: $sgpr10
	s_and_saveexec_b64 s[8:9], s[6:7]
	s_xor_b64 s[6:7], exec, s[8:9]
	s_cbranch_execz .LBB2_10021
; %bb.45861:
	s_getpc_b64 s[14:15]
.Lpost_getpc26514:
	s_add_u32 s14, s14, (.LBB2_24357-.Lpost_getpc26514)&4294967295
	s_addc_u32 s15, s15, (.LBB2_24357-.Lpost_getpc26514)>>32
	s_setpc_b64 s[14:15]
.LBB2_10021:
	s_or_saveexec_b64 s[6:7], s[6:7]
	v_mov_b32_e32 v6, s10
	s_xor_b64 exec, exec, s[6:7]
	s_cbranch_execz .LBB2_10022
; %bb.45863:
	s_getpc_b64 s[14:15]
.Lpost_getpc26515:
	s_add_u32 s14, s14, (.LBB2_24360-.Lpost_getpc26515)&4294967295
	s_addc_u32 s15, s15, (.LBB2_24360-.Lpost_getpc26515)>>32
	s_setpc_b64 s[14:15]
.LBB2_10022:
	s_or_b64 exec, exec, s[6:7]
	s_and_saveexec_b64 s[6:7], s[4:5]
	s_cbranch_execz .LBB2_10024
.LBB2_10023:
	v_and_b32_e32 v6, 7, v3
	v_ffbh_u32_e32 v13, v6
	v_min_u32_e32 v13, 32, v13
	v_lshrrev_b16_e32 v12, 3, v3
	v_subrev_u32_e32 v14, 28, v13
	v_and_b32_e32 v12, 15, v12
	v_lshlrev_b32_e32 v14, v14, v3
	v_sub_u32_e32 v13, 29, v13
	v_and_b32_e32 v14, 7, v14
	v_cmp_eq_u16_e32 vcc, 0, v12
	v_cndmask_b32_e32 v6, v6, v14, vcc
	v_cndmask_b32_e32 v12, v12, v13, vcc
	v_lshlrev_b32_e32 v13, 24, v3
	v_mov_b32_e32 v14, 0x3b800000
	v_lshlrev_b32_e32 v6, 20, v6
	v_and_b32_e32 v13, 0x80000000, v13
	v_lshl_add_u32 v12, v12, 23, v14
	v_or3_b32 v6, v13, v12, v6
.LBB2_10024:
	s_or_b64 exec, exec, s[6:7]
	s_nop 0
	v_mfma_f32_16x16x4f32 a[0:3], v2, v6, a[0:3]
	v_lshrrev_b32_e32 v6, 8, v7
	s_movk_i32 s4, 0x7f
	v_cmp_gt_i16_sdwa s[6:7], v6, s4 src0_sel:BYTE_0 src1_sel:DWORD
	s_mov_b64 s[4:5], 0
                                        ; implicit-def: $sgpr10
	s_and_saveexec_b64 s[8:9], s[6:7]
	s_xor_b64 s[6:7], exec, s[8:9]
	s_cbranch_execz .LBB2_10025
; %bb.45865:
	s_getpc_b64 s[14:15]
.Lpost_getpc26516:
	s_add_u32 s14, s14, (.LBB2_24361-.Lpost_getpc26516)&4294967295
	s_addc_u32 s15, s15, (.LBB2_24361-.Lpost_getpc26516)>>32
	s_setpc_b64 s[14:15]
.LBB2_10025:
	s_or_saveexec_b64 s[6:7], s[6:7]
	v_mov_b32_e32 v2, s10
	s_xor_b64 exec, exec, s[6:7]
	s_cbranch_execz .LBB2_10026
; %bb.45867:
	s_getpc_b64 s[14:15]
.Lpost_getpc26517:
	s_add_u32 s14, s14, (.LBB2_24364-.Lpost_getpc26517)&4294967295
	s_addc_u32 s15, s15, (.LBB2_24364-.Lpost_getpc26517)>>32
	s_setpc_b64 s[14:15]
.LBB2_10026:
	s_or_b64 exec, exec, s[6:7]
	s_and_saveexec_b64 s[6:7], s[4:5]
	s_cbranch_execz .LBB2_10028
.LBB2_10027:
	v_bfe_u32 v2, v7, 8, 3
	v_ffbh_u32_e32 v13, v2
	v_min_u32_e32 v13, 32, v13
	v_lshrrev_b16_e32 v12, 3, v6
	v_subrev_u32_e32 v14, 28, v13
	v_and_b32_e32 v12, 15, v12
	v_lshlrev_b32_e32 v6, v14, v6
	v_sub_u32_e32 v13, 29, v13
	v_and_b32_e32 v6, 7, v6
	v_cmp_eq_u16_e32 vcc, 0, v12
	v_cndmask_b32_e32 v2, v2, v6, vcc
	v_cndmask_b32_e32 v6, v12, v13, vcc
	v_lshlrev_b32_e32 v12, 16, v7
	v_mov_b32_e32 v13, 0x3b800000
	v_lshlrev_b32_e32 v2, 20, v2
	v_and_b32_e32 v12, 0x80000000, v12
	v_lshl_add_u32 v6, v6, 23, v13
	v_or3_b32 v2, v12, v6, v2
.LBB2_10028:
	s_or_b64 exec, exec, s[6:7]
	v_lshrrev_b32_e32 v6, 8, v3
	s_movk_i32 s4, 0x7f
	v_cmp_gt_i16_sdwa s[6:7], v6, s4 src0_sel:BYTE_0 src1_sel:DWORD
	s_mov_b64 s[4:5], 0
                                        ; implicit-def: $sgpr10
	s_and_saveexec_b64 s[8:9], s[6:7]
	s_xor_b64 s[6:7], exec, s[8:9]
	s_cbranch_execz .LBB2_10029
; %bb.45869:
	s_getpc_b64 s[14:15]
.Lpost_getpc26518:
	s_add_u32 s14, s14, (.LBB2_24365-.Lpost_getpc26518)&4294967295
	s_addc_u32 s15, s15, (.LBB2_24365-.Lpost_getpc26518)>>32
	s_setpc_b64 s[14:15]
.LBB2_10029:
	s_or_saveexec_b64 s[6:7], s[6:7]
	v_mov_b32_e32 v12, s10
	s_xor_b64 exec, exec, s[6:7]
	s_cbranch_execz .LBB2_10030
; %bb.45871:
	s_getpc_b64 s[14:15]
.Lpost_getpc26519:
	s_add_u32 s14, s14, (.LBB2_24368-.Lpost_getpc26519)&4294967295
	s_addc_u32 s15, s15, (.LBB2_24368-.Lpost_getpc26519)>>32
	s_setpc_b64 s[14:15]
.LBB2_10030:
	s_or_b64 exec, exec, s[6:7]
	s_and_saveexec_b64 s[6:7], s[4:5]
	s_cbranch_execz .LBB2_10032
.LBB2_10031:
	v_bfe_u32 v12, v3, 8, 3
	v_ffbh_u32_e32 v14, v12
	v_min_u32_e32 v14, 32, v14
	v_lshrrev_b16_e32 v13, 3, v6
	v_subrev_u32_e32 v15, 28, v14
	v_and_b32_e32 v13, 15, v13
	v_lshlrev_b32_e32 v6, v15, v6
	v_sub_u32_e32 v14, 29, v14
	v_and_b32_e32 v6, 7, v6
	v_cmp_eq_u16_e32 vcc, 0, v13
	v_cndmask_b32_e32 v6, v12, v6, vcc
	v_cndmask_b32_e32 v12, v13, v14, vcc
	v_lshlrev_b32_e32 v13, 16, v3
	v_mov_b32_e32 v14, 0x3b800000
	v_lshlrev_b32_e32 v6, 20, v6
	v_and_b32_e32 v13, 0x80000000, v13
	v_lshl_add_u32 v12, v12, 23, v14
	v_or3_b32 v12, v13, v12, v6
.LBB2_10032:
	s_or_b64 exec, exec, s[6:7]
	s_nop 0
	v_mfma_f32_16x16x4f32 a[0:3], v2, v12, a[0:3]
	s_movk_i32 s4, 0xff
	v_and_b32_sdwa v6, v7, s4 dst_sel:DWORD dst_unused:UNUSED_PAD src0_sel:WORD_1 src1_sel:DWORD
	s_movk_i32 s4, 0x7f
	v_cmp_lt_i16_e32 vcc, s4, v6
	s_mov_b64 s[4:5], 0
                                        ; implicit-def: $sgpr10
	s_and_saveexec_b64 s[6:7], vcc
	s_xor_b64 s[6:7], exec, s[6:7]
	s_cbranch_execz .LBB2_10033
; %bb.45873:
	s_getpc_b64 s[14:15]
.Lpost_getpc26520:
	s_add_u32 s14, s14, (.LBB2_24369-.Lpost_getpc26520)&4294967295
	s_addc_u32 s15, s15, (.LBB2_24369-.Lpost_getpc26520)>>32
	s_setpc_b64 s[14:15]
.LBB2_10033:
	s_or_saveexec_b64 s[6:7], s[6:7]
	v_mov_b32_e32 v2, s10
	s_xor_b64 exec, exec, s[6:7]
	s_cbranch_execz .LBB2_10034
; %bb.45875:
	s_getpc_b64 s[14:15]
.Lpost_getpc26521:
	s_add_u32 s14, s14, (.LBB2_24372-.Lpost_getpc26521)&4294967295
	s_addc_u32 s15, s15, (.LBB2_24372-.Lpost_getpc26521)>>32
	s_setpc_b64 s[14:15]
.LBB2_10034:
	s_or_b64 exec, exec, s[6:7]
	s_and_saveexec_b64 s[6:7], s[4:5]
	s_cbranch_execz .LBB2_10036
.LBB2_10035:
	v_bfe_u32 v2, v7, 16, 3
	v_ffbh_u32_e32 v13, v2
	v_min_u32_e32 v13, 32, v13
	v_lshrrev_b32_e32 v6, 19, v7
	v_subrev_u32_e32 v14, 28, v13
	v_and_b32_e32 v6, 15, v6
	v_lshlrev_b32_sdwa v14, v14, v7 dst_sel:DWORD dst_unused:UNUSED_PAD src0_sel:DWORD src1_sel:WORD_1
	v_bfe_u32 v12, v7, 19, 4
	v_sub_u32_e32 v13, 29, v13
	v_and_b32_e32 v14, 7, v14
	v_cmp_eq_u16_e32 vcc, 0, v6
	v_cndmask_b32_e32 v2, v2, v14, vcc
	v_cndmask_b32_e32 v6, v12, v13, vcc
	v_lshlrev_b32_e32 v12, 8, v7
	v_mov_b32_e32 v13, 0x3b800000
	v_lshlrev_b32_e32 v2, 20, v2
	v_and_b32_e32 v12, 0x80000000, v12
	v_lshl_add_u32 v6, v6, 23, v13
	v_or3_b32 v2, v12, v6, v2
.LBB2_10036:
	s_or_b64 exec, exec, s[6:7]
	s_movk_i32 s4, 0xff
	v_and_b32_sdwa v6, v3, s4 dst_sel:DWORD dst_unused:UNUSED_PAD src0_sel:WORD_1 src1_sel:DWORD
	s_movk_i32 s4, 0x7f
	v_cmp_lt_i16_e32 vcc, s4, v6
	s_mov_b64 s[4:5], 0
                                        ; implicit-def: $sgpr10
	s_and_saveexec_b64 s[6:7], vcc
	s_xor_b64 s[6:7], exec, s[6:7]
	s_cbranch_execz .LBB2_10037
; %bb.45877:
	s_getpc_b64 s[14:15]
.Lpost_getpc26522:
	s_add_u32 s14, s14, (.LBB2_24373-.Lpost_getpc26522)&4294967295
	s_addc_u32 s15, s15, (.LBB2_24373-.Lpost_getpc26522)>>32
	s_setpc_b64 s[14:15]
.LBB2_10037:
	s_or_saveexec_b64 s[6:7], s[6:7]
	v_mov_b32_e32 v12, s10
	s_xor_b64 exec, exec, s[6:7]
	s_cbranch_execz .LBB2_10038
; %bb.45879:
	s_getpc_b64 s[14:15]
.Lpost_getpc26523:
	s_add_u32 s14, s14, (.LBB2_24376-.Lpost_getpc26523)&4294967295
	s_addc_u32 s15, s15, (.LBB2_24376-.Lpost_getpc26523)>>32
	s_setpc_b64 s[14:15]
.LBB2_10038:
	s_or_b64 exec, exec, s[6:7]
	s_and_saveexec_b64 s[6:7], s[4:5]
	s_cbranch_execz .LBB2_10040
.LBB2_10039:
	v_bfe_u32 v6, v3, 16, 3
	v_ffbh_u32_e32 v14, v6
	v_min_u32_e32 v14, 32, v14
	v_lshrrev_b32_e32 v12, 19, v3
	v_subrev_u32_e32 v15, 28, v14
	v_and_b32_e32 v12, 15, v12
	v_lshlrev_b32_sdwa v15, v15, v3 dst_sel:DWORD dst_unused:UNUSED_PAD src0_sel:DWORD src1_sel:WORD_1
	v_bfe_u32 v13, v3, 19, 4
	v_sub_u32_e32 v14, 29, v14
	v_and_b32_e32 v15, 7, v15
	v_cmp_eq_u16_e32 vcc, 0, v12
	v_cndmask_b32_e32 v6, v6, v15, vcc
	v_cndmask_b32_e32 v12, v13, v14, vcc
	v_lshlrev_b32_e32 v13, 8, v3
	v_mov_b32_e32 v14, 0x3b800000
	v_lshlrev_b32_e32 v6, 20, v6
	v_and_b32_e32 v13, 0x80000000, v13
	v_lshl_add_u32 v12, v12, 23, v14
	v_or3_b32 v12, v13, v12, v6
.LBB2_10040:
	s_or_b64 exec, exec, s[6:7]
	s_nop 0
	v_mfma_f32_16x16x4f32 a[0:3], v2, v12, a[0:3]
	s_movk_i32 s4, 0x7f
	v_cmp_gt_i16_sdwa s[6:7], v7, s4 src0_sel:BYTE_3 src1_sel:DWORD
	s_mov_b64 s[4:5], 0
                                        ; implicit-def: $sgpr10
	s_and_saveexec_b64 s[8:9], s[6:7]
	s_xor_b64 s[6:7], exec, s[8:9]
	s_cbranch_execz .LBB2_10041
; %bb.45881:
	s_getpc_b64 s[14:15]
.Lpost_getpc26524:
	s_add_u32 s14, s14, (.LBB2_24377-.Lpost_getpc26524)&4294967295
	s_addc_u32 s15, s15, (.LBB2_24377-.Lpost_getpc26524)>>32
	s_setpc_b64 s[14:15]
.LBB2_10041:
	s_or_saveexec_b64 s[6:7], s[6:7]
	v_mov_b32_e32 v2, s10
	s_xor_b64 exec, exec, s[6:7]
	s_cbranch_execz .LBB2_10042
; %bb.45883:
	s_getpc_b64 s[14:15]
.Lpost_getpc26525:
	s_add_u32 s14, s14, (.LBB2_24380-.Lpost_getpc26525)&4294967295
	s_addc_u32 s15, s15, (.LBB2_24380-.Lpost_getpc26525)>>32
	s_setpc_b64 s[14:15]
.LBB2_10042:
	s_or_b64 exec, exec, s[6:7]
	s_and_saveexec_b64 s[6:7], s[4:5]
	s_cbranch_execz .LBB2_10044
.LBB2_10043:
	v_bfe_u32 v2, v7, 24, 3
	v_ffbh_u32_e32 v14, v2
	v_min_u32_e32 v14, 32, v14
	v_lshrrev_b32_e32 v12, 27, v7
	v_subrev_u32_e32 v15, 28, v14
	v_and_b32_e32 v6, 0x80000000, v7
	v_and_b32_e32 v12, 15, v12
	v_bfe_u32 v13, v7, 27, 4
	v_lshlrev_b32_sdwa v7, v15, v7 dst_sel:DWORD dst_unused:UNUSED_PAD src0_sel:DWORD src1_sel:BYTE_3
	v_sub_u32_e32 v14, 29, v14
	v_and_b32_e32 v7, 7, v7
	v_cmp_eq_u16_e32 vcc, 0, v12
	v_cndmask_b32_e32 v2, v2, v7, vcc
	v_cndmask_b32_e32 v7, v13, v14, vcc
	v_mov_b32_e32 v12, 0x3b800000
	v_lshlrev_b32_e32 v2, 20, v2
	v_lshl_add_u32 v7, v7, 23, v12
	v_or3_b32 v2, v6, v7, v2
.LBB2_10044:
	s_or_b64 exec, exec, s[6:7]
	s_movk_i32 s4, 0x7f
	v_cmp_gt_i16_sdwa s[6:7], v3, s4 src0_sel:BYTE_3 src1_sel:DWORD
	s_mov_b64 s[4:5], 0
                                        ; implicit-def: $sgpr10
	s_and_saveexec_b64 s[8:9], s[6:7]
	s_xor_b64 s[6:7], exec, s[8:9]
	s_cbranch_execz .LBB2_10045
; %bb.45885:
	s_getpc_b64 s[14:15]
.Lpost_getpc26526:
	s_add_u32 s14, s14, (.LBB2_24381-.Lpost_getpc26526)&4294967295
	s_addc_u32 s15, s15, (.LBB2_24381-.Lpost_getpc26526)>>32
	s_setpc_b64 s[14:15]
.LBB2_10045:
	s_or_saveexec_b64 s[6:7], s[6:7]
	v_mov_b32_e32 v6, s10
	s_xor_b64 exec, exec, s[6:7]
	s_cbranch_execz .LBB2_10046
; %bb.45887:
	s_getpc_b64 s[14:15]
.Lpost_getpc26527:
	s_add_u32 s14, s14, (.LBB2_24384-.Lpost_getpc26527)&4294967295
	s_addc_u32 s15, s15, (.LBB2_24384-.Lpost_getpc26527)>>32
	s_setpc_b64 s[14:15]
.LBB2_10046:
	s_or_b64 exec, exec, s[6:7]
	s_and_saveexec_b64 s[6:7], s[4:5]
	s_cbranch_execz .LBB2_10048
.LBB2_10047:
	v_bfe_u32 v6, v3, 24, 3
	v_ffbh_u32_e32 v14, v6
	v_min_u32_e32 v14, 32, v14
	v_lshrrev_b32_e32 v12, 27, v3
	v_subrev_u32_e32 v15, 28, v14
	v_and_b32_e32 v7, 0x80000000, v3
	v_and_b32_e32 v12, 15, v12
	v_bfe_u32 v13, v3, 27, 4
	v_lshlrev_b32_sdwa v3, v15, v3 dst_sel:DWORD dst_unused:UNUSED_PAD src0_sel:DWORD src1_sel:BYTE_3
	v_sub_u32_e32 v14, 29, v14
	v_and_b32_e32 v3, 7, v3
	v_cmp_eq_u16_e32 vcc, 0, v12
	v_cndmask_b32_e32 v3, v6, v3, vcc
	v_cndmask_b32_e32 v6, v13, v14, vcc
	v_mov_b32_e32 v12, 0x3b800000
	v_lshlrev_b32_e32 v3, 20, v3
	v_lshl_add_u32 v6, v6, 23, v12
	v_or3_b32 v6, v7, v6, v3
.LBB2_10048:
	s_or_b64 exec, exec, s[6:7]
	s_nop 0
	v_mfma_f32_16x16x4f32 a[0:3], v2, v6, a[0:3]
	s_movk_i32 s4, 0x7f
	v_cmp_gt_i16_sdwa s[6:7], v8, s4 src0_sel:BYTE_0 src1_sel:DWORD
	s_mov_b64 s[4:5], 0
                                        ; implicit-def: $sgpr10
	s_and_saveexec_b64 s[8:9], s[6:7]
	s_xor_b64 s[6:7], exec, s[8:9]
	s_cbranch_execz .LBB2_10049
; %bb.45889:
	s_getpc_b64 s[14:15]
.Lpost_getpc26528:
	s_add_u32 s14, s14, (.LBB2_24385-.Lpost_getpc26528)&4294967295
	s_addc_u32 s15, s15, (.LBB2_24385-.Lpost_getpc26528)>>32
	s_setpc_b64 s[14:15]
.LBB2_10049:
	s_or_saveexec_b64 s[6:7], s[6:7]
	v_mov_b32_e32 v2, s10
	s_xor_b64 exec, exec, s[6:7]
	s_cbranch_execz .LBB2_10050
; %bb.45891:
	s_getpc_b64 s[14:15]
.Lpost_getpc26529:
	s_add_u32 s14, s14, (.LBB2_24388-.Lpost_getpc26529)&4294967295
	s_addc_u32 s15, s15, (.LBB2_24388-.Lpost_getpc26529)>>32
	s_setpc_b64 s[14:15]
.LBB2_10050:
	s_or_b64 exec, exec, s[6:7]
	s_and_saveexec_b64 s[6:7], s[4:5]
	s_cbranch_execz .LBB2_10052
.LBB2_10051:
	v_and_b32_e32 v2, 7, v8
	v_ffbh_u32_e32 v6, v2
	v_min_u32_e32 v6, 32, v6
	v_lshrrev_b16_e32 v3, 3, v8
	v_subrev_u32_e32 v7, 28, v6
	v_and_b32_e32 v3, 15, v3
	v_lshlrev_b32_e32 v7, v7, v8
	v_sub_u32_e32 v6, 29, v6
	v_and_b32_e32 v7, 7, v7
	v_cmp_eq_u16_e32 vcc, 0, v3
	v_cndmask_b32_e32 v2, v2, v7, vcc
	v_cndmask_b32_e32 v3, v3, v6, vcc
	v_lshlrev_b32_e32 v6, 24, v8
	v_mov_b32_e32 v7, 0x3b800000
	v_lshlrev_b32_e32 v2, 20, v2
	v_and_b32_e32 v6, 0x80000000, v6
	v_lshl_add_u32 v3, v3, 23, v7
	v_or3_b32 v2, v6, v3, v2
.LBB2_10052:
	s_or_b64 exec, exec, s[6:7]
	s_movk_i32 s4, 0x7f
	v_cmp_gt_i16_sdwa s[6:7], v4, s4 src0_sel:BYTE_0 src1_sel:DWORD
	s_mov_b64 s[4:5], 0
                                        ; implicit-def: $sgpr10
	s_and_saveexec_b64 s[8:9], s[6:7]
	s_xor_b64 s[6:7], exec, s[8:9]
	s_cbranch_execz .LBB2_10053
; %bb.45893:
	s_getpc_b64 s[14:15]
.Lpost_getpc26530:
	s_add_u32 s14, s14, (.LBB2_24389-.Lpost_getpc26530)&4294967295
	s_addc_u32 s15, s15, (.LBB2_24389-.Lpost_getpc26530)>>32
	s_setpc_b64 s[14:15]
.LBB2_10053:
	s_or_saveexec_b64 s[6:7], s[6:7]
	v_mov_b32_e32 v3, s10
	s_xor_b64 exec, exec, s[6:7]
	s_cbranch_execz .LBB2_10054
; %bb.45895:
	s_getpc_b64 s[14:15]
.Lpost_getpc26531:
	s_add_u32 s14, s14, (.LBB2_24392-.Lpost_getpc26531)&4294967295
	s_addc_u32 s15, s15, (.LBB2_24392-.Lpost_getpc26531)>>32
	s_setpc_b64 s[14:15]
.LBB2_10054:
	s_or_b64 exec, exec, s[6:7]
	s_and_saveexec_b64 s[6:7], s[4:5]
	s_cbranch_execz .LBB2_10056
.LBB2_10055:
	v_and_b32_e32 v3, 7, v4
	v_ffbh_u32_e32 v7, v3
	v_min_u32_e32 v7, 32, v7
	v_lshrrev_b16_e32 v6, 3, v4
	v_subrev_u32_e32 v12, 28, v7
	v_and_b32_e32 v6, 15, v6
	v_lshlrev_b32_e32 v12, v12, v4
	v_sub_u32_e32 v7, 29, v7
	v_and_b32_e32 v12, 7, v12
	v_cmp_eq_u16_e32 vcc, 0, v6
	v_cndmask_b32_e32 v3, v3, v12, vcc
	v_cndmask_b32_e32 v6, v6, v7, vcc
	v_lshlrev_b32_e32 v7, 24, v4
	v_mov_b32_e32 v12, 0x3b800000
	v_lshlrev_b32_e32 v3, 20, v3
	v_and_b32_e32 v7, 0x80000000, v7
	v_lshl_add_u32 v6, v6, 23, v12
	v_or3_b32 v3, v7, v6, v3
.LBB2_10056:
	s_or_b64 exec, exec, s[6:7]
	s_nop 0
	v_mfma_f32_16x16x4f32 a[0:3], v2, v3, a[0:3]
	v_lshrrev_b32_e32 v3, 8, v8
	s_movk_i32 s4, 0x7f
	v_cmp_gt_i16_sdwa s[6:7], v3, s4 src0_sel:BYTE_0 src1_sel:DWORD
	s_mov_b64 s[4:5], 0
                                        ; implicit-def: $sgpr10
	s_and_saveexec_b64 s[8:9], s[6:7]
	s_xor_b64 s[6:7], exec, s[8:9]
	s_cbranch_execz .LBB2_10057
; %bb.45897:
	s_getpc_b64 s[14:15]
.Lpost_getpc26532:
	s_add_u32 s14, s14, (.LBB2_24393-.Lpost_getpc26532)&4294967295
	s_addc_u32 s15, s15, (.LBB2_24393-.Lpost_getpc26532)>>32
	s_setpc_b64 s[14:15]
.LBB2_10057:
	s_or_saveexec_b64 s[6:7], s[6:7]
	v_mov_b32_e32 v2, s10
	s_xor_b64 exec, exec, s[6:7]
	s_cbranch_execz .LBB2_10058
; %bb.45899:
	s_getpc_b64 s[14:15]
.Lpost_getpc26533:
	s_add_u32 s14, s14, (.LBB2_24396-.Lpost_getpc26533)&4294967295
	s_addc_u32 s15, s15, (.LBB2_24396-.Lpost_getpc26533)>>32
	s_setpc_b64 s[14:15]
.LBB2_10058:
	s_or_b64 exec, exec, s[6:7]
	s_and_saveexec_b64 s[6:7], s[4:5]
	s_cbranch_execz .LBB2_10060
.LBB2_10059:
	v_bfe_u32 v2, v8, 8, 3
	v_ffbh_u32_e32 v7, v2
	v_min_u32_e32 v7, 32, v7
	v_lshrrev_b16_e32 v6, 3, v3
	v_subrev_u32_e32 v12, 28, v7
	v_and_b32_e32 v6, 15, v6
	v_lshlrev_b32_e32 v3, v12, v3
	v_sub_u32_e32 v7, 29, v7
	v_and_b32_e32 v3, 7, v3
	v_cmp_eq_u16_e32 vcc, 0, v6
	v_cndmask_b32_e32 v2, v2, v3, vcc
	v_cndmask_b32_e32 v3, v6, v7, vcc
	v_lshlrev_b32_e32 v6, 16, v8
	v_mov_b32_e32 v7, 0x3b800000
	v_lshlrev_b32_e32 v2, 20, v2
	v_and_b32_e32 v6, 0x80000000, v6
	v_lshl_add_u32 v3, v3, 23, v7
	v_or3_b32 v2, v6, v3, v2
.LBB2_10060:
	s_or_b64 exec, exec, s[6:7]
	v_lshrrev_b32_e32 v3, 8, v4
	s_movk_i32 s4, 0x7f
	v_cmp_gt_i16_sdwa s[6:7], v3, s4 src0_sel:BYTE_0 src1_sel:DWORD
	s_mov_b64 s[4:5], 0
                                        ; implicit-def: $sgpr10
	s_and_saveexec_b64 s[8:9], s[6:7]
	s_xor_b64 s[6:7], exec, s[8:9]
	s_cbranch_execz .LBB2_10061
; %bb.45901:
	s_getpc_b64 s[14:15]
.Lpost_getpc26534:
	s_add_u32 s14, s14, (.LBB2_24397-.Lpost_getpc26534)&4294967295
	s_addc_u32 s15, s15, (.LBB2_24397-.Lpost_getpc26534)>>32
	s_setpc_b64 s[14:15]
.LBB2_10061:
	s_or_saveexec_b64 s[6:7], s[6:7]
	v_mov_b32_e32 v6, s10
	s_xor_b64 exec, exec, s[6:7]
	s_cbranch_execz .LBB2_10062
; %bb.45903:
	s_getpc_b64 s[14:15]
.Lpost_getpc26535:
	s_add_u32 s14, s14, (.LBB2_24400-.Lpost_getpc26535)&4294967295
	s_addc_u32 s15, s15, (.LBB2_24400-.Lpost_getpc26535)>>32
	s_setpc_b64 s[14:15]
.LBB2_10062:
	s_or_b64 exec, exec, s[6:7]
	s_and_saveexec_b64 s[6:7], s[4:5]
	s_cbranch_execz .LBB2_10064
.LBB2_10063:
	v_bfe_u32 v6, v4, 8, 3
	v_ffbh_u32_e32 v12, v6
	v_min_u32_e32 v12, 32, v12
	v_lshrrev_b16_e32 v7, 3, v3
	v_subrev_u32_e32 v13, 28, v12
	v_and_b32_e32 v7, 15, v7
	v_lshlrev_b32_e32 v3, v13, v3
	v_sub_u32_e32 v12, 29, v12
	v_and_b32_e32 v3, 7, v3
	v_cmp_eq_u16_e32 vcc, 0, v7
	v_cndmask_b32_e32 v3, v6, v3, vcc
	v_cndmask_b32_e32 v6, v7, v12, vcc
	v_lshlrev_b32_e32 v7, 16, v4
	v_mov_b32_e32 v12, 0x3b800000
	v_lshlrev_b32_e32 v3, 20, v3
	v_and_b32_e32 v7, 0x80000000, v7
	v_lshl_add_u32 v6, v6, 23, v12
	v_or3_b32 v6, v7, v6, v3
.LBB2_10064:
	s_or_b64 exec, exec, s[6:7]
	s_nop 0
	v_mfma_f32_16x16x4f32 a[0:3], v2, v6, a[0:3]
	s_movk_i32 s4, 0xff
	v_and_b32_sdwa v3, v8, s4 dst_sel:DWORD dst_unused:UNUSED_PAD src0_sel:WORD_1 src1_sel:DWORD
	s_movk_i32 s4, 0x7f
	v_cmp_lt_i16_e32 vcc, s4, v3
	s_mov_b64 s[4:5], 0
                                        ; implicit-def: $sgpr10
	s_and_saveexec_b64 s[6:7], vcc
	s_xor_b64 s[6:7], exec, s[6:7]
	s_cbranch_execz .LBB2_10065
; %bb.45905:
	s_getpc_b64 s[14:15]
.Lpost_getpc26536:
	s_add_u32 s14, s14, (.LBB2_24401-.Lpost_getpc26536)&4294967295
	s_addc_u32 s15, s15, (.LBB2_24401-.Lpost_getpc26536)>>32
	s_setpc_b64 s[14:15]
.LBB2_10065:
	s_or_saveexec_b64 s[6:7], s[6:7]
	v_mov_b32_e32 v2, s10
	s_xor_b64 exec, exec, s[6:7]
	s_cbranch_execz .LBB2_10066
; %bb.45907:
	s_getpc_b64 s[14:15]
.Lpost_getpc26537:
	s_add_u32 s14, s14, (.LBB2_24404-.Lpost_getpc26537)&4294967295
	s_addc_u32 s15, s15, (.LBB2_24404-.Lpost_getpc26537)>>32
	s_setpc_b64 s[14:15]
.LBB2_10066:
	s_or_b64 exec, exec, s[6:7]
	s_and_saveexec_b64 s[6:7], s[4:5]
	s_cbranch_execz .LBB2_10068
.LBB2_10067:
	v_bfe_u32 v2, v8, 16, 3
	v_ffbh_u32_e32 v7, v2
	v_min_u32_e32 v7, 32, v7
	v_lshrrev_b32_e32 v3, 19, v8
	v_subrev_u32_e32 v12, 28, v7
	v_and_b32_e32 v3, 15, v3
	v_lshlrev_b32_sdwa v12, v12, v8 dst_sel:DWORD dst_unused:UNUSED_PAD src0_sel:DWORD src1_sel:WORD_1
	v_bfe_u32 v6, v8, 19, 4
	v_sub_u32_e32 v7, 29, v7
	v_and_b32_e32 v12, 7, v12
	v_cmp_eq_u16_e32 vcc, 0, v3
	v_cndmask_b32_e32 v2, v2, v12, vcc
	v_cndmask_b32_e32 v3, v6, v7, vcc
	v_lshlrev_b32_e32 v6, 8, v8
	v_mov_b32_e32 v7, 0x3b800000
	v_lshlrev_b32_e32 v2, 20, v2
	v_and_b32_e32 v6, 0x80000000, v6
	v_lshl_add_u32 v3, v3, 23, v7
	v_or3_b32 v2, v6, v3, v2
.LBB2_10068:
	s_or_b64 exec, exec, s[6:7]
	s_movk_i32 s4, 0xff
	v_and_b32_sdwa v3, v4, s4 dst_sel:DWORD dst_unused:UNUSED_PAD src0_sel:WORD_1 src1_sel:DWORD
	s_movk_i32 s4, 0x7f
	v_cmp_lt_i16_e32 vcc, s4, v3
	s_mov_b64 s[4:5], 0
                                        ; implicit-def: $sgpr10
	s_and_saveexec_b64 s[6:7], vcc
	s_xor_b64 s[6:7], exec, s[6:7]
	s_cbranch_execz .LBB2_10069
; %bb.45909:
	s_getpc_b64 s[14:15]
.Lpost_getpc26538:
	s_add_u32 s14, s14, (.LBB2_24405-.Lpost_getpc26538)&4294967295
	s_addc_u32 s15, s15, (.LBB2_24405-.Lpost_getpc26538)>>32
	s_setpc_b64 s[14:15]
.LBB2_10069:
	s_or_saveexec_b64 s[6:7], s[6:7]
	v_mov_b32_e32 v6, s10
	s_xor_b64 exec, exec, s[6:7]
	s_cbranch_execz .LBB2_10070
; %bb.45911:
	s_getpc_b64 s[14:15]
.Lpost_getpc26539:
	s_add_u32 s14, s14, (.LBB2_24408-.Lpost_getpc26539)&4294967295
	s_addc_u32 s15, s15, (.LBB2_24408-.Lpost_getpc26539)>>32
	s_setpc_b64 s[14:15]
.LBB2_10070:
	s_or_b64 exec, exec, s[6:7]
	s_and_saveexec_b64 s[6:7], s[4:5]
	s_cbranch_execz .LBB2_10072
.LBB2_10071:
	v_bfe_u32 v3, v4, 16, 3
	v_ffbh_u32_e32 v12, v3
	v_min_u32_e32 v12, 32, v12
	v_lshrrev_b32_e32 v6, 19, v4
	v_subrev_u32_e32 v13, 28, v12
	v_and_b32_e32 v6, 15, v6
	v_lshlrev_b32_sdwa v13, v13, v4 dst_sel:DWORD dst_unused:UNUSED_PAD src0_sel:DWORD src1_sel:WORD_1
	v_bfe_u32 v7, v4, 19, 4
	v_sub_u32_e32 v12, 29, v12
	v_and_b32_e32 v13, 7, v13
	v_cmp_eq_u16_e32 vcc, 0, v6
	v_cndmask_b32_e32 v3, v3, v13, vcc
	v_cndmask_b32_e32 v6, v7, v12, vcc
	v_lshlrev_b32_e32 v7, 8, v4
	v_mov_b32_e32 v12, 0x3b800000
	v_lshlrev_b32_e32 v3, 20, v3
	v_and_b32_e32 v7, 0x80000000, v7
	v_lshl_add_u32 v6, v6, 23, v12
	v_or3_b32 v6, v7, v6, v3
.LBB2_10072:
	s_or_b64 exec, exec, s[6:7]
	s_nop 0
	v_mfma_f32_16x16x4f32 a[0:3], v2, v6, a[0:3]
	s_movk_i32 s4, 0x7f
	v_cmp_gt_i16_sdwa s[6:7], v8, s4 src0_sel:BYTE_3 src1_sel:DWORD
	s_mov_b64 s[4:5], 0
                                        ; implicit-def: $sgpr10
	s_and_saveexec_b64 s[8:9], s[6:7]
	s_xor_b64 s[6:7], exec, s[8:9]
	s_cbranch_execz .LBB2_10073
; %bb.45913:
	s_getpc_b64 s[14:15]
.Lpost_getpc26540:
	s_add_u32 s14, s14, (.LBB2_24409-.Lpost_getpc26540)&4294967295
	s_addc_u32 s15, s15, (.LBB2_24409-.Lpost_getpc26540)>>32
	s_setpc_b64 s[14:15]
.LBB2_10073:
	s_or_saveexec_b64 s[6:7], s[6:7]
	v_mov_b32_e32 v2, s10
	s_xor_b64 exec, exec, s[6:7]
	s_cbranch_execz .LBB2_10074
; %bb.45915:
	s_getpc_b64 s[14:15]
.Lpost_getpc26541:
	s_add_u32 s14, s14, (.LBB2_24412-.Lpost_getpc26541)&4294967295
	s_addc_u32 s15, s15, (.LBB2_24412-.Lpost_getpc26541)>>32
	s_setpc_b64 s[14:15]
.LBB2_10074:
	s_or_b64 exec, exec, s[6:7]
	s_and_saveexec_b64 s[6:7], s[4:5]
	s_cbranch_execz .LBB2_10076
.LBB2_10075:
	v_bfe_u32 v2, v8, 24, 3
	v_ffbh_u32_e32 v12, v2
	v_min_u32_e32 v12, 32, v12
	v_lshrrev_b32_e32 v6, 27, v8
	v_subrev_u32_e32 v13, 28, v12
	v_and_b32_e32 v3, 0x80000000, v8
	v_and_b32_e32 v6, 15, v6
	v_bfe_u32 v7, v8, 27, 4
	v_lshlrev_b32_sdwa v8, v13, v8 dst_sel:DWORD dst_unused:UNUSED_PAD src0_sel:DWORD src1_sel:BYTE_3
	v_sub_u32_e32 v12, 29, v12
	v_and_b32_e32 v8, 7, v8
	v_cmp_eq_u16_e32 vcc, 0, v6
	v_cndmask_b32_e32 v2, v2, v8, vcc
	v_cndmask_b32_e32 v6, v7, v12, vcc
	v_mov_b32_e32 v7, 0x3b800000
	v_lshlrev_b32_e32 v2, 20, v2
	v_lshl_add_u32 v6, v6, 23, v7
	v_or3_b32 v2, v3, v6, v2
.LBB2_10076:
	s_or_b64 exec, exec, s[6:7]
	s_movk_i32 s4, 0x7f
	v_cmp_gt_i16_sdwa s[6:7], v4, s4 src0_sel:BYTE_3 src1_sel:DWORD
	s_mov_b64 s[4:5], 0
                                        ; implicit-def: $sgpr10
	s_and_saveexec_b64 s[8:9], s[6:7]
	s_xor_b64 s[6:7], exec, s[8:9]
	s_cbranch_execz .LBB2_10077
; %bb.45917:
	s_getpc_b64 s[14:15]
.Lpost_getpc26542:
	s_add_u32 s14, s14, (.LBB2_24413-.Lpost_getpc26542)&4294967295
	s_addc_u32 s15, s15, (.LBB2_24413-.Lpost_getpc26542)>>32
	s_setpc_b64 s[14:15]
.LBB2_10077:
	s_or_saveexec_b64 s[6:7], s[6:7]
	v_mov_b32_e32 v3, s10
	s_xor_b64 exec, exec, s[6:7]
	s_cbranch_execz .LBB2_10078
; %bb.45919:
	s_getpc_b64 s[14:15]
.Lpost_getpc26543:
	s_add_u32 s14, s14, (.LBB2_24416-.Lpost_getpc26543)&4294967295
	s_addc_u32 s15, s15, (.LBB2_24416-.Lpost_getpc26543)>>32
	s_setpc_b64 s[14:15]
.LBB2_10078:
	s_or_b64 exec, exec, s[6:7]
	s_and_saveexec_b64 s[6:7], s[4:5]
	s_cbranch_execz .LBB2_10080
.LBB2_10079:
	v_bfe_u32 v3, v4, 24, 3
	v_ffbh_u32_e32 v12, v3
	v_min_u32_e32 v12, 32, v12
	v_lshrrev_b32_e32 v7, 27, v4
	v_subrev_u32_e32 v13, 28, v12
	v_and_b32_e32 v6, 0x80000000, v4
	v_and_b32_e32 v7, 15, v7
	v_bfe_u32 v8, v4, 27, 4
	v_lshlrev_b32_sdwa v4, v13, v4 dst_sel:DWORD dst_unused:UNUSED_PAD src0_sel:DWORD src1_sel:BYTE_3
	v_sub_u32_e32 v12, 29, v12
	v_and_b32_e32 v4, 7, v4
	v_cmp_eq_u16_e32 vcc, 0, v7
	v_cndmask_b32_e32 v3, v3, v4, vcc
	v_cndmask_b32_e32 v4, v8, v12, vcc
	v_mov_b32_e32 v7, 0x3b800000
	v_lshlrev_b32_e32 v3, 20, v3
	v_lshl_add_u32 v4, v4, 23, v7
	v_or3_b32 v3, v6, v4, v3
.LBB2_10080:
	s_or_b64 exec, exec, s[6:7]
	s_nop 0
	v_mfma_f32_16x16x4f32 a[0:3], v2, v3, a[0:3]
	s_movk_i32 s4, 0x7f
	v_cmp_gt_i16_sdwa s[6:7], v9, s4 src0_sel:BYTE_0 src1_sel:DWORD
	s_mov_b64 s[4:5], 0
                                        ; implicit-def: $sgpr10
	s_and_saveexec_b64 s[8:9], s[6:7]
	s_xor_b64 s[6:7], exec, s[8:9]
	s_cbranch_execz .LBB2_10081
; %bb.45921:
	s_getpc_b64 s[14:15]
.Lpost_getpc26544:
	s_add_u32 s14, s14, (.LBB2_24417-.Lpost_getpc26544)&4294967295
	s_addc_u32 s15, s15, (.LBB2_24417-.Lpost_getpc26544)>>32
	s_setpc_b64 s[14:15]
.LBB2_10081:
	s_or_saveexec_b64 s[6:7], s[6:7]
	v_mov_b32_e32 v2, s10
	s_xor_b64 exec, exec, s[6:7]
	s_cbranch_execz .LBB2_10082
; %bb.45923:
	s_getpc_b64 s[14:15]
.Lpost_getpc26545:
	s_add_u32 s14, s14, (.LBB2_24420-.Lpost_getpc26545)&4294967295
	s_addc_u32 s15, s15, (.LBB2_24420-.Lpost_getpc26545)>>32
	s_setpc_b64 s[14:15]
.LBB2_10082:
	s_or_b64 exec, exec, s[6:7]
	s_and_saveexec_b64 s[6:7], s[4:5]
	s_cbranch_execz .LBB2_10084
.LBB2_10083:
	v_mov_b32_e32 v2, 8
	v_and_b32_e32 v3, 7, v9
	v_lshrrev_b32_sdwa v2, v2, v9 dst_sel:BYTE_1 dst_unused:UNUSED_PAD src0_sel:DWORD src1_sel:DWORD
	v_ffbh_u32_e32 v4, v3
	v_or_b32_sdwa v2, v9, v2 dst_sel:DWORD dst_unused:UNUSED_PAD src0_sel:BYTE_0 src1_sel:DWORD
	v_min_u32_e32 v4, 32, v4
	v_lshrrev_b16_e32 v2, 3, v2
	v_subrev_u32_e32 v6, 28, v4
	v_and_b32_e32 v2, 15, v2
	v_lshlrev_b32_e32 v6, v6, v9
	v_sub_u32_e32 v4, 29, v4
	v_and_b32_e32 v6, 7, v6
	v_cmp_eq_u16_e32 vcc, 0, v2
	v_cndmask_b32_e32 v3, v3, v6, vcc
	v_cndmask_b32_e32 v2, v2, v4, vcc
	v_lshlrev_b32_e32 v4, 24, v9
	v_mov_b32_e32 v6, 0x3b800000
	v_lshlrev_b32_e32 v3, 20, v3
	v_and_b32_e32 v4, 0x80000000, v4
	v_lshl_add_u32 v2, v2, 23, v6
	v_or3_b32 v2, v4, v2, v3
.LBB2_10084:
	s_or_b64 exec, exec, s[6:7]
	s_movk_i32 s4, 0x7f
	v_cmp_gt_i16_sdwa s[6:7], v5, s4 src0_sel:BYTE_0 src1_sel:DWORD
	s_mov_b64 s[4:5], 0
                                        ; implicit-def: $sgpr10
	s_and_saveexec_b64 s[8:9], s[6:7]
	s_xor_b64 s[6:7], exec, s[8:9]
	s_cbranch_execz .LBB2_10085
; %bb.45925:
	s_getpc_b64 s[14:15]
.Lpost_getpc26546:
	s_add_u32 s14, s14, (.LBB2_24421-.Lpost_getpc26546)&4294967295
	s_addc_u32 s15, s15, (.LBB2_24421-.Lpost_getpc26546)>>32
	s_setpc_b64 s[14:15]
.LBB2_10085:
	s_or_saveexec_b64 s[6:7], s[6:7]
	v_mov_b32_e32 v3, s10
	s_xor_b64 exec, exec, s[6:7]
	s_cbranch_execz .LBB2_10086
; %bb.45927:
	s_getpc_b64 s[14:15]
.Lpost_getpc26547:
	s_add_u32 s14, s14, (.LBB2_24424-.Lpost_getpc26547)&4294967295
	s_addc_u32 s15, s15, (.LBB2_24424-.Lpost_getpc26547)>>32
	s_setpc_b64 s[14:15]
.LBB2_10086:
	s_or_b64 exec, exec, s[6:7]
	s_and_saveexec_b64 s[6:7], s[4:5]
	s_cbranch_execz .LBB2_10088
.LBB2_10087:
	v_mov_b32_e32 v3, 8
	v_and_b32_e32 v4, 7, v5
	v_lshrrev_b32_sdwa v3, v3, v5 dst_sel:BYTE_1 dst_unused:UNUSED_PAD src0_sel:DWORD src1_sel:DWORD
	v_ffbh_u32_e32 v6, v4
	v_or_b32_sdwa v3, v5, v3 dst_sel:DWORD dst_unused:UNUSED_PAD src0_sel:BYTE_0 src1_sel:DWORD
	v_min_u32_e32 v6, 32, v6
	v_lshrrev_b16_e32 v3, 3, v3
	v_subrev_u32_e32 v7, 28, v6
	v_and_b32_e32 v3, 15, v3
	v_lshlrev_b32_e32 v7, v7, v5
	v_sub_u32_e32 v6, 29, v6
	v_and_b32_e32 v7, 7, v7
	v_cmp_eq_u16_e32 vcc, 0, v3
	v_cndmask_b32_e32 v4, v4, v7, vcc
	v_cndmask_b32_e32 v3, v3, v6, vcc
	v_lshlrev_b32_e32 v6, 24, v5
	v_mov_b32_e32 v7, 0x3b800000
	v_lshlrev_b32_e32 v4, 20, v4
	v_and_b32_e32 v6, 0x80000000, v6
	v_lshl_add_u32 v3, v3, 23, v7
	v_or3_b32 v3, v6, v3, v4
.LBB2_10088:
	s_or_b64 exec, exec, s[6:7]
	s_nop 0
	v_mfma_f32_16x16x4f32 a[0:3], v2, v3, a[0:3]
	v_lshrrev_b32_e32 v3, 8, v9
	s_movk_i32 s4, 0x7f
	v_cmp_gt_i16_sdwa s[6:7], v3, s4 src0_sel:BYTE_0 src1_sel:DWORD
	s_mov_b64 s[4:5], 0
                                        ; implicit-def: $sgpr10
	s_and_saveexec_b64 s[8:9], s[6:7]
	s_xor_b64 s[6:7], exec, s[8:9]
	s_cbranch_execz .LBB2_10089
; %bb.45929:
	s_getpc_b64 s[14:15]
.Lpost_getpc26548:
	s_add_u32 s14, s14, (.LBB2_24425-.Lpost_getpc26548)&4294967295
	s_addc_u32 s15, s15, (.LBB2_24425-.Lpost_getpc26548)>>32
	s_setpc_b64 s[14:15]
.LBB2_10089:
	s_or_saveexec_b64 s[6:7], s[6:7]
	v_mov_b32_e32 v2, s10
	s_xor_b64 exec, exec, s[6:7]
	s_cbranch_execz .LBB2_10090
; %bb.45931:
	s_getpc_b64 s[14:15]
.Lpost_getpc26549:
	s_add_u32 s14, s14, (.LBB2_24428-.Lpost_getpc26549)&4294967295
	s_addc_u32 s15, s15, (.LBB2_24428-.Lpost_getpc26549)>>32
	s_setpc_b64 s[14:15]
.LBB2_10090:
	s_or_b64 exec, exec, s[6:7]
	s_and_saveexec_b64 s[6:7], s[4:5]
	s_cbranch_execz .LBB2_10092
.LBB2_10091:
	v_bfe_u32 v2, v9, 8, 3
	v_ffbh_u32_e32 v6, v2
	v_min_u32_e32 v6, 32, v6
	v_lshrrev_b16_e32 v4, 3, v3
	v_subrev_u32_e32 v7, 28, v6
	v_and_b32_e32 v4, 15, v4
	v_lshlrev_b32_e32 v3, v7, v3
	v_sub_u32_e32 v6, 29, v6
	v_and_b32_e32 v3, 7, v3
	v_cmp_eq_u16_e32 vcc, 0, v4
	v_cndmask_b32_e32 v2, v2, v3, vcc
	v_cndmask_b32_e32 v3, v4, v6, vcc
	v_lshlrev_b32_e32 v4, 16, v9
	v_mov_b32_e32 v6, 0x3b800000
	v_lshlrev_b32_e32 v2, 20, v2
	v_and_b32_e32 v4, 0x80000000, v4
	v_lshl_add_u32 v3, v3, 23, v6
	v_or3_b32 v2, v4, v3, v2
.LBB2_10092:
	s_or_b64 exec, exec, s[6:7]
	v_lshrrev_b32_e32 v3, 8, v5
	s_movk_i32 s4, 0x7f
	v_cmp_gt_i16_sdwa s[6:7], v3, s4 src0_sel:BYTE_0 src1_sel:DWORD
	s_mov_b64 s[4:5], 0
                                        ; implicit-def: $sgpr10
	s_and_saveexec_b64 s[8:9], s[6:7]
	s_xor_b64 s[6:7], exec, s[8:9]
	s_cbranch_execz .LBB2_10093
; %bb.45933:
	s_getpc_b64 s[14:15]
.Lpost_getpc26550:
	s_add_u32 s14, s14, (.LBB2_24429-.Lpost_getpc26550)&4294967295
	s_addc_u32 s15, s15, (.LBB2_24429-.Lpost_getpc26550)>>32
	s_setpc_b64 s[14:15]
.LBB2_10093:
	s_or_saveexec_b64 s[6:7], s[6:7]
	v_mov_b32_e32 v4, s10
	s_xor_b64 exec, exec, s[6:7]
	s_cbranch_execz .LBB2_10094
; %bb.45935:
	s_getpc_b64 s[14:15]
.Lpost_getpc26551:
	s_add_u32 s14, s14, (.LBB2_24432-.Lpost_getpc26551)&4294967295
	s_addc_u32 s15, s15, (.LBB2_24432-.Lpost_getpc26551)>>32
	s_setpc_b64 s[14:15]
.LBB2_10094:
	s_or_b64 exec, exec, s[6:7]
	s_and_saveexec_b64 s[6:7], s[4:5]
	s_cbranch_execz .LBB2_10096
.LBB2_10095:
	v_bfe_u32 v4, v5, 8, 3
	v_ffbh_u32_e32 v7, v4
	v_min_u32_e32 v7, 32, v7
	v_lshrrev_b16_e32 v6, 3, v3
	v_subrev_u32_e32 v8, 28, v7
	v_and_b32_e32 v6, 15, v6
	v_lshlrev_b32_e32 v3, v8, v3
	v_sub_u32_e32 v7, 29, v7
	v_and_b32_e32 v3, 7, v3
	v_cmp_eq_u16_e32 vcc, 0, v6
	v_cndmask_b32_e32 v3, v4, v3, vcc
	v_cndmask_b32_e32 v4, v6, v7, vcc
	v_lshlrev_b32_e32 v6, 16, v5
	v_mov_b32_e32 v7, 0x3b800000
	v_lshlrev_b32_e32 v3, 20, v3
	v_and_b32_e32 v6, 0x80000000, v6
	v_lshl_add_u32 v4, v4, 23, v7
	v_or3_b32 v4, v6, v4, v3
.LBB2_10096:
	s_or_b64 exec, exec, s[6:7]
	s_nop 0
	v_mfma_f32_16x16x4f32 a[0:3], v2, v4, a[0:3]
	s_movk_i32 s4, 0xff
	v_and_b32_sdwa v3, v9, s4 dst_sel:DWORD dst_unused:UNUSED_PAD src0_sel:WORD_1 src1_sel:DWORD
	s_movk_i32 s4, 0x7f
	v_cmp_lt_i16_e32 vcc, s4, v3
	s_mov_b64 s[4:5], 0
                                        ; implicit-def: $sgpr10
	s_and_saveexec_b64 s[6:7], vcc
	s_xor_b64 s[6:7], exec, s[6:7]
	s_cbranch_execz .LBB2_10097
; %bb.45937:
	s_getpc_b64 s[14:15]
.Lpost_getpc26552:
	s_add_u32 s14, s14, (.LBB2_24433-.Lpost_getpc26552)&4294967295
	s_addc_u32 s15, s15, (.LBB2_24433-.Lpost_getpc26552)>>32
	s_setpc_b64 s[14:15]
.LBB2_10097:
	s_or_saveexec_b64 s[6:7], s[6:7]
	v_mov_b32_e32 v2, s10
	s_xor_b64 exec, exec, s[6:7]
	s_cbranch_execz .LBB2_10098
; %bb.45939:
	s_getpc_b64 s[14:15]
.Lpost_getpc26553:
	s_add_u32 s14, s14, (.LBB2_24436-.Lpost_getpc26553)&4294967295
	s_addc_u32 s15, s15, (.LBB2_24436-.Lpost_getpc26553)>>32
	s_setpc_b64 s[14:15]
.LBB2_10098:
	s_or_b64 exec, exec, s[6:7]
	s_and_saveexec_b64 s[6:7], s[4:5]
	s_cbranch_execz .LBB2_10100
.LBB2_10099:
	v_bfe_u32 v2, v9, 16, 3
	v_ffbh_u32_e32 v6, v2
	v_min_u32_e32 v6, 32, v6
	v_lshrrev_b32_e32 v3, 19, v9
	v_subrev_u32_e32 v7, 28, v6
	v_and_b32_e32 v3, 15, v3
	v_lshlrev_b32_sdwa v7, v7, v9 dst_sel:DWORD dst_unused:UNUSED_PAD src0_sel:DWORD src1_sel:WORD_1
	v_bfe_u32 v4, v9, 19, 4
	v_sub_u32_e32 v6, 29, v6
	v_and_b32_e32 v7, 7, v7
	v_cmp_eq_u16_e32 vcc, 0, v3
	v_cndmask_b32_e32 v2, v2, v7, vcc
	v_cndmask_b32_e32 v3, v4, v6, vcc
	v_lshlrev_b32_e32 v4, 8, v9
	v_mov_b32_e32 v6, 0x3b800000
	v_lshlrev_b32_e32 v2, 20, v2
	v_and_b32_e32 v4, 0x80000000, v4
	v_lshl_add_u32 v3, v3, 23, v6
	v_or3_b32 v2, v4, v3, v2
.LBB2_10100:
	s_or_b64 exec, exec, s[6:7]
	s_movk_i32 s4, 0xff
	v_and_b32_sdwa v3, v5, s4 dst_sel:DWORD dst_unused:UNUSED_PAD src0_sel:WORD_1 src1_sel:DWORD
	s_movk_i32 s4, 0x7f
	v_cmp_lt_i16_e32 vcc, s4, v3
	s_mov_b64 s[4:5], 0
                                        ; implicit-def: $sgpr10
	s_and_saveexec_b64 s[6:7], vcc
	s_xor_b64 s[6:7], exec, s[6:7]
	s_cbranch_execz .LBB2_10101
; %bb.45941:
	s_getpc_b64 s[14:15]
.Lpost_getpc26554:
	s_add_u32 s14, s14, (.LBB2_24437-.Lpost_getpc26554)&4294967295
	s_addc_u32 s15, s15, (.LBB2_24437-.Lpost_getpc26554)>>32
	s_setpc_b64 s[14:15]
.LBB2_10101:
	s_or_saveexec_b64 s[6:7], s[6:7]
	v_mov_b32_e32 v4, s10
	s_xor_b64 exec, exec, s[6:7]
	s_cbranch_execz .LBB2_10102
; %bb.45943:
	s_getpc_b64 s[14:15]
.Lpost_getpc26555:
	s_add_u32 s14, s14, (.LBB2_24440-.Lpost_getpc26555)&4294967295
	s_addc_u32 s15, s15, (.LBB2_24440-.Lpost_getpc26555)>>32
	s_setpc_b64 s[14:15]
.LBB2_10102:
	s_or_b64 exec, exec, s[6:7]
	s_and_saveexec_b64 s[6:7], s[4:5]
	s_cbranch_execz .LBB2_10104
.LBB2_10103:
	v_bfe_u32 v3, v5, 16, 3
	v_ffbh_u32_e32 v7, v3
	v_min_u32_e32 v7, 32, v7
	v_lshrrev_b32_e32 v4, 19, v5
	v_subrev_u32_e32 v8, 28, v7
	v_and_b32_e32 v4, 15, v4
	v_lshlrev_b32_sdwa v8, v8, v5 dst_sel:DWORD dst_unused:UNUSED_PAD src0_sel:DWORD src1_sel:WORD_1
	v_bfe_u32 v6, v5, 19, 4
	v_sub_u32_e32 v7, 29, v7
	v_and_b32_e32 v8, 7, v8
	v_cmp_eq_u16_e32 vcc, 0, v4
	v_cndmask_b32_e32 v3, v3, v8, vcc
	v_cndmask_b32_e32 v4, v6, v7, vcc
	v_lshlrev_b32_e32 v6, 8, v5
	v_mov_b32_e32 v7, 0x3b800000
	v_lshlrev_b32_e32 v3, 20, v3
	v_and_b32_e32 v6, 0x80000000, v6
	v_lshl_add_u32 v4, v4, 23, v7
	v_or3_b32 v4, v6, v4, v3
.LBB2_10104:
	s_or_b64 exec, exec, s[6:7]
	s_nop 0
	v_mfma_f32_16x16x4f32 a[0:3], v2, v4, a[0:3]
	s_movk_i32 s4, 0x7f
	v_cmp_gt_i16_sdwa s[6:7], v9, s4 src0_sel:BYTE_3 src1_sel:DWORD
	s_mov_b64 s[4:5], 0
                                        ; implicit-def: $sgpr10
	s_and_saveexec_b64 s[8:9], s[6:7]
	s_xor_b64 s[6:7], exec, s[8:9]
	s_cbranch_execz .LBB2_10105
; %bb.45945:
	s_getpc_b64 s[14:15]
.Lpost_getpc26556:
	s_add_u32 s14, s14, (.LBB2_24441-.Lpost_getpc26556)&4294967295
	s_addc_u32 s15, s15, (.LBB2_24441-.Lpost_getpc26556)>>32
	s_setpc_b64 s[14:15]
.LBB2_10105:
	s_or_saveexec_b64 s[6:7], s[6:7]
	v_mov_b32_e32 v2, s10
	s_xor_b64 exec, exec, s[6:7]
	s_cbranch_execz .LBB2_10106
; %bb.45947:
	s_getpc_b64 s[14:15]
.Lpost_getpc26557:
	s_add_u32 s14, s14, (.LBB2_24444-.Lpost_getpc26557)&4294967295
	s_addc_u32 s15, s15, (.LBB2_24444-.Lpost_getpc26557)>>32
	s_setpc_b64 s[14:15]
.LBB2_10106:
	s_or_b64 exec, exec, s[6:7]
	s_and_saveexec_b64 s[6:7], s[4:5]
	s_cbranch_execz .LBB2_10108
.LBB2_10107:
	v_bfe_u32 v2, v9, 24, 3
	v_ffbh_u32_e32 v7, v2
	v_min_u32_e32 v7, 32, v7
	v_lshrrev_b32_e32 v4, 27, v9
	v_subrev_u32_e32 v8, 28, v7
	v_and_b32_e32 v4, 15, v4
	v_lshlrev_b32_sdwa v8, v8, v9 dst_sel:DWORD dst_unused:UNUSED_PAD src0_sel:DWORD src1_sel:BYTE_3
	v_bfe_u32 v6, v9, 27, 4
	v_sub_u32_e32 v7, 29, v7
	v_and_b32_e32 v8, 7, v8
	v_cmp_eq_u16_e32 vcc, 0, v4
	v_cndmask_b32_e32 v2, v2, v8, vcc
	v_cndmask_b32_e32 v4, v6, v7, vcc
	v_mov_b32_e32 v6, 0x3b800000
	v_and_b32_e32 v3, 0x80000000, v9
	v_lshlrev_b32_e32 v2, 20, v2
	v_lshl_add_u32 v4, v4, 23, v6
	v_or3_b32 v2, v3, v4, v2
.LBB2_10108:
	s_or_b64 exec, exec, s[6:7]
	s_movk_i32 s4, 0x7f
	v_cmp_gt_i16_sdwa s[6:7], v5, s4 src0_sel:BYTE_3 src1_sel:DWORD
	s_mov_b64 s[4:5], 0
                                        ; implicit-def: $sgpr10
	s_and_saveexec_b64 s[8:9], s[6:7]
	s_xor_b64 s[6:7], exec, s[8:9]
	s_cbranch_execz .LBB2_10109
; %bb.45949:
	s_getpc_b64 s[14:15]
.Lpost_getpc26558:
	s_add_u32 s14, s14, (.LBB2_24445-.Lpost_getpc26558)&4294967295
	s_addc_u32 s15, s15, (.LBB2_24445-.Lpost_getpc26558)>>32
	s_setpc_b64 s[14:15]
.LBB2_10109:
	s_or_saveexec_b64 s[6:7], s[6:7]
	v_mov_b32_e32 v3, s10
	s_xor_b64 exec, exec, s[6:7]
	s_cbranch_execz .LBB2_10110
; %bb.45951:
	s_getpc_b64 s[14:15]
.Lpost_getpc26559:
	s_add_u32 s14, s14, (.LBB2_24448-.Lpost_getpc26559)&4294967295
	s_addc_u32 s15, s15, (.LBB2_24448-.Lpost_getpc26559)>>32
	s_setpc_b64 s[14:15]
.LBB2_10110:
	s_or_b64 exec, exec, s[6:7]
	s_and_saveexec_b64 s[6:7], s[4:5]
	s_cbranch_execz .LBB2_10112
.LBB2_10111:
	v_bfe_u32 v3, v5, 24, 3
	v_ffbh_u32_e32 v8, v3
	v_min_u32_e32 v8, 32, v8
	v_lshrrev_b32_e32 v6, 27, v5
	v_subrev_u32_e32 v9, 28, v8
	v_and_b32_e32 v4, 0x80000000, v5
	v_and_b32_e32 v6, 15, v6
	v_bfe_u32 v7, v5, 27, 4
	v_lshlrev_b32_sdwa v5, v9, v5 dst_sel:DWORD dst_unused:UNUSED_PAD src0_sel:DWORD src1_sel:BYTE_3
	v_sub_u32_e32 v8, 29, v8
	v_and_b32_e32 v5, 7, v5
	v_cmp_eq_u16_e32 vcc, 0, v6
	v_cndmask_b32_e32 v3, v3, v5, vcc
	v_cndmask_b32_e32 v5, v7, v8, vcc
	v_mov_b32_e32 v6, 0x3b800000
	v_lshlrev_b32_e32 v3, 20, v3
	v_lshl_add_u32 v5, v5, 23, v6
	v_or3_b32 v3, v4, v5, v3
.LBB2_10112:
	s_or_b64 exec, exec, s[6:7]
	s_nop 0
	v_mfma_f32_16x16x4f32 a[0:3], v2, v3, a[0:3]
	s_movk_i32 s4, 0x7f
                                        ; implicit-def: $sgpr10
	s_nop 7
	s_nop 1
	flat_store_dwordx4 v[10:11], a[0:3] offset:352
	flat_load_dwordx4 v[12:15], v[0:1]
	s_nop 0
	flat_load_dwordx2 v[10:11], v[0:1] offset:16
	s_waitcnt vmcnt(0) lgkmcnt(0)
	flat_load_dwordx4 v[6:9], v[12:13] offset:144
	flat_load_dwordx4 v[2:5], v[14:15] offset:240
	s_waitcnt vmcnt(0) lgkmcnt(0)
	v_cmp_gt_i16_sdwa s[6:7], v6, s4 src0_sel:BYTE_0 src1_sel:DWORD
	s_mov_b64 s[4:5], 0
	s_and_saveexec_b64 s[8:9], s[6:7]
	s_xor_b64 s[6:7], exec, s[8:9]
	s_cbranch_execz .LBB2_10113
; %bb.45953:
	s_getpc_b64 s[14:15]
.Lpost_getpc26560:
	s_add_u32 s14, s14, (.LBB2_24449-.Lpost_getpc26560)&4294967295
	s_addc_u32 s15, s15, (.LBB2_24449-.Lpost_getpc26560)>>32
	s_setpc_b64 s[14:15]
.LBB2_10113:
	s_or_saveexec_b64 s[6:7], s[6:7]
	v_mov_b32_e32 v12, s10
	s_xor_b64 exec, exec, s[6:7]
	s_cbranch_execz .LBB2_10114
; %bb.45955:
	s_getpc_b64 s[14:15]
.Lpost_getpc26561:
	s_add_u32 s14, s14, (.LBB2_24452-.Lpost_getpc26561)&4294967295
	s_addc_u32 s15, s15, (.LBB2_24452-.Lpost_getpc26561)>>32
	s_setpc_b64 s[14:15]
.LBB2_10114:
	s_or_b64 exec, exec, s[6:7]
	s_and_saveexec_b64 s[6:7], s[4:5]
	s_cbranch_execz .LBB2_10116
.LBB2_10115:
	v_and_b32_e32 v12, 7, v6
	v_ffbh_u32_e32 v14, v12
	v_min_u32_e32 v14, 32, v14
	v_lshrrev_b16_e32 v13, 3, v6
	v_subrev_u32_e32 v15, 28, v14
	v_and_b32_e32 v13, 15, v13
	v_lshlrev_b32_e32 v15, v15, v6
	v_sub_u32_e32 v14, 29, v14
	v_and_b32_e32 v15, 7, v15
	v_cmp_eq_u16_e32 vcc, 0, v13
	v_cndmask_b32_e32 v12, v12, v15, vcc
	v_cndmask_b32_e32 v13, v13, v14, vcc
	v_lshlrev_b32_e32 v14, 24, v6
	v_mov_b32_e32 v15, 0x3b800000
	v_lshlrev_b32_e32 v12, 20, v12
	v_and_b32_e32 v14, 0x80000000, v14
	v_lshl_add_u32 v13, v13, 23, v15
	v_or3_b32 v12, v14, v13, v12
.LBB2_10116:
	s_or_b64 exec, exec, s[6:7]
	s_movk_i32 s4, 0x7f
	v_cmp_gt_i16_sdwa s[6:7], v2, s4 src0_sel:BYTE_0 src1_sel:DWORD
	s_mov_b64 s[4:5], 0
                                        ; implicit-def: $sgpr10
	s_and_saveexec_b64 s[8:9], s[6:7]
	s_xor_b64 s[6:7], exec, s[8:9]
	s_cbranch_execz .LBB2_10117
; %bb.45957:
	s_getpc_b64 s[14:15]
.Lpost_getpc26562:
	s_add_u32 s14, s14, (.LBB2_24453-.Lpost_getpc26562)&4294967295
	s_addc_u32 s15, s15, (.LBB2_24453-.Lpost_getpc26562)>>32
	s_setpc_b64 s[14:15]
.LBB2_10117:
	s_or_saveexec_b64 s[6:7], s[6:7]
	v_mov_b32_e32 v13, s10
	s_xor_b64 exec, exec, s[6:7]
	s_cbranch_execz .LBB2_10118
; %bb.45959:
	s_getpc_b64 s[14:15]
.Lpost_getpc26563:
	s_add_u32 s14, s14, (.LBB2_24456-.Lpost_getpc26563)&4294967295
	s_addc_u32 s15, s15, (.LBB2_24456-.Lpost_getpc26563)>>32
	s_setpc_b64 s[14:15]
.LBB2_10118:
	s_or_b64 exec, exec, s[6:7]
	s_and_saveexec_b64 s[6:7], s[4:5]
	s_cbranch_execz .LBB2_10120
.LBB2_10119:
	v_and_b32_e32 v13, 7, v2
	v_ffbh_u32_e32 v15, v13
	v_min_u32_e32 v15, 32, v15
	v_lshrrev_b16_e32 v14, 3, v2
	v_subrev_u32_e32 v16, 28, v15
	v_and_b32_e32 v14, 15, v14
	v_lshlrev_b32_e32 v16, v16, v2
	v_sub_u32_e32 v15, 29, v15
	v_and_b32_e32 v16, 7, v16
	v_cmp_eq_u16_e32 vcc, 0, v14
	v_cndmask_b32_e32 v13, v13, v16, vcc
	v_cndmask_b32_e32 v14, v14, v15, vcc
	v_lshlrev_b32_e32 v15, 24, v2
	v_mov_b32_e32 v16, 0x3b800000
	v_lshlrev_b32_e32 v13, 20, v13
	v_and_b32_e32 v15, 0x80000000, v15
	v_lshl_add_u32 v14, v14, 23, v16
	v_or3_b32 v13, v15, v14, v13
.LBB2_10120:
	s_or_b64 exec, exec, s[6:7]
	flat_load_dwordx4 a[0:3], v[10:11] offset:368
	s_movk_i32 s4, 0x7f
                                        ; implicit-def: $sgpr10
	s_waitcnt vmcnt(0) lgkmcnt(0)
	v_mfma_f32_16x16x4f32 a[0:3], v12, v13, a[0:3]
	v_lshrrev_b32_e32 v13, 8, v6
	v_cmp_gt_i16_sdwa s[6:7], v13, s4 src0_sel:BYTE_0 src1_sel:DWORD
	s_mov_b64 s[4:5], 0
	s_and_saveexec_b64 s[8:9], s[6:7]
	s_xor_b64 s[6:7], exec, s[8:9]
	s_cbranch_execz .LBB2_10121
; %bb.45961:
	s_getpc_b64 s[14:15]
.Lpost_getpc26564:
	s_add_u32 s14, s14, (.LBB2_24457-.Lpost_getpc26564)&4294967295
	s_addc_u32 s15, s15, (.LBB2_24457-.Lpost_getpc26564)>>32
	s_setpc_b64 s[14:15]
.LBB2_10121:
	s_or_saveexec_b64 s[6:7], s[6:7]
	v_mov_b32_e32 v12, s10
	s_xor_b64 exec, exec, s[6:7]
	s_cbranch_execz .LBB2_10122
; %bb.45963:
	s_getpc_b64 s[14:15]
.Lpost_getpc26565:
	s_add_u32 s14, s14, (.LBB2_24460-.Lpost_getpc26565)&4294967295
	s_addc_u32 s15, s15, (.LBB2_24460-.Lpost_getpc26565)>>32
	s_setpc_b64 s[14:15]
.LBB2_10122:
	s_or_b64 exec, exec, s[6:7]
	s_and_saveexec_b64 s[6:7], s[4:5]
	s_cbranch_execz .LBB2_10124
.LBB2_10123:
	v_bfe_u32 v12, v6, 8, 3
	v_ffbh_u32_e32 v15, v12
	v_min_u32_e32 v15, 32, v15
	v_lshrrev_b16_e32 v14, 3, v13
	v_subrev_u32_e32 v16, 28, v15
	v_and_b32_e32 v14, 15, v14
	v_lshlrev_b32_e32 v13, v16, v13
	v_sub_u32_e32 v15, 29, v15
	v_and_b32_e32 v13, 7, v13
	v_cmp_eq_u16_e32 vcc, 0, v14
	v_cndmask_b32_e32 v12, v12, v13, vcc
	v_cndmask_b32_e32 v13, v14, v15, vcc
	v_lshlrev_b32_e32 v14, 16, v6
	v_mov_b32_e32 v15, 0x3b800000
	v_lshlrev_b32_e32 v12, 20, v12
	v_and_b32_e32 v14, 0x80000000, v14
	v_lshl_add_u32 v13, v13, 23, v15
	v_or3_b32 v12, v14, v13, v12
.LBB2_10124:
	s_or_b64 exec, exec, s[6:7]
	v_lshrrev_b32_e32 v13, 8, v2
	s_movk_i32 s4, 0x7f
	v_cmp_gt_i16_sdwa s[6:7], v13, s4 src0_sel:BYTE_0 src1_sel:DWORD
	s_mov_b64 s[4:5], 0
                                        ; implicit-def: $sgpr10
	s_and_saveexec_b64 s[8:9], s[6:7]
	s_xor_b64 s[6:7], exec, s[8:9]
	s_cbranch_execz .LBB2_10125
; %bb.45965:
	s_getpc_b64 s[14:15]
.Lpost_getpc26566:
	s_add_u32 s14, s14, (.LBB2_24461-.Lpost_getpc26566)&4294967295
	s_addc_u32 s15, s15, (.LBB2_24461-.Lpost_getpc26566)>>32
	s_setpc_b64 s[14:15]
.LBB2_10125:
	s_or_saveexec_b64 s[6:7], s[6:7]
	v_mov_b32_e32 v14, s10
	s_xor_b64 exec, exec, s[6:7]
	s_cbranch_execz .LBB2_10126
; %bb.45967:
	s_getpc_b64 s[14:15]
.Lpost_getpc26567:
	s_add_u32 s14, s14, (.LBB2_24464-.Lpost_getpc26567)&4294967295
	s_addc_u32 s15, s15, (.LBB2_24464-.Lpost_getpc26567)>>32
	s_setpc_b64 s[14:15]
.LBB2_10126:
	s_or_b64 exec, exec, s[6:7]
	s_and_saveexec_b64 s[6:7], s[4:5]
	s_cbranch_execz .LBB2_10128
.LBB2_10127:
	v_bfe_u32 v14, v2, 8, 3
	v_ffbh_u32_e32 v16, v14
	v_min_u32_e32 v16, 32, v16
	v_lshrrev_b16_e32 v15, 3, v13
	v_subrev_u32_e32 v17, 28, v16
	v_and_b32_e32 v15, 15, v15
	v_lshlrev_b32_e32 v13, v17, v13
	v_sub_u32_e32 v16, 29, v16
	v_and_b32_e32 v13, 7, v13
	v_cmp_eq_u16_e32 vcc, 0, v15
	v_cndmask_b32_e32 v13, v14, v13, vcc
	v_cndmask_b32_e32 v14, v15, v16, vcc
	v_lshlrev_b32_e32 v15, 16, v2
	v_mov_b32_e32 v16, 0x3b800000
	v_lshlrev_b32_e32 v13, 20, v13
	v_and_b32_e32 v15, 0x80000000, v15
	v_lshl_add_u32 v14, v14, 23, v16
	v_or3_b32 v14, v15, v14, v13
.LBB2_10128:
	s_or_b64 exec, exec, s[6:7]
	s_nop 0
	v_mfma_f32_16x16x4f32 a[0:3], v12, v14, a[0:3]
	s_movk_i32 s4, 0xff
	v_and_b32_sdwa v13, v6, s4 dst_sel:DWORD dst_unused:UNUSED_PAD src0_sel:WORD_1 src1_sel:DWORD
	s_movk_i32 s4, 0x7f
	v_cmp_lt_i16_e32 vcc, s4, v13
	s_mov_b64 s[4:5], 0
                                        ; implicit-def: $sgpr10
	s_and_saveexec_b64 s[6:7], vcc
	s_xor_b64 s[6:7], exec, s[6:7]
	s_cbranch_execz .LBB2_10129
; %bb.45969:
	s_getpc_b64 s[14:15]
.Lpost_getpc26568:
	s_add_u32 s14, s14, (.LBB2_24465-.Lpost_getpc26568)&4294967295
	s_addc_u32 s15, s15, (.LBB2_24465-.Lpost_getpc26568)>>32
	s_setpc_b64 s[14:15]
.LBB2_10129:
	s_or_saveexec_b64 s[6:7], s[6:7]
	v_mov_b32_e32 v12, s10
	s_xor_b64 exec, exec, s[6:7]
	s_cbranch_execz .LBB2_10130
; %bb.45971:
	s_getpc_b64 s[14:15]
.Lpost_getpc26569:
	s_add_u32 s14, s14, (.LBB2_24468-.Lpost_getpc26569)&4294967295
	s_addc_u32 s15, s15, (.LBB2_24468-.Lpost_getpc26569)>>32
	s_setpc_b64 s[14:15]
.LBB2_10130:
	s_or_b64 exec, exec, s[6:7]
	s_and_saveexec_b64 s[6:7], s[4:5]
	s_cbranch_execz .LBB2_10132
.LBB2_10131:
	v_bfe_u32 v12, v6, 16, 3
	v_ffbh_u32_e32 v15, v12
	v_min_u32_e32 v15, 32, v15
	v_lshrrev_b32_e32 v13, 19, v6
	v_subrev_u32_e32 v16, 28, v15
	v_and_b32_e32 v13, 15, v13
	v_lshlrev_b32_sdwa v16, v16, v6 dst_sel:DWORD dst_unused:UNUSED_PAD src0_sel:DWORD src1_sel:WORD_1
	v_bfe_u32 v14, v6, 19, 4
	v_sub_u32_e32 v15, 29, v15
	v_and_b32_e32 v16, 7, v16
	v_cmp_eq_u16_e32 vcc, 0, v13
	v_cndmask_b32_e32 v12, v12, v16, vcc
	v_cndmask_b32_e32 v13, v14, v15, vcc
	v_lshlrev_b32_e32 v14, 8, v6
	v_mov_b32_e32 v15, 0x3b800000
	v_lshlrev_b32_e32 v12, 20, v12
	v_and_b32_e32 v14, 0x80000000, v14
	v_lshl_add_u32 v13, v13, 23, v15
	v_or3_b32 v12, v14, v13, v12
.LBB2_10132:
	s_or_b64 exec, exec, s[6:7]
	s_movk_i32 s4, 0xff
	v_and_b32_sdwa v13, v2, s4 dst_sel:DWORD dst_unused:UNUSED_PAD src0_sel:WORD_1 src1_sel:DWORD
	s_movk_i32 s4, 0x7f
	v_cmp_lt_i16_e32 vcc, s4, v13
	s_mov_b64 s[4:5], 0
                                        ; implicit-def: $sgpr10
	s_and_saveexec_b64 s[6:7], vcc
	s_xor_b64 s[6:7], exec, s[6:7]
	s_cbranch_execz .LBB2_10133
; %bb.45973:
	s_getpc_b64 s[14:15]
.Lpost_getpc26570:
	s_add_u32 s14, s14, (.LBB2_24469-.Lpost_getpc26570)&4294967295
	s_addc_u32 s15, s15, (.LBB2_24469-.Lpost_getpc26570)>>32
	s_setpc_b64 s[14:15]
.LBB2_10133:
	s_or_saveexec_b64 s[6:7], s[6:7]
	v_mov_b32_e32 v14, s10
	s_xor_b64 exec, exec, s[6:7]
	s_cbranch_execz .LBB2_10134
; %bb.45975:
	s_getpc_b64 s[14:15]
.Lpost_getpc26571:
	s_add_u32 s14, s14, (.LBB2_24472-.Lpost_getpc26571)&4294967295
	s_addc_u32 s15, s15, (.LBB2_24472-.Lpost_getpc26571)>>32
	s_setpc_b64 s[14:15]
.LBB2_10134:
	s_or_b64 exec, exec, s[6:7]
	s_and_saveexec_b64 s[6:7], s[4:5]
	s_cbranch_execz .LBB2_10136
.LBB2_10135:
	v_bfe_u32 v13, v2, 16, 3
	v_ffbh_u32_e32 v16, v13
	v_min_u32_e32 v16, 32, v16
	v_lshrrev_b32_e32 v14, 19, v2
	v_subrev_u32_e32 v17, 28, v16
	v_and_b32_e32 v14, 15, v14
	v_lshlrev_b32_sdwa v17, v17, v2 dst_sel:DWORD dst_unused:UNUSED_PAD src0_sel:DWORD src1_sel:WORD_1
	v_bfe_u32 v15, v2, 19, 4
	v_sub_u32_e32 v16, 29, v16
	v_and_b32_e32 v17, 7, v17
	v_cmp_eq_u16_e32 vcc, 0, v14
	v_cndmask_b32_e32 v13, v13, v17, vcc
	v_cndmask_b32_e32 v14, v15, v16, vcc
	v_lshlrev_b32_e32 v15, 8, v2
	v_mov_b32_e32 v16, 0x3b800000
	v_lshlrev_b32_e32 v13, 20, v13
	v_and_b32_e32 v15, 0x80000000, v15
	v_lshl_add_u32 v14, v14, 23, v16
	v_or3_b32 v14, v15, v14, v13
.LBB2_10136:
	s_or_b64 exec, exec, s[6:7]
	s_nop 0
	v_mfma_f32_16x16x4f32 a[0:3], v12, v14, a[0:3]
	s_movk_i32 s4, 0x7f
	v_cmp_gt_i16_sdwa s[6:7], v6, s4 src0_sel:BYTE_3 src1_sel:DWORD
	s_mov_b64 s[4:5], 0
                                        ; implicit-def: $sgpr10
	s_and_saveexec_b64 s[8:9], s[6:7]
	s_xor_b64 s[6:7], exec, s[8:9]
	s_cbranch_execz .LBB2_10137
; %bb.45977:
	s_getpc_b64 s[14:15]
.Lpost_getpc26572:
	s_add_u32 s14, s14, (.LBB2_24473-.Lpost_getpc26572)&4294967295
	s_addc_u32 s15, s15, (.LBB2_24473-.Lpost_getpc26572)>>32
	s_setpc_b64 s[14:15]
.LBB2_10137:
	s_or_saveexec_b64 s[6:7], s[6:7]
	v_mov_b32_e32 v12, s10
	s_xor_b64 exec, exec, s[6:7]
	s_cbranch_execz .LBB2_10138
; %bb.45979:
	s_getpc_b64 s[14:15]
.Lpost_getpc26573:
	s_add_u32 s14, s14, (.LBB2_24476-.Lpost_getpc26573)&4294967295
	s_addc_u32 s15, s15, (.LBB2_24476-.Lpost_getpc26573)>>32
	s_setpc_b64 s[14:15]
.LBB2_10138:
	s_or_b64 exec, exec, s[6:7]
	s_and_saveexec_b64 s[6:7], s[4:5]
	s_cbranch_execz .LBB2_10140
.LBB2_10139:
	v_bfe_u32 v12, v6, 24, 3
	v_ffbh_u32_e32 v16, v12
	v_min_u32_e32 v16, 32, v16
	v_lshrrev_b32_e32 v14, 27, v6
	v_subrev_u32_e32 v17, 28, v16
	v_and_b32_e32 v13, 0x80000000, v6
	v_and_b32_e32 v14, 15, v14
	v_bfe_u32 v15, v6, 27, 4
	v_lshlrev_b32_sdwa v6, v17, v6 dst_sel:DWORD dst_unused:UNUSED_PAD src0_sel:DWORD src1_sel:BYTE_3
	v_sub_u32_e32 v16, 29, v16
	v_and_b32_e32 v6, 7, v6
	v_cmp_eq_u16_e32 vcc, 0, v14
	v_cndmask_b32_e32 v6, v12, v6, vcc
	v_cndmask_b32_e32 v12, v15, v16, vcc
	v_mov_b32_e32 v14, 0x3b800000
	v_lshlrev_b32_e32 v6, 20, v6
	v_lshl_add_u32 v12, v12, 23, v14
	v_or3_b32 v12, v13, v12, v6
.LBB2_10140:
	s_or_b64 exec, exec, s[6:7]
	s_movk_i32 s4, 0x7f
	v_cmp_gt_i16_sdwa s[6:7], v2, s4 src0_sel:BYTE_3 src1_sel:DWORD
	s_mov_b64 s[4:5], 0
                                        ; implicit-def: $sgpr10
	s_and_saveexec_b64 s[8:9], s[6:7]
	s_xor_b64 s[6:7], exec, s[8:9]
	s_cbranch_execz .LBB2_10141
; %bb.45981:
	s_getpc_b64 s[14:15]
.Lpost_getpc26574:
	s_add_u32 s14, s14, (.LBB2_24477-.Lpost_getpc26574)&4294967295
	s_addc_u32 s15, s15, (.LBB2_24477-.Lpost_getpc26574)>>32
	s_setpc_b64 s[14:15]
.LBB2_10141:
	s_or_saveexec_b64 s[6:7], s[6:7]
	v_mov_b32_e32 v6, s10
	s_xor_b64 exec, exec, s[6:7]
	s_cbranch_execz .LBB2_10142
; %bb.45983:
	s_getpc_b64 s[14:15]
.Lpost_getpc26575:
	s_add_u32 s14, s14, (.LBB2_24480-.Lpost_getpc26575)&4294967295
	s_addc_u32 s15, s15, (.LBB2_24480-.Lpost_getpc26575)>>32
	s_setpc_b64 s[14:15]
.LBB2_10142:
	s_or_b64 exec, exec, s[6:7]
	s_and_saveexec_b64 s[6:7], s[4:5]
	s_cbranch_execz .LBB2_10144
.LBB2_10143:
	v_bfe_u32 v6, v2, 24, 3
	v_ffbh_u32_e32 v16, v6
	v_min_u32_e32 v16, 32, v16
	v_lshrrev_b32_e32 v14, 27, v2
	v_subrev_u32_e32 v17, 28, v16
	v_and_b32_e32 v13, 0x80000000, v2
	v_and_b32_e32 v14, 15, v14
	v_bfe_u32 v15, v2, 27, 4
	v_lshlrev_b32_sdwa v2, v17, v2 dst_sel:DWORD dst_unused:UNUSED_PAD src0_sel:DWORD src1_sel:BYTE_3
	v_sub_u32_e32 v16, 29, v16
	v_and_b32_e32 v2, 7, v2
	v_cmp_eq_u16_e32 vcc, 0, v14
	v_cndmask_b32_e32 v2, v6, v2, vcc
	v_cndmask_b32_e32 v6, v15, v16, vcc
	v_mov_b32_e32 v14, 0x3b800000
	v_lshlrev_b32_e32 v2, 20, v2
	v_lshl_add_u32 v6, v6, 23, v14
	v_or3_b32 v6, v13, v6, v2
.LBB2_10144:
	s_or_b64 exec, exec, s[6:7]
	s_nop 0
	v_mfma_f32_16x16x4f32 a[0:3], v12, v6, a[0:3]
	s_movk_i32 s4, 0x7f
	v_cmp_gt_i16_sdwa s[6:7], v7, s4 src0_sel:BYTE_0 src1_sel:DWORD
	s_mov_b64 s[4:5], 0
                                        ; implicit-def: $sgpr10
	s_and_saveexec_b64 s[8:9], s[6:7]
	s_xor_b64 s[6:7], exec, s[8:9]
	s_cbranch_execz .LBB2_10145
; %bb.45985:
	s_getpc_b64 s[14:15]
.Lpost_getpc26576:
	s_add_u32 s14, s14, (.LBB2_24481-.Lpost_getpc26576)&4294967295
	s_addc_u32 s15, s15, (.LBB2_24481-.Lpost_getpc26576)>>32
	s_setpc_b64 s[14:15]
.LBB2_10145:
	s_or_saveexec_b64 s[6:7], s[6:7]
	v_mov_b32_e32 v2, s10
	s_xor_b64 exec, exec, s[6:7]
	s_cbranch_execz .LBB2_10146
; %bb.45987:
	s_getpc_b64 s[14:15]
.Lpost_getpc26577:
	s_add_u32 s14, s14, (.LBB2_24484-.Lpost_getpc26577)&4294967295
	s_addc_u32 s15, s15, (.LBB2_24484-.Lpost_getpc26577)>>32
	s_setpc_b64 s[14:15]
.LBB2_10146:
	s_or_b64 exec, exec, s[6:7]
	s_and_saveexec_b64 s[6:7], s[4:5]
	s_cbranch_execz .LBB2_10148
.LBB2_10147:
	v_and_b32_e32 v2, 7, v7
	v_ffbh_u32_e32 v12, v2
	v_min_u32_e32 v12, 32, v12
	v_lshrrev_b16_e32 v6, 3, v7
	v_subrev_u32_e32 v13, 28, v12
	v_and_b32_e32 v6, 15, v6
	v_lshlrev_b32_e32 v13, v13, v7
	v_sub_u32_e32 v12, 29, v12
	v_and_b32_e32 v13, 7, v13
	v_cmp_eq_u16_e32 vcc, 0, v6
	v_cndmask_b32_e32 v2, v2, v13, vcc
	v_cndmask_b32_e32 v6, v6, v12, vcc
	v_lshlrev_b32_e32 v12, 24, v7
	v_mov_b32_e32 v13, 0x3b800000
	v_lshlrev_b32_e32 v2, 20, v2
	v_and_b32_e32 v12, 0x80000000, v12
	v_lshl_add_u32 v6, v6, 23, v13
	v_or3_b32 v2, v12, v6, v2
.LBB2_10148:
	s_or_b64 exec, exec, s[6:7]
	s_movk_i32 s4, 0x7f
	v_cmp_gt_i16_sdwa s[6:7], v3, s4 src0_sel:BYTE_0 src1_sel:DWORD
	s_mov_b64 s[4:5], 0
                                        ; implicit-def: $sgpr10
	s_and_saveexec_b64 s[8:9], s[6:7]
	s_xor_b64 s[6:7], exec, s[8:9]
	s_cbranch_execz .LBB2_10149
; %bb.45989:
	s_getpc_b64 s[14:15]
.Lpost_getpc26578:
	s_add_u32 s14, s14, (.LBB2_24485-.Lpost_getpc26578)&4294967295
	s_addc_u32 s15, s15, (.LBB2_24485-.Lpost_getpc26578)>>32
	s_setpc_b64 s[14:15]
.LBB2_10149:
	s_or_saveexec_b64 s[6:7], s[6:7]
	v_mov_b32_e32 v6, s10
	s_xor_b64 exec, exec, s[6:7]
	s_cbranch_execz .LBB2_10150
; %bb.45991:
	s_getpc_b64 s[14:15]
.Lpost_getpc26579:
	s_add_u32 s14, s14, (.LBB2_24488-.Lpost_getpc26579)&4294967295
	s_addc_u32 s15, s15, (.LBB2_24488-.Lpost_getpc26579)>>32
	s_setpc_b64 s[14:15]
.LBB2_10150:
	s_or_b64 exec, exec, s[6:7]
	s_and_saveexec_b64 s[6:7], s[4:5]
	s_cbranch_execz .LBB2_10152
.LBB2_10151:
	v_and_b32_e32 v6, 7, v3
	v_ffbh_u32_e32 v13, v6
	v_min_u32_e32 v13, 32, v13
	v_lshrrev_b16_e32 v12, 3, v3
	v_subrev_u32_e32 v14, 28, v13
	v_and_b32_e32 v12, 15, v12
	v_lshlrev_b32_e32 v14, v14, v3
	v_sub_u32_e32 v13, 29, v13
	v_and_b32_e32 v14, 7, v14
	v_cmp_eq_u16_e32 vcc, 0, v12
	v_cndmask_b32_e32 v6, v6, v14, vcc
	v_cndmask_b32_e32 v12, v12, v13, vcc
	v_lshlrev_b32_e32 v13, 24, v3
	v_mov_b32_e32 v14, 0x3b800000
	v_lshlrev_b32_e32 v6, 20, v6
	v_and_b32_e32 v13, 0x80000000, v13
	v_lshl_add_u32 v12, v12, 23, v14
	v_or3_b32 v6, v13, v12, v6
.LBB2_10152:
	s_or_b64 exec, exec, s[6:7]
	s_nop 0
	v_mfma_f32_16x16x4f32 a[0:3], v2, v6, a[0:3]
	v_lshrrev_b32_e32 v6, 8, v7
	s_movk_i32 s4, 0x7f
	v_cmp_gt_i16_sdwa s[6:7], v6, s4 src0_sel:BYTE_0 src1_sel:DWORD
	s_mov_b64 s[4:5], 0
                                        ; implicit-def: $sgpr10
	s_and_saveexec_b64 s[8:9], s[6:7]
	s_xor_b64 s[6:7], exec, s[8:9]
	s_cbranch_execz .LBB2_10153
; %bb.45993:
	s_getpc_b64 s[14:15]
.Lpost_getpc26580:
	s_add_u32 s14, s14, (.LBB2_24489-.Lpost_getpc26580)&4294967295
	s_addc_u32 s15, s15, (.LBB2_24489-.Lpost_getpc26580)>>32
	s_setpc_b64 s[14:15]
.LBB2_10153:
	s_or_saveexec_b64 s[6:7], s[6:7]
	v_mov_b32_e32 v2, s10
	s_xor_b64 exec, exec, s[6:7]
	s_cbranch_execz .LBB2_10154
; %bb.45995:
	s_getpc_b64 s[14:15]
.Lpost_getpc26581:
	s_add_u32 s14, s14, (.LBB2_24492-.Lpost_getpc26581)&4294967295
	s_addc_u32 s15, s15, (.LBB2_24492-.Lpost_getpc26581)>>32
	s_setpc_b64 s[14:15]
.LBB2_10154:
	s_or_b64 exec, exec, s[6:7]
	s_and_saveexec_b64 s[6:7], s[4:5]
	s_cbranch_execz .LBB2_10156
.LBB2_10155:
	v_bfe_u32 v2, v7, 8, 3
	v_ffbh_u32_e32 v13, v2
	v_min_u32_e32 v13, 32, v13
	v_lshrrev_b16_e32 v12, 3, v6
	v_subrev_u32_e32 v14, 28, v13
	v_and_b32_e32 v12, 15, v12
	v_lshlrev_b32_e32 v6, v14, v6
	v_sub_u32_e32 v13, 29, v13
	v_and_b32_e32 v6, 7, v6
	v_cmp_eq_u16_e32 vcc, 0, v12
	v_cndmask_b32_e32 v2, v2, v6, vcc
	v_cndmask_b32_e32 v6, v12, v13, vcc
	v_lshlrev_b32_e32 v12, 16, v7
	v_mov_b32_e32 v13, 0x3b800000
	v_lshlrev_b32_e32 v2, 20, v2
	v_and_b32_e32 v12, 0x80000000, v12
	v_lshl_add_u32 v6, v6, 23, v13
	v_or3_b32 v2, v12, v6, v2
.LBB2_10156:
	s_or_b64 exec, exec, s[6:7]
	v_lshrrev_b32_e32 v6, 8, v3
	s_movk_i32 s4, 0x7f
	v_cmp_gt_i16_sdwa s[6:7], v6, s4 src0_sel:BYTE_0 src1_sel:DWORD
	s_mov_b64 s[4:5], 0
                                        ; implicit-def: $sgpr10
	s_and_saveexec_b64 s[8:9], s[6:7]
	s_xor_b64 s[6:7], exec, s[8:9]
	s_cbranch_execz .LBB2_10157
; %bb.45997:
	s_getpc_b64 s[14:15]
.Lpost_getpc26582:
	s_add_u32 s14, s14, (.LBB2_24493-.Lpost_getpc26582)&4294967295
	s_addc_u32 s15, s15, (.LBB2_24493-.Lpost_getpc26582)>>32
	s_setpc_b64 s[14:15]
.LBB2_10157:
	s_or_saveexec_b64 s[6:7], s[6:7]
	v_mov_b32_e32 v12, s10
	s_xor_b64 exec, exec, s[6:7]
	s_cbranch_execz .LBB2_10158
; %bb.45999:
	s_getpc_b64 s[14:15]
.Lpost_getpc26583:
	s_add_u32 s14, s14, (.LBB2_24496-.Lpost_getpc26583)&4294967295
	s_addc_u32 s15, s15, (.LBB2_24496-.Lpost_getpc26583)>>32
	s_setpc_b64 s[14:15]
.LBB2_10158:
	s_or_b64 exec, exec, s[6:7]
	s_and_saveexec_b64 s[6:7], s[4:5]
	s_cbranch_execz .LBB2_10160
.LBB2_10159:
	v_bfe_u32 v12, v3, 8, 3
	v_ffbh_u32_e32 v14, v12
	v_min_u32_e32 v14, 32, v14
	v_lshrrev_b16_e32 v13, 3, v6
	v_subrev_u32_e32 v15, 28, v14
	v_and_b32_e32 v13, 15, v13
	v_lshlrev_b32_e32 v6, v15, v6
	v_sub_u32_e32 v14, 29, v14
	v_and_b32_e32 v6, 7, v6
	v_cmp_eq_u16_e32 vcc, 0, v13
	v_cndmask_b32_e32 v6, v12, v6, vcc
	v_cndmask_b32_e32 v12, v13, v14, vcc
	v_lshlrev_b32_e32 v13, 16, v3
	v_mov_b32_e32 v14, 0x3b800000
	v_lshlrev_b32_e32 v6, 20, v6
	v_and_b32_e32 v13, 0x80000000, v13
	v_lshl_add_u32 v12, v12, 23, v14
	v_or3_b32 v12, v13, v12, v6
.LBB2_10160:
	s_or_b64 exec, exec, s[6:7]
	s_nop 0
	v_mfma_f32_16x16x4f32 a[0:3], v2, v12, a[0:3]
	s_movk_i32 s4, 0xff
	v_and_b32_sdwa v6, v7, s4 dst_sel:DWORD dst_unused:UNUSED_PAD src0_sel:WORD_1 src1_sel:DWORD
	s_movk_i32 s4, 0x7f
	v_cmp_lt_i16_e32 vcc, s4, v6
	s_mov_b64 s[4:5], 0
                                        ; implicit-def: $sgpr10
	s_and_saveexec_b64 s[6:7], vcc
	s_xor_b64 s[6:7], exec, s[6:7]
	s_cbranch_execz .LBB2_10161
; %bb.46001:
	s_getpc_b64 s[14:15]
.Lpost_getpc26584:
	s_add_u32 s14, s14, (.LBB2_24497-.Lpost_getpc26584)&4294967295
	s_addc_u32 s15, s15, (.LBB2_24497-.Lpost_getpc26584)>>32
	s_setpc_b64 s[14:15]
.LBB2_10161:
	s_or_saveexec_b64 s[6:7], s[6:7]
	v_mov_b32_e32 v2, s10
	s_xor_b64 exec, exec, s[6:7]
	s_cbranch_execz .LBB2_10162
; %bb.46003:
	s_getpc_b64 s[14:15]
.Lpost_getpc26585:
	s_add_u32 s14, s14, (.LBB2_24500-.Lpost_getpc26585)&4294967295
	s_addc_u32 s15, s15, (.LBB2_24500-.Lpost_getpc26585)>>32
	s_setpc_b64 s[14:15]
.LBB2_10162:
	s_or_b64 exec, exec, s[6:7]
	s_and_saveexec_b64 s[6:7], s[4:5]
	s_cbranch_execz .LBB2_10164
.LBB2_10163:
	v_bfe_u32 v2, v7, 16, 3
	v_ffbh_u32_e32 v13, v2
	v_min_u32_e32 v13, 32, v13
	v_lshrrev_b32_e32 v6, 19, v7
	v_subrev_u32_e32 v14, 28, v13
	v_and_b32_e32 v6, 15, v6
	v_lshlrev_b32_sdwa v14, v14, v7 dst_sel:DWORD dst_unused:UNUSED_PAD src0_sel:DWORD src1_sel:WORD_1
	v_bfe_u32 v12, v7, 19, 4
	v_sub_u32_e32 v13, 29, v13
	v_and_b32_e32 v14, 7, v14
	v_cmp_eq_u16_e32 vcc, 0, v6
	v_cndmask_b32_e32 v2, v2, v14, vcc
	v_cndmask_b32_e32 v6, v12, v13, vcc
	v_lshlrev_b32_e32 v12, 8, v7
	v_mov_b32_e32 v13, 0x3b800000
	v_lshlrev_b32_e32 v2, 20, v2
	v_and_b32_e32 v12, 0x80000000, v12
	v_lshl_add_u32 v6, v6, 23, v13
	v_or3_b32 v2, v12, v6, v2
.LBB2_10164:
	s_or_b64 exec, exec, s[6:7]
	s_movk_i32 s4, 0xff
	v_and_b32_sdwa v6, v3, s4 dst_sel:DWORD dst_unused:UNUSED_PAD src0_sel:WORD_1 src1_sel:DWORD
	s_movk_i32 s4, 0x7f
	v_cmp_lt_i16_e32 vcc, s4, v6
	s_mov_b64 s[4:5], 0
                                        ; implicit-def: $sgpr10
	s_and_saveexec_b64 s[6:7], vcc
	s_xor_b64 s[6:7], exec, s[6:7]
	s_cbranch_execz .LBB2_10165
; %bb.46005:
	s_getpc_b64 s[14:15]
.Lpost_getpc26586:
	s_add_u32 s14, s14, (.LBB2_24501-.Lpost_getpc26586)&4294967295
	s_addc_u32 s15, s15, (.LBB2_24501-.Lpost_getpc26586)>>32
	s_setpc_b64 s[14:15]
.LBB2_10165:
	s_or_saveexec_b64 s[6:7], s[6:7]
	v_mov_b32_e32 v12, s10
	s_xor_b64 exec, exec, s[6:7]
	s_cbranch_execz .LBB2_10166
; %bb.46007:
	s_getpc_b64 s[14:15]
.Lpost_getpc26587:
	s_add_u32 s14, s14, (.LBB2_24504-.Lpost_getpc26587)&4294967295
	s_addc_u32 s15, s15, (.LBB2_24504-.Lpost_getpc26587)>>32
	s_setpc_b64 s[14:15]
.LBB2_10166:
	s_or_b64 exec, exec, s[6:7]
	s_and_saveexec_b64 s[6:7], s[4:5]
	s_cbranch_execz .LBB2_10168
.LBB2_10167:
	v_bfe_u32 v6, v3, 16, 3
	v_ffbh_u32_e32 v14, v6
	v_min_u32_e32 v14, 32, v14
	v_lshrrev_b32_e32 v12, 19, v3
	v_subrev_u32_e32 v15, 28, v14
	v_and_b32_e32 v12, 15, v12
	v_lshlrev_b32_sdwa v15, v15, v3 dst_sel:DWORD dst_unused:UNUSED_PAD src0_sel:DWORD src1_sel:WORD_1
	v_bfe_u32 v13, v3, 19, 4
	v_sub_u32_e32 v14, 29, v14
	v_and_b32_e32 v15, 7, v15
	v_cmp_eq_u16_e32 vcc, 0, v12
	v_cndmask_b32_e32 v6, v6, v15, vcc
	v_cndmask_b32_e32 v12, v13, v14, vcc
	v_lshlrev_b32_e32 v13, 8, v3
	v_mov_b32_e32 v14, 0x3b800000
	v_lshlrev_b32_e32 v6, 20, v6
	v_and_b32_e32 v13, 0x80000000, v13
	v_lshl_add_u32 v12, v12, 23, v14
	v_or3_b32 v12, v13, v12, v6
.LBB2_10168:
	s_or_b64 exec, exec, s[6:7]
	s_nop 0
	v_mfma_f32_16x16x4f32 a[0:3], v2, v12, a[0:3]
	s_movk_i32 s4, 0x7f
	v_cmp_gt_i16_sdwa s[6:7], v7, s4 src0_sel:BYTE_3 src1_sel:DWORD
	s_mov_b64 s[4:5], 0
                                        ; implicit-def: $sgpr10
	s_and_saveexec_b64 s[8:9], s[6:7]
	s_xor_b64 s[6:7], exec, s[8:9]
	s_cbranch_execz .LBB2_10169
; %bb.46009:
	s_getpc_b64 s[14:15]
.Lpost_getpc26588:
	s_add_u32 s14, s14, (.LBB2_24505-.Lpost_getpc26588)&4294967295
	s_addc_u32 s15, s15, (.LBB2_24505-.Lpost_getpc26588)>>32
	s_setpc_b64 s[14:15]
.LBB2_10169:
	s_or_saveexec_b64 s[6:7], s[6:7]
	v_mov_b32_e32 v2, s10
	s_xor_b64 exec, exec, s[6:7]
	s_cbranch_execz .LBB2_10170
; %bb.46011:
	s_getpc_b64 s[14:15]
.Lpost_getpc26589:
	s_add_u32 s14, s14, (.LBB2_24508-.Lpost_getpc26589)&4294967295
	s_addc_u32 s15, s15, (.LBB2_24508-.Lpost_getpc26589)>>32
	s_setpc_b64 s[14:15]
.LBB2_10170:
	s_or_b64 exec, exec, s[6:7]
	s_and_saveexec_b64 s[6:7], s[4:5]
	s_cbranch_execz .LBB2_10172
.LBB2_10171:
	v_bfe_u32 v2, v7, 24, 3
	v_ffbh_u32_e32 v14, v2
	v_min_u32_e32 v14, 32, v14
	v_lshrrev_b32_e32 v12, 27, v7
	v_subrev_u32_e32 v15, 28, v14
	v_and_b32_e32 v6, 0x80000000, v7
	v_and_b32_e32 v12, 15, v12
	v_bfe_u32 v13, v7, 27, 4
	v_lshlrev_b32_sdwa v7, v15, v7 dst_sel:DWORD dst_unused:UNUSED_PAD src0_sel:DWORD src1_sel:BYTE_3
	v_sub_u32_e32 v14, 29, v14
	v_and_b32_e32 v7, 7, v7
	v_cmp_eq_u16_e32 vcc, 0, v12
	v_cndmask_b32_e32 v2, v2, v7, vcc
	v_cndmask_b32_e32 v7, v13, v14, vcc
	v_mov_b32_e32 v12, 0x3b800000
	v_lshlrev_b32_e32 v2, 20, v2
	v_lshl_add_u32 v7, v7, 23, v12
	v_or3_b32 v2, v6, v7, v2
.LBB2_10172:
	s_or_b64 exec, exec, s[6:7]
	s_movk_i32 s4, 0x7f
	v_cmp_gt_i16_sdwa s[6:7], v3, s4 src0_sel:BYTE_3 src1_sel:DWORD
	s_mov_b64 s[4:5], 0
                                        ; implicit-def: $sgpr10
	s_and_saveexec_b64 s[8:9], s[6:7]
	s_xor_b64 s[6:7], exec, s[8:9]
	s_cbranch_execz .LBB2_10173
; %bb.46013:
	s_getpc_b64 s[14:15]
.Lpost_getpc26590:
	s_add_u32 s14, s14, (.LBB2_24509-.Lpost_getpc26590)&4294967295
	s_addc_u32 s15, s15, (.LBB2_24509-.Lpost_getpc26590)>>32
	s_setpc_b64 s[14:15]
.LBB2_10173:
	s_or_saveexec_b64 s[6:7], s[6:7]
	v_mov_b32_e32 v6, s10
	s_xor_b64 exec, exec, s[6:7]
	s_cbranch_execz .LBB2_10174
; %bb.46015:
	s_getpc_b64 s[14:15]
.Lpost_getpc26591:
	s_add_u32 s14, s14, (.LBB2_24512-.Lpost_getpc26591)&4294967295
	s_addc_u32 s15, s15, (.LBB2_24512-.Lpost_getpc26591)>>32
	s_setpc_b64 s[14:15]
.LBB2_10174:
	s_or_b64 exec, exec, s[6:7]
	s_and_saveexec_b64 s[6:7], s[4:5]
	s_cbranch_execz .LBB2_10176
.LBB2_10175:
	v_bfe_u32 v6, v3, 24, 3
	v_ffbh_u32_e32 v14, v6
	v_min_u32_e32 v14, 32, v14
	v_lshrrev_b32_e32 v12, 27, v3
	v_subrev_u32_e32 v15, 28, v14
	v_and_b32_e32 v7, 0x80000000, v3
	v_and_b32_e32 v12, 15, v12
	v_bfe_u32 v13, v3, 27, 4
	v_lshlrev_b32_sdwa v3, v15, v3 dst_sel:DWORD dst_unused:UNUSED_PAD src0_sel:DWORD src1_sel:BYTE_3
	v_sub_u32_e32 v14, 29, v14
	v_and_b32_e32 v3, 7, v3
	v_cmp_eq_u16_e32 vcc, 0, v12
	v_cndmask_b32_e32 v3, v6, v3, vcc
	v_cndmask_b32_e32 v6, v13, v14, vcc
	v_mov_b32_e32 v12, 0x3b800000
	v_lshlrev_b32_e32 v3, 20, v3
	v_lshl_add_u32 v6, v6, 23, v12
	v_or3_b32 v6, v7, v6, v3
.LBB2_10176:
	s_or_b64 exec, exec, s[6:7]
	s_nop 0
	v_mfma_f32_16x16x4f32 a[0:3], v2, v6, a[0:3]
	s_movk_i32 s4, 0x7f
	v_cmp_gt_i16_sdwa s[6:7], v8, s4 src0_sel:BYTE_0 src1_sel:DWORD
	s_mov_b64 s[4:5], 0
                                        ; implicit-def: $sgpr10
	s_and_saveexec_b64 s[8:9], s[6:7]
	s_xor_b64 s[6:7], exec, s[8:9]
	s_cbranch_execz .LBB2_10177
; %bb.46017:
	s_getpc_b64 s[14:15]
.Lpost_getpc26592:
	s_add_u32 s14, s14, (.LBB2_24513-.Lpost_getpc26592)&4294967295
	s_addc_u32 s15, s15, (.LBB2_24513-.Lpost_getpc26592)>>32
	s_setpc_b64 s[14:15]
.LBB2_10177:
	s_or_saveexec_b64 s[6:7], s[6:7]
	v_mov_b32_e32 v2, s10
	s_xor_b64 exec, exec, s[6:7]
	s_cbranch_execz .LBB2_10178
; %bb.46019:
	s_getpc_b64 s[14:15]
.Lpost_getpc26593:
	s_add_u32 s14, s14, (.LBB2_24516-.Lpost_getpc26593)&4294967295
	s_addc_u32 s15, s15, (.LBB2_24516-.Lpost_getpc26593)>>32
	s_setpc_b64 s[14:15]
.LBB2_10178:
	s_or_b64 exec, exec, s[6:7]
	s_and_saveexec_b64 s[6:7], s[4:5]
	s_cbranch_execz .LBB2_10180
.LBB2_10179:
	v_and_b32_e32 v2, 7, v8
	v_ffbh_u32_e32 v6, v2
	v_min_u32_e32 v6, 32, v6
	v_lshrrev_b16_e32 v3, 3, v8
	v_subrev_u32_e32 v7, 28, v6
	v_and_b32_e32 v3, 15, v3
	v_lshlrev_b32_e32 v7, v7, v8
	v_sub_u32_e32 v6, 29, v6
	v_and_b32_e32 v7, 7, v7
	v_cmp_eq_u16_e32 vcc, 0, v3
	v_cndmask_b32_e32 v2, v2, v7, vcc
	v_cndmask_b32_e32 v3, v3, v6, vcc
	v_lshlrev_b32_e32 v6, 24, v8
	v_mov_b32_e32 v7, 0x3b800000
	v_lshlrev_b32_e32 v2, 20, v2
	v_and_b32_e32 v6, 0x80000000, v6
	v_lshl_add_u32 v3, v3, 23, v7
	v_or3_b32 v2, v6, v3, v2
.LBB2_10180:
	s_or_b64 exec, exec, s[6:7]
	s_movk_i32 s4, 0x7f
	v_cmp_gt_i16_sdwa s[6:7], v4, s4 src0_sel:BYTE_0 src1_sel:DWORD
	s_mov_b64 s[4:5], 0
                                        ; implicit-def: $sgpr10
	s_and_saveexec_b64 s[8:9], s[6:7]
	s_xor_b64 s[6:7], exec, s[8:9]
	s_cbranch_execz .LBB2_10181
; %bb.46021:
	s_getpc_b64 s[14:15]
.Lpost_getpc26594:
	s_add_u32 s14, s14, (.LBB2_24517-.Lpost_getpc26594)&4294967295
	s_addc_u32 s15, s15, (.LBB2_24517-.Lpost_getpc26594)>>32
	s_setpc_b64 s[14:15]
.LBB2_10181:
	s_or_saveexec_b64 s[6:7], s[6:7]
	v_mov_b32_e32 v3, s10
	s_xor_b64 exec, exec, s[6:7]
	s_cbranch_execz .LBB2_10182
; %bb.46023:
	s_getpc_b64 s[14:15]
.Lpost_getpc26595:
	s_add_u32 s14, s14, (.LBB2_24520-.Lpost_getpc26595)&4294967295
	s_addc_u32 s15, s15, (.LBB2_24520-.Lpost_getpc26595)>>32
	s_setpc_b64 s[14:15]
.LBB2_10182:
	s_or_b64 exec, exec, s[6:7]
	s_and_saveexec_b64 s[6:7], s[4:5]
	s_cbranch_execz .LBB2_10184
.LBB2_10183:
	v_and_b32_e32 v3, 7, v4
	v_ffbh_u32_e32 v7, v3
	v_min_u32_e32 v7, 32, v7
	v_lshrrev_b16_e32 v6, 3, v4
	v_subrev_u32_e32 v12, 28, v7
	v_and_b32_e32 v6, 15, v6
	v_lshlrev_b32_e32 v12, v12, v4
	v_sub_u32_e32 v7, 29, v7
	v_and_b32_e32 v12, 7, v12
	v_cmp_eq_u16_e32 vcc, 0, v6
	v_cndmask_b32_e32 v3, v3, v12, vcc
	v_cndmask_b32_e32 v6, v6, v7, vcc
	v_lshlrev_b32_e32 v7, 24, v4
	v_mov_b32_e32 v12, 0x3b800000
	v_lshlrev_b32_e32 v3, 20, v3
	v_and_b32_e32 v7, 0x80000000, v7
	v_lshl_add_u32 v6, v6, 23, v12
	v_or3_b32 v3, v7, v6, v3
.LBB2_10184:
	s_or_b64 exec, exec, s[6:7]
	s_nop 0
	v_mfma_f32_16x16x4f32 a[0:3], v2, v3, a[0:3]
	v_lshrrev_b32_e32 v3, 8, v8
	s_movk_i32 s4, 0x7f
	v_cmp_gt_i16_sdwa s[6:7], v3, s4 src0_sel:BYTE_0 src1_sel:DWORD
	s_mov_b64 s[4:5], 0
                                        ; implicit-def: $sgpr10
	s_and_saveexec_b64 s[8:9], s[6:7]
	s_xor_b64 s[6:7], exec, s[8:9]
	s_cbranch_execz .LBB2_10185
; %bb.46025:
	s_getpc_b64 s[14:15]
.Lpost_getpc26596:
	s_add_u32 s14, s14, (.LBB2_24521-.Lpost_getpc26596)&4294967295
	s_addc_u32 s15, s15, (.LBB2_24521-.Lpost_getpc26596)>>32
	s_setpc_b64 s[14:15]
.LBB2_10185:
	s_or_saveexec_b64 s[6:7], s[6:7]
	v_mov_b32_e32 v2, s10
	s_xor_b64 exec, exec, s[6:7]
	s_cbranch_execz .LBB2_10186
; %bb.46027:
	s_getpc_b64 s[14:15]
.Lpost_getpc26597:
	s_add_u32 s14, s14, (.LBB2_24524-.Lpost_getpc26597)&4294967295
	s_addc_u32 s15, s15, (.LBB2_24524-.Lpost_getpc26597)>>32
	s_setpc_b64 s[14:15]
.LBB2_10186:
	s_or_b64 exec, exec, s[6:7]
	s_and_saveexec_b64 s[6:7], s[4:5]
	s_cbranch_execz .LBB2_10188
.LBB2_10187:
	v_bfe_u32 v2, v8, 8, 3
	v_ffbh_u32_e32 v7, v2
	v_min_u32_e32 v7, 32, v7
	v_lshrrev_b16_e32 v6, 3, v3
	v_subrev_u32_e32 v12, 28, v7
	v_and_b32_e32 v6, 15, v6
	v_lshlrev_b32_e32 v3, v12, v3
	v_sub_u32_e32 v7, 29, v7
	v_and_b32_e32 v3, 7, v3
	v_cmp_eq_u16_e32 vcc, 0, v6
	v_cndmask_b32_e32 v2, v2, v3, vcc
	v_cndmask_b32_e32 v3, v6, v7, vcc
	v_lshlrev_b32_e32 v6, 16, v8
	v_mov_b32_e32 v7, 0x3b800000
	v_lshlrev_b32_e32 v2, 20, v2
	v_and_b32_e32 v6, 0x80000000, v6
	v_lshl_add_u32 v3, v3, 23, v7
	v_or3_b32 v2, v6, v3, v2
.LBB2_10188:
	s_or_b64 exec, exec, s[6:7]
	v_lshrrev_b32_e32 v3, 8, v4
	s_movk_i32 s4, 0x7f
	v_cmp_gt_i16_sdwa s[6:7], v3, s4 src0_sel:BYTE_0 src1_sel:DWORD
	s_mov_b64 s[4:5], 0
                                        ; implicit-def: $sgpr10
	s_and_saveexec_b64 s[8:9], s[6:7]
	s_xor_b64 s[6:7], exec, s[8:9]
	s_cbranch_execz .LBB2_10189
; %bb.46029:
	s_getpc_b64 s[14:15]
.Lpost_getpc26598:
	s_add_u32 s14, s14, (.LBB2_24525-.Lpost_getpc26598)&4294967295
	s_addc_u32 s15, s15, (.LBB2_24525-.Lpost_getpc26598)>>32
	s_setpc_b64 s[14:15]
.LBB2_10189:
	s_or_saveexec_b64 s[6:7], s[6:7]
	v_mov_b32_e32 v6, s10
	s_xor_b64 exec, exec, s[6:7]
	s_cbranch_execz .LBB2_10190
; %bb.46031:
	s_getpc_b64 s[14:15]
.Lpost_getpc26599:
	s_add_u32 s14, s14, (.LBB2_24528-.Lpost_getpc26599)&4294967295
	s_addc_u32 s15, s15, (.LBB2_24528-.Lpost_getpc26599)>>32
	s_setpc_b64 s[14:15]
.LBB2_10190:
	s_or_b64 exec, exec, s[6:7]
	s_and_saveexec_b64 s[6:7], s[4:5]
	s_cbranch_execz .LBB2_10192
.LBB2_10191:
	v_bfe_u32 v6, v4, 8, 3
	v_ffbh_u32_e32 v12, v6
	v_min_u32_e32 v12, 32, v12
	v_lshrrev_b16_e32 v7, 3, v3
	v_subrev_u32_e32 v13, 28, v12
	v_and_b32_e32 v7, 15, v7
	v_lshlrev_b32_e32 v3, v13, v3
	v_sub_u32_e32 v12, 29, v12
	v_and_b32_e32 v3, 7, v3
	v_cmp_eq_u16_e32 vcc, 0, v7
	v_cndmask_b32_e32 v3, v6, v3, vcc
	v_cndmask_b32_e32 v6, v7, v12, vcc
	v_lshlrev_b32_e32 v7, 16, v4
	v_mov_b32_e32 v12, 0x3b800000
	v_lshlrev_b32_e32 v3, 20, v3
	v_and_b32_e32 v7, 0x80000000, v7
	v_lshl_add_u32 v6, v6, 23, v12
	v_or3_b32 v6, v7, v6, v3
.LBB2_10192:
	s_or_b64 exec, exec, s[6:7]
	s_nop 0
	v_mfma_f32_16x16x4f32 a[0:3], v2, v6, a[0:3]
	s_movk_i32 s4, 0xff
	v_and_b32_sdwa v3, v8, s4 dst_sel:DWORD dst_unused:UNUSED_PAD src0_sel:WORD_1 src1_sel:DWORD
	s_movk_i32 s4, 0x7f
	v_cmp_lt_i16_e32 vcc, s4, v3
	s_mov_b64 s[4:5], 0
                                        ; implicit-def: $sgpr10
	s_and_saveexec_b64 s[6:7], vcc
	s_xor_b64 s[6:7], exec, s[6:7]
	s_cbranch_execz .LBB2_10193
; %bb.46033:
	s_getpc_b64 s[14:15]
.Lpost_getpc26600:
	s_add_u32 s14, s14, (.LBB2_24529-.Lpost_getpc26600)&4294967295
	s_addc_u32 s15, s15, (.LBB2_24529-.Lpost_getpc26600)>>32
	s_setpc_b64 s[14:15]
.LBB2_10193:
	s_or_saveexec_b64 s[6:7], s[6:7]
	v_mov_b32_e32 v2, s10
	s_xor_b64 exec, exec, s[6:7]
	s_cbranch_execz .LBB2_10194
; %bb.46035:
	s_getpc_b64 s[14:15]
.Lpost_getpc26601:
	s_add_u32 s14, s14, (.LBB2_24532-.Lpost_getpc26601)&4294967295
	s_addc_u32 s15, s15, (.LBB2_24532-.Lpost_getpc26601)>>32
	s_setpc_b64 s[14:15]
.LBB2_10194:
	s_or_b64 exec, exec, s[6:7]
	s_and_saveexec_b64 s[6:7], s[4:5]
	s_cbranch_execz .LBB2_10196
.LBB2_10195:
	v_bfe_u32 v2, v8, 16, 3
	v_ffbh_u32_e32 v7, v2
	v_min_u32_e32 v7, 32, v7
	v_lshrrev_b32_e32 v3, 19, v8
	v_subrev_u32_e32 v12, 28, v7
	v_and_b32_e32 v3, 15, v3
	v_lshlrev_b32_sdwa v12, v12, v8 dst_sel:DWORD dst_unused:UNUSED_PAD src0_sel:DWORD src1_sel:WORD_1
	v_bfe_u32 v6, v8, 19, 4
	v_sub_u32_e32 v7, 29, v7
	v_and_b32_e32 v12, 7, v12
	v_cmp_eq_u16_e32 vcc, 0, v3
	v_cndmask_b32_e32 v2, v2, v12, vcc
	v_cndmask_b32_e32 v3, v6, v7, vcc
	v_lshlrev_b32_e32 v6, 8, v8
	v_mov_b32_e32 v7, 0x3b800000
	v_lshlrev_b32_e32 v2, 20, v2
	v_and_b32_e32 v6, 0x80000000, v6
	v_lshl_add_u32 v3, v3, 23, v7
	v_or3_b32 v2, v6, v3, v2
.LBB2_10196:
	s_or_b64 exec, exec, s[6:7]
	s_movk_i32 s4, 0xff
	v_and_b32_sdwa v3, v4, s4 dst_sel:DWORD dst_unused:UNUSED_PAD src0_sel:WORD_1 src1_sel:DWORD
	s_movk_i32 s4, 0x7f
	v_cmp_lt_i16_e32 vcc, s4, v3
	s_mov_b64 s[4:5], 0
                                        ; implicit-def: $sgpr10
	s_and_saveexec_b64 s[6:7], vcc
	s_xor_b64 s[6:7], exec, s[6:7]
	s_cbranch_execz .LBB2_10197
; %bb.46037:
	s_getpc_b64 s[14:15]
.Lpost_getpc26602:
	s_add_u32 s14, s14, (.LBB2_24533-.Lpost_getpc26602)&4294967295
	s_addc_u32 s15, s15, (.LBB2_24533-.Lpost_getpc26602)>>32
	s_setpc_b64 s[14:15]
.LBB2_10197:
	s_or_saveexec_b64 s[6:7], s[6:7]
	v_mov_b32_e32 v6, s10
	s_xor_b64 exec, exec, s[6:7]
	s_cbranch_execz .LBB2_10198
; %bb.46039:
	s_getpc_b64 s[14:15]
.Lpost_getpc26603:
	s_add_u32 s14, s14, (.LBB2_24536-.Lpost_getpc26603)&4294967295
	s_addc_u32 s15, s15, (.LBB2_24536-.Lpost_getpc26603)>>32
	s_setpc_b64 s[14:15]
.LBB2_10198:
	s_or_b64 exec, exec, s[6:7]
	s_and_saveexec_b64 s[6:7], s[4:5]
	s_cbranch_execz .LBB2_10200
.LBB2_10199:
	v_bfe_u32 v3, v4, 16, 3
	v_ffbh_u32_e32 v12, v3
	v_min_u32_e32 v12, 32, v12
	v_lshrrev_b32_e32 v6, 19, v4
	v_subrev_u32_e32 v13, 28, v12
	v_and_b32_e32 v6, 15, v6
	v_lshlrev_b32_sdwa v13, v13, v4 dst_sel:DWORD dst_unused:UNUSED_PAD src0_sel:DWORD src1_sel:WORD_1
	v_bfe_u32 v7, v4, 19, 4
	v_sub_u32_e32 v12, 29, v12
	v_and_b32_e32 v13, 7, v13
	v_cmp_eq_u16_e32 vcc, 0, v6
	v_cndmask_b32_e32 v3, v3, v13, vcc
	v_cndmask_b32_e32 v6, v7, v12, vcc
	v_lshlrev_b32_e32 v7, 8, v4
	v_mov_b32_e32 v12, 0x3b800000
	v_lshlrev_b32_e32 v3, 20, v3
	v_and_b32_e32 v7, 0x80000000, v7
	v_lshl_add_u32 v6, v6, 23, v12
	v_or3_b32 v6, v7, v6, v3
.LBB2_10200:
	s_or_b64 exec, exec, s[6:7]
	s_nop 0
	v_mfma_f32_16x16x4f32 a[0:3], v2, v6, a[0:3]
	s_movk_i32 s4, 0x7f
	v_cmp_gt_i16_sdwa s[6:7], v8, s4 src0_sel:BYTE_3 src1_sel:DWORD
	s_mov_b64 s[4:5], 0
                                        ; implicit-def: $sgpr10
	s_and_saveexec_b64 s[8:9], s[6:7]
	s_xor_b64 s[6:7], exec, s[8:9]
	s_cbranch_execz .LBB2_10201
; %bb.46041:
	s_getpc_b64 s[14:15]
.Lpost_getpc26604:
	s_add_u32 s14, s14, (.LBB2_24537-.Lpost_getpc26604)&4294967295
	s_addc_u32 s15, s15, (.LBB2_24537-.Lpost_getpc26604)>>32
	s_setpc_b64 s[14:15]
.LBB2_10201:
	s_or_saveexec_b64 s[6:7], s[6:7]
	v_mov_b32_e32 v2, s10
	s_xor_b64 exec, exec, s[6:7]
	s_cbranch_execz .LBB2_10202
; %bb.46043:
	s_getpc_b64 s[14:15]
.Lpost_getpc26605:
	s_add_u32 s14, s14, (.LBB2_24540-.Lpost_getpc26605)&4294967295
	s_addc_u32 s15, s15, (.LBB2_24540-.Lpost_getpc26605)>>32
	s_setpc_b64 s[14:15]
.LBB2_10202:
	s_or_b64 exec, exec, s[6:7]
	s_and_saveexec_b64 s[6:7], s[4:5]
	s_cbranch_execz .LBB2_10204
.LBB2_10203:
	v_bfe_u32 v2, v8, 24, 3
	v_ffbh_u32_e32 v12, v2
	v_min_u32_e32 v12, 32, v12
	v_lshrrev_b32_e32 v6, 27, v8
	v_subrev_u32_e32 v13, 28, v12
	v_and_b32_e32 v3, 0x80000000, v8
	v_and_b32_e32 v6, 15, v6
	v_bfe_u32 v7, v8, 27, 4
	v_lshlrev_b32_sdwa v8, v13, v8 dst_sel:DWORD dst_unused:UNUSED_PAD src0_sel:DWORD src1_sel:BYTE_3
	v_sub_u32_e32 v12, 29, v12
	v_and_b32_e32 v8, 7, v8
	v_cmp_eq_u16_e32 vcc, 0, v6
	v_cndmask_b32_e32 v2, v2, v8, vcc
	v_cndmask_b32_e32 v6, v7, v12, vcc
	v_mov_b32_e32 v7, 0x3b800000
	v_lshlrev_b32_e32 v2, 20, v2
	v_lshl_add_u32 v6, v6, 23, v7
	v_or3_b32 v2, v3, v6, v2
.LBB2_10204:
	s_or_b64 exec, exec, s[6:7]
	s_movk_i32 s4, 0x7f
	v_cmp_gt_i16_sdwa s[6:7], v4, s4 src0_sel:BYTE_3 src1_sel:DWORD
	s_mov_b64 s[4:5], 0
                                        ; implicit-def: $sgpr10
	s_and_saveexec_b64 s[8:9], s[6:7]
	s_xor_b64 s[6:7], exec, s[8:9]
	s_cbranch_execz .LBB2_10205
; %bb.46045:
	s_getpc_b64 s[14:15]
.Lpost_getpc26606:
	s_add_u32 s14, s14, (.LBB2_24541-.Lpost_getpc26606)&4294967295
	s_addc_u32 s15, s15, (.LBB2_24541-.Lpost_getpc26606)>>32
	s_setpc_b64 s[14:15]
.LBB2_10205:
	s_or_saveexec_b64 s[6:7], s[6:7]
	v_mov_b32_e32 v3, s10
	s_xor_b64 exec, exec, s[6:7]
	s_cbranch_execz .LBB2_10206
; %bb.46047:
	s_getpc_b64 s[14:15]
.Lpost_getpc26607:
	s_add_u32 s14, s14, (.LBB2_24544-.Lpost_getpc26607)&4294967295
	s_addc_u32 s15, s15, (.LBB2_24544-.Lpost_getpc26607)>>32
	s_setpc_b64 s[14:15]
.LBB2_10206:
	s_or_b64 exec, exec, s[6:7]
	s_and_saveexec_b64 s[6:7], s[4:5]
	s_cbranch_execz .LBB2_10208
.LBB2_10207:
	v_bfe_u32 v3, v4, 24, 3
	v_ffbh_u32_e32 v12, v3
	v_min_u32_e32 v12, 32, v12
	v_lshrrev_b32_e32 v7, 27, v4
	v_subrev_u32_e32 v13, 28, v12
	v_and_b32_e32 v6, 0x80000000, v4
	v_and_b32_e32 v7, 15, v7
	v_bfe_u32 v8, v4, 27, 4
	v_lshlrev_b32_sdwa v4, v13, v4 dst_sel:DWORD dst_unused:UNUSED_PAD src0_sel:DWORD src1_sel:BYTE_3
	v_sub_u32_e32 v12, 29, v12
	v_and_b32_e32 v4, 7, v4
	v_cmp_eq_u16_e32 vcc, 0, v7
	v_cndmask_b32_e32 v3, v3, v4, vcc
	v_cndmask_b32_e32 v4, v8, v12, vcc
	v_mov_b32_e32 v7, 0x3b800000
	v_lshlrev_b32_e32 v3, 20, v3
	v_lshl_add_u32 v4, v4, 23, v7
	v_or3_b32 v3, v6, v4, v3
.LBB2_10208:
	s_or_b64 exec, exec, s[6:7]
	s_nop 0
	v_mfma_f32_16x16x4f32 a[0:3], v2, v3, a[0:3]
	s_movk_i32 s4, 0x7f
	v_cmp_gt_i16_sdwa s[6:7], v9, s4 src0_sel:BYTE_0 src1_sel:DWORD
	s_mov_b64 s[4:5], 0
                                        ; implicit-def: $sgpr10
	s_and_saveexec_b64 s[8:9], s[6:7]
	s_xor_b64 s[6:7], exec, s[8:9]
	s_cbranch_execz .LBB2_10209
; %bb.46049:
	s_getpc_b64 s[14:15]
.Lpost_getpc26608:
	s_add_u32 s14, s14, (.LBB2_24545-.Lpost_getpc26608)&4294967295
	s_addc_u32 s15, s15, (.LBB2_24545-.Lpost_getpc26608)>>32
	s_setpc_b64 s[14:15]
.LBB2_10209:
	s_or_saveexec_b64 s[6:7], s[6:7]
	v_mov_b32_e32 v2, s10
	s_xor_b64 exec, exec, s[6:7]
	s_cbranch_execz .LBB2_10210
; %bb.46051:
	s_getpc_b64 s[14:15]
.Lpost_getpc26609:
	s_add_u32 s14, s14, (.LBB2_24548-.Lpost_getpc26609)&4294967295
	s_addc_u32 s15, s15, (.LBB2_24548-.Lpost_getpc26609)>>32
	s_setpc_b64 s[14:15]
.LBB2_10210:
	s_or_b64 exec, exec, s[6:7]
	s_and_saveexec_b64 s[6:7], s[4:5]
	s_cbranch_execz .LBB2_10212
.LBB2_10211:
	v_mov_b32_e32 v2, 8
	v_and_b32_e32 v3, 7, v9
	v_lshrrev_b32_sdwa v2, v2, v9 dst_sel:BYTE_1 dst_unused:UNUSED_PAD src0_sel:DWORD src1_sel:DWORD
	v_ffbh_u32_e32 v4, v3
	v_or_b32_sdwa v2, v9, v2 dst_sel:DWORD dst_unused:UNUSED_PAD src0_sel:BYTE_0 src1_sel:DWORD
	v_min_u32_e32 v4, 32, v4
	v_lshrrev_b16_e32 v2, 3, v2
	v_subrev_u32_e32 v6, 28, v4
	v_and_b32_e32 v2, 15, v2
	v_lshlrev_b32_e32 v6, v6, v9
	v_sub_u32_e32 v4, 29, v4
	v_and_b32_e32 v6, 7, v6
	v_cmp_eq_u16_e32 vcc, 0, v2
	v_cndmask_b32_e32 v3, v3, v6, vcc
	v_cndmask_b32_e32 v2, v2, v4, vcc
	v_lshlrev_b32_e32 v4, 24, v9
	v_mov_b32_e32 v6, 0x3b800000
	v_lshlrev_b32_e32 v3, 20, v3
	v_and_b32_e32 v4, 0x80000000, v4
	v_lshl_add_u32 v2, v2, 23, v6
	v_or3_b32 v2, v4, v2, v3
.LBB2_10212:
	s_or_b64 exec, exec, s[6:7]
	s_movk_i32 s4, 0x7f
	v_cmp_gt_i16_sdwa s[6:7], v5, s4 src0_sel:BYTE_0 src1_sel:DWORD
	s_mov_b64 s[4:5], 0
                                        ; implicit-def: $sgpr10
	s_and_saveexec_b64 s[8:9], s[6:7]
	s_xor_b64 s[6:7], exec, s[8:9]
	s_cbranch_execz .LBB2_10213
; %bb.46053:
	s_getpc_b64 s[14:15]
.Lpost_getpc26610:
	s_add_u32 s14, s14, (.LBB2_24549-.Lpost_getpc26610)&4294967295
	s_addc_u32 s15, s15, (.LBB2_24549-.Lpost_getpc26610)>>32
	s_setpc_b64 s[14:15]
.LBB2_10213:
	s_or_saveexec_b64 s[6:7], s[6:7]
	v_mov_b32_e32 v3, s10
	s_xor_b64 exec, exec, s[6:7]
	s_cbranch_execz .LBB2_10214
; %bb.46055:
	s_getpc_b64 s[14:15]
.Lpost_getpc26611:
	s_add_u32 s14, s14, (.LBB2_24552-.Lpost_getpc26611)&4294967295
	s_addc_u32 s15, s15, (.LBB2_24552-.Lpost_getpc26611)>>32
	s_setpc_b64 s[14:15]
.LBB2_10214:
	s_or_b64 exec, exec, s[6:7]
	s_and_saveexec_b64 s[6:7], s[4:5]
	s_cbranch_execz .LBB2_10216
.LBB2_10215:
	v_mov_b32_e32 v3, 8
	v_and_b32_e32 v4, 7, v5
	v_lshrrev_b32_sdwa v3, v3, v5 dst_sel:BYTE_1 dst_unused:UNUSED_PAD src0_sel:DWORD src1_sel:DWORD
	v_ffbh_u32_e32 v6, v4
	v_or_b32_sdwa v3, v5, v3 dst_sel:DWORD dst_unused:UNUSED_PAD src0_sel:BYTE_0 src1_sel:DWORD
	v_min_u32_e32 v6, 32, v6
	v_lshrrev_b16_e32 v3, 3, v3
	v_subrev_u32_e32 v7, 28, v6
	v_and_b32_e32 v3, 15, v3
	v_lshlrev_b32_e32 v7, v7, v5
	v_sub_u32_e32 v6, 29, v6
	v_and_b32_e32 v7, 7, v7
	v_cmp_eq_u16_e32 vcc, 0, v3
	v_cndmask_b32_e32 v4, v4, v7, vcc
	v_cndmask_b32_e32 v3, v3, v6, vcc
	v_lshlrev_b32_e32 v6, 24, v5
	v_mov_b32_e32 v7, 0x3b800000
	v_lshlrev_b32_e32 v4, 20, v4
	v_and_b32_e32 v6, 0x80000000, v6
	v_lshl_add_u32 v3, v3, 23, v7
	v_or3_b32 v3, v6, v3, v4
.LBB2_10216:
	s_or_b64 exec, exec, s[6:7]
	s_nop 0
	v_mfma_f32_16x16x4f32 a[0:3], v2, v3, a[0:3]
	v_lshrrev_b32_e32 v3, 8, v9
	s_movk_i32 s4, 0x7f
	v_cmp_gt_i16_sdwa s[6:7], v3, s4 src0_sel:BYTE_0 src1_sel:DWORD
	s_mov_b64 s[4:5], 0
                                        ; implicit-def: $sgpr10
	s_and_saveexec_b64 s[8:9], s[6:7]
	s_xor_b64 s[6:7], exec, s[8:9]
	s_cbranch_execz .LBB2_10217
; %bb.46057:
	s_getpc_b64 s[14:15]
.Lpost_getpc26612:
	s_add_u32 s14, s14, (.LBB2_24553-.Lpost_getpc26612)&4294967295
	s_addc_u32 s15, s15, (.LBB2_24553-.Lpost_getpc26612)>>32
	s_setpc_b64 s[14:15]
.LBB2_10217:
	s_or_saveexec_b64 s[6:7], s[6:7]
	v_mov_b32_e32 v2, s10
	s_xor_b64 exec, exec, s[6:7]
	s_cbranch_execz .LBB2_10218
; %bb.46059:
	s_getpc_b64 s[14:15]
.Lpost_getpc26613:
	s_add_u32 s14, s14, (.LBB2_24556-.Lpost_getpc26613)&4294967295
	s_addc_u32 s15, s15, (.LBB2_24556-.Lpost_getpc26613)>>32
	s_setpc_b64 s[14:15]
.LBB2_10218:
	s_or_b64 exec, exec, s[6:7]
	s_and_saveexec_b64 s[6:7], s[4:5]
	s_cbranch_execz .LBB2_10220
.LBB2_10219:
	v_bfe_u32 v2, v9, 8, 3
	v_ffbh_u32_e32 v6, v2
	v_min_u32_e32 v6, 32, v6
	v_lshrrev_b16_e32 v4, 3, v3
	v_subrev_u32_e32 v7, 28, v6
	v_and_b32_e32 v4, 15, v4
	v_lshlrev_b32_e32 v3, v7, v3
	v_sub_u32_e32 v6, 29, v6
	v_and_b32_e32 v3, 7, v3
	v_cmp_eq_u16_e32 vcc, 0, v4
	v_cndmask_b32_e32 v2, v2, v3, vcc
	v_cndmask_b32_e32 v3, v4, v6, vcc
	v_lshlrev_b32_e32 v4, 16, v9
	v_mov_b32_e32 v6, 0x3b800000
	v_lshlrev_b32_e32 v2, 20, v2
	v_and_b32_e32 v4, 0x80000000, v4
	v_lshl_add_u32 v3, v3, 23, v6
	v_or3_b32 v2, v4, v3, v2
.LBB2_10220:
	s_or_b64 exec, exec, s[6:7]
	v_lshrrev_b32_e32 v3, 8, v5
	s_movk_i32 s4, 0x7f
	v_cmp_gt_i16_sdwa s[6:7], v3, s4 src0_sel:BYTE_0 src1_sel:DWORD
	s_mov_b64 s[4:5], 0
                                        ; implicit-def: $sgpr10
	s_and_saveexec_b64 s[8:9], s[6:7]
	s_xor_b64 s[6:7], exec, s[8:9]
	s_cbranch_execz .LBB2_10221
; %bb.46061:
	s_getpc_b64 s[14:15]
.Lpost_getpc26614:
	s_add_u32 s14, s14, (.LBB2_24557-.Lpost_getpc26614)&4294967295
	s_addc_u32 s15, s15, (.LBB2_24557-.Lpost_getpc26614)>>32
	s_setpc_b64 s[14:15]
.LBB2_10221:
	s_or_saveexec_b64 s[6:7], s[6:7]
	v_mov_b32_e32 v4, s10
	s_xor_b64 exec, exec, s[6:7]
	s_cbranch_execz .LBB2_10222
; %bb.46063:
	s_getpc_b64 s[14:15]
.Lpost_getpc26615:
	s_add_u32 s14, s14, (.LBB2_24560-.Lpost_getpc26615)&4294967295
	s_addc_u32 s15, s15, (.LBB2_24560-.Lpost_getpc26615)>>32
	s_setpc_b64 s[14:15]
.LBB2_10222:
	s_or_b64 exec, exec, s[6:7]
	s_and_saveexec_b64 s[6:7], s[4:5]
	s_cbranch_execz .LBB2_10224
.LBB2_10223:
	v_bfe_u32 v4, v5, 8, 3
	v_ffbh_u32_e32 v7, v4
	v_min_u32_e32 v7, 32, v7
	v_lshrrev_b16_e32 v6, 3, v3
	v_subrev_u32_e32 v8, 28, v7
	v_and_b32_e32 v6, 15, v6
	v_lshlrev_b32_e32 v3, v8, v3
	v_sub_u32_e32 v7, 29, v7
	v_and_b32_e32 v3, 7, v3
	v_cmp_eq_u16_e32 vcc, 0, v6
	v_cndmask_b32_e32 v3, v4, v3, vcc
	v_cndmask_b32_e32 v4, v6, v7, vcc
	v_lshlrev_b32_e32 v6, 16, v5
	v_mov_b32_e32 v7, 0x3b800000
	v_lshlrev_b32_e32 v3, 20, v3
	v_and_b32_e32 v6, 0x80000000, v6
	v_lshl_add_u32 v4, v4, 23, v7
	v_or3_b32 v4, v6, v4, v3
.LBB2_10224:
	s_or_b64 exec, exec, s[6:7]
	s_nop 0
	v_mfma_f32_16x16x4f32 a[0:3], v2, v4, a[0:3]
	s_movk_i32 s4, 0xff
	v_and_b32_sdwa v3, v9, s4 dst_sel:DWORD dst_unused:UNUSED_PAD src0_sel:WORD_1 src1_sel:DWORD
	s_movk_i32 s4, 0x7f
	v_cmp_lt_i16_e32 vcc, s4, v3
	s_mov_b64 s[4:5], 0
                                        ; implicit-def: $sgpr10
	s_and_saveexec_b64 s[6:7], vcc
	s_xor_b64 s[6:7], exec, s[6:7]
	s_cbranch_execz .LBB2_10225
; %bb.46065:
	s_getpc_b64 s[14:15]
.Lpost_getpc26616:
	s_add_u32 s14, s14, (.LBB2_24561-.Lpost_getpc26616)&4294967295
	s_addc_u32 s15, s15, (.LBB2_24561-.Lpost_getpc26616)>>32
	s_setpc_b64 s[14:15]
.LBB2_10225:
	s_or_saveexec_b64 s[6:7], s[6:7]
	v_mov_b32_e32 v2, s10
	s_xor_b64 exec, exec, s[6:7]
	s_cbranch_execz .LBB2_10226
; %bb.46067:
	s_getpc_b64 s[14:15]
.Lpost_getpc26617:
	s_add_u32 s14, s14, (.LBB2_24564-.Lpost_getpc26617)&4294967295
	s_addc_u32 s15, s15, (.LBB2_24564-.Lpost_getpc26617)>>32
	s_setpc_b64 s[14:15]
.LBB2_10226:
	s_or_b64 exec, exec, s[6:7]
	s_and_saveexec_b64 s[6:7], s[4:5]
	s_cbranch_execz .LBB2_10228
.LBB2_10227:
	v_bfe_u32 v2, v9, 16, 3
	v_ffbh_u32_e32 v6, v2
	v_min_u32_e32 v6, 32, v6
	v_lshrrev_b32_e32 v3, 19, v9
	v_subrev_u32_e32 v7, 28, v6
	v_and_b32_e32 v3, 15, v3
	v_lshlrev_b32_sdwa v7, v7, v9 dst_sel:DWORD dst_unused:UNUSED_PAD src0_sel:DWORD src1_sel:WORD_1
	v_bfe_u32 v4, v9, 19, 4
	v_sub_u32_e32 v6, 29, v6
	v_and_b32_e32 v7, 7, v7
	v_cmp_eq_u16_e32 vcc, 0, v3
	v_cndmask_b32_e32 v2, v2, v7, vcc
	v_cndmask_b32_e32 v3, v4, v6, vcc
	v_lshlrev_b32_e32 v4, 8, v9
	v_mov_b32_e32 v6, 0x3b800000
	v_lshlrev_b32_e32 v2, 20, v2
	v_and_b32_e32 v4, 0x80000000, v4
	v_lshl_add_u32 v3, v3, 23, v6
	v_or3_b32 v2, v4, v3, v2
.LBB2_10228:
	s_or_b64 exec, exec, s[6:7]
	s_movk_i32 s4, 0xff
	v_and_b32_sdwa v3, v5, s4 dst_sel:DWORD dst_unused:UNUSED_PAD src0_sel:WORD_1 src1_sel:DWORD
	s_movk_i32 s4, 0x7f
	v_cmp_lt_i16_e32 vcc, s4, v3
	s_mov_b64 s[4:5], 0
                                        ; implicit-def: $sgpr10
	s_and_saveexec_b64 s[6:7], vcc
	s_xor_b64 s[6:7], exec, s[6:7]
	s_cbranch_execz .LBB2_10229
; %bb.46069:
	s_getpc_b64 s[14:15]
.Lpost_getpc26618:
	s_add_u32 s14, s14, (.LBB2_24565-.Lpost_getpc26618)&4294967295
	s_addc_u32 s15, s15, (.LBB2_24565-.Lpost_getpc26618)>>32
	s_setpc_b64 s[14:15]
.LBB2_10229:
	s_or_saveexec_b64 s[6:7], s[6:7]
	v_mov_b32_e32 v4, s10
	s_xor_b64 exec, exec, s[6:7]
	s_cbranch_execz .LBB2_10230
; %bb.46071:
	s_getpc_b64 s[14:15]
.Lpost_getpc26619:
	s_add_u32 s14, s14, (.LBB2_24568-.Lpost_getpc26619)&4294967295
	s_addc_u32 s15, s15, (.LBB2_24568-.Lpost_getpc26619)>>32
	s_setpc_b64 s[14:15]
.LBB2_10230:
	s_or_b64 exec, exec, s[6:7]
	s_and_saveexec_b64 s[6:7], s[4:5]
	s_cbranch_execz .LBB2_10232
.LBB2_10231:
	v_bfe_u32 v3, v5, 16, 3
	v_ffbh_u32_e32 v7, v3
	v_min_u32_e32 v7, 32, v7
	v_lshrrev_b32_e32 v4, 19, v5
	v_subrev_u32_e32 v8, 28, v7
	v_and_b32_e32 v4, 15, v4
	v_lshlrev_b32_sdwa v8, v8, v5 dst_sel:DWORD dst_unused:UNUSED_PAD src0_sel:DWORD src1_sel:WORD_1
	v_bfe_u32 v6, v5, 19, 4
	v_sub_u32_e32 v7, 29, v7
	v_and_b32_e32 v8, 7, v8
	v_cmp_eq_u16_e32 vcc, 0, v4
	v_cndmask_b32_e32 v3, v3, v8, vcc
	v_cndmask_b32_e32 v4, v6, v7, vcc
	v_lshlrev_b32_e32 v6, 8, v5
	v_mov_b32_e32 v7, 0x3b800000
	v_lshlrev_b32_e32 v3, 20, v3
	v_and_b32_e32 v6, 0x80000000, v6
	v_lshl_add_u32 v4, v4, 23, v7
	v_or3_b32 v4, v6, v4, v3
.LBB2_10232:
	s_or_b64 exec, exec, s[6:7]
	s_nop 0
	v_mfma_f32_16x16x4f32 a[0:3], v2, v4, a[0:3]
	s_movk_i32 s4, 0x7f
	v_cmp_gt_i16_sdwa s[6:7], v9, s4 src0_sel:BYTE_3 src1_sel:DWORD
	s_mov_b64 s[4:5], 0
                                        ; implicit-def: $sgpr10
	s_and_saveexec_b64 s[8:9], s[6:7]
	s_xor_b64 s[6:7], exec, s[8:9]
	s_cbranch_execz .LBB2_10233
; %bb.46073:
	s_getpc_b64 s[14:15]
.Lpost_getpc26620:
	s_add_u32 s14, s14, (.LBB2_24569-.Lpost_getpc26620)&4294967295
	s_addc_u32 s15, s15, (.LBB2_24569-.Lpost_getpc26620)>>32
	s_setpc_b64 s[14:15]
.LBB2_10233:
	s_or_saveexec_b64 s[6:7], s[6:7]
	v_mov_b32_e32 v2, s10
	s_xor_b64 exec, exec, s[6:7]
	s_cbranch_execz .LBB2_10234
; %bb.46075:
	s_getpc_b64 s[14:15]
.Lpost_getpc26621:
	s_add_u32 s14, s14, (.LBB2_24572-.Lpost_getpc26621)&4294967295
	s_addc_u32 s15, s15, (.LBB2_24572-.Lpost_getpc26621)>>32
	s_setpc_b64 s[14:15]
.LBB2_10234:
	s_or_b64 exec, exec, s[6:7]
	s_and_saveexec_b64 s[6:7], s[4:5]
	s_cbranch_execz .LBB2_10236
.LBB2_10235:
	v_bfe_u32 v2, v9, 24, 3
	v_ffbh_u32_e32 v7, v2
	v_min_u32_e32 v7, 32, v7
	v_lshrrev_b32_e32 v4, 27, v9
	v_subrev_u32_e32 v8, 28, v7
	v_and_b32_e32 v4, 15, v4
	v_lshlrev_b32_sdwa v8, v8, v9 dst_sel:DWORD dst_unused:UNUSED_PAD src0_sel:DWORD src1_sel:BYTE_3
	v_bfe_u32 v6, v9, 27, 4
	v_sub_u32_e32 v7, 29, v7
	v_and_b32_e32 v8, 7, v8
	v_cmp_eq_u16_e32 vcc, 0, v4
	v_cndmask_b32_e32 v2, v2, v8, vcc
	v_cndmask_b32_e32 v4, v6, v7, vcc
	v_mov_b32_e32 v6, 0x3b800000
	v_and_b32_e32 v3, 0x80000000, v9
	v_lshlrev_b32_e32 v2, 20, v2
	v_lshl_add_u32 v4, v4, 23, v6
	v_or3_b32 v2, v3, v4, v2
.LBB2_10236:
	s_or_b64 exec, exec, s[6:7]
	s_movk_i32 s4, 0x7f
	v_cmp_gt_i16_sdwa s[6:7], v5, s4 src0_sel:BYTE_3 src1_sel:DWORD
	s_mov_b64 s[4:5], 0
                                        ; implicit-def: $sgpr10
	s_and_saveexec_b64 s[8:9], s[6:7]
	s_xor_b64 s[6:7], exec, s[8:9]
	s_cbranch_execz .LBB2_10237
; %bb.46077:
	s_getpc_b64 s[14:15]
.Lpost_getpc26622:
	s_add_u32 s14, s14, (.LBB2_24573-.Lpost_getpc26622)&4294967295
	s_addc_u32 s15, s15, (.LBB2_24573-.Lpost_getpc26622)>>32
	s_setpc_b64 s[14:15]
.LBB2_10237:
	s_or_saveexec_b64 s[6:7], s[6:7]
	v_mov_b32_e32 v3, s10
	s_xor_b64 exec, exec, s[6:7]
	s_cbranch_execz .LBB2_10238
; %bb.46079:
	s_getpc_b64 s[14:15]
.Lpost_getpc26623:
	s_add_u32 s14, s14, (.LBB2_24576-.Lpost_getpc26623)&4294967295
	s_addc_u32 s15, s15, (.LBB2_24576-.Lpost_getpc26623)>>32
	s_setpc_b64 s[14:15]
.LBB2_10238:
	s_or_b64 exec, exec, s[6:7]
	s_and_saveexec_b64 s[6:7], s[4:5]
	s_cbranch_execz .LBB2_10240
.LBB2_10239:
	v_bfe_u32 v3, v5, 24, 3
	v_ffbh_u32_e32 v8, v3
	v_min_u32_e32 v8, 32, v8
	v_lshrrev_b32_e32 v6, 27, v5
	v_subrev_u32_e32 v9, 28, v8
	v_and_b32_e32 v4, 0x80000000, v5
	v_and_b32_e32 v6, 15, v6
	v_bfe_u32 v7, v5, 27, 4
	v_lshlrev_b32_sdwa v5, v9, v5 dst_sel:DWORD dst_unused:UNUSED_PAD src0_sel:DWORD src1_sel:BYTE_3
	v_sub_u32_e32 v8, 29, v8
	v_and_b32_e32 v5, 7, v5
	v_cmp_eq_u16_e32 vcc, 0, v6
	v_cndmask_b32_e32 v3, v3, v5, vcc
	v_cndmask_b32_e32 v5, v7, v8, vcc
	v_mov_b32_e32 v6, 0x3b800000
	v_lshlrev_b32_e32 v3, 20, v3
	v_lshl_add_u32 v5, v5, 23, v6
	v_or3_b32 v3, v4, v5, v3
.LBB2_10240:
	s_or_b64 exec, exec, s[6:7]
	s_nop 0
	v_mfma_f32_16x16x4f32 a[0:3], v2, v3, a[0:3]
	s_movk_i32 s4, 0x7f
                                        ; implicit-def: $sgpr10
	s_nop 7
	s_nop 1
	flat_store_dwordx4 v[10:11], a[0:3] offset:368
	flat_load_dwordx4 v[12:15], v[0:1]
	s_nop 0
	flat_load_dwordx2 v[10:11], v[0:1] offset:16
	s_waitcnt vmcnt(0) lgkmcnt(0)
	flat_load_dwordx4 v[6:9], v[12:13] offset:160
	flat_load_dwordx4 v[2:5], v[14:15] offset:128
	s_waitcnt vmcnt(0) lgkmcnt(0)
	v_cmp_gt_i16_sdwa s[6:7], v6, s4 src0_sel:BYTE_0 src1_sel:DWORD
	s_mov_b64 s[4:5], 0
	s_and_saveexec_b64 s[8:9], s[6:7]
	s_xor_b64 s[6:7], exec, s[8:9]
	s_cbranch_execz .LBB2_10241
; %bb.46081:
	s_getpc_b64 s[14:15]
.Lpost_getpc26624:
	s_add_u32 s14, s14, (.LBB2_24577-.Lpost_getpc26624)&4294967295
	s_addc_u32 s15, s15, (.LBB2_24577-.Lpost_getpc26624)>>32
	s_setpc_b64 s[14:15]
.LBB2_10241:
	s_or_saveexec_b64 s[6:7], s[6:7]
	v_mov_b32_e32 v12, s10
	s_xor_b64 exec, exec, s[6:7]
	s_cbranch_execz .LBB2_10242
; %bb.46083:
	s_getpc_b64 s[14:15]
.Lpost_getpc26625:
	s_add_u32 s14, s14, (.LBB2_24580-.Lpost_getpc26625)&4294967295
	s_addc_u32 s15, s15, (.LBB2_24580-.Lpost_getpc26625)>>32
	s_setpc_b64 s[14:15]
.LBB2_10242:
	s_or_b64 exec, exec, s[6:7]
	s_and_saveexec_b64 s[6:7], s[4:5]
	s_cbranch_execz .LBB2_10244
.LBB2_10243:
	v_and_b32_e32 v12, 7, v6
	v_ffbh_u32_e32 v14, v12
	v_min_u32_e32 v14, 32, v14
	v_lshrrev_b16_e32 v13, 3, v6
	v_subrev_u32_e32 v15, 28, v14
	v_and_b32_e32 v13, 15, v13
	v_lshlrev_b32_e32 v15, v15, v6
	v_sub_u32_e32 v14, 29, v14
	v_and_b32_e32 v15, 7, v15
	v_cmp_eq_u16_e32 vcc, 0, v13
	v_cndmask_b32_e32 v12, v12, v15, vcc
	v_cndmask_b32_e32 v13, v13, v14, vcc
	v_lshlrev_b32_e32 v14, 24, v6
	v_mov_b32_e32 v15, 0x3b800000
	v_lshlrev_b32_e32 v12, 20, v12
	v_and_b32_e32 v14, 0x80000000, v14
	v_lshl_add_u32 v13, v13, 23, v15
	v_or3_b32 v12, v14, v13, v12
.LBB2_10244:
	s_or_b64 exec, exec, s[6:7]
	s_movk_i32 s4, 0x7f
	v_cmp_gt_i16_sdwa s[6:7], v2, s4 src0_sel:BYTE_0 src1_sel:DWORD
	s_mov_b64 s[4:5], 0
                                        ; implicit-def: $sgpr10
	s_and_saveexec_b64 s[8:9], s[6:7]
	s_xor_b64 s[6:7], exec, s[8:9]
	s_cbranch_execz .LBB2_10245
; %bb.46085:
	s_getpc_b64 s[14:15]
.Lpost_getpc26626:
	s_add_u32 s14, s14, (.LBB2_24581-.Lpost_getpc26626)&4294967295
	s_addc_u32 s15, s15, (.LBB2_24581-.Lpost_getpc26626)>>32
	s_setpc_b64 s[14:15]
.LBB2_10245:
	s_or_saveexec_b64 s[6:7], s[6:7]
	v_mov_b32_e32 v13, s10
	s_xor_b64 exec, exec, s[6:7]
	s_cbranch_execz .LBB2_10246
; %bb.46087:
	s_getpc_b64 s[14:15]
.Lpost_getpc26627:
	s_add_u32 s14, s14, (.LBB2_24584-.Lpost_getpc26627)&4294967295
	s_addc_u32 s15, s15, (.LBB2_24584-.Lpost_getpc26627)>>32
	s_setpc_b64 s[14:15]
.LBB2_10246:
	s_or_b64 exec, exec, s[6:7]
	s_and_saveexec_b64 s[6:7], s[4:5]
	s_cbranch_execz .LBB2_10248
.LBB2_10247:
	v_and_b32_e32 v13, 7, v2
	v_ffbh_u32_e32 v15, v13
	v_min_u32_e32 v15, 32, v15
	v_lshrrev_b16_e32 v14, 3, v2
	v_subrev_u32_e32 v16, 28, v15
	v_and_b32_e32 v14, 15, v14
	v_lshlrev_b32_e32 v16, v16, v2
	v_sub_u32_e32 v15, 29, v15
	v_and_b32_e32 v16, 7, v16
	v_cmp_eq_u16_e32 vcc, 0, v14
	v_cndmask_b32_e32 v13, v13, v16, vcc
	v_cndmask_b32_e32 v14, v14, v15, vcc
	v_lshlrev_b32_e32 v15, 24, v2
	v_mov_b32_e32 v16, 0x3b800000
	v_lshlrev_b32_e32 v13, 20, v13
	v_and_b32_e32 v15, 0x80000000, v15
	v_lshl_add_u32 v14, v14, 23, v16
	v_or3_b32 v13, v15, v14, v13
.LBB2_10248:
	s_or_b64 exec, exec, s[6:7]
	flat_load_dwordx4 a[0:3], v[10:11] offset:384
	s_movk_i32 s4, 0x7f
                                        ; implicit-def: $sgpr10
	s_waitcnt vmcnt(0) lgkmcnt(0)
	v_mfma_f32_16x16x4f32 a[0:3], v12, v13, a[0:3]
	v_lshrrev_b32_e32 v13, 8, v6
	v_cmp_gt_i16_sdwa s[6:7], v13, s4 src0_sel:BYTE_0 src1_sel:DWORD
	s_mov_b64 s[4:5], 0
	s_and_saveexec_b64 s[8:9], s[6:7]
	s_xor_b64 s[6:7], exec, s[8:9]
	s_cbranch_execz .LBB2_10249
; %bb.46089:
	s_getpc_b64 s[14:15]
.Lpost_getpc26628:
	s_add_u32 s14, s14, (.LBB2_24585-.Lpost_getpc26628)&4294967295
	s_addc_u32 s15, s15, (.LBB2_24585-.Lpost_getpc26628)>>32
	s_setpc_b64 s[14:15]
.LBB2_10249:
	s_or_saveexec_b64 s[6:7], s[6:7]
	v_mov_b32_e32 v12, s10
	s_xor_b64 exec, exec, s[6:7]
	s_cbranch_execz .LBB2_10250
; %bb.46091:
	s_getpc_b64 s[14:15]
.Lpost_getpc26629:
	s_add_u32 s14, s14, (.LBB2_24588-.Lpost_getpc26629)&4294967295
	s_addc_u32 s15, s15, (.LBB2_24588-.Lpost_getpc26629)>>32
	s_setpc_b64 s[14:15]
.LBB2_10250:
	s_or_b64 exec, exec, s[6:7]
	s_and_saveexec_b64 s[6:7], s[4:5]
	s_cbranch_execz .LBB2_10252
.LBB2_10251:
	v_bfe_u32 v12, v6, 8, 3
	v_ffbh_u32_e32 v15, v12
	v_min_u32_e32 v15, 32, v15
	v_lshrrev_b16_e32 v14, 3, v13
	v_subrev_u32_e32 v16, 28, v15
	v_and_b32_e32 v14, 15, v14
	v_lshlrev_b32_e32 v13, v16, v13
	v_sub_u32_e32 v15, 29, v15
	v_and_b32_e32 v13, 7, v13
	v_cmp_eq_u16_e32 vcc, 0, v14
	v_cndmask_b32_e32 v12, v12, v13, vcc
	v_cndmask_b32_e32 v13, v14, v15, vcc
	v_lshlrev_b32_e32 v14, 16, v6
	v_mov_b32_e32 v15, 0x3b800000
	v_lshlrev_b32_e32 v12, 20, v12
	v_and_b32_e32 v14, 0x80000000, v14
	v_lshl_add_u32 v13, v13, 23, v15
	v_or3_b32 v12, v14, v13, v12
.LBB2_10252:
	s_or_b64 exec, exec, s[6:7]
	v_lshrrev_b32_e32 v13, 8, v2
	s_movk_i32 s4, 0x7f
	v_cmp_gt_i16_sdwa s[6:7], v13, s4 src0_sel:BYTE_0 src1_sel:DWORD
	s_mov_b64 s[4:5], 0
                                        ; implicit-def: $sgpr10
	s_and_saveexec_b64 s[8:9], s[6:7]
	s_xor_b64 s[6:7], exec, s[8:9]
	s_cbranch_execz .LBB2_10253
; %bb.46093:
	s_getpc_b64 s[14:15]
.Lpost_getpc26630:
	s_add_u32 s14, s14, (.LBB2_24589-.Lpost_getpc26630)&4294967295
	s_addc_u32 s15, s15, (.LBB2_24589-.Lpost_getpc26630)>>32
	s_setpc_b64 s[14:15]
.LBB2_10253:
	s_or_saveexec_b64 s[6:7], s[6:7]
	v_mov_b32_e32 v14, s10
	s_xor_b64 exec, exec, s[6:7]
	s_cbranch_execz .LBB2_10254
; %bb.46095:
	s_getpc_b64 s[14:15]
.Lpost_getpc26631:
	s_add_u32 s14, s14, (.LBB2_24592-.Lpost_getpc26631)&4294967295
	s_addc_u32 s15, s15, (.LBB2_24592-.Lpost_getpc26631)>>32
	s_setpc_b64 s[14:15]
.LBB2_10254:
	s_or_b64 exec, exec, s[6:7]
	s_and_saveexec_b64 s[6:7], s[4:5]
	s_cbranch_execz .LBB2_10256
.LBB2_10255:
	v_bfe_u32 v14, v2, 8, 3
	v_ffbh_u32_e32 v16, v14
	v_min_u32_e32 v16, 32, v16
	v_lshrrev_b16_e32 v15, 3, v13
	v_subrev_u32_e32 v17, 28, v16
	v_and_b32_e32 v15, 15, v15
	v_lshlrev_b32_e32 v13, v17, v13
	v_sub_u32_e32 v16, 29, v16
	v_and_b32_e32 v13, 7, v13
	v_cmp_eq_u16_e32 vcc, 0, v15
	v_cndmask_b32_e32 v13, v14, v13, vcc
	v_cndmask_b32_e32 v14, v15, v16, vcc
	v_lshlrev_b32_e32 v15, 16, v2
	v_mov_b32_e32 v16, 0x3b800000
	v_lshlrev_b32_e32 v13, 20, v13
	v_and_b32_e32 v15, 0x80000000, v15
	v_lshl_add_u32 v14, v14, 23, v16
	v_or3_b32 v14, v15, v14, v13
.LBB2_10256:
	s_or_b64 exec, exec, s[6:7]
	s_nop 0
	v_mfma_f32_16x16x4f32 a[0:3], v12, v14, a[0:3]
	s_movk_i32 s4, 0xff
	v_and_b32_sdwa v13, v6, s4 dst_sel:DWORD dst_unused:UNUSED_PAD src0_sel:WORD_1 src1_sel:DWORD
	s_movk_i32 s4, 0x7f
	v_cmp_lt_i16_e32 vcc, s4, v13
	s_mov_b64 s[4:5], 0
                                        ; implicit-def: $sgpr10
	s_and_saveexec_b64 s[6:7], vcc
	s_xor_b64 s[6:7], exec, s[6:7]
	s_cbranch_execz .LBB2_10257
; %bb.46097:
	s_getpc_b64 s[14:15]
.Lpost_getpc26632:
	s_add_u32 s14, s14, (.LBB2_24593-.Lpost_getpc26632)&4294967295
	s_addc_u32 s15, s15, (.LBB2_24593-.Lpost_getpc26632)>>32
	s_setpc_b64 s[14:15]
.LBB2_10257:
	s_or_saveexec_b64 s[6:7], s[6:7]
	v_mov_b32_e32 v12, s10
	s_xor_b64 exec, exec, s[6:7]
	s_cbranch_execz .LBB2_10258
; %bb.46099:
	s_getpc_b64 s[14:15]
.Lpost_getpc26633:
	s_add_u32 s14, s14, (.LBB2_24596-.Lpost_getpc26633)&4294967295
	s_addc_u32 s15, s15, (.LBB2_24596-.Lpost_getpc26633)>>32
	s_setpc_b64 s[14:15]
.LBB2_10258:
	s_or_b64 exec, exec, s[6:7]
	s_and_saveexec_b64 s[6:7], s[4:5]
	s_cbranch_execz .LBB2_10260
.LBB2_10259:
	v_bfe_u32 v12, v6, 16, 3
	v_ffbh_u32_e32 v15, v12
	v_min_u32_e32 v15, 32, v15
	v_lshrrev_b32_e32 v13, 19, v6
	v_subrev_u32_e32 v16, 28, v15
	v_and_b32_e32 v13, 15, v13
	v_lshlrev_b32_sdwa v16, v16, v6 dst_sel:DWORD dst_unused:UNUSED_PAD src0_sel:DWORD src1_sel:WORD_1
	v_bfe_u32 v14, v6, 19, 4
	v_sub_u32_e32 v15, 29, v15
	v_and_b32_e32 v16, 7, v16
	v_cmp_eq_u16_e32 vcc, 0, v13
	v_cndmask_b32_e32 v12, v12, v16, vcc
	v_cndmask_b32_e32 v13, v14, v15, vcc
	v_lshlrev_b32_e32 v14, 8, v6
	v_mov_b32_e32 v15, 0x3b800000
	v_lshlrev_b32_e32 v12, 20, v12
	v_and_b32_e32 v14, 0x80000000, v14
	v_lshl_add_u32 v13, v13, 23, v15
	v_or3_b32 v12, v14, v13, v12
.LBB2_10260:
	s_or_b64 exec, exec, s[6:7]
	s_movk_i32 s4, 0xff
	v_and_b32_sdwa v13, v2, s4 dst_sel:DWORD dst_unused:UNUSED_PAD src0_sel:WORD_1 src1_sel:DWORD
	s_movk_i32 s4, 0x7f
	v_cmp_lt_i16_e32 vcc, s4, v13
	s_mov_b64 s[4:5], 0
                                        ; implicit-def: $sgpr10
	s_and_saveexec_b64 s[6:7], vcc
	s_xor_b64 s[6:7], exec, s[6:7]
	s_cbranch_execz .LBB2_10261
; %bb.46101:
	s_getpc_b64 s[14:15]
.Lpost_getpc26634:
	s_add_u32 s14, s14, (.LBB2_24597-.Lpost_getpc26634)&4294967295
	s_addc_u32 s15, s15, (.LBB2_24597-.Lpost_getpc26634)>>32
	s_setpc_b64 s[14:15]
.LBB2_10261:
	s_or_saveexec_b64 s[6:7], s[6:7]
	v_mov_b32_e32 v14, s10
	s_xor_b64 exec, exec, s[6:7]
	s_cbranch_execz .LBB2_10262
; %bb.46103:
	s_getpc_b64 s[14:15]
.Lpost_getpc26635:
	s_add_u32 s14, s14, (.LBB2_24600-.Lpost_getpc26635)&4294967295
	s_addc_u32 s15, s15, (.LBB2_24600-.Lpost_getpc26635)>>32
	s_setpc_b64 s[14:15]
.LBB2_10262:
	s_or_b64 exec, exec, s[6:7]
	s_and_saveexec_b64 s[6:7], s[4:5]
	s_cbranch_execz .LBB2_10264
.LBB2_10263:
	v_bfe_u32 v13, v2, 16, 3
	v_ffbh_u32_e32 v16, v13
	v_min_u32_e32 v16, 32, v16
	v_lshrrev_b32_e32 v14, 19, v2
	v_subrev_u32_e32 v17, 28, v16
	v_and_b32_e32 v14, 15, v14
	v_lshlrev_b32_sdwa v17, v17, v2 dst_sel:DWORD dst_unused:UNUSED_PAD src0_sel:DWORD src1_sel:WORD_1
	v_bfe_u32 v15, v2, 19, 4
	v_sub_u32_e32 v16, 29, v16
	v_and_b32_e32 v17, 7, v17
	v_cmp_eq_u16_e32 vcc, 0, v14
	v_cndmask_b32_e32 v13, v13, v17, vcc
	v_cndmask_b32_e32 v14, v15, v16, vcc
	v_lshlrev_b32_e32 v15, 8, v2
	v_mov_b32_e32 v16, 0x3b800000
	v_lshlrev_b32_e32 v13, 20, v13
	v_and_b32_e32 v15, 0x80000000, v15
	v_lshl_add_u32 v14, v14, 23, v16
	v_or3_b32 v14, v15, v14, v13
.LBB2_10264:
	s_or_b64 exec, exec, s[6:7]
	s_nop 0
	v_mfma_f32_16x16x4f32 a[0:3], v12, v14, a[0:3]
	s_movk_i32 s4, 0x7f
	v_cmp_gt_i16_sdwa s[6:7], v6, s4 src0_sel:BYTE_3 src1_sel:DWORD
	s_mov_b64 s[4:5], 0
                                        ; implicit-def: $sgpr10
	s_and_saveexec_b64 s[8:9], s[6:7]
	s_xor_b64 s[6:7], exec, s[8:9]
	s_cbranch_execz .LBB2_10265
; %bb.46105:
	s_getpc_b64 s[14:15]
.Lpost_getpc26636:
	s_add_u32 s14, s14, (.LBB2_24601-.Lpost_getpc26636)&4294967295
	s_addc_u32 s15, s15, (.LBB2_24601-.Lpost_getpc26636)>>32
	s_setpc_b64 s[14:15]
.LBB2_10265:
	s_or_saveexec_b64 s[6:7], s[6:7]
	v_mov_b32_e32 v12, s10
	s_xor_b64 exec, exec, s[6:7]
	s_cbranch_execz .LBB2_10266
; %bb.46107:
	s_getpc_b64 s[14:15]
.Lpost_getpc26637:
	s_add_u32 s14, s14, (.LBB2_24604-.Lpost_getpc26637)&4294967295
	s_addc_u32 s15, s15, (.LBB2_24604-.Lpost_getpc26637)>>32
	s_setpc_b64 s[14:15]
.LBB2_10266:
	s_or_b64 exec, exec, s[6:7]
	s_and_saveexec_b64 s[6:7], s[4:5]
	s_cbranch_execz .LBB2_10268
.LBB2_10267:
	v_bfe_u32 v12, v6, 24, 3
	v_ffbh_u32_e32 v16, v12
	v_min_u32_e32 v16, 32, v16
	v_lshrrev_b32_e32 v14, 27, v6
	v_subrev_u32_e32 v17, 28, v16
	v_and_b32_e32 v13, 0x80000000, v6
	v_and_b32_e32 v14, 15, v14
	v_bfe_u32 v15, v6, 27, 4
	v_lshlrev_b32_sdwa v6, v17, v6 dst_sel:DWORD dst_unused:UNUSED_PAD src0_sel:DWORD src1_sel:BYTE_3
	v_sub_u32_e32 v16, 29, v16
	v_and_b32_e32 v6, 7, v6
	v_cmp_eq_u16_e32 vcc, 0, v14
	v_cndmask_b32_e32 v6, v12, v6, vcc
	v_cndmask_b32_e32 v12, v15, v16, vcc
	v_mov_b32_e32 v14, 0x3b800000
	v_lshlrev_b32_e32 v6, 20, v6
	v_lshl_add_u32 v12, v12, 23, v14
	v_or3_b32 v12, v13, v12, v6
.LBB2_10268:
	s_or_b64 exec, exec, s[6:7]
	s_movk_i32 s4, 0x7f
	v_cmp_gt_i16_sdwa s[6:7], v2, s4 src0_sel:BYTE_3 src1_sel:DWORD
	s_mov_b64 s[4:5], 0
                                        ; implicit-def: $sgpr10
	s_and_saveexec_b64 s[8:9], s[6:7]
	s_xor_b64 s[6:7], exec, s[8:9]
	s_cbranch_execz .LBB2_10269
; %bb.46109:
	s_getpc_b64 s[14:15]
.Lpost_getpc26638:
	s_add_u32 s14, s14, (.LBB2_24605-.Lpost_getpc26638)&4294967295
	s_addc_u32 s15, s15, (.LBB2_24605-.Lpost_getpc26638)>>32
	s_setpc_b64 s[14:15]
.LBB2_10269:
	s_or_saveexec_b64 s[6:7], s[6:7]
	v_mov_b32_e32 v6, s10
	s_xor_b64 exec, exec, s[6:7]
	s_cbranch_execz .LBB2_10270
; %bb.46111:
	s_getpc_b64 s[14:15]
.Lpost_getpc26639:
	s_add_u32 s14, s14, (.LBB2_24608-.Lpost_getpc26639)&4294967295
	s_addc_u32 s15, s15, (.LBB2_24608-.Lpost_getpc26639)>>32
	s_setpc_b64 s[14:15]
.LBB2_10270:
	s_or_b64 exec, exec, s[6:7]
	s_and_saveexec_b64 s[6:7], s[4:5]
	s_cbranch_execz .LBB2_10272
.LBB2_10271:
	v_bfe_u32 v6, v2, 24, 3
	v_ffbh_u32_e32 v16, v6
	v_min_u32_e32 v16, 32, v16
	v_lshrrev_b32_e32 v14, 27, v2
	v_subrev_u32_e32 v17, 28, v16
	v_and_b32_e32 v13, 0x80000000, v2
	v_and_b32_e32 v14, 15, v14
	v_bfe_u32 v15, v2, 27, 4
	v_lshlrev_b32_sdwa v2, v17, v2 dst_sel:DWORD dst_unused:UNUSED_PAD src0_sel:DWORD src1_sel:BYTE_3
	v_sub_u32_e32 v16, 29, v16
	v_and_b32_e32 v2, 7, v2
	v_cmp_eq_u16_e32 vcc, 0, v14
	v_cndmask_b32_e32 v2, v6, v2, vcc
	v_cndmask_b32_e32 v6, v15, v16, vcc
	v_mov_b32_e32 v14, 0x3b800000
	v_lshlrev_b32_e32 v2, 20, v2
	v_lshl_add_u32 v6, v6, 23, v14
	v_or3_b32 v6, v13, v6, v2
.LBB2_10272:
	s_or_b64 exec, exec, s[6:7]
	s_nop 0
	v_mfma_f32_16x16x4f32 a[0:3], v12, v6, a[0:3]
	s_movk_i32 s4, 0x7f
	v_cmp_gt_i16_sdwa s[6:7], v7, s4 src0_sel:BYTE_0 src1_sel:DWORD
	s_mov_b64 s[4:5], 0
                                        ; implicit-def: $sgpr10
	s_and_saveexec_b64 s[8:9], s[6:7]
	s_xor_b64 s[6:7], exec, s[8:9]
	s_cbranch_execz .LBB2_10273
; %bb.46113:
	s_getpc_b64 s[14:15]
.Lpost_getpc26640:
	s_add_u32 s14, s14, (.LBB2_24609-.Lpost_getpc26640)&4294967295
	s_addc_u32 s15, s15, (.LBB2_24609-.Lpost_getpc26640)>>32
	s_setpc_b64 s[14:15]
.LBB2_10273:
	s_or_saveexec_b64 s[6:7], s[6:7]
	v_mov_b32_e32 v2, s10
	s_xor_b64 exec, exec, s[6:7]
	s_cbranch_execz .LBB2_10274
; %bb.46115:
	s_getpc_b64 s[14:15]
.Lpost_getpc26641:
	s_add_u32 s14, s14, (.LBB2_24612-.Lpost_getpc26641)&4294967295
	s_addc_u32 s15, s15, (.LBB2_24612-.Lpost_getpc26641)>>32
	s_setpc_b64 s[14:15]
.LBB2_10274:
	s_or_b64 exec, exec, s[6:7]
	s_and_saveexec_b64 s[6:7], s[4:5]
	s_cbranch_execz .LBB2_10276
.LBB2_10275:
	v_and_b32_e32 v2, 7, v7
	v_ffbh_u32_e32 v12, v2
	v_min_u32_e32 v12, 32, v12
	v_lshrrev_b16_e32 v6, 3, v7
	v_subrev_u32_e32 v13, 28, v12
	v_and_b32_e32 v6, 15, v6
	v_lshlrev_b32_e32 v13, v13, v7
	v_sub_u32_e32 v12, 29, v12
	v_and_b32_e32 v13, 7, v13
	v_cmp_eq_u16_e32 vcc, 0, v6
	v_cndmask_b32_e32 v2, v2, v13, vcc
	v_cndmask_b32_e32 v6, v6, v12, vcc
	v_lshlrev_b32_e32 v12, 24, v7
	v_mov_b32_e32 v13, 0x3b800000
	v_lshlrev_b32_e32 v2, 20, v2
	v_and_b32_e32 v12, 0x80000000, v12
	v_lshl_add_u32 v6, v6, 23, v13
	v_or3_b32 v2, v12, v6, v2
.LBB2_10276:
	s_or_b64 exec, exec, s[6:7]
	s_movk_i32 s4, 0x7f
	v_cmp_gt_i16_sdwa s[6:7], v3, s4 src0_sel:BYTE_0 src1_sel:DWORD
	s_mov_b64 s[4:5], 0
                                        ; implicit-def: $sgpr10
	s_and_saveexec_b64 s[8:9], s[6:7]
	s_xor_b64 s[6:7], exec, s[8:9]
	s_cbranch_execz .LBB2_10277
; %bb.46117:
	s_getpc_b64 s[14:15]
.Lpost_getpc26642:
	s_add_u32 s14, s14, (.LBB2_24613-.Lpost_getpc26642)&4294967295
	s_addc_u32 s15, s15, (.LBB2_24613-.Lpost_getpc26642)>>32
	s_setpc_b64 s[14:15]
.LBB2_10277:
	s_or_saveexec_b64 s[6:7], s[6:7]
	v_mov_b32_e32 v6, s10
	s_xor_b64 exec, exec, s[6:7]
	s_cbranch_execz .LBB2_10278
; %bb.46119:
	s_getpc_b64 s[14:15]
.Lpost_getpc26643:
	s_add_u32 s14, s14, (.LBB2_24616-.Lpost_getpc26643)&4294967295
	s_addc_u32 s15, s15, (.LBB2_24616-.Lpost_getpc26643)>>32
	s_setpc_b64 s[14:15]
.LBB2_10278:
	s_or_b64 exec, exec, s[6:7]
	s_and_saveexec_b64 s[6:7], s[4:5]
	s_cbranch_execz .LBB2_10280
.LBB2_10279:
	v_and_b32_e32 v6, 7, v3
	v_ffbh_u32_e32 v13, v6
	v_min_u32_e32 v13, 32, v13
	v_lshrrev_b16_e32 v12, 3, v3
	v_subrev_u32_e32 v14, 28, v13
	v_and_b32_e32 v12, 15, v12
	v_lshlrev_b32_e32 v14, v14, v3
	v_sub_u32_e32 v13, 29, v13
	v_and_b32_e32 v14, 7, v14
	v_cmp_eq_u16_e32 vcc, 0, v12
	v_cndmask_b32_e32 v6, v6, v14, vcc
	v_cndmask_b32_e32 v12, v12, v13, vcc
	v_lshlrev_b32_e32 v13, 24, v3
	v_mov_b32_e32 v14, 0x3b800000
	v_lshlrev_b32_e32 v6, 20, v6
	v_and_b32_e32 v13, 0x80000000, v13
	v_lshl_add_u32 v12, v12, 23, v14
	v_or3_b32 v6, v13, v12, v6
.LBB2_10280:
	s_or_b64 exec, exec, s[6:7]
	s_nop 0
	v_mfma_f32_16x16x4f32 a[0:3], v2, v6, a[0:3]
	v_lshrrev_b32_e32 v6, 8, v7
	s_movk_i32 s4, 0x7f
	v_cmp_gt_i16_sdwa s[6:7], v6, s4 src0_sel:BYTE_0 src1_sel:DWORD
	s_mov_b64 s[4:5], 0
                                        ; implicit-def: $sgpr10
	s_and_saveexec_b64 s[8:9], s[6:7]
	s_xor_b64 s[6:7], exec, s[8:9]
	s_cbranch_execz .LBB2_10281
; %bb.46121:
	s_getpc_b64 s[14:15]
.Lpost_getpc26644:
	s_add_u32 s14, s14, (.LBB2_24617-.Lpost_getpc26644)&4294967295
	s_addc_u32 s15, s15, (.LBB2_24617-.Lpost_getpc26644)>>32
	s_setpc_b64 s[14:15]
.LBB2_10281:
	s_or_saveexec_b64 s[6:7], s[6:7]
	v_mov_b32_e32 v2, s10
	s_xor_b64 exec, exec, s[6:7]
	s_cbranch_execz .LBB2_10282
; %bb.46123:
	s_getpc_b64 s[14:15]
.Lpost_getpc26645:
	s_add_u32 s14, s14, (.LBB2_24620-.Lpost_getpc26645)&4294967295
	s_addc_u32 s15, s15, (.LBB2_24620-.Lpost_getpc26645)>>32
	s_setpc_b64 s[14:15]
.LBB2_10282:
	s_or_b64 exec, exec, s[6:7]
	s_and_saveexec_b64 s[6:7], s[4:5]
	s_cbranch_execz .LBB2_10284
.LBB2_10283:
	v_bfe_u32 v2, v7, 8, 3
	v_ffbh_u32_e32 v13, v2
	v_min_u32_e32 v13, 32, v13
	v_lshrrev_b16_e32 v12, 3, v6
	v_subrev_u32_e32 v14, 28, v13
	v_and_b32_e32 v12, 15, v12
	v_lshlrev_b32_e32 v6, v14, v6
	v_sub_u32_e32 v13, 29, v13
	v_and_b32_e32 v6, 7, v6
	v_cmp_eq_u16_e32 vcc, 0, v12
	v_cndmask_b32_e32 v2, v2, v6, vcc
	v_cndmask_b32_e32 v6, v12, v13, vcc
	v_lshlrev_b32_e32 v12, 16, v7
	v_mov_b32_e32 v13, 0x3b800000
	v_lshlrev_b32_e32 v2, 20, v2
	v_and_b32_e32 v12, 0x80000000, v12
	v_lshl_add_u32 v6, v6, 23, v13
	v_or3_b32 v2, v12, v6, v2
.LBB2_10284:
	s_or_b64 exec, exec, s[6:7]
	v_lshrrev_b32_e32 v6, 8, v3
	s_movk_i32 s4, 0x7f
	v_cmp_gt_i16_sdwa s[6:7], v6, s4 src0_sel:BYTE_0 src1_sel:DWORD
	s_mov_b64 s[4:5], 0
                                        ; implicit-def: $sgpr10
	s_and_saveexec_b64 s[8:9], s[6:7]
	s_xor_b64 s[6:7], exec, s[8:9]
	s_cbranch_execz .LBB2_10285
; %bb.46125:
	s_getpc_b64 s[14:15]
.Lpost_getpc26646:
	s_add_u32 s14, s14, (.LBB2_24621-.Lpost_getpc26646)&4294967295
	s_addc_u32 s15, s15, (.LBB2_24621-.Lpost_getpc26646)>>32
	s_setpc_b64 s[14:15]
.LBB2_10285:
	s_or_saveexec_b64 s[6:7], s[6:7]
	v_mov_b32_e32 v12, s10
	s_xor_b64 exec, exec, s[6:7]
	s_cbranch_execz .LBB2_10286
; %bb.46127:
	s_getpc_b64 s[14:15]
.Lpost_getpc26647:
	s_add_u32 s14, s14, (.LBB2_24624-.Lpost_getpc26647)&4294967295
	s_addc_u32 s15, s15, (.LBB2_24624-.Lpost_getpc26647)>>32
	s_setpc_b64 s[14:15]
.LBB2_10286:
	s_or_b64 exec, exec, s[6:7]
	s_and_saveexec_b64 s[6:7], s[4:5]
	s_cbranch_execz .LBB2_10288
.LBB2_10287:
	v_bfe_u32 v12, v3, 8, 3
	v_ffbh_u32_e32 v14, v12
	v_min_u32_e32 v14, 32, v14
	v_lshrrev_b16_e32 v13, 3, v6
	v_subrev_u32_e32 v15, 28, v14
	v_and_b32_e32 v13, 15, v13
	v_lshlrev_b32_e32 v6, v15, v6
	v_sub_u32_e32 v14, 29, v14
	v_and_b32_e32 v6, 7, v6
	v_cmp_eq_u16_e32 vcc, 0, v13
	v_cndmask_b32_e32 v6, v12, v6, vcc
	v_cndmask_b32_e32 v12, v13, v14, vcc
	v_lshlrev_b32_e32 v13, 16, v3
	v_mov_b32_e32 v14, 0x3b800000
	v_lshlrev_b32_e32 v6, 20, v6
	v_and_b32_e32 v13, 0x80000000, v13
	v_lshl_add_u32 v12, v12, 23, v14
	v_or3_b32 v12, v13, v12, v6
.LBB2_10288:
	s_or_b64 exec, exec, s[6:7]
	s_nop 0
	v_mfma_f32_16x16x4f32 a[0:3], v2, v12, a[0:3]
	s_movk_i32 s4, 0xff
	v_and_b32_sdwa v6, v7, s4 dst_sel:DWORD dst_unused:UNUSED_PAD src0_sel:WORD_1 src1_sel:DWORD
	s_movk_i32 s4, 0x7f
	v_cmp_lt_i16_e32 vcc, s4, v6
	s_mov_b64 s[4:5], 0
                                        ; implicit-def: $sgpr10
	s_and_saveexec_b64 s[6:7], vcc
	s_xor_b64 s[6:7], exec, s[6:7]
	s_cbranch_execz .LBB2_10289
; %bb.46129:
	s_getpc_b64 s[14:15]
.Lpost_getpc26648:
	s_add_u32 s14, s14, (.LBB2_24625-.Lpost_getpc26648)&4294967295
	s_addc_u32 s15, s15, (.LBB2_24625-.Lpost_getpc26648)>>32
	s_setpc_b64 s[14:15]
.LBB2_10289:
	s_or_saveexec_b64 s[6:7], s[6:7]
	v_mov_b32_e32 v2, s10
	s_xor_b64 exec, exec, s[6:7]
	s_cbranch_execz .LBB2_10290
; %bb.46131:
	s_getpc_b64 s[14:15]
.Lpost_getpc26649:
	s_add_u32 s14, s14, (.LBB2_24628-.Lpost_getpc26649)&4294967295
	s_addc_u32 s15, s15, (.LBB2_24628-.Lpost_getpc26649)>>32
	s_setpc_b64 s[14:15]
.LBB2_10290:
	s_or_b64 exec, exec, s[6:7]
	s_and_saveexec_b64 s[6:7], s[4:5]
	s_cbranch_execz .LBB2_10292
.LBB2_10291:
	v_bfe_u32 v2, v7, 16, 3
	v_ffbh_u32_e32 v13, v2
	v_min_u32_e32 v13, 32, v13
	v_lshrrev_b32_e32 v6, 19, v7
	v_subrev_u32_e32 v14, 28, v13
	v_and_b32_e32 v6, 15, v6
	v_lshlrev_b32_sdwa v14, v14, v7 dst_sel:DWORD dst_unused:UNUSED_PAD src0_sel:DWORD src1_sel:WORD_1
	v_bfe_u32 v12, v7, 19, 4
	v_sub_u32_e32 v13, 29, v13
	v_and_b32_e32 v14, 7, v14
	v_cmp_eq_u16_e32 vcc, 0, v6
	v_cndmask_b32_e32 v2, v2, v14, vcc
	v_cndmask_b32_e32 v6, v12, v13, vcc
	v_lshlrev_b32_e32 v12, 8, v7
	v_mov_b32_e32 v13, 0x3b800000
	v_lshlrev_b32_e32 v2, 20, v2
	v_and_b32_e32 v12, 0x80000000, v12
	v_lshl_add_u32 v6, v6, 23, v13
	v_or3_b32 v2, v12, v6, v2
.LBB2_10292:
	s_or_b64 exec, exec, s[6:7]
	s_movk_i32 s4, 0xff
	v_and_b32_sdwa v6, v3, s4 dst_sel:DWORD dst_unused:UNUSED_PAD src0_sel:WORD_1 src1_sel:DWORD
	s_movk_i32 s4, 0x7f
	v_cmp_lt_i16_e32 vcc, s4, v6
	s_mov_b64 s[4:5], 0
                                        ; implicit-def: $sgpr10
	s_and_saveexec_b64 s[6:7], vcc
	s_xor_b64 s[6:7], exec, s[6:7]
	s_cbranch_execz .LBB2_10293
; %bb.46133:
	s_getpc_b64 s[14:15]
.Lpost_getpc26650:
	s_add_u32 s14, s14, (.LBB2_24629-.Lpost_getpc26650)&4294967295
	s_addc_u32 s15, s15, (.LBB2_24629-.Lpost_getpc26650)>>32
	s_setpc_b64 s[14:15]
.LBB2_10293:
	s_or_saveexec_b64 s[6:7], s[6:7]
	v_mov_b32_e32 v12, s10
	s_xor_b64 exec, exec, s[6:7]
	s_cbranch_execz .LBB2_10294
; %bb.46135:
	s_getpc_b64 s[14:15]
.Lpost_getpc26651:
	s_add_u32 s14, s14, (.LBB2_24632-.Lpost_getpc26651)&4294967295
	s_addc_u32 s15, s15, (.LBB2_24632-.Lpost_getpc26651)>>32
	s_setpc_b64 s[14:15]
.LBB2_10294:
	s_or_b64 exec, exec, s[6:7]
	s_and_saveexec_b64 s[6:7], s[4:5]
	s_cbranch_execz .LBB2_10296
.LBB2_10295:
	v_bfe_u32 v6, v3, 16, 3
	v_ffbh_u32_e32 v14, v6
	v_min_u32_e32 v14, 32, v14
	v_lshrrev_b32_e32 v12, 19, v3
	v_subrev_u32_e32 v15, 28, v14
	v_and_b32_e32 v12, 15, v12
	v_lshlrev_b32_sdwa v15, v15, v3 dst_sel:DWORD dst_unused:UNUSED_PAD src0_sel:DWORD src1_sel:WORD_1
	v_bfe_u32 v13, v3, 19, 4
	v_sub_u32_e32 v14, 29, v14
	v_and_b32_e32 v15, 7, v15
	v_cmp_eq_u16_e32 vcc, 0, v12
	v_cndmask_b32_e32 v6, v6, v15, vcc
	v_cndmask_b32_e32 v12, v13, v14, vcc
	v_lshlrev_b32_e32 v13, 8, v3
	v_mov_b32_e32 v14, 0x3b800000
	v_lshlrev_b32_e32 v6, 20, v6
	v_and_b32_e32 v13, 0x80000000, v13
	v_lshl_add_u32 v12, v12, 23, v14
	v_or3_b32 v12, v13, v12, v6
.LBB2_10296:
	s_or_b64 exec, exec, s[6:7]
	s_nop 0
	v_mfma_f32_16x16x4f32 a[0:3], v2, v12, a[0:3]
	s_movk_i32 s4, 0x7f
	v_cmp_gt_i16_sdwa s[6:7], v7, s4 src0_sel:BYTE_3 src1_sel:DWORD
	s_mov_b64 s[4:5], 0
                                        ; implicit-def: $sgpr10
	s_and_saveexec_b64 s[8:9], s[6:7]
	s_xor_b64 s[6:7], exec, s[8:9]
	s_cbranch_execz .LBB2_10297
; %bb.46137:
	s_getpc_b64 s[14:15]
.Lpost_getpc26652:
	s_add_u32 s14, s14, (.LBB2_24633-.Lpost_getpc26652)&4294967295
	s_addc_u32 s15, s15, (.LBB2_24633-.Lpost_getpc26652)>>32
	s_setpc_b64 s[14:15]
.LBB2_10297:
	s_or_saveexec_b64 s[6:7], s[6:7]
	v_mov_b32_e32 v2, s10
	s_xor_b64 exec, exec, s[6:7]
	s_cbranch_execz .LBB2_10298
; %bb.46139:
	s_getpc_b64 s[14:15]
.Lpost_getpc26653:
	s_add_u32 s14, s14, (.LBB2_24636-.Lpost_getpc26653)&4294967295
	s_addc_u32 s15, s15, (.LBB2_24636-.Lpost_getpc26653)>>32
	s_setpc_b64 s[14:15]
.LBB2_10298:
	s_or_b64 exec, exec, s[6:7]
	s_and_saveexec_b64 s[6:7], s[4:5]
	s_cbranch_execz .LBB2_10300
.LBB2_10299:
	v_bfe_u32 v2, v7, 24, 3
	v_ffbh_u32_e32 v14, v2
	v_min_u32_e32 v14, 32, v14
	v_lshrrev_b32_e32 v12, 27, v7
	v_subrev_u32_e32 v15, 28, v14
	v_and_b32_e32 v6, 0x80000000, v7
	v_and_b32_e32 v12, 15, v12
	v_bfe_u32 v13, v7, 27, 4
	v_lshlrev_b32_sdwa v7, v15, v7 dst_sel:DWORD dst_unused:UNUSED_PAD src0_sel:DWORD src1_sel:BYTE_3
	v_sub_u32_e32 v14, 29, v14
	v_and_b32_e32 v7, 7, v7
	v_cmp_eq_u16_e32 vcc, 0, v12
	v_cndmask_b32_e32 v2, v2, v7, vcc
	v_cndmask_b32_e32 v7, v13, v14, vcc
	v_mov_b32_e32 v12, 0x3b800000
	v_lshlrev_b32_e32 v2, 20, v2
	v_lshl_add_u32 v7, v7, 23, v12
	v_or3_b32 v2, v6, v7, v2
.LBB2_10300:
	s_or_b64 exec, exec, s[6:7]
	s_movk_i32 s4, 0x7f
	v_cmp_gt_i16_sdwa s[6:7], v3, s4 src0_sel:BYTE_3 src1_sel:DWORD
	s_mov_b64 s[4:5], 0
                                        ; implicit-def: $sgpr10
	s_and_saveexec_b64 s[8:9], s[6:7]
	s_xor_b64 s[6:7], exec, s[8:9]
	s_cbranch_execz .LBB2_10301
; %bb.46141:
	s_getpc_b64 s[14:15]
.Lpost_getpc26654:
	s_add_u32 s14, s14, (.LBB2_24637-.Lpost_getpc26654)&4294967295
	s_addc_u32 s15, s15, (.LBB2_24637-.Lpost_getpc26654)>>32
	s_setpc_b64 s[14:15]
.LBB2_10301:
	s_or_saveexec_b64 s[6:7], s[6:7]
	v_mov_b32_e32 v6, s10
	s_xor_b64 exec, exec, s[6:7]
	s_cbranch_execz .LBB2_10302
; %bb.46143:
	s_getpc_b64 s[14:15]
.Lpost_getpc26655:
	s_add_u32 s14, s14, (.LBB2_24640-.Lpost_getpc26655)&4294967295
	s_addc_u32 s15, s15, (.LBB2_24640-.Lpost_getpc26655)>>32
	s_setpc_b64 s[14:15]
.LBB2_10302:
	s_or_b64 exec, exec, s[6:7]
	s_and_saveexec_b64 s[6:7], s[4:5]
	s_cbranch_execz .LBB2_10304
.LBB2_10303:
	v_bfe_u32 v6, v3, 24, 3
	v_ffbh_u32_e32 v14, v6
	v_min_u32_e32 v14, 32, v14
	v_lshrrev_b32_e32 v12, 27, v3
	v_subrev_u32_e32 v15, 28, v14
	v_and_b32_e32 v7, 0x80000000, v3
	v_and_b32_e32 v12, 15, v12
	v_bfe_u32 v13, v3, 27, 4
	v_lshlrev_b32_sdwa v3, v15, v3 dst_sel:DWORD dst_unused:UNUSED_PAD src0_sel:DWORD src1_sel:BYTE_3
	v_sub_u32_e32 v14, 29, v14
	v_and_b32_e32 v3, 7, v3
	v_cmp_eq_u16_e32 vcc, 0, v12
	v_cndmask_b32_e32 v3, v6, v3, vcc
	v_cndmask_b32_e32 v6, v13, v14, vcc
	v_mov_b32_e32 v12, 0x3b800000
	v_lshlrev_b32_e32 v3, 20, v3
	v_lshl_add_u32 v6, v6, 23, v12
	v_or3_b32 v6, v7, v6, v3
.LBB2_10304:
	s_or_b64 exec, exec, s[6:7]
	s_nop 0
	v_mfma_f32_16x16x4f32 a[0:3], v2, v6, a[0:3]
	s_movk_i32 s4, 0x7f
	v_cmp_gt_i16_sdwa s[6:7], v8, s4 src0_sel:BYTE_0 src1_sel:DWORD
	s_mov_b64 s[4:5], 0
                                        ; implicit-def: $sgpr10
	s_and_saveexec_b64 s[8:9], s[6:7]
	s_xor_b64 s[6:7], exec, s[8:9]
	s_cbranch_execz .LBB2_10305
; %bb.46145:
	s_getpc_b64 s[14:15]
.Lpost_getpc26656:
	s_add_u32 s14, s14, (.LBB2_24641-.Lpost_getpc26656)&4294967295
	s_addc_u32 s15, s15, (.LBB2_24641-.Lpost_getpc26656)>>32
	s_setpc_b64 s[14:15]
.LBB2_10305:
	s_or_saveexec_b64 s[6:7], s[6:7]
	v_mov_b32_e32 v2, s10
	s_xor_b64 exec, exec, s[6:7]
	s_cbranch_execz .LBB2_10306
; %bb.46147:
	s_getpc_b64 s[14:15]
.Lpost_getpc26657:
	s_add_u32 s14, s14, (.LBB2_24644-.Lpost_getpc26657)&4294967295
	s_addc_u32 s15, s15, (.LBB2_24644-.Lpost_getpc26657)>>32
	s_setpc_b64 s[14:15]
.LBB2_10306:
	s_or_b64 exec, exec, s[6:7]
	s_and_saveexec_b64 s[6:7], s[4:5]
	s_cbranch_execz .LBB2_10308
.LBB2_10307:
	v_and_b32_e32 v2, 7, v8
	v_ffbh_u32_e32 v6, v2
	v_min_u32_e32 v6, 32, v6
	v_lshrrev_b16_e32 v3, 3, v8
	v_subrev_u32_e32 v7, 28, v6
	v_and_b32_e32 v3, 15, v3
	v_lshlrev_b32_e32 v7, v7, v8
	v_sub_u32_e32 v6, 29, v6
	v_and_b32_e32 v7, 7, v7
	v_cmp_eq_u16_e32 vcc, 0, v3
	v_cndmask_b32_e32 v2, v2, v7, vcc
	v_cndmask_b32_e32 v3, v3, v6, vcc
	v_lshlrev_b32_e32 v6, 24, v8
	v_mov_b32_e32 v7, 0x3b800000
	v_lshlrev_b32_e32 v2, 20, v2
	v_and_b32_e32 v6, 0x80000000, v6
	v_lshl_add_u32 v3, v3, 23, v7
	v_or3_b32 v2, v6, v3, v2
.LBB2_10308:
	s_or_b64 exec, exec, s[6:7]
	s_movk_i32 s4, 0x7f
	v_cmp_gt_i16_sdwa s[6:7], v4, s4 src0_sel:BYTE_0 src1_sel:DWORD
	s_mov_b64 s[4:5], 0
                                        ; implicit-def: $sgpr10
	s_and_saveexec_b64 s[8:9], s[6:7]
	s_xor_b64 s[6:7], exec, s[8:9]
	s_cbranch_execz .LBB2_10309
; %bb.46149:
	s_getpc_b64 s[14:15]
.Lpost_getpc26658:
	s_add_u32 s14, s14, (.LBB2_24645-.Lpost_getpc26658)&4294967295
	s_addc_u32 s15, s15, (.LBB2_24645-.Lpost_getpc26658)>>32
	s_setpc_b64 s[14:15]
.LBB2_10309:
	s_or_saveexec_b64 s[6:7], s[6:7]
	v_mov_b32_e32 v3, s10
	s_xor_b64 exec, exec, s[6:7]
	s_cbranch_execz .LBB2_10310
; %bb.46151:
	s_getpc_b64 s[14:15]
.Lpost_getpc26659:
	s_add_u32 s14, s14, (.LBB2_24648-.Lpost_getpc26659)&4294967295
	s_addc_u32 s15, s15, (.LBB2_24648-.Lpost_getpc26659)>>32
	s_setpc_b64 s[14:15]
.LBB2_10310:
	s_or_b64 exec, exec, s[6:7]
	s_and_saveexec_b64 s[6:7], s[4:5]
	s_cbranch_execz .LBB2_10312
.LBB2_10311:
	v_and_b32_e32 v3, 7, v4
	v_ffbh_u32_e32 v7, v3
	v_min_u32_e32 v7, 32, v7
	v_lshrrev_b16_e32 v6, 3, v4
	v_subrev_u32_e32 v12, 28, v7
	v_and_b32_e32 v6, 15, v6
	v_lshlrev_b32_e32 v12, v12, v4
	v_sub_u32_e32 v7, 29, v7
	v_and_b32_e32 v12, 7, v12
	v_cmp_eq_u16_e32 vcc, 0, v6
	v_cndmask_b32_e32 v3, v3, v12, vcc
	v_cndmask_b32_e32 v6, v6, v7, vcc
	v_lshlrev_b32_e32 v7, 24, v4
	v_mov_b32_e32 v12, 0x3b800000
	v_lshlrev_b32_e32 v3, 20, v3
	v_and_b32_e32 v7, 0x80000000, v7
	v_lshl_add_u32 v6, v6, 23, v12
	v_or3_b32 v3, v7, v6, v3
.LBB2_10312:
	s_or_b64 exec, exec, s[6:7]
	s_nop 0
	v_mfma_f32_16x16x4f32 a[0:3], v2, v3, a[0:3]
	v_lshrrev_b32_e32 v3, 8, v8
	s_movk_i32 s4, 0x7f
	v_cmp_gt_i16_sdwa s[6:7], v3, s4 src0_sel:BYTE_0 src1_sel:DWORD
	s_mov_b64 s[4:5], 0
                                        ; implicit-def: $sgpr10
	s_and_saveexec_b64 s[8:9], s[6:7]
	s_xor_b64 s[6:7], exec, s[8:9]
	s_cbranch_execz .LBB2_10313
; %bb.46153:
	s_getpc_b64 s[14:15]
.Lpost_getpc26660:
	s_add_u32 s14, s14, (.LBB2_24649-.Lpost_getpc26660)&4294967295
	s_addc_u32 s15, s15, (.LBB2_24649-.Lpost_getpc26660)>>32
	s_setpc_b64 s[14:15]
.LBB2_10313:
	s_or_saveexec_b64 s[6:7], s[6:7]
	v_mov_b32_e32 v2, s10
	s_xor_b64 exec, exec, s[6:7]
	s_cbranch_execz .LBB2_10314
; %bb.46155:
	s_getpc_b64 s[14:15]
.Lpost_getpc26661:
	s_add_u32 s14, s14, (.LBB2_24652-.Lpost_getpc26661)&4294967295
	s_addc_u32 s15, s15, (.LBB2_24652-.Lpost_getpc26661)>>32
	s_setpc_b64 s[14:15]
.LBB2_10314:
	s_or_b64 exec, exec, s[6:7]
	s_and_saveexec_b64 s[6:7], s[4:5]
	s_cbranch_execz .LBB2_10316
.LBB2_10315:
	v_bfe_u32 v2, v8, 8, 3
	v_ffbh_u32_e32 v7, v2
	v_min_u32_e32 v7, 32, v7
	v_lshrrev_b16_e32 v6, 3, v3
	v_subrev_u32_e32 v12, 28, v7
	v_and_b32_e32 v6, 15, v6
	v_lshlrev_b32_e32 v3, v12, v3
	v_sub_u32_e32 v7, 29, v7
	v_and_b32_e32 v3, 7, v3
	v_cmp_eq_u16_e32 vcc, 0, v6
	v_cndmask_b32_e32 v2, v2, v3, vcc
	v_cndmask_b32_e32 v3, v6, v7, vcc
	v_lshlrev_b32_e32 v6, 16, v8
	v_mov_b32_e32 v7, 0x3b800000
	v_lshlrev_b32_e32 v2, 20, v2
	v_and_b32_e32 v6, 0x80000000, v6
	v_lshl_add_u32 v3, v3, 23, v7
	v_or3_b32 v2, v6, v3, v2
.LBB2_10316:
	s_or_b64 exec, exec, s[6:7]
	v_lshrrev_b32_e32 v3, 8, v4
	s_movk_i32 s4, 0x7f
	v_cmp_gt_i16_sdwa s[6:7], v3, s4 src0_sel:BYTE_0 src1_sel:DWORD
	s_mov_b64 s[4:5], 0
                                        ; implicit-def: $sgpr10
	s_and_saveexec_b64 s[8:9], s[6:7]
	s_xor_b64 s[6:7], exec, s[8:9]
	s_cbranch_execz .LBB2_10317
; %bb.46157:
	s_getpc_b64 s[14:15]
.Lpost_getpc26662:
	s_add_u32 s14, s14, (.LBB2_24653-.Lpost_getpc26662)&4294967295
	s_addc_u32 s15, s15, (.LBB2_24653-.Lpost_getpc26662)>>32
	s_setpc_b64 s[14:15]
.LBB2_10317:
	s_or_saveexec_b64 s[6:7], s[6:7]
	v_mov_b32_e32 v6, s10
	s_xor_b64 exec, exec, s[6:7]
	s_cbranch_execz .LBB2_10318
; %bb.46159:
	s_getpc_b64 s[14:15]
.Lpost_getpc26663:
	s_add_u32 s14, s14, (.LBB2_24656-.Lpost_getpc26663)&4294967295
	s_addc_u32 s15, s15, (.LBB2_24656-.Lpost_getpc26663)>>32
	s_setpc_b64 s[14:15]
.LBB2_10318:
	s_or_b64 exec, exec, s[6:7]
	s_and_saveexec_b64 s[6:7], s[4:5]
	s_cbranch_execz .LBB2_10320
.LBB2_10319:
	v_bfe_u32 v6, v4, 8, 3
	v_ffbh_u32_e32 v12, v6
	v_min_u32_e32 v12, 32, v12
	v_lshrrev_b16_e32 v7, 3, v3
	v_subrev_u32_e32 v13, 28, v12
	v_and_b32_e32 v7, 15, v7
	v_lshlrev_b32_e32 v3, v13, v3
	v_sub_u32_e32 v12, 29, v12
	v_and_b32_e32 v3, 7, v3
	v_cmp_eq_u16_e32 vcc, 0, v7
	v_cndmask_b32_e32 v3, v6, v3, vcc
	v_cndmask_b32_e32 v6, v7, v12, vcc
	v_lshlrev_b32_e32 v7, 16, v4
	v_mov_b32_e32 v12, 0x3b800000
	v_lshlrev_b32_e32 v3, 20, v3
	v_and_b32_e32 v7, 0x80000000, v7
	v_lshl_add_u32 v6, v6, 23, v12
	v_or3_b32 v6, v7, v6, v3
.LBB2_10320:
	s_or_b64 exec, exec, s[6:7]
	s_nop 0
	v_mfma_f32_16x16x4f32 a[0:3], v2, v6, a[0:3]
	s_movk_i32 s4, 0xff
	v_and_b32_sdwa v3, v8, s4 dst_sel:DWORD dst_unused:UNUSED_PAD src0_sel:WORD_1 src1_sel:DWORD
	s_movk_i32 s4, 0x7f
	v_cmp_lt_i16_e32 vcc, s4, v3
	s_mov_b64 s[4:5], 0
                                        ; implicit-def: $sgpr10
	s_and_saveexec_b64 s[6:7], vcc
	s_xor_b64 s[6:7], exec, s[6:7]
	s_cbranch_execz .LBB2_10321
; %bb.46161:
	s_getpc_b64 s[14:15]
.Lpost_getpc26664:
	s_add_u32 s14, s14, (.LBB2_24657-.Lpost_getpc26664)&4294967295
	s_addc_u32 s15, s15, (.LBB2_24657-.Lpost_getpc26664)>>32
	s_setpc_b64 s[14:15]
.LBB2_10321:
	s_or_saveexec_b64 s[6:7], s[6:7]
	v_mov_b32_e32 v2, s10
	s_xor_b64 exec, exec, s[6:7]
	s_cbranch_execz .LBB2_10322
; %bb.46163:
	s_getpc_b64 s[14:15]
.Lpost_getpc26665:
	s_add_u32 s14, s14, (.LBB2_24660-.Lpost_getpc26665)&4294967295
	s_addc_u32 s15, s15, (.LBB2_24660-.Lpost_getpc26665)>>32
	s_setpc_b64 s[14:15]
.LBB2_10322:
	s_or_b64 exec, exec, s[6:7]
	s_and_saveexec_b64 s[6:7], s[4:5]
	s_cbranch_execz .LBB2_10324
.LBB2_10323:
	v_bfe_u32 v2, v8, 16, 3
	v_ffbh_u32_e32 v7, v2
	v_min_u32_e32 v7, 32, v7
	v_lshrrev_b32_e32 v3, 19, v8
	v_subrev_u32_e32 v12, 28, v7
	v_and_b32_e32 v3, 15, v3
	v_lshlrev_b32_sdwa v12, v12, v8 dst_sel:DWORD dst_unused:UNUSED_PAD src0_sel:DWORD src1_sel:WORD_1
	v_bfe_u32 v6, v8, 19, 4
	v_sub_u32_e32 v7, 29, v7
	v_and_b32_e32 v12, 7, v12
	v_cmp_eq_u16_e32 vcc, 0, v3
	v_cndmask_b32_e32 v2, v2, v12, vcc
	v_cndmask_b32_e32 v3, v6, v7, vcc
	v_lshlrev_b32_e32 v6, 8, v8
	v_mov_b32_e32 v7, 0x3b800000
	v_lshlrev_b32_e32 v2, 20, v2
	v_and_b32_e32 v6, 0x80000000, v6
	v_lshl_add_u32 v3, v3, 23, v7
	v_or3_b32 v2, v6, v3, v2
.LBB2_10324:
	s_or_b64 exec, exec, s[6:7]
	s_movk_i32 s4, 0xff
	v_and_b32_sdwa v3, v4, s4 dst_sel:DWORD dst_unused:UNUSED_PAD src0_sel:WORD_1 src1_sel:DWORD
	s_movk_i32 s4, 0x7f
	v_cmp_lt_i16_e32 vcc, s4, v3
	s_mov_b64 s[4:5], 0
                                        ; implicit-def: $sgpr10
	s_and_saveexec_b64 s[6:7], vcc
	s_xor_b64 s[6:7], exec, s[6:7]
	s_cbranch_execz .LBB2_10325
; %bb.46165:
	s_getpc_b64 s[14:15]
.Lpost_getpc26666:
	s_add_u32 s14, s14, (.LBB2_24661-.Lpost_getpc26666)&4294967295
	s_addc_u32 s15, s15, (.LBB2_24661-.Lpost_getpc26666)>>32
	s_setpc_b64 s[14:15]
.LBB2_10325:
	s_or_saveexec_b64 s[6:7], s[6:7]
	v_mov_b32_e32 v6, s10
	s_xor_b64 exec, exec, s[6:7]
	s_cbranch_execz .LBB2_10326
; %bb.46167:
	s_getpc_b64 s[14:15]
.Lpost_getpc26667:
	s_add_u32 s14, s14, (.LBB2_24664-.Lpost_getpc26667)&4294967295
	s_addc_u32 s15, s15, (.LBB2_24664-.Lpost_getpc26667)>>32
	s_setpc_b64 s[14:15]
.LBB2_10326:
	s_or_b64 exec, exec, s[6:7]
	s_and_saveexec_b64 s[6:7], s[4:5]
	s_cbranch_execz .LBB2_10328
.LBB2_10327:
	v_bfe_u32 v3, v4, 16, 3
	v_ffbh_u32_e32 v12, v3
	v_min_u32_e32 v12, 32, v12
	v_lshrrev_b32_e32 v6, 19, v4
	v_subrev_u32_e32 v13, 28, v12
	v_and_b32_e32 v6, 15, v6
	v_lshlrev_b32_sdwa v13, v13, v4 dst_sel:DWORD dst_unused:UNUSED_PAD src0_sel:DWORD src1_sel:WORD_1
	v_bfe_u32 v7, v4, 19, 4
	v_sub_u32_e32 v12, 29, v12
	v_and_b32_e32 v13, 7, v13
	v_cmp_eq_u16_e32 vcc, 0, v6
	v_cndmask_b32_e32 v3, v3, v13, vcc
	v_cndmask_b32_e32 v6, v7, v12, vcc
	v_lshlrev_b32_e32 v7, 8, v4
	v_mov_b32_e32 v12, 0x3b800000
	v_lshlrev_b32_e32 v3, 20, v3
	v_and_b32_e32 v7, 0x80000000, v7
	v_lshl_add_u32 v6, v6, 23, v12
	v_or3_b32 v6, v7, v6, v3
.LBB2_10328:
	s_or_b64 exec, exec, s[6:7]
	s_nop 0
	v_mfma_f32_16x16x4f32 a[0:3], v2, v6, a[0:3]
	s_movk_i32 s4, 0x7f
	v_cmp_gt_i16_sdwa s[6:7], v8, s4 src0_sel:BYTE_3 src1_sel:DWORD
	s_mov_b64 s[4:5], 0
                                        ; implicit-def: $sgpr10
	s_and_saveexec_b64 s[8:9], s[6:7]
	s_xor_b64 s[6:7], exec, s[8:9]
	s_cbranch_execz .LBB2_10329
; %bb.46169:
	s_getpc_b64 s[14:15]
.Lpost_getpc26668:
	s_add_u32 s14, s14, (.LBB2_24665-.Lpost_getpc26668)&4294967295
	s_addc_u32 s15, s15, (.LBB2_24665-.Lpost_getpc26668)>>32
	s_setpc_b64 s[14:15]
.LBB2_10329:
	s_or_saveexec_b64 s[6:7], s[6:7]
	v_mov_b32_e32 v2, s10
	s_xor_b64 exec, exec, s[6:7]
	s_cbranch_execz .LBB2_10330
; %bb.46171:
	s_getpc_b64 s[14:15]
.Lpost_getpc26669:
	s_add_u32 s14, s14, (.LBB2_24668-.Lpost_getpc26669)&4294967295
	s_addc_u32 s15, s15, (.LBB2_24668-.Lpost_getpc26669)>>32
	s_setpc_b64 s[14:15]
.LBB2_10330:
	s_or_b64 exec, exec, s[6:7]
	s_and_saveexec_b64 s[6:7], s[4:5]
	s_cbranch_execz .LBB2_10332
.LBB2_10331:
	v_bfe_u32 v2, v8, 24, 3
	v_ffbh_u32_e32 v12, v2
	v_min_u32_e32 v12, 32, v12
	v_lshrrev_b32_e32 v6, 27, v8
	v_subrev_u32_e32 v13, 28, v12
	v_and_b32_e32 v3, 0x80000000, v8
	v_and_b32_e32 v6, 15, v6
	v_bfe_u32 v7, v8, 27, 4
	v_lshlrev_b32_sdwa v8, v13, v8 dst_sel:DWORD dst_unused:UNUSED_PAD src0_sel:DWORD src1_sel:BYTE_3
	v_sub_u32_e32 v12, 29, v12
	v_and_b32_e32 v8, 7, v8
	v_cmp_eq_u16_e32 vcc, 0, v6
	v_cndmask_b32_e32 v2, v2, v8, vcc
	v_cndmask_b32_e32 v6, v7, v12, vcc
	v_mov_b32_e32 v7, 0x3b800000
	v_lshlrev_b32_e32 v2, 20, v2
	v_lshl_add_u32 v6, v6, 23, v7
	v_or3_b32 v2, v3, v6, v2
.LBB2_10332:
	s_or_b64 exec, exec, s[6:7]
	s_movk_i32 s4, 0x7f
	v_cmp_gt_i16_sdwa s[6:7], v4, s4 src0_sel:BYTE_3 src1_sel:DWORD
	s_mov_b64 s[4:5], 0
                                        ; implicit-def: $sgpr10
	s_and_saveexec_b64 s[8:9], s[6:7]
	s_xor_b64 s[6:7], exec, s[8:9]
	s_cbranch_execz .LBB2_10333
; %bb.46173:
	s_getpc_b64 s[14:15]
.Lpost_getpc26670:
	s_add_u32 s14, s14, (.LBB2_24669-.Lpost_getpc26670)&4294967295
	s_addc_u32 s15, s15, (.LBB2_24669-.Lpost_getpc26670)>>32
	s_setpc_b64 s[14:15]
.LBB2_10333:
	s_or_saveexec_b64 s[6:7], s[6:7]
	v_mov_b32_e32 v3, s10
	s_xor_b64 exec, exec, s[6:7]
	s_cbranch_execz .LBB2_10334
; %bb.46175:
	s_getpc_b64 s[14:15]
.Lpost_getpc26671:
	s_add_u32 s14, s14, (.LBB2_24672-.Lpost_getpc26671)&4294967295
	s_addc_u32 s15, s15, (.LBB2_24672-.Lpost_getpc26671)>>32
	s_setpc_b64 s[14:15]
.LBB2_10334:
	s_or_b64 exec, exec, s[6:7]
	s_and_saveexec_b64 s[6:7], s[4:5]
	s_cbranch_execz .LBB2_10336
.LBB2_10335:
	v_bfe_u32 v3, v4, 24, 3
	v_ffbh_u32_e32 v12, v3
	v_min_u32_e32 v12, 32, v12
	v_lshrrev_b32_e32 v7, 27, v4
	v_subrev_u32_e32 v13, 28, v12
	v_and_b32_e32 v6, 0x80000000, v4
	v_and_b32_e32 v7, 15, v7
	v_bfe_u32 v8, v4, 27, 4
	v_lshlrev_b32_sdwa v4, v13, v4 dst_sel:DWORD dst_unused:UNUSED_PAD src0_sel:DWORD src1_sel:BYTE_3
	v_sub_u32_e32 v12, 29, v12
	v_and_b32_e32 v4, 7, v4
	v_cmp_eq_u16_e32 vcc, 0, v7
	v_cndmask_b32_e32 v3, v3, v4, vcc
	v_cndmask_b32_e32 v4, v8, v12, vcc
	v_mov_b32_e32 v7, 0x3b800000
	v_lshlrev_b32_e32 v3, 20, v3
	v_lshl_add_u32 v4, v4, 23, v7
	v_or3_b32 v3, v6, v4, v3
.LBB2_10336:
	s_or_b64 exec, exec, s[6:7]
	s_nop 0
	v_mfma_f32_16x16x4f32 a[0:3], v2, v3, a[0:3]
	s_movk_i32 s4, 0x7f
	v_cmp_gt_i16_sdwa s[6:7], v9, s4 src0_sel:BYTE_0 src1_sel:DWORD
	s_mov_b64 s[4:5], 0
                                        ; implicit-def: $sgpr10
	s_and_saveexec_b64 s[8:9], s[6:7]
	s_xor_b64 s[6:7], exec, s[8:9]
	s_cbranch_execz .LBB2_10337
; %bb.46177:
	s_getpc_b64 s[14:15]
.Lpost_getpc26672:
	s_add_u32 s14, s14, (.LBB2_24673-.Lpost_getpc26672)&4294967295
	s_addc_u32 s15, s15, (.LBB2_24673-.Lpost_getpc26672)>>32
	s_setpc_b64 s[14:15]
.LBB2_10337:
	s_or_saveexec_b64 s[6:7], s[6:7]
	v_mov_b32_e32 v2, s10
	s_xor_b64 exec, exec, s[6:7]
	s_cbranch_execz .LBB2_10338
; %bb.46179:
	s_getpc_b64 s[14:15]
.Lpost_getpc26673:
	s_add_u32 s14, s14, (.LBB2_24676-.Lpost_getpc26673)&4294967295
	s_addc_u32 s15, s15, (.LBB2_24676-.Lpost_getpc26673)>>32
	s_setpc_b64 s[14:15]
.LBB2_10338:
	s_or_b64 exec, exec, s[6:7]
	s_and_saveexec_b64 s[6:7], s[4:5]
	s_cbranch_execz .LBB2_10340
.LBB2_10339:
	v_mov_b32_e32 v2, 8
	v_and_b32_e32 v3, 7, v9
	v_lshrrev_b32_sdwa v2, v2, v9 dst_sel:BYTE_1 dst_unused:UNUSED_PAD src0_sel:DWORD src1_sel:DWORD
	v_ffbh_u32_e32 v4, v3
	v_or_b32_sdwa v2, v9, v2 dst_sel:DWORD dst_unused:UNUSED_PAD src0_sel:BYTE_0 src1_sel:DWORD
	v_min_u32_e32 v4, 32, v4
	v_lshrrev_b16_e32 v2, 3, v2
	v_subrev_u32_e32 v6, 28, v4
	v_and_b32_e32 v2, 15, v2
	v_lshlrev_b32_e32 v6, v6, v9
	v_sub_u32_e32 v4, 29, v4
	v_and_b32_e32 v6, 7, v6
	v_cmp_eq_u16_e32 vcc, 0, v2
	v_cndmask_b32_e32 v3, v3, v6, vcc
	v_cndmask_b32_e32 v2, v2, v4, vcc
	v_lshlrev_b32_e32 v4, 24, v9
	v_mov_b32_e32 v6, 0x3b800000
	v_lshlrev_b32_e32 v3, 20, v3
	v_and_b32_e32 v4, 0x80000000, v4
	v_lshl_add_u32 v2, v2, 23, v6
	v_or3_b32 v2, v4, v2, v3
.LBB2_10340:
	s_or_b64 exec, exec, s[6:7]
	s_movk_i32 s4, 0x7f
	v_cmp_gt_i16_sdwa s[6:7], v5, s4 src0_sel:BYTE_0 src1_sel:DWORD
	s_mov_b64 s[4:5], 0
                                        ; implicit-def: $sgpr10
	s_and_saveexec_b64 s[8:9], s[6:7]
	s_xor_b64 s[6:7], exec, s[8:9]
	s_cbranch_execz .LBB2_10341
; %bb.46181:
	s_getpc_b64 s[14:15]
.Lpost_getpc26674:
	s_add_u32 s14, s14, (.LBB2_24677-.Lpost_getpc26674)&4294967295
	s_addc_u32 s15, s15, (.LBB2_24677-.Lpost_getpc26674)>>32
	s_setpc_b64 s[14:15]
.LBB2_10341:
	s_or_saveexec_b64 s[6:7], s[6:7]
	v_mov_b32_e32 v3, s10
	s_xor_b64 exec, exec, s[6:7]
	s_cbranch_execz .LBB2_10342
; %bb.46183:
	s_getpc_b64 s[14:15]
.Lpost_getpc26675:
	s_add_u32 s14, s14, (.LBB2_24680-.Lpost_getpc26675)&4294967295
	s_addc_u32 s15, s15, (.LBB2_24680-.Lpost_getpc26675)>>32
	s_setpc_b64 s[14:15]
.LBB2_10342:
	s_or_b64 exec, exec, s[6:7]
	s_and_saveexec_b64 s[6:7], s[4:5]
	s_cbranch_execz .LBB2_10344
.LBB2_10343:
	v_mov_b32_e32 v3, 8
	v_and_b32_e32 v4, 7, v5
	v_lshrrev_b32_sdwa v3, v3, v5 dst_sel:BYTE_1 dst_unused:UNUSED_PAD src0_sel:DWORD src1_sel:DWORD
	v_ffbh_u32_e32 v6, v4
	v_or_b32_sdwa v3, v5, v3 dst_sel:DWORD dst_unused:UNUSED_PAD src0_sel:BYTE_0 src1_sel:DWORD
	v_min_u32_e32 v6, 32, v6
	v_lshrrev_b16_e32 v3, 3, v3
	v_subrev_u32_e32 v7, 28, v6
	v_and_b32_e32 v3, 15, v3
	v_lshlrev_b32_e32 v7, v7, v5
	v_sub_u32_e32 v6, 29, v6
	v_and_b32_e32 v7, 7, v7
	v_cmp_eq_u16_e32 vcc, 0, v3
	v_cndmask_b32_e32 v4, v4, v7, vcc
	v_cndmask_b32_e32 v3, v3, v6, vcc
	v_lshlrev_b32_e32 v6, 24, v5
	v_mov_b32_e32 v7, 0x3b800000
	v_lshlrev_b32_e32 v4, 20, v4
	v_and_b32_e32 v6, 0x80000000, v6
	v_lshl_add_u32 v3, v3, 23, v7
	v_or3_b32 v3, v6, v3, v4
.LBB2_10344:
	s_or_b64 exec, exec, s[6:7]
	s_nop 0
	v_mfma_f32_16x16x4f32 a[0:3], v2, v3, a[0:3]
	v_lshrrev_b32_e32 v3, 8, v9
	s_movk_i32 s4, 0x7f
	v_cmp_gt_i16_sdwa s[6:7], v3, s4 src0_sel:BYTE_0 src1_sel:DWORD
	s_mov_b64 s[4:5], 0
                                        ; implicit-def: $sgpr10
	s_and_saveexec_b64 s[8:9], s[6:7]
	s_xor_b64 s[6:7], exec, s[8:9]
	s_cbranch_execz .LBB2_10345
; %bb.46185:
	s_getpc_b64 s[14:15]
.Lpost_getpc26676:
	s_add_u32 s14, s14, (.LBB2_24681-.Lpost_getpc26676)&4294967295
	s_addc_u32 s15, s15, (.LBB2_24681-.Lpost_getpc26676)>>32
	s_setpc_b64 s[14:15]
.LBB2_10345:
	s_or_saveexec_b64 s[6:7], s[6:7]
	v_mov_b32_e32 v2, s10
	s_xor_b64 exec, exec, s[6:7]
	s_cbranch_execz .LBB2_10346
; %bb.46187:
	s_getpc_b64 s[14:15]
.Lpost_getpc26677:
	s_add_u32 s14, s14, (.LBB2_24684-.Lpost_getpc26677)&4294967295
	s_addc_u32 s15, s15, (.LBB2_24684-.Lpost_getpc26677)>>32
	s_setpc_b64 s[14:15]
.LBB2_10346:
	s_or_b64 exec, exec, s[6:7]
	s_and_saveexec_b64 s[6:7], s[4:5]
	s_cbranch_execz .LBB2_10348
.LBB2_10347:
	v_bfe_u32 v2, v9, 8, 3
	v_ffbh_u32_e32 v6, v2
	v_min_u32_e32 v6, 32, v6
	v_lshrrev_b16_e32 v4, 3, v3
	v_subrev_u32_e32 v7, 28, v6
	v_and_b32_e32 v4, 15, v4
	v_lshlrev_b32_e32 v3, v7, v3
	v_sub_u32_e32 v6, 29, v6
	v_and_b32_e32 v3, 7, v3
	v_cmp_eq_u16_e32 vcc, 0, v4
	v_cndmask_b32_e32 v2, v2, v3, vcc
	v_cndmask_b32_e32 v3, v4, v6, vcc
	v_lshlrev_b32_e32 v4, 16, v9
	v_mov_b32_e32 v6, 0x3b800000
	v_lshlrev_b32_e32 v2, 20, v2
	v_and_b32_e32 v4, 0x80000000, v4
	v_lshl_add_u32 v3, v3, 23, v6
	v_or3_b32 v2, v4, v3, v2
.LBB2_10348:
	s_or_b64 exec, exec, s[6:7]
	v_lshrrev_b32_e32 v3, 8, v5
	s_movk_i32 s4, 0x7f
	v_cmp_gt_i16_sdwa s[6:7], v3, s4 src0_sel:BYTE_0 src1_sel:DWORD
	s_mov_b64 s[4:5], 0
                                        ; implicit-def: $sgpr10
	s_and_saveexec_b64 s[8:9], s[6:7]
	s_xor_b64 s[6:7], exec, s[8:9]
	s_cbranch_execz .LBB2_10349
; %bb.46189:
	s_getpc_b64 s[14:15]
.Lpost_getpc26678:
	s_add_u32 s14, s14, (.LBB2_24685-.Lpost_getpc26678)&4294967295
	s_addc_u32 s15, s15, (.LBB2_24685-.Lpost_getpc26678)>>32
	s_setpc_b64 s[14:15]
.LBB2_10349:
	s_or_saveexec_b64 s[6:7], s[6:7]
	v_mov_b32_e32 v4, s10
	s_xor_b64 exec, exec, s[6:7]
	s_cbranch_execz .LBB2_10350
; %bb.46191:
	s_getpc_b64 s[14:15]
.Lpost_getpc26679:
	s_add_u32 s14, s14, (.LBB2_24688-.Lpost_getpc26679)&4294967295
	s_addc_u32 s15, s15, (.LBB2_24688-.Lpost_getpc26679)>>32
	s_setpc_b64 s[14:15]
.LBB2_10350:
	s_or_b64 exec, exec, s[6:7]
	s_and_saveexec_b64 s[6:7], s[4:5]
	s_cbranch_execz .LBB2_10352
.LBB2_10351:
	v_bfe_u32 v4, v5, 8, 3
	v_ffbh_u32_e32 v7, v4
	v_min_u32_e32 v7, 32, v7
	v_lshrrev_b16_e32 v6, 3, v3
	v_subrev_u32_e32 v8, 28, v7
	v_and_b32_e32 v6, 15, v6
	v_lshlrev_b32_e32 v3, v8, v3
	v_sub_u32_e32 v7, 29, v7
	v_and_b32_e32 v3, 7, v3
	v_cmp_eq_u16_e32 vcc, 0, v6
	v_cndmask_b32_e32 v3, v4, v3, vcc
	v_cndmask_b32_e32 v4, v6, v7, vcc
	v_lshlrev_b32_e32 v6, 16, v5
	v_mov_b32_e32 v7, 0x3b800000
	v_lshlrev_b32_e32 v3, 20, v3
	v_and_b32_e32 v6, 0x80000000, v6
	v_lshl_add_u32 v4, v4, 23, v7
	v_or3_b32 v4, v6, v4, v3
.LBB2_10352:
	s_or_b64 exec, exec, s[6:7]
	s_nop 0
	v_mfma_f32_16x16x4f32 a[0:3], v2, v4, a[0:3]
	s_movk_i32 s4, 0xff
	v_and_b32_sdwa v3, v9, s4 dst_sel:DWORD dst_unused:UNUSED_PAD src0_sel:WORD_1 src1_sel:DWORD
	s_movk_i32 s4, 0x7f
	v_cmp_lt_i16_e32 vcc, s4, v3
	s_mov_b64 s[4:5], 0
                                        ; implicit-def: $sgpr10
	s_and_saveexec_b64 s[6:7], vcc
	s_xor_b64 s[6:7], exec, s[6:7]
	s_cbranch_execz .LBB2_10353
; %bb.46193:
	s_getpc_b64 s[14:15]
.Lpost_getpc26680:
	s_add_u32 s14, s14, (.LBB2_24689-.Lpost_getpc26680)&4294967295
	s_addc_u32 s15, s15, (.LBB2_24689-.Lpost_getpc26680)>>32
	s_setpc_b64 s[14:15]
.LBB2_10353:
	s_or_saveexec_b64 s[6:7], s[6:7]
	v_mov_b32_e32 v2, s10
	s_xor_b64 exec, exec, s[6:7]
	s_cbranch_execz .LBB2_10354
; %bb.46195:
	s_getpc_b64 s[14:15]
.Lpost_getpc26681:
	s_add_u32 s14, s14, (.LBB2_24692-.Lpost_getpc26681)&4294967295
	s_addc_u32 s15, s15, (.LBB2_24692-.Lpost_getpc26681)>>32
	s_setpc_b64 s[14:15]
.LBB2_10354:
	s_or_b64 exec, exec, s[6:7]
	s_and_saveexec_b64 s[6:7], s[4:5]
	s_cbranch_execz .LBB2_10356
.LBB2_10355:
	v_bfe_u32 v2, v9, 16, 3
	v_ffbh_u32_e32 v6, v2
	v_min_u32_e32 v6, 32, v6
	v_lshrrev_b32_e32 v3, 19, v9
	v_subrev_u32_e32 v7, 28, v6
	v_and_b32_e32 v3, 15, v3
	v_lshlrev_b32_sdwa v7, v7, v9 dst_sel:DWORD dst_unused:UNUSED_PAD src0_sel:DWORD src1_sel:WORD_1
	v_bfe_u32 v4, v9, 19, 4
	v_sub_u32_e32 v6, 29, v6
	v_and_b32_e32 v7, 7, v7
	v_cmp_eq_u16_e32 vcc, 0, v3
	v_cndmask_b32_e32 v2, v2, v7, vcc
	v_cndmask_b32_e32 v3, v4, v6, vcc
	v_lshlrev_b32_e32 v4, 8, v9
	v_mov_b32_e32 v6, 0x3b800000
	v_lshlrev_b32_e32 v2, 20, v2
	v_and_b32_e32 v4, 0x80000000, v4
	v_lshl_add_u32 v3, v3, 23, v6
	v_or3_b32 v2, v4, v3, v2
.LBB2_10356:
	s_or_b64 exec, exec, s[6:7]
	s_movk_i32 s4, 0xff
	v_and_b32_sdwa v3, v5, s4 dst_sel:DWORD dst_unused:UNUSED_PAD src0_sel:WORD_1 src1_sel:DWORD
	s_movk_i32 s4, 0x7f
	v_cmp_lt_i16_e32 vcc, s4, v3
	s_mov_b64 s[4:5], 0
                                        ; implicit-def: $sgpr10
	s_and_saveexec_b64 s[6:7], vcc
	s_xor_b64 s[6:7], exec, s[6:7]
	s_cbranch_execz .LBB2_10357
; %bb.46197:
	s_getpc_b64 s[14:15]
.Lpost_getpc26682:
	s_add_u32 s14, s14, (.LBB2_24693-.Lpost_getpc26682)&4294967295
	s_addc_u32 s15, s15, (.LBB2_24693-.Lpost_getpc26682)>>32
	s_setpc_b64 s[14:15]
.LBB2_10357:
	s_or_saveexec_b64 s[6:7], s[6:7]
	v_mov_b32_e32 v4, s10
	s_xor_b64 exec, exec, s[6:7]
	s_cbranch_execz .LBB2_10358
; %bb.46199:
	s_getpc_b64 s[14:15]
.Lpost_getpc26683:
	s_add_u32 s14, s14, (.LBB2_24696-.Lpost_getpc26683)&4294967295
	s_addc_u32 s15, s15, (.LBB2_24696-.Lpost_getpc26683)>>32
	s_setpc_b64 s[14:15]
.LBB2_10358:
	s_or_b64 exec, exec, s[6:7]
	s_and_saveexec_b64 s[6:7], s[4:5]
	s_cbranch_execz .LBB2_10360
.LBB2_10359:
	v_bfe_u32 v3, v5, 16, 3
	v_ffbh_u32_e32 v7, v3
	v_min_u32_e32 v7, 32, v7
	v_lshrrev_b32_e32 v4, 19, v5
	v_subrev_u32_e32 v8, 28, v7
	v_and_b32_e32 v4, 15, v4
	v_lshlrev_b32_sdwa v8, v8, v5 dst_sel:DWORD dst_unused:UNUSED_PAD src0_sel:DWORD src1_sel:WORD_1
	v_bfe_u32 v6, v5, 19, 4
	v_sub_u32_e32 v7, 29, v7
	v_and_b32_e32 v8, 7, v8
	v_cmp_eq_u16_e32 vcc, 0, v4
	v_cndmask_b32_e32 v3, v3, v8, vcc
	v_cndmask_b32_e32 v4, v6, v7, vcc
	v_lshlrev_b32_e32 v6, 8, v5
	v_mov_b32_e32 v7, 0x3b800000
	v_lshlrev_b32_e32 v3, 20, v3
	v_and_b32_e32 v6, 0x80000000, v6
	v_lshl_add_u32 v4, v4, 23, v7
	v_or3_b32 v4, v6, v4, v3
.LBB2_10360:
	s_or_b64 exec, exec, s[6:7]
	s_nop 0
	v_mfma_f32_16x16x4f32 a[0:3], v2, v4, a[0:3]
	s_movk_i32 s4, 0x7f
	v_cmp_gt_i16_sdwa s[6:7], v9, s4 src0_sel:BYTE_3 src1_sel:DWORD
	s_mov_b64 s[4:5], 0
                                        ; implicit-def: $sgpr10
	s_and_saveexec_b64 s[8:9], s[6:7]
	s_xor_b64 s[6:7], exec, s[8:9]
	s_cbranch_execz .LBB2_10361
; %bb.46201:
	s_getpc_b64 s[14:15]
.Lpost_getpc26684:
	s_add_u32 s14, s14, (.LBB2_24697-.Lpost_getpc26684)&4294967295
	s_addc_u32 s15, s15, (.LBB2_24697-.Lpost_getpc26684)>>32
	s_setpc_b64 s[14:15]
.LBB2_10361:
	s_or_saveexec_b64 s[6:7], s[6:7]
	v_mov_b32_e32 v2, s10
	s_xor_b64 exec, exec, s[6:7]
	s_cbranch_execz .LBB2_10362
; %bb.46203:
	s_getpc_b64 s[14:15]
.Lpost_getpc26685:
	s_add_u32 s14, s14, (.LBB2_24700-.Lpost_getpc26685)&4294967295
	s_addc_u32 s15, s15, (.LBB2_24700-.Lpost_getpc26685)>>32
	s_setpc_b64 s[14:15]
.LBB2_10362:
	s_or_b64 exec, exec, s[6:7]
	s_and_saveexec_b64 s[6:7], s[4:5]
	s_cbranch_execz .LBB2_10364
.LBB2_10363:
	v_bfe_u32 v2, v9, 24, 3
	v_ffbh_u32_e32 v7, v2
	v_min_u32_e32 v7, 32, v7
	v_lshrrev_b32_e32 v4, 27, v9
	v_subrev_u32_e32 v8, 28, v7
	v_and_b32_e32 v4, 15, v4
	v_lshlrev_b32_sdwa v8, v8, v9 dst_sel:DWORD dst_unused:UNUSED_PAD src0_sel:DWORD src1_sel:BYTE_3
	v_bfe_u32 v6, v9, 27, 4
	v_sub_u32_e32 v7, 29, v7
	v_and_b32_e32 v8, 7, v8
	v_cmp_eq_u16_e32 vcc, 0, v4
	v_cndmask_b32_e32 v2, v2, v8, vcc
	v_cndmask_b32_e32 v4, v6, v7, vcc
	v_mov_b32_e32 v6, 0x3b800000
	v_and_b32_e32 v3, 0x80000000, v9
	v_lshlrev_b32_e32 v2, 20, v2
	v_lshl_add_u32 v4, v4, 23, v6
	v_or3_b32 v2, v3, v4, v2
.LBB2_10364:
	s_or_b64 exec, exec, s[6:7]
	s_movk_i32 s4, 0x7f
	v_cmp_gt_i16_sdwa s[6:7], v5, s4 src0_sel:BYTE_3 src1_sel:DWORD
	s_mov_b64 s[4:5], 0
                                        ; implicit-def: $sgpr10
	s_and_saveexec_b64 s[8:9], s[6:7]
	s_xor_b64 s[6:7], exec, s[8:9]
	s_cbranch_execz .LBB2_10365
; %bb.46205:
	s_getpc_b64 s[14:15]
.Lpost_getpc26686:
	s_add_u32 s14, s14, (.LBB2_24701-.Lpost_getpc26686)&4294967295
	s_addc_u32 s15, s15, (.LBB2_24701-.Lpost_getpc26686)>>32
	s_setpc_b64 s[14:15]
.LBB2_10365:
	s_or_saveexec_b64 s[6:7], s[6:7]
	v_mov_b32_e32 v3, s10
	s_xor_b64 exec, exec, s[6:7]
	s_cbranch_execz .LBB2_10366
; %bb.46207:
	s_getpc_b64 s[14:15]
.Lpost_getpc26687:
	s_add_u32 s14, s14, (.LBB2_24704-.Lpost_getpc26687)&4294967295
	s_addc_u32 s15, s15, (.LBB2_24704-.Lpost_getpc26687)>>32
	s_setpc_b64 s[14:15]
.LBB2_10366:
	s_or_b64 exec, exec, s[6:7]
	s_and_saveexec_b64 s[6:7], s[4:5]
	s_cbranch_execz .LBB2_10368
.LBB2_10367:
	v_bfe_u32 v3, v5, 24, 3
	v_ffbh_u32_e32 v8, v3
	v_min_u32_e32 v8, 32, v8
	v_lshrrev_b32_e32 v6, 27, v5
	v_subrev_u32_e32 v9, 28, v8
	v_and_b32_e32 v4, 0x80000000, v5
	v_and_b32_e32 v6, 15, v6
	v_bfe_u32 v7, v5, 27, 4
	v_lshlrev_b32_sdwa v5, v9, v5 dst_sel:DWORD dst_unused:UNUSED_PAD src0_sel:DWORD src1_sel:BYTE_3
	v_sub_u32_e32 v8, 29, v8
	v_and_b32_e32 v5, 7, v5
	v_cmp_eq_u16_e32 vcc, 0, v6
	v_cndmask_b32_e32 v3, v3, v5, vcc
	v_cndmask_b32_e32 v5, v7, v8, vcc
	v_mov_b32_e32 v6, 0x3b800000
	v_lshlrev_b32_e32 v3, 20, v3
	v_lshl_add_u32 v5, v5, 23, v6
	v_or3_b32 v3, v4, v5, v3
.LBB2_10368:
	s_or_b64 exec, exec, s[6:7]
	s_nop 0
	v_mfma_f32_16x16x4f32 a[0:3], v2, v3, a[0:3]
	s_movk_i32 s4, 0x7f
                                        ; implicit-def: $sgpr10
	s_nop 7
	s_nop 1
	flat_store_dwordx4 v[10:11], a[0:3] offset:384
	flat_load_dwordx4 v[12:15], v[0:1]
	s_nop 0
	flat_load_dwordx2 v[10:11], v[0:1] offset:16
	s_waitcnt vmcnt(0) lgkmcnt(0)
	flat_load_dwordx4 v[6:9], v[12:13] offset:160
	flat_load_dwordx4 v[2:5], v[14:15] offset:144
	s_waitcnt vmcnt(0) lgkmcnt(0)
	v_cmp_gt_i16_sdwa s[6:7], v6, s4 src0_sel:BYTE_0 src1_sel:DWORD
	s_mov_b64 s[4:5], 0
	s_and_saveexec_b64 s[8:9], s[6:7]
	s_xor_b64 s[6:7], exec, s[8:9]
	s_cbranch_execz .LBB2_10369
; %bb.46209:
	s_getpc_b64 s[14:15]
.Lpost_getpc26688:
	s_add_u32 s14, s14, (.LBB2_24705-.Lpost_getpc26688)&4294967295
	s_addc_u32 s15, s15, (.LBB2_24705-.Lpost_getpc26688)>>32
	s_setpc_b64 s[14:15]
.LBB2_10369:
	s_or_saveexec_b64 s[6:7], s[6:7]
	v_mov_b32_e32 v12, s10
	s_xor_b64 exec, exec, s[6:7]
	s_cbranch_execz .LBB2_10370
; %bb.46211:
	s_getpc_b64 s[14:15]
.Lpost_getpc26689:
	s_add_u32 s14, s14, (.LBB2_24708-.Lpost_getpc26689)&4294967295
	s_addc_u32 s15, s15, (.LBB2_24708-.Lpost_getpc26689)>>32
	s_setpc_b64 s[14:15]
.LBB2_10370:
	s_or_b64 exec, exec, s[6:7]
	s_and_saveexec_b64 s[6:7], s[4:5]
	s_cbranch_execz .LBB2_10372
.LBB2_10371:
	v_and_b32_e32 v12, 7, v6
	v_ffbh_u32_e32 v14, v12
	v_min_u32_e32 v14, 32, v14
	v_lshrrev_b16_e32 v13, 3, v6
	v_subrev_u32_e32 v15, 28, v14
	v_and_b32_e32 v13, 15, v13
	v_lshlrev_b32_e32 v15, v15, v6
	v_sub_u32_e32 v14, 29, v14
	v_and_b32_e32 v15, 7, v15
	v_cmp_eq_u16_e32 vcc, 0, v13
	v_cndmask_b32_e32 v12, v12, v15, vcc
	v_cndmask_b32_e32 v13, v13, v14, vcc
	v_lshlrev_b32_e32 v14, 24, v6
	v_mov_b32_e32 v15, 0x3b800000
	v_lshlrev_b32_e32 v12, 20, v12
	v_and_b32_e32 v14, 0x80000000, v14
	v_lshl_add_u32 v13, v13, 23, v15
	v_or3_b32 v12, v14, v13, v12
.LBB2_10372:
	s_or_b64 exec, exec, s[6:7]
	s_movk_i32 s4, 0x7f
	v_cmp_gt_i16_sdwa s[6:7], v2, s4 src0_sel:BYTE_0 src1_sel:DWORD
	s_mov_b64 s[4:5], 0
                                        ; implicit-def: $sgpr10
	s_and_saveexec_b64 s[8:9], s[6:7]
	s_xor_b64 s[6:7], exec, s[8:9]
	s_cbranch_execz .LBB2_10373
; %bb.46213:
	s_getpc_b64 s[14:15]
.Lpost_getpc26690:
	s_add_u32 s14, s14, (.LBB2_24709-.Lpost_getpc26690)&4294967295
	s_addc_u32 s15, s15, (.LBB2_24709-.Lpost_getpc26690)>>32
	s_setpc_b64 s[14:15]
.LBB2_10373:
	s_or_saveexec_b64 s[6:7], s[6:7]
	v_mov_b32_e32 v13, s10
	s_xor_b64 exec, exec, s[6:7]
	s_cbranch_execz .LBB2_10374
; %bb.46215:
	s_getpc_b64 s[14:15]
.Lpost_getpc26691:
	s_add_u32 s14, s14, (.LBB2_24712-.Lpost_getpc26691)&4294967295
	s_addc_u32 s15, s15, (.LBB2_24712-.Lpost_getpc26691)>>32
	s_setpc_b64 s[14:15]
.LBB2_10374:
	s_or_b64 exec, exec, s[6:7]
	s_and_saveexec_b64 s[6:7], s[4:5]
	s_cbranch_execz .LBB2_10376
.LBB2_10375:
	v_and_b32_e32 v13, 7, v2
	v_ffbh_u32_e32 v15, v13
	v_min_u32_e32 v15, 32, v15
	v_lshrrev_b16_e32 v14, 3, v2
	v_subrev_u32_e32 v16, 28, v15
	v_and_b32_e32 v14, 15, v14
	v_lshlrev_b32_e32 v16, v16, v2
	v_sub_u32_e32 v15, 29, v15
	v_and_b32_e32 v16, 7, v16
	v_cmp_eq_u16_e32 vcc, 0, v14
	v_cndmask_b32_e32 v13, v13, v16, vcc
	v_cndmask_b32_e32 v14, v14, v15, vcc
	v_lshlrev_b32_e32 v15, 24, v2
	v_mov_b32_e32 v16, 0x3b800000
	v_lshlrev_b32_e32 v13, 20, v13
	v_and_b32_e32 v15, 0x80000000, v15
	v_lshl_add_u32 v14, v14, 23, v16
	v_or3_b32 v13, v15, v14, v13
.LBB2_10376:
	s_or_b64 exec, exec, s[6:7]
	flat_load_dwordx4 a[0:3], v[10:11] offset:400
	s_movk_i32 s4, 0x7f
                                        ; implicit-def: $sgpr10
	s_waitcnt vmcnt(0) lgkmcnt(0)
	v_mfma_f32_16x16x4f32 a[0:3], v12, v13, a[0:3]
	v_lshrrev_b32_e32 v13, 8, v6
	v_cmp_gt_i16_sdwa s[6:7], v13, s4 src0_sel:BYTE_0 src1_sel:DWORD
	s_mov_b64 s[4:5], 0
	s_and_saveexec_b64 s[8:9], s[6:7]
	s_xor_b64 s[6:7], exec, s[8:9]
	s_cbranch_execz .LBB2_10377
; %bb.46217:
	s_getpc_b64 s[14:15]
.Lpost_getpc26692:
	s_add_u32 s14, s14, (.LBB2_24713-.Lpost_getpc26692)&4294967295
	s_addc_u32 s15, s15, (.LBB2_24713-.Lpost_getpc26692)>>32
	s_setpc_b64 s[14:15]
.LBB2_10377:
	s_or_saveexec_b64 s[6:7], s[6:7]
	v_mov_b32_e32 v12, s10
	s_xor_b64 exec, exec, s[6:7]
	s_cbranch_execz .LBB2_10378
; %bb.46219:
	s_getpc_b64 s[14:15]
.Lpost_getpc26693:
	s_add_u32 s14, s14, (.LBB2_24716-.Lpost_getpc26693)&4294967295
	s_addc_u32 s15, s15, (.LBB2_24716-.Lpost_getpc26693)>>32
	s_setpc_b64 s[14:15]
.LBB2_10378:
	s_or_b64 exec, exec, s[6:7]
	s_and_saveexec_b64 s[6:7], s[4:5]
	s_cbranch_execz .LBB2_10380
.LBB2_10379:
	v_bfe_u32 v12, v6, 8, 3
	v_ffbh_u32_e32 v15, v12
	v_min_u32_e32 v15, 32, v15
	v_lshrrev_b16_e32 v14, 3, v13
	v_subrev_u32_e32 v16, 28, v15
	v_and_b32_e32 v14, 15, v14
	v_lshlrev_b32_e32 v13, v16, v13
	v_sub_u32_e32 v15, 29, v15
	v_and_b32_e32 v13, 7, v13
	v_cmp_eq_u16_e32 vcc, 0, v14
	v_cndmask_b32_e32 v12, v12, v13, vcc
	v_cndmask_b32_e32 v13, v14, v15, vcc
	v_lshlrev_b32_e32 v14, 16, v6
	v_mov_b32_e32 v15, 0x3b800000
	v_lshlrev_b32_e32 v12, 20, v12
	v_and_b32_e32 v14, 0x80000000, v14
	v_lshl_add_u32 v13, v13, 23, v15
	v_or3_b32 v12, v14, v13, v12
.LBB2_10380:
	s_or_b64 exec, exec, s[6:7]
	v_lshrrev_b32_e32 v13, 8, v2
	s_movk_i32 s4, 0x7f
	v_cmp_gt_i16_sdwa s[6:7], v13, s4 src0_sel:BYTE_0 src1_sel:DWORD
	s_mov_b64 s[4:5], 0
                                        ; implicit-def: $sgpr10
	s_and_saveexec_b64 s[8:9], s[6:7]
	s_xor_b64 s[6:7], exec, s[8:9]
	s_cbranch_execz .LBB2_10381
; %bb.46221:
	s_getpc_b64 s[14:15]
.Lpost_getpc26694:
	s_add_u32 s14, s14, (.LBB2_24717-.Lpost_getpc26694)&4294967295
	s_addc_u32 s15, s15, (.LBB2_24717-.Lpost_getpc26694)>>32
	s_setpc_b64 s[14:15]
.LBB2_10381:
	s_or_saveexec_b64 s[6:7], s[6:7]
	v_mov_b32_e32 v14, s10
	s_xor_b64 exec, exec, s[6:7]
	s_cbranch_execz .LBB2_10382
; %bb.46223:
	s_getpc_b64 s[14:15]
.Lpost_getpc26695:
	s_add_u32 s14, s14, (.LBB2_24720-.Lpost_getpc26695)&4294967295
	s_addc_u32 s15, s15, (.LBB2_24720-.Lpost_getpc26695)>>32
	s_setpc_b64 s[14:15]
.LBB2_10382:
	s_or_b64 exec, exec, s[6:7]
	s_and_saveexec_b64 s[6:7], s[4:5]
	s_cbranch_execz .LBB2_10384
.LBB2_10383:
	v_bfe_u32 v14, v2, 8, 3
	v_ffbh_u32_e32 v16, v14
	v_min_u32_e32 v16, 32, v16
	v_lshrrev_b16_e32 v15, 3, v13
	v_subrev_u32_e32 v17, 28, v16
	v_and_b32_e32 v15, 15, v15
	v_lshlrev_b32_e32 v13, v17, v13
	v_sub_u32_e32 v16, 29, v16
	v_and_b32_e32 v13, 7, v13
	v_cmp_eq_u16_e32 vcc, 0, v15
	v_cndmask_b32_e32 v13, v14, v13, vcc
	v_cndmask_b32_e32 v14, v15, v16, vcc
	v_lshlrev_b32_e32 v15, 16, v2
	v_mov_b32_e32 v16, 0x3b800000
	v_lshlrev_b32_e32 v13, 20, v13
	v_and_b32_e32 v15, 0x80000000, v15
	v_lshl_add_u32 v14, v14, 23, v16
	v_or3_b32 v14, v15, v14, v13
.LBB2_10384:
	s_or_b64 exec, exec, s[6:7]
	s_nop 0
	v_mfma_f32_16x16x4f32 a[0:3], v12, v14, a[0:3]
	s_movk_i32 s4, 0xff
	v_and_b32_sdwa v13, v6, s4 dst_sel:DWORD dst_unused:UNUSED_PAD src0_sel:WORD_1 src1_sel:DWORD
	s_movk_i32 s4, 0x7f
	v_cmp_lt_i16_e32 vcc, s4, v13
	s_mov_b64 s[4:5], 0
                                        ; implicit-def: $sgpr10
	s_and_saveexec_b64 s[6:7], vcc
	s_xor_b64 s[6:7], exec, s[6:7]
	s_cbranch_execz .LBB2_10385
; %bb.46225:
	s_getpc_b64 s[14:15]
.Lpost_getpc26696:
	s_add_u32 s14, s14, (.LBB2_24721-.Lpost_getpc26696)&4294967295
	s_addc_u32 s15, s15, (.LBB2_24721-.Lpost_getpc26696)>>32
	s_setpc_b64 s[14:15]
.LBB2_10385:
	s_or_saveexec_b64 s[6:7], s[6:7]
	v_mov_b32_e32 v12, s10
	s_xor_b64 exec, exec, s[6:7]
	s_cbranch_execz .LBB2_10386
; %bb.46227:
	s_getpc_b64 s[14:15]
.Lpost_getpc26697:
	s_add_u32 s14, s14, (.LBB2_24724-.Lpost_getpc26697)&4294967295
	s_addc_u32 s15, s15, (.LBB2_24724-.Lpost_getpc26697)>>32
	s_setpc_b64 s[14:15]
.LBB2_10386:
	s_or_b64 exec, exec, s[6:7]
	s_and_saveexec_b64 s[6:7], s[4:5]
	s_cbranch_execz .LBB2_10388
.LBB2_10387:
	v_bfe_u32 v12, v6, 16, 3
	v_ffbh_u32_e32 v15, v12
	v_min_u32_e32 v15, 32, v15
	v_lshrrev_b32_e32 v13, 19, v6
	v_subrev_u32_e32 v16, 28, v15
	v_and_b32_e32 v13, 15, v13
	v_lshlrev_b32_sdwa v16, v16, v6 dst_sel:DWORD dst_unused:UNUSED_PAD src0_sel:DWORD src1_sel:WORD_1
	v_bfe_u32 v14, v6, 19, 4
	v_sub_u32_e32 v15, 29, v15
	v_and_b32_e32 v16, 7, v16
	v_cmp_eq_u16_e32 vcc, 0, v13
	v_cndmask_b32_e32 v12, v12, v16, vcc
	v_cndmask_b32_e32 v13, v14, v15, vcc
	v_lshlrev_b32_e32 v14, 8, v6
	v_mov_b32_e32 v15, 0x3b800000
	v_lshlrev_b32_e32 v12, 20, v12
	v_and_b32_e32 v14, 0x80000000, v14
	v_lshl_add_u32 v13, v13, 23, v15
	v_or3_b32 v12, v14, v13, v12
.LBB2_10388:
	s_or_b64 exec, exec, s[6:7]
	s_movk_i32 s4, 0xff
	v_and_b32_sdwa v13, v2, s4 dst_sel:DWORD dst_unused:UNUSED_PAD src0_sel:WORD_1 src1_sel:DWORD
	s_movk_i32 s4, 0x7f
	v_cmp_lt_i16_e32 vcc, s4, v13
	s_mov_b64 s[4:5], 0
                                        ; implicit-def: $sgpr10
	s_and_saveexec_b64 s[6:7], vcc
	s_xor_b64 s[6:7], exec, s[6:7]
	s_cbranch_execz .LBB2_10389
; %bb.46229:
	s_getpc_b64 s[14:15]
.Lpost_getpc26698:
	s_add_u32 s14, s14, (.LBB2_24725-.Lpost_getpc26698)&4294967295
	s_addc_u32 s15, s15, (.LBB2_24725-.Lpost_getpc26698)>>32
	s_setpc_b64 s[14:15]
.LBB2_10389:
	s_or_saveexec_b64 s[6:7], s[6:7]
	v_mov_b32_e32 v14, s10
	s_xor_b64 exec, exec, s[6:7]
	s_cbranch_execz .LBB2_10390
; %bb.46231:
	s_getpc_b64 s[14:15]
.Lpost_getpc26699:
	s_add_u32 s14, s14, (.LBB2_24728-.Lpost_getpc26699)&4294967295
	s_addc_u32 s15, s15, (.LBB2_24728-.Lpost_getpc26699)>>32
	s_setpc_b64 s[14:15]
.LBB2_10390:
	s_or_b64 exec, exec, s[6:7]
	s_and_saveexec_b64 s[6:7], s[4:5]
	s_cbranch_execz .LBB2_10392
.LBB2_10391:
	v_bfe_u32 v13, v2, 16, 3
	v_ffbh_u32_e32 v16, v13
	v_min_u32_e32 v16, 32, v16
	v_lshrrev_b32_e32 v14, 19, v2
	v_subrev_u32_e32 v17, 28, v16
	v_and_b32_e32 v14, 15, v14
	v_lshlrev_b32_sdwa v17, v17, v2 dst_sel:DWORD dst_unused:UNUSED_PAD src0_sel:DWORD src1_sel:WORD_1
	v_bfe_u32 v15, v2, 19, 4
	v_sub_u32_e32 v16, 29, v16
	v_and_b32_e32 v17, 7, v17
	v_cmp_eq_u16_e32 vcc, 0, v14
	v_cndmask_b32_e32 v13, v13, v17, vcc
	v_cndmask_b32_e32 v14, v15, v16, vcc
	v_lshlrev_b32_e32 v15, 8, v2
	v_mov_b32_e32 v16, 0x3b800000
	v_lshlrev_b32_e32 v13, 20, v13
	v_and_b32_e32 v15, 0x80000000, v15
	v_lshl_add_u32 v14, v14, 23, v16
	v_or3_b32 v14, v15, v14, v13
.LBB2_10392:
	s_or_b64 exec, exec, s[6:7]
	s_nop 0
	v_mfma_f32_16x16x4f32 a[0:3], v12, v14, a[0:3]
	s_movk_i32 s4, 0x7f
	v_cmp_gt_i16_sdwa s[6:7], v6, s4 src0_sel:BYTE_3 src1_sel:DWORD
	s_mov_b64 s[4:5], 0
                                        ; implicit-def: $sgpr10
	s_and_saveexec_b64 s[8:9], s[6:7]
	s_xor_b64 s[6:7], exec, s[8:9]
	s_cbranch_execz .LBB2_10393
; %bb.46233:
	s_getpc_b64 s[14:15]
.Lpost_getpc26700:
	s_add_u32 s14, s14, (.LBB2_24729-.Lpost_getpc26700)&4294967295
	s_addc_u32 s15, s15, (.LBB2_24729-.Lpost_getpc26700)>>32
	s_setpc_b64 s[14:15]
.LBB2_10393:
	s_or_saveexec_b64 s[6:7], s[6:7]
	v_mov_b32_e32 v12, s10
	s_xor_b64 exec, exec, s[6:7]
	s_cbranch_execz .LBB2_10394
; %bb.46235:
	s_getpc_b64 s[14:15]
.Lpost_getpc26701:
	s_add_u32 s14, s14, (.LBB2_24732-.Lpost_getpc26701)&4294967295
	s_addc_u32 s15, s15, (.LBB2_24732-.Lpost_getpc26701)>>32
	s_setpc_b64 s[14:15]
.LBB2_10394:
	s_or_b64 exec, exec, s[6:7]
	s_and_saveexec_b64 s[6:7], s[4:5]
	s_cbranch_execz .LBB2_10396
.LBB2_10395:
	v_bfe_u32 v12, v6, 24, 3
	v_ffbh_u32_e32 v16, v12
	v_min_u32_e32 v16, 32, v16
	v_lshrrev_b32_e32 v14, 27, v6
	v_subrev_u32_e32 v17, 28, v16
	v_and_b32_e32 v13, 0x80000000, v6
	v_and_b32_e32 v14, 15, v14
	v_bfe_u32 v15, v6, 27, 4
	v_lshlrev_b32_sdwa v6, v17, v6 dst_sel:DWORD dst_unused:UNUSED_PAD src0_sel:DWORD src1_sel:BYTE_3
	v_sub_u32_e32 v16, 29, v16
	v_and_b32_e32 v6, 7, v6
	v_cmp_eq_u16_e32 vcc, 0, v14
	v_cndmask_b32_e32 v6, v12, v6, vcc
	v_cndmask_b32_e32 v12, v15, v16, vcc
	v_mov_b32_e32 v14, 0x3b800000
	v_lshlrev_b32_e32 v6, 20, v6
	v_lshl_add_u32 v12, v12, 23, v14
	v_or3_b32 v12, v13, v12, v6
.LBB2_10396:
	s_or_b64 exec, exec, s[6:7]
	s_movk_i32 s4, 0x7f
	v_cmp_gt_i16_sdwa s[6:7], v2, s4 src0_sel:BYTE_3 src1_sel:DWORD
	s_mov_b64 s[4:5], 0
                                        ; implicit-def: $sgpr10
	s_and_saveexec_b64 s[8:9], s[6:7]
	s_xor_b64 s[6:7], exec, s[8:9]
	s_cbranch_execz .LBB2_10397
; %bb.46237:
	s_getpc_b64 s[14:15]
.Lpost_getpc26702:
	s_add_u32 s14, s14, (.LBB2_24733-.Lpost_getpc26702)&4294967295
	s_addc_u32 s15, s15, (.LBB2_24733-.Lpost_getpc26702)>>32
	s_setpc_b64 s[14:15]
.LBB2_10397:
	s_or_saveexec_b64 s[6:7], s[6:7]
	v_mov_b32_e32 v6, s10
	s_xor_b64 exec, exec, s[6:7]
	s_cbranch_execz .LBB2_10398
; %bb.46239:
	s_getpc_b64 s[14:15]
.Lpost_getpc26703:
	s_add_u32 s14, s14, (.LBB2_24736-.Lpost_getpc26703)&4294967295
	s_addc_u32 s15, s15, (.LBB2_24736-.Lpost_getpc26703)>>32
	s_setpc_b64 s[14:15]
.LBB2_10398:
	s_or_b64 exec, exec, s[6:7]
	s_and_saveexec_b64 s[6:7], s[4:5]
	s_cbranch_execz .LBB2_10400
.LBB2_10399:
	v_bfe_u32 v6, v2, 24, 3
	v_ffbh_u32_e32 v16, v6
	v_min_u32_e32 v16, 32, v16
	v_lshrrev_b32_e32 v14, 27, v2
	v_subrev_u32_e32 v17, 28, v16
	v_and_b32_e32 v13, 0x80000000, v2
	v_and_b32_e32 v14, 15, v14
	v_bfe_u32 v15, v2, 27, 4
	v_lshlrev_b32_sdwa v2, v17, v2 dst_sel:DWORD dst_unused:UNUSED_PAD src0_sel:DWORD src1_sel:BYTE_3
	v_sub_u32_e32 v16, 29, v16
	v_and_b32_e32 v2, 7, v2
	v_cmp_eq_u16_e32 vcc, 0, v14
	v_cndmask_b32_e32 v2, v6, v2, vcc
	v_cndmask_b32_e32 v6, v15, v16, vcc
	v_mov_b32_e32 v14, 0x3b800000
	v_lshlrev_b32_e32 v2, 20, v2
	v_lshl_add_u32 v6, v6, 23, v14
	v_or3_b32 v6, v13, v6, v2
.LBB2_10400:
	s_or_b64 exec, exec, s[6:7]
	s_nop 0
	v_mfma_f32_16x16x4f32 a[0:3], v12, v6, a[0:3]
	s_movk_i32 s4, 0x7f
	v_cmp_gt_i16_sdwa s[6:7], v7, s4 src0_sel:BYTE_0 src1_sel:DWORD
	s_mov_b64 s[4:5], 0
                                        ; implicit-def: $sgpr10
	s_and_saveexec_b64 s[8:9], s[6:7]
	s_xor_b64 s[6:7], exec, s[8:9]
	s_cbranch_execz .LBB2_10401
; %bb.46241:
	s_getpc_b64 s[14:15]
.Lpost_getpc26704:
	s_add_u32 s14, s14, (.LBB2_24737-.Lpost_getpc26704)&4294967295
	s_addc_u32 s15, s15, (.LBB2_24737-.Lpost_getpc26704)>>32
	s_setpc_b64 s[14:15]
.LBB2_10401:
	s_or_saveexec_b64 s[6:7], s[6:7]
	v_mov_b32_e32 v2, s10
	s_xor_b64 exec, exec, s[6:7]
	s_cbranch_execz .LBB2_10402
; %bb.46243:
	s_getpc_b64 s[14:15]
.Lpost_getpc26705:
	s_add_u32 s14, s14, (.LBB2_24740-.Lpost_getpc26705)&4294967295
	s_addc_u32 s15, s15, (.LBB2_24740-.Lpost_getpc26705)>>32
	s_setpc_b64 s[14:15]
.LBB2_10402:
	s_or_b64 exec, exec, s[6:7]
	s_and_saveexec_b64 s[6:7], s[4:5]
	s_cbranch_execz .LBB2_10404
.LBB2_10403:
	v_and_b32_e32 v2, 7, v7
	v_ffbh_u32_e32 v12, v2
	v_min_u32_e32 v12, 32, v12
	v_lshrrev_b16_e32 v6, 3, v7
	v_subrev_u32_e32 v13, 28, v12
	v_and_b32_e32 v6, 15, v6
	v_lshlrev_b32_e32 v13, v13, v7
	v_sub_u32_e32 v12, 29, v12
	v_and_b32_e32 v13, 7, v13
	v_cmp_eq_u16_e32 vcc, 0, v6
	v_cndmask_b32_e32 v2, v2, v13, vcc
	v_cndmask_b32_e32 v6, v6, v12, vcc
	v_lshlrev_b32_e32 v12, 24, v7
	v_mov_b32_e32 v13, 0x3b800000
	v_lshlrev_b32_e32 v2, 20, v2
	v_and_b32_e32 v12, 0x80000000, v12
	v_lshl_add_u32 v6, v6, 23, v13
	v_or3_b32 v2, v12, v6, v2
.LBB2_10404:
	s_or_b64 exec, exec, s[6:7]
	s_movk_i32 s4, 0x7f
	v_cmp_gt_i16_sdwa s[6:7], v3, s4 src0_sel:BYTE_0 src1_sel:DWORD
	s_mov_b64 s[4:5], 0
                                        ; implicit-def: $sgpr10
	s_and_saveexec_b64 s[8:9], s[6:7]
	s_xor_b64 s[6:7], exec, s[8:9]
	s_cbranch_execz .LBB2_10405
; %bb.46245:
	s_getpc_b64 s[14:15]
.Lpost_getpc26706:
	s_add_u32 s14, s14, (.LBB2_24741-.Lpost_getpc26706)&4294967295
	s_addc_u32 s15, s15, (.LBB2_24741-.Lpost_getpc26706)>>32
	s_setpc_b64 s[14:15]
.LBB2_10405:
	s_or_saveexec_b64 s[6:7], s[6:7]
	v_mov_b32_e32 v6, s10
	s_xor_b64 exec, exec, s[6:7]
	s_cbranch_execz .LBB2_10406
; %bb.46247:
	s_getpc_b64 s[14:15]
.Lpost_getpc26707:
	s_add_u32 s14, s14, (.LBB2_24744-.Lpost_getpc26707)&4294967295
	s_addc_u32 s15, s15, (.LBB2_24744-.Lpost_getpc26707)>>32
	s_setpc_b64 s[14:15]
.LBB2_10406:
	s_or_b64 exec, exec, s[6:7]
	s_and_saveexec_b64 s[6:7], s[4:5]
	s_cbranch_execz .LBB2_10408
.LBB2_10407:
	v_and_b32_e32 v6, 7, v3
	v_ffbh_u32_e32 v13, v6
	v_min_u32_e32 v13, 32, v13
	v_lshrrev_b16_e32 v12, 3, v3
	v_subrev_u32_e32 v14, 28, v13
	v_and_b32_e32 v12, 15, v12
	v_lshlrev_b32_e32 v14, v14, v3
	v_sub_u32_e32 v13, 29, v13
	v_and_b32_e32 v14, 7, v14
	v_cmp_eq_u16_e32 vcc, 0, v12
	v_cndmask_b32_e32 v6, v6, v14, vcc
	v_cndmask_b32_e32 v12, v12, v13, vcc
	v_lshlrev_b32_e32 v13, 24, v3
	v_mov_b32_e32 v14, 0x3b800000
	v_lshlrev_b32_e32 v6, 20, v6
	v_and_b32_e32 v13, 0x80000000, v13
	v_lshl_add_u32 v12, v12, 23, v14
	v_or3_b32 v6, v13, v12, v6
.LBB2_10408:
	s_or_b64 exec, exec, s[6:7]
	s_nop 0
	v_mfma_f32_16x16x4f32 a[0:3], v2, v6, a[0:3]
	v_lshrrev_b32_e32 v6, 8, v7
	s_movk_i32 s4, 0x7f
	v_cmp_gt_i16_sdwa s[6:7], v6, s4 src0_sel:BYTE_0 src1_sel:DWORD
	s_mov_b64 s[4:5], 0
                                        ; implicit-def: $sgpr10
	s_and_saveexec_b64 s[8:9], s[6:7]
	s_xor_b64 s[6:7], exec, s[8:9]
	s_cbranch_execz .LBB2_10409
; %bb.46249:
	s_getpc_b64 s[14:15]
.Lpost_getpc26708:
	s_add_u32 s14, s14, (.LBB2_24745-.Lpost_getpc26708)&4294967295
	s_addc_u32 s15, s15, (.LBB2_24745-.Lpost_getpc26708)>>32
	s_setpc_b64 s[14:15]
.LBB2_10409:
	s_or_saveexec_b64 s[6:7], s[6:7]
	v_mov_b32_e32 v2, s10
	s_xor_b64 exec, exec, s[6:7]
	s_cbranch_execz .LBB2_10410
; %bb.46251:
	s_getpc_b64 s[14:15]
.Lpost_getpc26709:
	s_add_u32 s14, s14, (.LBB2_24748-.Lpost_getpc26709)&4294967295
	s_addc_u32 s15, s15, (.LBB2_24748-.Lpost_getpc26709)>>32
	s_setpc_b64 s[14:15]
.LBB2_10410:
	s_or_b64 exec, exec, s[6:7]
	s_and_saveexec_b64 s[6:7], s[4:5]
	s_cbranch_execz .LBB2_10412
.LBB2_10411:
	v_bfe_u32 v2, v7, 8, 3
	v_ffbh_u32_e32 v13, v2
	v_min_u32_e32 v13, 32, v13
	v_lshrrev_b16_e32 v12, 3, v6
	v_subrev_u32_e32 v14, 28, v13
	v_and_b32_e32 v12, 15, v12
	v_lshlrev_b32_e32 v6, v14, v6
	v_sub_u32_e32 v13, 29, v13
	v_and_b32_e32 v6, 7, v6
	v_cmp_eq_u16_e32 vcc, 0, v12
	v_cndmask_b32_e32 v2, v2, v6, vcc
	v_cndmask_b32_e32 v6, v12, v13, vcc
	v_lshlrev_b32_e32 v12, 16, v7
	v_mov_b32_e32 v13, 0x3b800000
	v_lshlrev_b32_e32 v2, 20, v2
	v_and_b32_e32 v12, 0x80000000, v12
	v_lshl_add_u32 v6, v6, 23, v13
	v_or3_b32 v2, v12, v6, v2
.LBB2_10412:
	s_or_b64 exec, exec, s[6:7]
	v_lshrrev_b32_e32 v6, 8, v3
	s_movk_i32 s4, 0x7f
	v_cmp_gt_i16_sdwa s[6:7], v6, s4 src0_sel:BYTE_0 src1_sel:DWORD
	s_mov_b64 s[4:5], 0
                                        ; implicit-def: $sgpr10
	s_and_saveexec_b64 s[8:9], s[6:7]
	s_xor_b64 s[6:7], exec, s[8:9]
	s_cbranch_execz .LBB2_10413
; %bb.46253:
	s_getpc_b64 s[14:15]
.Lpost_getpc26710:
	s_add_u32 s14, s14, (.LBB2_24749-.Lpost_getpc26710)&4294967295
	s_addc_u32 s15, s15, (.LBB2_24749-.Lpost_getpc26710)>>32
	s_setpc_b64 s[14:15]
.LBB2_10413:
	s_or_saveexec_b64 s[6:7], s[6:7]
	v_mov_b32_e32 v12, s10
	s_xor_b64 exec, exec, s[6:7]
	s_cbranch_execz .LBB2_10414
; %bb.46255:
	s_getpc_b64 s[14:15]
.Lpost_getpc26711:
	s_add_u32 s14, s14, (.LBB2_24752-.Lpost_getpc26711)&4294967295
	s_addc_u32 s15, s15, (.LBB2_24752-.Lpost_getpc26711)>>32
	s_setpc_b64 s[14:15]
.LBB2_10414:
	s_or_b64 exec, exec, s[6:7]
	s_and_saveexec_b64 s[6:7], s[4:5]
	s_cbranch_execz .LBB2_10416
.LBB2_10415:
	v_bfe_u32 v12, v3, 8, 3
	v_ffbh_u32_e32 v14, v12
	v_min_u32_e32 v14, 32, v14
	v_lshrrev_b16_e32 v13, 3, v6
	v_subrev_u32_e32 v15, 28, v14
	v_and_b32_e32 v13, 15, v13
	v_lshlrev_b32_e32 v6, v15, v6
	v_sub_u32_e32 v14, 29, v14
	v_and_b32_e32 v6, 7, v6
	v_cmp_eq_u16_e32 vcc, 0, v13
	v_cndmask_b32_e32 v6, v12, v6, vcc
	v_cndmask_b32_e32 v12, v13, v14, vcc
	v_lshlrev_b32_e32 v13, 16, v3
	v_mov_b32_e32 v14, 0x3b800000
	v_lshlrev_b32_e32 v6, 20, v6
	v_and_b32_e32 v13, 0x80000000, v13
	v_lshl_add_u32 v12, v12, 23, v14
	v_or3_b32 v12, v13, v12, v6
.LBB2_10416:
	s_or_b64 exec, exec, s[6:7]
	s_nop 0
	v_mfma_f32_16x16x4f32 a[0:3], v2, v12, a[0:3]
	s_movk_i32 s4, 0xff
	v_and_b32_sdwa v6, v7, s4 dst_sel:DWORD dst_unused:UNUSED_PAD src0_sel:WORD_1 src1_sel:DWORD
	s_movk_i32 s4, 0x7f
	v_cmp_lt_i16_e32 vcc, s4, v6
	s_mov_b64 s[4:5], 0
                                        ; implicit-def: $sgpr10
	s_and_saveexec_b64 s[6:7], vcc
	s_xor_b64 s[6:7], exec, s[6:7]
	s_cbranch_execz .LBB2_10417
; %bb.46257:
	s_getpc_b64 s[14:15]
.Lpost_getpc26712:
	s_add_u32 s14, s14, (.LBB2_24753-.Lpost_getpc26712)&4294967295
	s_addc_u32 s15, s15, (.LBB2_24753-.Lpost_getpc26712)>>32
	s_setpc_b64 s[14:15]
.LBB2_10417:
	s_or_saveexec_b64 s[6:7], s[6:7]
	v_mov_b32_e32 v2, s10
	s_xor_b64 exec, exec, s[6:7]
	s_cbranch_execz .LBB2_10418
; %bb.46259:
	s_getpc_b64 s[14:15]
.Lpost_getpc26713:
	s_add_u32 s14, s14, (.LBB2_24756-.Lpost_getpc26713)&4294967295
	s_addc_u32 s15, s15, (.LBB2_24756-.Lpost_getpc26713)>>32
	s_setpc_b64 s[14:15]
.LBB2_10418:
	s_or_b64 exec, exec, s[6:7]
	s_and_saveexec_b64 s[6:7], s[4:5]
	s_cbranch_execz .LBB2_10420
.LBB2_10419:
	v_bfe_u32 v2, v7, 16, 3
	v_ffbh_u32_e32 v13, v2
	v_min_u32_e32 v13, 32, v13
	v_lshrrev_b32_e32 v6, 19, v7
	v_subrev_u32_e32 v14, 28, v13
	v_and_b32_e32 v6, 15, v6
	v_lshlrev_b32_sdwa v14, v14, v7 dst_sel:DWORD dst_unused:UNUSED_PAD src0_sel:DWORD src1_sel:WORD_1
	v_bfe_u32 v12, v7, 19, 4
	v_sub_u32_e32 v13, 29, v13
	v_and_b32_e32 v14, 7, v14
	v_cmp_eq_u16_e32 vcc, 0, v6
	v_cndmask_b32_e32 v2, v2, v14, vcc
	v_cndmask_b32_e32 v6, v12, v13, vcc
	v_lshlrev_b32_e32 v12, 8, v7
	v_mov_b32_e32 v13, 0x3b800000
	v_lshlrev_b32_e32 v2, 20, v2
	v_and_b32_e32 v12, 0x80000000, v12
	v_lshl_add_u32 v6, v6, 23, v13
	v_or3_b32 v2, v12, v6, v2
.LBB2_10420:
	s_or_b64 exec, exec, s[6:7]
	s_movk_i32 s4, 0xff
	v_and_b32_sdwa v6, v3, s4 dst_sel:DWORD dst_unused:UNUSED_PAD src0_sel:WORD_1 src1_sel:DWORD
	s_movk_i32 s4, 0x7f
	v_cmp_lt_i16_e32 vcc, s4, v6
	s_mov_b64 s[4:5], 0
                                        ; implicit-def: $sgpr10
	s_and_saveexec_b64 s[6:7], vcc
	s_xor_b64 s[6:7], exec, s[6:7]
	s_cbranch_execz .LBB2_10421
; %bb.46261:
	s_getpc_b64 s[14:15]
.Lpost_getpc26714:
	s_add_u32 s14, s14, (.LBB2_24757-.Lpost_getpc26714)&4294967295
	s_addc_u32 s15, s15, (.LBB2_24757-.Lpost_getpc26714)>>32
	s_setpc_b64 s[14:15]
.LBB2_10421:
	s_or_saveexec_b64 s[6:7], s[6:7]
	v_mov_b32_e32 v12, s10
	s_xor_b64 exec, exec, s[6:7]
	s_cbranch_execz .LBB2_10422
; %bb.46263:
	s_getpc_b64 s[14:15]
.Lpost_getpc26715:
	s_add_u32 s14, s14, (.LBB2_24760-.Lpost_getpc26715)&4294967295
	s_addc_u32 s15, s15, (.LBB2_24760-.Lpost_getpc26715)>>32
	s_setpc_b64 s[14:15]
.LBB2_10422:
	s_or_b64 exec, exec, s[6:7]
	s_and_saveexec_b64 s[6:7], s[4:5]
	s_cbranch_execz .LBB2_10424
.LBB2_10423:
	v_bfe_u32 v6, v3, 16, 3
	v_ffbh_u32_e32 v14, v6
	v_min_u32_e32 v14, 32, v14
	v_lshrrev_b32_e32 v12, 19, v3
	v_subrev_u32_e32 v15, 28, v14
	v_and_b32_e32 v12, 15, v12
	v_lshlrev_b32_sdwa v15, v15, v3 dst_sel:DWORD dst_unused:UNUSED_PAD src0_sel:DWORD src1_sel:WORD_1
	v_bfe_u32 v13, v3, 19, 4
	v_sub_u32_e32 v14, 29, v14
	v_and_b32_e32 v15, 7, v15
	v_cmp_eq_u16_e32 vcc, 0, v12
	v_cndmask_b32_e32 v6, v6, v15, vcc
	v_cndmask_b32_e32 v12, v13, v14, vcc
	v_lshlrev_b32_e32 v13, 8, v3
	v_mov_b32_e32 v14, 0x3b800000
	v_lshlrev_b32_e32 v6, 20, v6
	v_and_b32_e32 v13, 0x80000000, v13
	v_lshl_add_u32 v12, v12, 23, v14
	v_or3_b32 v12, v13, v12, v6
.LBB2_10424:
	s_or_b64 exec, exec, s[6:7]
	s_nop 0
	v_mfma_f32_16x16x4f32 a[0:3], v2, v12, a[0:3]
	s_movk_i32 s4, 0x7f
	v_cmp_gt_i16_sdwa s[6:7], v7, s4 src0_sel:BYTE_3 src1_sel:DWORD
	s_mov_b64 s[4:5], 0
                                        ; implicit-def: $sgpr10
	s_and_saveexec_b64 s[8:9], s[6:7]
	s_xor_b64 s[6:7], exec, s[8:9]
	s_cbranch_execz .LBB2_10425
; %bb.46265:
	s_getpc_b64 s[14:15]
.Lpost_getpc26716:
	s_add_u32 s14, s14, (.LBB2_24761-.Lpost_getpc26716)&4294967295
	s_addc_u32 s15, s15, (.LBB2_24761-.Lpost_getpc26716)>>32
	s_setpc_b64 s[14:15]
.LBB2_10425:
	s_or_saveexec_b64 s[6:7], s[6:7]
	v_mov_b32_e32 v2, s10
	s_xor_b64 exec, exec, s[6:7]
	s_cbranch_execz .LBB2_10426
; %bb.46267:
	s_getpc_b64 s[14:15]
.Lpost_getpc26717:
	s_add_u32 s14, s14, (.LBB2_24764-.Lpost_getpc26717)&4294967295
	s_addc_u32 s15, s15, (.LBB2_24764-.Lpost_getpc26717)>>32
	s_setpc_b64 s[14:15]
.LBB2_10426:
	s_or_b64 exec, exec, s[6:7]
	s_and_saveexec_b64 s[6:7], s[4:5]
	s_cbranch_execz .LBB2_10428
.LBB2_10427:
	v_bfe_u32 v2, v7, 24, 3
	v_ffbh_u32_e32 v14, v2
	v_min_u32_e32 v14, 32, v14
	v_lshrrev_b32_e32 v12, 27, v7
	v_subrev_u32_e32 v15, 28, v14
	v_and_b32_e32 v6, 0x80000000, v7
	v_and_b32_e32 v12, 15, v12
	v_bfe_u32 v13, v7, 27, 4
	v_lshlrev_b32_sdwa v7, v15, v7 dst_sel:DWORD dst_unused:UNUSED_PAD src0_sel:DWORD src1_sel:BYTE_3
	v_sub_u32_e32 v14, 29, v14
	v_and_b32_e32 v7, 7, v7
	v_cmp_eq_u16_e32 vcc, 0, v12
	v_cndmask_b32_e32 v2, v2, v7, vcc
	v_cndmask_b32_e32 v7, v13, v14, vcc
	v_mov_b32_e32 v12, 0x3b800000
	v_lshlrev_b32_e32 v2, 20, v2
	v_lshl_add_u32 v7, v7, 23, v12
	v_or3_b32 v2, v6, v7, v2
.LBB2_10428:
	s_or_b64 exec, exec, s[6:7]
	s_movk_i32 s4, 0x7f
	v_cmp_gt_i16_sdwa s[6:7], v3, s4 src0_sel:BYTE_3 src1_sel:DWORD
	s_mov_b64 s[4:5], 0
                                        ; implicit-def: $sgpr10
	s_and_saveexec_b64 s[8:9], s[6:7]
	s_xor_b64 s[6:7], exec, s[8:9]
	s_cbranch_execz .LBB2_10429
; %bb.46269:
	s_getpc_b64 s[14:15]
.Lpost_getpc26718:
	s_add_u32 s14, s14, (.LBB2_24765-.Lpost_getpc26718)&4294967295
	s_addc_u32 s15, s15, (.LBB2_24765-.Lpost_getpc26718)>>32
	s_setpc_b64 s[14:15]
.LBB2_10429:
	s_or_saveexec_b64 s[6:7], s[6:7]
	v_mov_b32_e32 v6, s10
	s_xor_b64 exec, exec, s[6:7]
	s_cbranch_execz .LBB2_10430
; %bb.46271:
	s_getpc_b64 s[14:15]
.Lpost_getpc26719:
	s_add_u32 s14, s14, (.LBB2_24768-.Lpost_getpc26719)&4294967295
	s_addc_u32 s15, s15, (.LBB2_24768-.Lpost_getpc26719)>>32
	s_setpc_b64 s[14:15]
.LBB2_10430:
	s_or_b64 exec, exec, s[6:7]
	s_and_saveexec_b64 s[6:7], s[4:5]
	s_cbranch_execz .LBB2_10432
.LBB2_10431:
	v_bfe_u32 v6, v3, 24, 3
	v_ffbh_u32_e32 v14, v6
	v_min_u32_e32 v14, 32, v14
	v_lshrrev_b32_e32 v12, 27, v3
	v_subrev_u32_e32 v15, 28, v14
	v_and_b32_e32 v7, 0x80000000, v3
	v_and_b32_e32 v12, 15, v12
	v_bfe_u32 v13, v3, 27, 4
	v_lshlrev_b32_sdwa v3, v15, v3 dst_sel:DWORD dst_unused:UNUSED_PAD src0_sel:DWORD src1_sel:BYTE_3
	v_sub_u32_e32 v14, 29, v14
	v_and_b32_e32 v3, 7, v3
	v_cmp_eq_u16_e32 vcc, 0, v12
	v_cndmask_b32_e32 v3, v6, v3, vcc
	v_cndmask_b32_e32 v6, v13, v14, vcc
	v_mov_b32_e32 v12, 0x3b800000
	v_lshlrev_b32_e32 v3, 20, v3
	v_lshl_add_u32 v6, v6, 23, v12
	v_or3_b32 v6, v7, v6, v3
.LBB2_10432:
	s_or_b64 exec, exec, s[6:7]
	s_nop 0
	v_mfma_f32_16x16x4f32 a[0:3], v2, v6, a[0:3]
	s_movk_i32 s4, 0x7f
	v_cmp_gt_i16_sdwa s[6:7], v8, s4 src0_sel:BYTE_0 src1_sel:DWORD
	s_mov_b64 s[4:5], 0
                                        ; implicit-def: $sgpr10
	s_and_saveexec_b64 s[8:9], s[6:7]
	s_xor_b64 s[6:7], exec, s[8:9]
	s_cbranch_execz .LBB2_10433
; %bb.46273:
	s_getpc_b64 s[14:15]
.Lpost_getpc26720:
	s_add_u32 s14, s14, (.LBB2_24769-.Lpost_getpc26720)&4294967295
	s_addc_u32 s15, s15, (.LBB2_24769-.Lpost_getpc26720)>>32
	s_setpc_b64 s[14:15]
.LBB2_10433:
	s_or_saveexec_b64 s[6:7], s[6:7]
	v_mov_b32_e32 v2, s10
	s_xor_b64 exec, exec, s[6:7]
	s_cbranch_execz .LBB2_10434
; %bb.46275:
	s_getpc_b64 s[14:15]
.Lpost_getpc26721:
	s_add_u32 s14, s14, (.LBB2_24772-.Lpost_getpc26721)&4294967295
	s_addc_u32 s15, s15, (.LBB2_24772-.Lpost_getpc26721)>>32
	s_setpc_b64 s[14:15]
.LBB2_10434:
	s_or_b64 exec, exec, s[6:7]
	s_and_saveexec_b64 s[6:7], s[4:5]
	s_cbranch_execz .LBB2_10436
.LBB2_10435:
	v_and_b32_e32 v2, 7, v8
	v_ffbh_u32_e32 v6, v2
	v_min_u32_e32 v6, 32, v6
	v_lshrrev_b16_e32 v3, 3, v8
	v_subrev_u32_e32 v7, 28, v6
	v_and_b32_e32 v3, 15, v3
	v_lshlrev_b32_e32 v7, v7, v8
	v_sub_u32_e32 v6, 29, v6
	v_and_b32_e32 v7, 7, v7
	v_cmp_eq_u16_e32 vcc, 0, v3
	v_cndmask_b32_e32 v2, v2, v7, vcc
	v_cndmask_b32_e32 v3, v3, v6, vcc
	v_lshlrev_b32_e32 v6, 24, v8
	v_mov_b32_e32 v7, 0x3b800000
	v_lshlrev_b32_e32 v2, 20, v2
	v_and_b32_e32 v6, 0x80000000, v6
	v_lshl_add_u32 v3, v3, 23, v7
	v_or3_b32 v2, v6, v3, v2
.LBB2_10436:
	s_or_b64 exec, exec, s[6:7]
	s_movk_i32 s4, 0x7f
	v_cmp_gt_i16_sdwa s[6:7], v4, s4 src0_sel:BYTE_0 src1_sel:DWORD
	s_mov_b64 s[4:5], 0
                                        ; implicit-def: $sgpr10
	s_and_saveexec_b64 s[8:9], s[6:7]
	s_xor_b64 s[6:7], exec, s[8:9]
	s_cbranch_execz .LBB2_10437
; %bb.46277:
	s_getpc_b64 s[14:15]
.Lpost_getpc26722:
	s_add_u32 s14, s14, (.LBB2_24773-.Lpost_getpc26722)&4294967295
	s_addc_u32 s15, s15, (.LBB2_24773-.Lpost_getpc26722)>>32
	s_setpc_b64 s[14:15]
.LBB2_10437:
	s_or_saveexec_b64 s[6:7], s[6:7]
	v_mov_b32_e32 v3, s10
	s_xor_b64 exec, exec, s[6:7]
	s_cbranch_execz .LBB2_10438
; %bb.46279:
	s_getpc_b64 s[14:15]
.Lpost_getpc26723:
	s_add_u32 s14, s14, (.LBB2_24776-.Lpost_getpc26723)&4294967295
	s_addc_u32 s15, s15, (.LBB2_24776-.Lpost_getpc26723)>>32
	s_setpc_b64 s[14:15]
.LBB2_10438:
	s_or_b64 exec, exec, s[6:7]
	s_and_saveexec_b64 s[6:7], s[4:5]
	s_cbranch_execz .LBB2_10440
.LBB2_10439:
	v_and_b32_e32 v3, 7, v4
	v_ffbh_u32_e32 v7, v3
	v_min_u32_e32 v7, 32, v7
	v_lshrrev_b16_e32 v6, 3, v4
	v_subrev_u32_e32 v12, 28, v7
	v_and_b32_e32 v6, 15, v6
	v_lshlrev_b32_e32 v12, v12, v4
	v_sub_u32_e32 v7, 29, v7
	v_and_b32_e32 v12, 7, v12
	v_cmp_eq_u16_e32 vcc, 0, v6
	v_cndmask_b32_e32 v3, v3, v12, vcc
	v_cndmask_b32_e32 v6, v6, v7, vcc
	v_lshlrev_b32_e32 v7, 24, v4
	v_mov_b32_e32 v12, 0x3b800000
	v_lshlrev_b32_e32 v3, 20, v3
	v_and_b32_e32 v7, 0x80000000, v7
	v_lshl_add_u32 v6, v6, 23, v12
	v_or3_b32 v3, v7, v6, v3
.LBB2_10440:
	s_or_b64 exec, exec, s[6:7]
	s_nop 0
	v_mfma_f32_16x16x4f32 a[0:3], v2, v3, a[0:3]
	v_lshrrev_b32_e32 v3, 8, v8
	s_movk_i32 s4, 0x7f
	v_cmp_gt_i16_sdwa s[6:7], v3, s4 src0_sel:BYTE_0 src1_sel:DWORD
	s_mov_b64 s[4:5], 0
                                        ; implicit-def: $sgpr10
	s_and_saveexec_b64 s[8:9], s[6:7]
	s_xor_b64 s[6:7], exec, s[8:9]
	s_cbranch_execz .LBB2_10441
; %bb.46281:
	s_getpc_b64 s[14:15]
.Lpost_getpc26724:
	s_add_u32 s14, s14, (.LBB2_24777-.Lpost_getpc26724)&4294967295
	s_addc_u32 s15, s15, (.LBB2_24777-.Lpost_getpc26724)>>32
	s_setpc_b64 s[14:15]
.LBB2_10441:
	s_or_saveexec_b64 s[6:7], s[6:7]
	v_mov_b32_e32 v2, s10
	s_xor_b64 exec, exec, s[6:7]
	s_cbranch_execz .LBB2_10442
; %bb.46283:
	s_getpc_b64 s[14:15]
.Lpost_getpc26725:
	s_add_u32 s14, s14, (.LBB2_24780-.Lpost_getpc26725)&4294967295
	s_addc_u32 s15, s15, (.LBB2_24780-.Lpost_getpc26725)>>32
	s_setpc_b64 s[14:15]
.LBB2_10442:
	s_or_b64 exec, exec, s[6:7]
	s_and_saveexec_b64 s[6:7], s[4:5]
	s_cbranch_execz .LBB2_10444
.LBB2_10443:
	v_bfe_u32 v2, v8, 8, 3
	v_ffbh_u32_e32 v7, v2
	v_min_u32_e32 v7, 32, v7
	v_lshrrev_b16_e32 v6, 3, v3
	v_subrev_u32_e32 v12, 28, v7
	v_and_b32_e32 v6, 15, v6
	v_lshlrev_b32_e32 v3, v12, v3
	v_sub_u32_e32 v7, 29, v7
	v_and_b32_e32 v3, 7, v3
	v_cmp_eq_u16_e32 vcc, 0, v6
	v_cndmask_b32_e32 v2, v2, v3, vcc
	v_cndmask_b32_e32 v3, v6, v7, vcc
	v_lshlrev_b32_e32 v6, 16, v8
	v_mov_b32_e32 v7, 0x3b800000
	v_lshlrev_b32_e32 v2, 20, v2
	v_and_b32_e32 v6, 0x80000000, v6
	v_lshl_add_u32 v3, v3, 23, v7
	v_or3_b32 v2, v6, v3, v2
.LBB2_10444:
	s_or_b64 exec, exec, s[6:7]
	v_lshrrev_b32_e32 v3, 8, v4
	s_movk_i32 s4, 0x7f
	v_cmp_gt_i16_sdwa s[6:7], v3, s4 src0_sel:BYTE_0 src1_sel:DWORD
	s_mov_b64 s[4:5], 0
                                        ; implicit-def: $sgpr10
	s_and_saveexec_b64 s[8:9], s[6:7]
	s_xor_b64 s[6:7], exec, s[8:9]
	s_cbranch_execz .LBB2_10445
; %bb.46285:
	s_getpc_b64 s[14:15]
.Lpost_getpc26726:
	s_add_u32 s14, s14, (.LBB2_24781-.Lpost_getpc26726)&4294967295
	s_addc_u32 s15, s15, (.LBB2_24781-.Lpost_getpc26726)>>32
	s_setpc_b64 s[14:15]
.LBB2_10445:
	s_or_saveexec_b64 s[6:7], s[6:7]
	v_mov_b32_e32 v6, s10
	s_xor_b64 exec, exec, s[6:7]
	s_cbranch_execz .LBB2_10446
; %bb.46287:
	s_getpc_b64 s[14:15]
.Lpost_getpc26727:
	s_add_u32 s14, s14, (.LBB2_24784-.Lpost_getpc26727)&4294967295
	s_addc_u32 s15, s15, (.LBB2_24784-.Lpost_getpc26727)>>32
	s_setpc_b64 s[14:15]
.LBB2_10446:
	s_or_b64 exec, exec, s[6:7]
	s_and_saveexec_b64 s[6:7], s[4:5]
	s_cbranch_execz .LBB2_10448
.LBB2_10447:
	v_bfe_u32 v6, v4, 8, 3
	v_ffbh_u32_e32 v12, v6
	v_min_u32_e32 v12, 32, v12
	v_lshrrev_b16_e32 v7, 3, v3
	v_subrev_u32_e32 v13, 28, v12
	v_and_b32_e32 v7, 15, v7
	v_lshlrev_b32_e32 v3, v13, v3
	v_sub_u32_e32 v12, 29, v12
	v_and_b32_e32 v3, 7, v3
	v_cmp_eq_u16_e32 vcc, 0, v7
	v_cndmask_b32_e32 v3, v6, v3, vcc
	v_cndmask_b32_e32 v6, v7, v12, vcc
	v_lshlrev_b32_e32 v7, 16, v4
	v_mov_b32_e32 v12, 0x3b800000
	v_lshlrev_b32_e32 v3, 20, v3
	v_and_b32_e32 v7, 0x80000000, v7
	v_lshl_add_u32 v6, v6, 23, v12
	v_or3_b32 v6, v7, v6, v3
.LBB2_10448:
	s_or_b64 exec, exec, s[6:7]
	s_nop 0
	v_mfma_f32_16x16x4f32 a[0:3], v2, v6, a[0:3]
	s_movk_i32 s4, 0xff
	v_and_b32_sdwa v3, v8, s4 dst_sel:DWORD dst_unused:UNUSED_PAD src0_sel:WORD_1 src1_sel:DWORD
	s_movk_i32 s4, 0x7f
	v_cmp_lt_i16_e32 vcc, s4, v3
	s_mov_b64 s[4:5], 0
                                        ; implicit-def: $sgpr10
	s_and_saveexec_b64 s[6:7], vcc
	s_xor_b64 s[6:7], exec, s[6:7]
	s_cbranch_execz .LBB2_10449
; %bb.46289:
	s_getpc_b64 s[14:15]
.Lpost_getpc26728:
	s_add_u32 s14, s14, (.LBB2_24785-.Lpost_getpc26728)&4294967295
	s_addc_u32 s15, s15, (.LBB2_24785-.Lpost_getpc26728)>>32
	s_setpc_b64 s[14:15]
.LBB2_10449:
	s_or_saveexec_b64 s[6:7], s[6:7]
	v_mov_b32_e32 v2, s10
	s_xor_b64 exec, exec, s[6:7]
	s_cbranch_execz .LBB2_10450
; %bb.46291:
	s_getpc_b64 s[14:15]
.Lpost_getpc26729:
	s_add_u32 s14, s14, (.LBB2_24788-.Lpost_getpc26729)&4294967295
	s_addc_u32 s15, s15, (.LBB2_24788-.Lpost_getpc26729)>>32
	s_setpc_b64 s[14:15]
.LBB2_10450:
	s_or_b64 exec, exec, s[6:7]
	s_and_saveexec_b64 s[6:7], s[4:5]
	s_cbranch_execz .LBB2_10452
.LBB2_10451:
	v_bfe_u32 v2, v8, 16, 3
	v_ffbh_u32_e32 v7, v2
	v_min_u32_e32 v7, 32, v7
	v_lshrrev_b32_e32 v3, 19, v8
	v_subrev_u32_e32 v12, 28, v7
	v_and_b32_e32 v3, 15, v3
	v_lshlrev_b32_sdwa v12, v12, v8 dst_sel:DWORD dst_unused:UNUSED_PAD src0_sel:DWORD src1_sel:WORD_1
	v_bfe_u32 v6, v8, 19, 4
	v_sub_u32_e32 v7, 29, v7
	v_and_b32_e32 v12, 7, v12
	v_cmp_eq_u16_e32 vcc, 0, v3
	v_cndmask_b32_e32 v2, v2, v12, vcc
	v_cndmask_b32_e32 v3, v6, v7, vcc
	v_lshlrev_b32_e32 v6, 8, v8
	v_mov_b32_e32 v7, 0x3b800000
	v_lshlrev_b32_e32 v2, 20, v2
	v_and_b32_e32 v6, 0x80000000, v6
	v_lshl_add_u32 v3, v3, 23, v7
	v_or3_b32 v2, v6, v3, v2
.LBB2_10452:
	s_or_b64 exec, exec, s[6:7]
	s_movk_i32 s4, 0xff
	v_and_b32_sdwa v3, v4, s4 dst_sel:DWORD dst_unused:UNUSED_PAD src0_sel:WORD_1 src1_sel:DWORD
	s_movk_i32 s4, 0x7f
	v_cmp_lt_i16_e32 vcc, s4, v3
	s_mov_b64 s[4:5], 0
                                        ; implicit-def: $sgpr10
	s_and_saveexec_b64 s[6:7], vcc
	s_xor_b64 s[6:7], exec, s[6:7]
	s_cbranch_execz .LBB2_10453
; %bb.46293:
	s_getpc_b64 s[14:15]
.Lpost_getpc26730:
	s_add_u32 s14, s14, (.LBB2_24789-.Lpost_getpc26730)&4294967295
	s_addc_u32 s15, s15, (.LBB2_24789-.Lpost_getpc26730)>>32
	s_setpc_b64 s[14:15]
.LBB2_10453:
	s_or_saveexec_b64 s[6:7], s[6:7]
	v_mov_b32_e32 v6, s10
	s_xor_b64 exec, exec, s[6:7]
	s_cbranch_execz .LBB2_10454
; %bb.46295:
	s_getpc_b64 s[14:15]
.Lpost_getpc26731:
	s_add_u32 s14, s14, (.LBB2_24792-.Lpost_getpc26731)&4294967295
	s_addc_u32 s15, s15, (.LBB2_24792-.Lpost_getpc26731)>>32
	s_setpc_b64 s[14:15]
.LBB2_10454:
	s_or_b64 exec, exec, s[6:7]
	s_and_saveexec_b64 s[6:7], s[4:5]
	s_cbranch_execz .LBB2_10456
.LBB2_10455:
	v_bfe_u32 v3, v4, 16, 3
	v_ffbh_u32_e32 v12, v3
	v_min_u32_e32 v12, 32, v12
	v_lshrrev_b32_e32 v6, 19, v4
	v_subrev_u32_e32 v13, 28, v12
	v_and_b32_e32 v6, 15, v6
	v_lshlrev_b32_sdwa v13, v13, v4 dst_sel:DWORD dst_unused:UNUSED_PAD src0_sel:DWORD src1_sel:WORD_1
	v_bfe_u32 v7, v4, 19, 4
	v_sub_u32_e32 v12, 29, v12
	v_and_b32_e32 v13, 7, v13
	v_cmp_eq_u16_e32 vcc, 0, v6
	v_cndmask_b32_e32 v3, v3, v13, vcc
	v_cndmask_b32_e32 v6, v7, v12, vcc
	v_lshlrev_b32_e32 v7, 8, v4
	v_mov_b32_e32 v12, 0x3b800000
	v_lshlrev_b32_e32 v3, 20, v3
	v_and_b32_e32 v7, 0x80000000, v7
	v_lshl_add_u32 v6, v6, 23, v12
	v_or3_b32 v6, v7, v6, v3
.LBB2_10456:
	s_or_b64 exec, exec, s[6:7]
	s_nop 0
	v_mfma_f32_16x16x4f32 a[0:3], v2, v6, a[0:3]
	s_movk_i32 s4, 0x7f
	v_cmp_gt_i16_sdwa s[6:7], v8, s4 src0_sel:BYTE_3 src1_sel:DWORD
	s_mov_b64 s[4:5], 0
                                        ; implicit-def: $sgpr10
	s_and_saveexec_b64 s[8:9], s[6:7]
	s_xor_b64 s[6:7], exec, s[8:9]
	s_cbranch_execz .LBB2_10457
; %bb.46297:
	s_getpc_b64 s[14:15]
.Lpost_getpc26732:
	s_add_u32 s14, s14, (.LBB2_24793-.Lpost_getpc26732)&4294967295
	s_addc_u32 s15, s15, (.LBB2_24793-.Lpost_getpc26732)>>32
	s_setpc_b64 s[14:15]
.LBB2_10457:
	s_or_saveexec_b64 s[6:7], s[6:7]
	v_mov_b32_e32 v2, s10
	s_xor_b64 exec, exec, s[6:7]
	s_cbranch_execz .LBB2_10458
; %bb.46299:
	s_getpc_b64 s[14:15]
.Lpost_getpc26733:
	s_add_u32 s14, s14, (.LBB2_24796-.Lpost_getpc26733)&4294967295
	s_addc_u32 s15, s15, (.LBB2_24796-.Lpost_getpc26733)>>32
	s_setpc_b64 s[14:15]
.LBB2_10458:
	s_or_b64 exec, exec, s[6:7]
	s_and_saveexec_b64 s[6:7], s[4:5]
	s_cbranch_execz .LBB2_10460
.LBB2_10459:
	v_bfe_u32 v2, v8, 24, 3
	v_ffbh_u32_e32 v12, v2
	v_min_u32_e32 v12, 32, v12
	v_lshrrev_b32_e32 v6, 27, v8
	v_subrev_u32_e32 v13, 28, v12
	v_and_b32_e32 v3, 0x80000000, v8
	v_and_b32_e32 v6, 15, v6
	v_bfe_u32 v7, v8, 27, 4
	v_lshlrev_b32_sdwa v8, v13, v8 dst_sel:DWORD dst_unused:UNUSED_PAD src0_sel:DWORD src1_sel:BYTE_3
	v_sub_u32_e32 v12, 29, v12
	v_and_b32_e32 v8, 7, v8
	v_cmp_eq_u16_e32 vcc, 0, v6
	v_cndmask_b32_e32 v2, v2, v8, vcc
	v_cndmask_b32_e32 v6, v7, v12, vcc
	v_mov_b32_e32 v7, 0x3b800000
	v_lshlrev_b32_e32 v2, 20, v2
	v_lshl_add_u32 v6, v6, 23, v7
	v_or3_b32 v2, v3, v6, v2
.LBB2_10460:
	s_or_b64 exec, exec, s[6:7]
	s_movk_i32 s4, 0x7f
	v_cmp_gt_i16_sdwa s[6:7], v4, s4 src0_sel:BYTE_3 src1_sel:DWORD
	s_mov_b64 s[4:5], 0
                                        ; implicit-def: $sgpr10
	s_and_saveexec_b64 s[8:9], s[6:7]
	s_xor_b64 s[6:7], exec, s[8:9]
	s_cbranch_execz .LBB2_10461
; %bb.46301:
	s_getpc_b64 s[14:15]
.Lpost_getpc26734:
	s_add_u32 s14, s14, (.LBB2_24797-.Lpost_getpc26734)&4294967295
	s_addc_u32 s15, s15, (.LBB2_24797-.Lpost_getpc26734)>>32
	s_setpc_b64 s[14:15]
.LBB2_10461:
	s_or_saveexec_b64 s[6:7], s[6:7]
	v_mov_b32_e32 v3, s10
	s_xor_b64 exec, exec, s[6:7]
	s_cbranch_execz .LBB2_10462
; %bb.46303:
	s_getpc_b64 s[14:15]
.Lpost_getpc26735:
	s_add_u32 s14, s14, (.LBB2_24800-.Lpost_getpc26735)&4294967295
	s_addc_u32 s15, s15, (.LBB2_24800-.Lpost_getpc26735)>>32
	s_setpc_b64 s[14:15]
.LBB2_10462:
	s_or_b64 exec, exec, s[6:7]
	s_and_saveexec_b64 s[6:7], s[4:5]
	s_cbranch_execz .LBB2_10464
.LBB2_10463:
	v_bfe_u32 v3, v4, 24, 3
	v_ffbh_u32_e32 v12, v3
	v_min_u32_e32 v12, 32, v12
	v_lshrrev_b32_e32 v7, 27, v4
	v_subrev_u32_e32 v13, 28, v12
	v_and_b32_e32 v6, 0x80000000, v4
	v_and_b32_e32 v7, 15, v7
	v_bfe_u32 v8, v4, 27, 4
	v_lshlrev_b32_sdwa v4, v13, v4 dst_sel:DWORD dst_unused:UNUSED_PAD src0_sel:DWORD src1_sel:BYTE_3
	v_sub_u32_e32 v12, 29, v12
	v_and_b32_e32 v4, 7, v4
	v_cmp_eq_u16_e32 vcc, 0, v7
	v_cndmask_b32_e32 v3, v3, v4, vcc
	v_cndmask_b32_e32 v4, v8, v12, vcc
	v_mov_b32_e32 v7, 0x3b800000
	v_lshlrev_b32_e32 v3, 20, v3
	v_lshl_add_u32 v4, v4, 23, v7
	v_or3_b32 v3, v6, v4, v3
.LBB2_10464:
	s_or_b64 exec, exec, s[6:7]
	s_nop 0
	v_mfma_f32_16x16x4f32 a[0:3], v2, v3, a[0:3]
	s_movk_i32 s4, 0x7f
	v_cmp_gt_i16_sdwa s[6:7], v9, s4 src0_sel:BYTE_0 src1_sel:DWORD
	s_mov_b64 s[4:5], 0
                                        ; implicit-def: $sgpr10
	s_and_saveexec_b64 s[8:9], s[6:7]
	s_xor_b64 s[6:7], exec, s[8:9]
	s_cbranch_execz .LBB2_10465
; %bb.46305:
	s_getpc_b64 s[14:15]
.Lpost_getpc26736:
	s_add_u32 s14, s14, (.LBB2_24801-.Lpost_getpc26736)&4294967295
	s_addc_u32 s15, s15, (.LBB2_24801-.Lpost_getpc26736)>>32
	s_setpc_b64 s[14:15]
.LBB2_10465:
	s_or_saveexec_b64 s[6:7], s[6:7]
	v_mov_b32_e32 v2, s10
	s_xor_b64 exec, exec, s[6:7]
	s_cbranch_execz .LBB2_10466
; %bb.46307:
	s_getpc_b64 s[14:15]
.Lpost_getpc26737:
	s_add_u32 s14, s14, (.LBB2_24804-.Lpost_getpc26737)&4294967295
	s_addc_u32 s15, s15, (.LBB2_24804-.Lpost_getpc26737)>>32
	s_setpc_b64 s[14:15]
.LBB2_10466:
	s_or_b64 exec, exec, s[6:7]
	s_and_saveexec_b64 s[6:7], s[4:5]
	s_cbranch_execz .LBB2_10468
.LBB2_10467:
	v_mov_b32_e32 v2, 8
	v_and_b32_e32 v3, 7, v9
	v_lshrrev_b32_sdwa v2, v2, v9 dst_sel:BYTE_1 dst_unused:UNUSED_PAD src0_sel:DWORD src1_sel:DWORD
	v_ffbh_u32_e32 v4, v3
	v_or_b32_sdwa v2, v9, v2 dst_sel:DWORD dst_unused:UNUSED_PAD src0_sel:BYTE_0 src1_sel:DWORD
	v_min_u32_e32 v4, 32, v4
	v_lshrrev_b16_e32 v2, 3, v2
	v_subrev_u32_e32 v6, 28, v4
	v_and_b32_e32 v2, 15, v2
	v_lshlrev_b32_e32 v6, v6, v9
	v_sub_u32_e32 v4, 29, v4
	v_and_b32_e32 v6, 7, v6
	v_cmp_eq_u16_e32 vcc, 0, v2
	v_cndmask_b32_e32 v3, v3, v6, vcc
	v_cndmask_b32_e32 v2, v2, v4, vcc
	v_lshlrev_b32_e32 v4, 24, v9
	v_mov_b32_e32 v6, 0x3b800000
	v_lshlrev_b32_e32 v3, 20, v3
	v_and_b32_e32 v4, 0x80000000, v4
	v_lshl_add_u32 v2, v2, 23, v6
	v_or3_b32 v2, v4, v2, v3
.LBB2_10468:
	s_or_b64 exec, exec, s[6:7]
	s_movk_i32 s4, 0x7f
	v_cmp_gt_i16_sdwa s[6:7], v5, s4 src0_sel:BYTE_0 src1_sel:DWORD
	s_mov_b64 s[4:5], 0
                                        ; implicit-def: $sgpr10
	s_and_saveexec_b64 s[8:9], s[6:7]
	s_xor_b64 s[6:7], exec, s[8:9]
	s_cbranch_execz .LBB2_10469
; %bb.46309:
	s_getpc_b64 s[14:15]
.Lpost_getpc26738:
	s_add_u32 s14, s14, (.LBB2_24805-.Lpost_getpc26738)&4294967295
	s_addc_u32 s15, s15, (.LBB2_24805-.Lpost_getpc26738)>>32
	s_setpc_b64 s[14:15]
.LBB2_10469:
	s_or_saveexec_b64 s[6:7], s[6:7]
	v_mov_b32_e32 v3, s10
	s_xor_b64 exec, exec, s[6:7]
	s_cbranch_execz .LBB2_10470
; %bb.46311:
	s_getpc_b64 s[14:15]
.Lpost_getpc26739:
	s_add_u32 s14, s14, (.LBB2_24808-.Lpost_getpc26739)&4294967295
	s_addc_u32 s15, s15, (.LBB2_24808-.Lpost_getpc26739)>>32
	s_setpc_b64 s[14:15]
.LBB2_10470:
	s_or_b64 exec, exec, s[6:7]
	s_and_saveexec_b64 s[6:7], s[4:5]
	s_cbranch_execz .LBB2_10472
.LBB2_10471:
	v_mov_b32_e32 v3, 8
	v_and_b32_e32 v4, 7, v5
	v_lshrrev_b32_sdwa v3, v3, v5 dst_sel:BYTE_1 dst_unused:UNUSED_PAD src0_sel:DWORD src1_sel:DWORD
	v_ffbh_u32_e32 v6, v4
	v_or_b32_sdwa v3, v5, v3 dst_sel:DWORD dst_unused:UNUSED_PAD src0_sel:BYTE_0 src1_sel:DWORD
	v_min_u32_e32 v6, 32, v6
	v_lshrrev_b16_e32 v3, 3, v3
	v_subrev_u32_e32 v7, 28, v6
	v_and_b32_e32 v3, 15, v3
	v_lshlrev_b32_e32 v7, v7, v5
	v_sub_u32_e32 v6, 29, v6
	v_and_b32_e32 v7, 7, v7
	v_cmp_eq_u16_e32 vcc, 0, v3
	v_cndmask_b32_e32 v4, v4, v7, vcc
	v_cndmask_b32_e32 v3, v3, v6, vcc
	v_lshlrev_b32_e32 v6, 24, v5
	v_mov_b32_e32 v7, 0x3b800000
	v_lshlrev_b32_e32 v4, 20, v4
	v_and_b32_e32 v6, 0x80000000, v6
	v_lshl_add_u32 v3, v3, 23, v7
	v_or3_b32 v3, v6, v3, v4
.LBB2_10472:
	s_or_b64 exec, exec, s[6:7]
	s_nop 0
	v_mfma_f32_16x16x4f32 a[0:3], v2, v3, a[0:3]
	v_lshrrev_b32_e32 v3, 8, v9
	s_movk_i32 s4, 0x7f
	v_cmp_gt_i16_sdwa s[6:7], v3, s4 src0_sel:BYTE_0 src1_sel:DWORD
	s_mov_b64 s[4:5], 0
                                        ; implicit-def: $sgpr10
	s_and_saveexec_b64 s[8:9], s[6:7]
	s_xor_b64 s[6:7], exec, s[8:9]
	s_cbranch_execz .LBB2_10473
; %bb.46313:
	s_getpc_b64 s[14:15]
.Lpost_getpc26740:
	s_add_u32 s14, s14, (.LBB2_24809-.Lpost_getpc26740)&4294967295
	s_addc_u32 s15, s15, (.LBB2_24809-.Lpost_getpc26740)>>32
	s_setpc_b64 s[14:15]
.LBB2_10473:
	s_or_saveexec_b64 s[6:7], s[6:7]
	v_mov_b32_e32 v2, s10
	s_xor_b64 exec, exec, s[6:7]
	s_cbranch_execz .LBB2_10474
; %bb.46315:
	s_getpc_b64 s[14:15]
.Lpost_getpc26741:
	s_add_u32 s14, s14, (.LBB2_24812-.Lpost_getpc26741)&4294967295
	s_addc_u32 s15, s15, (.LBB2_24812-.Lpost_getpc26741)>>32
	s_setpc_b64 s[14:15]
.LBB2_10474:
	s_or_b64 exec, exec, s[6:7]
	s_and_saveexec_b64 s[6:7], s[4:5]
	s_cbranch_execz .LBB2_10476
.LBB2_10475:
	v_bfe_u32 v2, v9, 8, 3
	v_ffbh_u32_e32 v6, v2
	v_min_u32_e32 v6, 32, v6
	v_lshrrev_b16_e32 v4, 3, v3
	v_subrev_u32_e32 v7, 28, v6
	v_and_b32_e32 v4, 15, v4
	v_lshlrev_b32_e32 v3, v7, v3
	v_sub_u32_e32 v6, 29, v6
	v_and_b32_e32 v3, 7, v3
	v_cmp_eq_u16_e32 vcc, 0, v4
	v_cndmask_b32_e32 v2, v2, v3, vcc
	v_cndmask_b32_e32 v3, v4, v6, vcc
	v_lshlrev_b32_e32 v4, 16, v9
	v_mov_b32_e32 v6, 0x3b800000
	v_lshlrev_b32_e32 v2, 20, v2
	v_and_b32_e32 v4, 0x80000000, v4
	v_lshl_add_u32 v3, v3, 23, v6
	v_or3_b32 v2, v4, v3, v2
.LBB2_10476:
	s_or_b64 exec, exec, s[6:7]
	v_lshrrev_b32_e32 v3, 8, v5
	s_movk_i32 s4, 0x7f
	v_cmp_gt_i16_sdwa s[6:7], v3, s4 src0_sel:BYTE_0 src1_sel:DWORD
	s_mov_b64 s[4:5], 0
                                        ; implicit-def: $sgpr10
	s_and_saveexec_b64 s[8:9], s[6:7]
	s_xor_b64 s[6:7], exec, s[8:9]
	s_cbranch_execz .LBB2_10477
; %bb.46317:
	s_getpc_b64 s[14:15]
.Lpost_getpc26742:
	s_add_u32 s14, s14, (.LBB2_24813-.Lpost_getpc26742)&4294967295
	s_addc_u32 s15, s15, (.LBB2_24813-.Lpost_getpc26742)>>32
	s_setpc_b64 s[14:15]
.LBB2_10477:
	s_or_saveexec_b64 s[6:7], s[6:7]
	v_mov_b32_e32 v4, s10
	s_xor_b64 exec, exec, s[6:7]
	s_cbranch_execz .LBB2_10478
; %bb.46319:
	s_getpc_b64 s[14:15]
.Lpost_getpc26743:
	s_add_u32 s14, s14, (.LBB2_24816-.Lpost_getpc26743)&4294967295
	s_addc_u32 s15, s15, (.LBB2_24816-.Lpost_getpc26743)>>32
	s_setpc_b64 s[14:15]
.LBB2_10478:
	s_or_b64 exec, exec, s[6:7]
	s_and_saveexec_b64 s[6:7], s[4:5]
	s_cbranch_execz .LBB2_10480
.LBB2_10479:
	v_bfe_u32 v4, v5, 8, 3
	v_ffbh_u32_e32 v7, v4
	v_min_u32_e32 v7, 32, v7
	v_lshrrev_b16_e32 v6, 3, v3
	v_subrev_u32_e32 v8, 28, v7
	v_and_b32_e32 v6, 15, v6
	v_lshlrev_b32_e32 v3, v8, v3
	v_sub_u32_e32 v7, 29, v7
	v_and_b32_e32 v3, 7, v3
	v_cmp_eq_u16_e32 vcc, 0, v6
	v_cndmask_b32_e32 v3, v4, v3, vcc
	v_cndmask_b32_e32 v4, v6, v7, vcc
	v_lshlrev_b32_e32 v6, 16, v5
	v_mov_b32_e32 v7, 0x3b800000
	v_lshlrev_b32_e32 v3, 20, v3
	v_and_b32_e32 v6, 0x80000000, v6
	v_lshl_add_u32 v4, v4, 23, v7
	v_or3_b32 v4, v6, v4, v3
.LBB2_10480:
	s_or_b64 exec, exec, s[6:7]
	s_nop 0
	v_mfma_f32_16x16x4f32 a[0:3], v2, v4, a[0:3]
	s_movk_i32 s4, 0xff
	v_and_b32_sdwa v3, v9, s4 dst_sel:DWORD dst_unused:UNUSED_PAD src0_sel:WORD_1 src1_sel:DWORD
	s_movk_i32 s4, 0x7f
	v_cmp_lt_i16_e32 vcc, s4, v3
	s_mov_b64 s[4:5], 0
                                        ; implicit-def: $sgpr10
	s_and_saveexec_b64 s[6:7], vcc
	s_xor_b64 s[6:7], exec, s[6:7]
	s_cbranch_execz .LBB2_10481
; %bb.46321:
	s_getpc_b64 s[14:15]
.Lpost_getpc26744:
	s_add_u32 s14, s14, (.LBB2_24817-.Lpost_getpc26744)&4294967295
	s_addc_u32 s15, s15, (.LBB2_24817-.Lpost_getpc26744)>>32
	s_setpc_b64 s[14:15]
.LBB2_10481:
	s_or_saveexec_b64 s[6:7], s[6:7]
	v_mov_b32_e32 v2, s10
	s_xor_b64 exec, exec, s[6:7]
	s_cbranch_execz .LBB2_10482
; %bb.46323:
	s_getpc_b64 s[14:15]
.Lpost_getpc26745:
	s_add_u32 s14, s14, (.LBB2_24820-.Lpost_getpc26745)&4294967295
	s_addc_u32 s15, s15, (.LBB2_24820-.Lpost_getpc26745)>>32
	s_setpc_b64 s[14:15]
.LBB2_10482:
	s_or_b64 exec, exec, s[6:7]
	s_and_saveexec_b64 s[6:7], s[4:5]
	s_cbranch_execz .LBB2_10484
.LBB2_10483:
	v_bfe_u32 v2, v9, 16, 3
	v_ffbh_u32_e32 v6, v2
	v_min_u32_e32 v6, 32, v6
	v_lshrrev_b32_e32 v3, 19, v9
	v_subrev_u32_e32 v7, 28, v6
	v_and_b32_e32 v3, 15, v3
	v_lshlrev_b32_sdwa v7, v7, v9 dst_sel:DWORD dst_unused:UNUSED_PAD src0_sel:DWORD src1_sel:WORD_1
	v_bfe_u32 v4, v9, 19, 4
	v_sub_u32_e32 v6, 29, v6
	v_and_b32_e32 v7, 7, v7
	v_cmp_eq_u16_e32 vcc, 0, v3
	v_cndmask_b32_e32 v2, v2, v7, vcc
	v_cndmask_b32_e32 v3, v4, v6, vcc
	v_lshlrev_b32_e32 v4, 8, v9
	v_mov_b32_e32 v6, 0x3b800000
	v_lshlrev_b32_e32 v2, 20, v2
	v_and_b32_e32 v4, 0x80000000, v4
	v_lshl_add_u32 v3, v3, 23, v6
	v_or3_b32 v2, v4, v3, v2
.LBB2_10484:
	s_or_b64 exec, exec, s[6:7]
	s_movk_i32 s4, 0xff
	v_and_b32_sdwa v3, v5, s4 dst_sel:DWORD dst_unused:UNUSED_PAD src0_sel:WORD_1 src1_sel:DWORD
	s_movk_i32 s4, 0x7f
	v_cmp_lt_i16_e32 vcc, s4, v3
	s_mov_b64 s[4:5], 0
                                        ; implicit-def: $sgpr10
	s_and_saveexec_b64 s[6:7], vcc
	s_xor_b64 s[6:7], exec, s[6:7]
	s_cbranch_execz .LBB2_10485
; %bb.46325:
	s_getpc_b64 s[14:15]
.Lpost_getpc26746:
	s_add_u32 s14, s14, (.LBB2_24821-.Lpost_getpc26746)&4294967295
	s_addc_u32 s15, s15, (.LBB2_24821-.Lpost_getpc26746)>>32
	s_setpc_b64 s[14:15]
.LBB2_10485:
	s_or_saveexec_b64 s[6:7], s[6:7]
	v_mov_b32_e32 v4, s10
	s_xor_b64 exec, exec, s[6:7]
	s_cbranch_execz .LBB2_10486
; %bb.46327:
	s_getpc_b64 s[14:15]
.Lpost_getpc26747:
	s_add_u32 s14, s14, (.LBB2_24824-.Lpost_getpc26747)&4294967295
	s_addc_u32 s15, s15, (.LBB2_24824-.Lpost_getpc26747)>>32
	s_setpc_b64 s[14:15]
.LBB2_10486:
	s_or_b64 exec, exec, s[6:7]
	s_and_saveexec_b64 s[6:7], s[4:5]
	s_cbranch_execz .LBB2_10488
.LBB2_10487:
	v_bfe_u32 v3, v5, 16, 3
	v_ffbh_u32_e32 v7, v3
	v_min_u32_e32 v7, 32, v7
	v_lshrrev_b32_e32 v4, 19, v5
	v_subrev_u32_e32 v8, 28, v7
	v_and_b32_e32 v4, 15, v4
	v_lshlrev_b32_sdwa v8, v8, v5 dst_sel:DWORD dst_unused:UNUSED_PAD src0_sel:DWORD src1_sel:WORD_1
	v_bfe_u32 v6, v5, 19, 4
	v_sub_u32_e32 v7, 29, v7
	v_and_b32_e32 v8, 7, v8
	v_cmp_eq_u16_e32 vcc, 0, v4
	v_cndmask_b32_e32 v3, v3, v8, vcc
	v_cndmask_b32_e32 v4, v6, v7, vcc
	v_lshlrev_b32_e32 v6, 8, v5
	v_mov_b32_e32 v7, 0x3b800000
	v_lshlrev_b32_e32 v3, 20, v3
	v_and_b32_e32 v6, 0x80000000, v6
	v_lshl_add_u32 v4, v4, 23, v7
	v_or3_b32 v4, v6, v4, v3
.LBB2_10488:
	s_or_b64 exec, exec, s[6:7]
	s_nop 0
	v_mfma_f32_16x16x4f32 a[0:3], v2, v4, a[0:3]
	s_movk_i32 s4, 0x7f
	v_cmp_gt_i16_sdwa s[6:7], v9, s4 src0_sel:BYTE_3 src1_sel:DWORD
	s_mov_b64 s[4:5], 0
                                        ; implicit-def: $sgpr10
	s_and_saveexec_b64 s[8:9], s[6:7]
	s_xor_b64 s[6:7], exec, s[8:9]
	s_cbranch_execz .LBB2_10489
; %bb.46329:
	s_getpc_b64 s[14:15]
.Lpost_getpc26748:
	s_add_u32 s14, s14, (.LBB2_24825-.Lpost_getpc26748)&4294967295
	s_addc_u32 s15, s15, (.LBB2_24825-.Lpost_getpc26748)>>32
	s_setpc_b64 s[14:15]
.LBB2_10489:
	s_or_saveexec_b64 s[6:7], s[6:7]
	v_mov_b32_e32 v2, s10
	s_xor_b64 exec, exec, s[6:7]
	s_cbranch_execz .LBB2_10490
; %bb.46331:
	s_getpc_b64 s[14:15]
.Lpost_getpc26749:
	s_add_u32 s14, s14, (.LBB2_24828-.Lpost_getpc26749)&4294967295
	s_addc_u32 s15, s15, (.LBB2_24828-.Lpost_getpc26749)>>32
	s_setpc_b64 s[14:15]
.LBB2_10490:
	s_or_b64 exec, exec, s[6:7]
	s_and_saveexec_b64 s[6:7], s[4:5]
	s_cbranch_execz .LBB2_10492
.LBB2_10491:
	v_bfe_u32 v2, v9, 24, 3
	v_ffbh_u32_e32 v7, v2
	v_min_u32_e32 v7, 32, v7
	v_lshrrev_b32_e32 v4, 27, v9
	v_subrev_u32_e32 v8, 28, v7
	v_and_b32_e32 v4, 15, v4
	v_lshlrev_b32_sdwa v8, v8, v9 dst_sel:DWORD dst_unused:UNUSED_PAD src0_sel:DWORD src1_sel:BYTE_3
	v_bfe_u32 v6, v9, 27, 4
	v_sub_u32_e32 v7, 29, v7
	v_and_b32_e32 v8, 7, v8
	v_cmp_eq_u16_e32 vcc, 0, v4
	v_cndmask_b32_e32 v2, v2, v8, vcc
	v_cndmask_b32_e32 v4, v6, v7, vcc
	v_mov_b32_e32 v6, 0x3b800000
	v_and_b32_e32 v3, 0x80000000, v9
	v_lshlrev_b32_e32 v2, 20, v2
	v_lshl_add_u32 v4, v4, 23, v6
	v_or3_b32 v2, v3, v4, v2
.LBB2_10492:
	s_or_b64 exec, exec, s[6:7]
	s_movk_i32 s4, 0x7f
	v_cmp_gt_i16_sdwa s[6:7], v5, s4 src0_sel:BYTE_3 src1_sel:DWORD
	s_mov_b64 s[4:5], 0
                                        ; implicit-def: $sgpr10
	s_and_saveexec_b64 s[8:9], s[6:7]
	s_xor_b64 s[6:7], exec, s[8:9]
	s_cbranch_execz .LBB2_10493
; %bb.46333:
	s_getpc_b64 s[14:15]
.Lpost_getpc26750:
	s_add_u32 s14, s14, (.LBB2_24829-.Lpost_getpc26750)&4294967295
	s_addc_u32 s15, s15, (.LBB2_24829-.Lpost_getpc26750)>>32
	s_setpc_b64 s[14:15]
.LBB2_10493:
	s_or_saveexec_b64 s[6:7], s[6:7]
	v_mov_b32_e32 v3, s10
	s_xor_b64 exec, exec, s[6:7]
	s_cbranch_execz .LBB2_10494
; %bb.46335:
	s_getpc_b64 s[14:15]
.Lpost_getpc26751:
	s_add_u32 s14, s14, (.LBB2_24832-.Lpost_getpc26751)&4294967295
	s_addc_u32 s15, s15, (.LBB2_24832-.Lpost_getpc26751)>>32
	s_setpc_b64 s[14:15]
.LBB2_10494:
	s_or_b64 exec, exec, s[6:7]
	s_and_saveexec_b64 s[6:7], s[4:5]
	s_cbranch_execz .LBB2_10496
.LBB2_10495:
	v_bfe_u32 v3, v5, 24, 3
	v_ffbh_u32_e32 v8, v3
	v_min_u32_e32 v8, 32, v8
	v_lshrrev_b32_e32 v6, 27, v5
	v_subrev_u32_e32 v9, 28, v8
	v_and_b32_e32 v4, 0x80000000, v5
	v_and_b32_e32 v6, 15, v6
	v_bfe_u32 v7, v5, 27, 4
	v_lshlrev_b32_sdwa v5, v9, v5 dst_sel:DWORD dst_unused:UNUSED_PAD src0_sel:DWORD src1_sel:BYTE_3
	v_sub_u32_e32 v8, 29, v8
	v_and_b32_e32 v5, 7, v5
	v_cmp_eq_u16_e32 vcc, 0, v6
	v_cndmask_b32_e32 v3, v3, v5, vcc
	v_cndmask_b32_e32 v5, v7, v8, vcc
	v_mov_b32_e32 v6, 0x3b800000
	v_lshlrev_b32_e32 v3, 20, v3
	v_lshl_add_u32 v5, v5, 23, v6
	v_or3_b32 v3, v4, v5, v3
.LBB2_10496:
	s_or_b64 exec, exec, s[6:7]
	s_nop 0
	v_mfma_f32_16x16x4f32 a[0:3], v2, v3, a[0:3]
	s_movk_i32 s4, 0x7f
                                        ; implicit-def: $sgpr10
	s_nop 7
	s_nop 1
	flat_store_dwordx4 v[10:11], a[0:3] offset:400
	flat_load_dwordx4 v[12:15], v[0:1]
	s_nop 0
	flat_load_dwordx2 v[10:11], v[0:1] offset:16
	s_waitcnt vmcnt(0) lgkmcnt(0)
	flat_load_dwordx4 v[6:9], v[12:13] offset:160
	flat_load_dwordx4 v[2:5], v[14:15] offset:160
	s_waitcnt vmcnt(0) lgkmcnt(0)
	v_cmp_gt_i16_sdwa s[6:7], v6, s4 src0_sel:BYTE_0 src1_sel:DWORD
	s_mov_b64 s[4:5], 0
	s_and_saveexec_b64 s[8:9], s[6:7]
	s_xor_b64 s[6:7], exec, s[8:9]
	s_cbranch_execz .LBB2_10497
; %bb.46337:
	s_getpc_b64 s[14:15]
.Lpost_getpc26752:
	s_add_u32 s14, s14, (.LBB2_24833-.Lpost_getpc26752)&4294967295
	s_addc_u32 s15, s15, (.LBB2_24833-.Lpost_getpc26752)>>32
	s_setpc_b64 s[14:15]
.LBB2_10497:
	s_or_saveexec_b64 s[6:7], s[6:7]
	v_mov_b32_e32 v12, s10
	s_xor_b64 exec, exec, s[6:7]
	s_cbranch_execz .LBB2_10498
; %bb.46339:
	s_getpc_b64 s[14:15]
.Lpost_getpc26753:
	s_add_u32 s14, s14, (.LBB2_24836-.Lpost_getpc26753)&4294967295
	s_addc_u32 s15, s15, (.LBB2_24836-.Lpost_getpc26753)>>32
	s_setpc_b64 s[14:15]
.LBB2_10498:
	s_or_b64 exec, exec, s[6:7]
	s_and_saveexec_b64 s[6:7], s[4:5]
	s_cbranch_execz .LBB2_10500
.LBB2_10499:
	v_and_b32_e32 v12, 7, v6
	v_ffbh_u32_e32 v14, v12
	v_min_u32_e32 v14, 32, v14
	v_lshrrev_b16_e32 v13, 3, v6
	v_subrev_u32_e32 v15, 28, v14
	v_and_b32_e32 v13, 15, v13
	v_lshlrev_b32_e32 v15, v15, v6
	v_sub_u32_e32 v14, 29, v14
	v_and_b32_e32 v15, 7, v15
	v_cmp_eq_u16_e32 vcc, 0, v13
	v_cndmask_b32_e32 v12, v12, v15, vcc
	v_cndmask_b32_e32 v13, v13, v14, vcc
	v_lshlrev_b32_e32 v14, 24, v6
	v_mov_b32_e32 v15, 0x3b800000
	v_lshlrev_b32_e32 v12, 20, v12
	v_and_b32_e32 v14, 0x80000000, v14
	v_lshl_add_u32 v13, v13, 23, v15
	v_or3_b32 v12, v14, v13, v12
.LBB2_10500:
	s_or_b64 exec, exec, s[6:7]
	s_movk_i32 s4, 0x7f
	v_cmp_gt_i16_sdwa s[6:7], v2, s4 src0_sel:BYTE_0 src1_sel:DWORD
	s_mov_b64 s[4:5], 0
                                        ; implicit-def: $sgpr10
	s_and_saveexec_b64 s[8:9], s[6:7]
	s_xor_b64 s[6:7], exec, s[8:9]
	s_cbranch_execz .LBB2_10501
; %bb.46341:
	s_getpc_b64 s[14:15]
.Lpost_getpc26754:
	s_add_u32 s14, s14, (.LBB2_24837-.Lpost_getpc26754)&4294967295
	s_addc_u32 s15, s15, (.LBB2_24837-.Lpost_getpc26754)>>32
	s_setpc_b64 s[14:15]
.LBB2_10501:
	s_or_saveexec_b64 s[6:7], s[6:7]
	v_mov_b32_e32 v13, s10
	s_xor_b64 exec, exec, s[6:7]
	s_cbranch_execz .LBB2_10502
; %bb.46343:
	s_getpc_b64 s[14:15]
.Lpost_getpc26755:
	s_add_u32 s14, s14, (.LBB2_24840-.Lpost_getpc26755)&4294967295
	s_addc_u32 s15, s15, (.LBB2_24840-.Lpost_getpc26755)>>32
	s_setpc_b64 s[14:15]
.LBB2_10502:
	s_or_b64 exec, exec, s[6:7]
	s_and_saveexec_b64 s[6:7], s[4:5]
	s_cbranch_execz .LBB2_10504
.LBB2_10503:
	v_and_b32_e32 v13, 7, v2
	v_ffbh_u32_e32 v15, v13
	v_min_u32_e32 v15, 32, v15
	v_lshrrev_b16_e32 v14, 3, v2
	v_subrev_u32_e32 v16, 28, v15
	v_and_b32_e32 v14, 15, v14
	v_lshlrev_b32_e32 v16, v16, v2
	v_sub_u32_e32 v15, 29, v15
	v_and_b32_e32 v16, 7, v16
	v_cmp_eq_u16_e32 vcc, 0, v14
	v_cndmask_b32_e32 v13, v13, v16, vcc
	v_cndmask_b32_e32 v14, v14, v15, vcc
	v_lshlrev_b32_e32 v15, 24, v2
	v_mov_b32_e32 v16, 0x3b800000
	v_lshlrev_b32_e32 v13, 20, v13
	v_and_b32_e32 v15, 0x80000000, v15
	v_lshl_add_u32 v14, v14, 23, v16
	v_or3_b32 v13, v15, v14, v13
.LBB2_10504:
	s_or_b64 exec, exec, s[6:7]
	flat_load_dwordx4 a[0:3], v[10:11] offset:416
	s_movk_i32 s4, 0x7f
                                        ; implicit-def: $sgpr10
	s_waitcnt vmcnt(0) lgkmcnt(0)
	v_mfma_f32_16x16x4f32 a[0:3], v12, v13, a[0:3]
	v_lshrrev_b32_e32 v13, 8, v6
	v_cmp_gt_i16_sdwa s[6:7], v13, s4 src0_sel:BYTE_0 src1_sel:DWORD
	s_mov_b64 s[4:5], 0
	s_and_saveexec_b64 s[8:9], s[6:7]
	s_xor_b64 s[6:7], exec, s[8:9]
	s_cbranch_execz .LBB2_10505
; %bb.46345:
	s_getpc_b64 s[14:15]
.Lpost_getpc26756:
	s_add_u32 s14, s14, (.LBB2_24841-.Lpost_getpc26756)&4294967295
	s_addc_u32 s15, s15, (.LBB2_24841-.Lpost_getpc26756)>>32
	s_setpc_b64 s[14:15]
.LBB2_10505:
	s_or_saveexec_b64 s[6:7], s[6:7]
	v_mov_b32_e32 v12, s10
	s_xor_b64 exec, exec, s[6:7]
	s_cbranch_execz .LBB2_10506
; %bb.46347:
	s_getpc_b64 s[14:15]
.Lpost_getpc26757:
	s_add_u32 s14, s14, (.LBB2_24844-.Lpost_getpc26757)&4294967295
	s_addc_u32 s15, s15, (.LBB2_24844-.Lpost_getpc26757)>>32
	s_setpc_b64 s[14:15]
.LBB2_10506:
	s_or_b64 exec, exec, s[6:7]
	s_and_saveexec_b64 s[6:7], s[4:5]
	s_cbranch_execz .LBB2_10508
.LBB2_10507:
	v_bfe_u32 v12, v6, 8, 3
	v_ffbh_u32_e32 v15, v12
	v_min_u32_e32 v15, 32, v15
	v_lshrrev_b16_e32 v14, 3, v13
	v_subrev_u32_e32 v16, 28, v15
	v_and_b32_e32 v14, 15, v14
	v_lshlrev_b32_e32 v13, v16, v13
	v_sub_u32_e32 v15, 29, v15
	v_and_b32_e32 v13, 7, v13
	v_cmp_eq_u16_e32 vcc, 0, v14
	v_cndmask_b32_e32 v12, v12, v13, vcc
	v_cndmask_b32_e32 v13, v14, v15, vcc
	v_lshlrev_b32_e32 v14, 16, v6
	v_mov_b32_e32 v15, 0x3b800000
	v_lshlrev_b32_e32 v12, 20, v12
	v_and_b32_e32 v14, 0x80000000, v14
	v_lshl_add_u32 v13, v13, 23, v15
	v_or3_b32 v12, v14, v13, v12
.LBB2_10508:
	s_or_b64 exec, exec, s[6:7]
	v_lshrrev_b32_e32 v13, 8, v2
	s_movk_i32 s4, 0x7f
	v_cmp_gt_i16_sdwa s[6:7], v13, s4 src0_sel:BYTE_0 src1_sel:DWORD
	s_mov_b64 s[4:5], 0
                                        ; implicit-def: $sgpr10
	s_and_saveexec_b64 s[8:9], s[6:7]
	s_xor_b64 s[6:7], exec, s[8:9]
	s_cbranch_execz .LBB2_10509
; %bb.46349:
	s_getpc_b64 s[14:15]
.Lpost_getpc26758:
	s_add_u32 s14, s14, (.LBB2_24845-.Lpost_getpc26758)&4294967295
	s_addc_u32 s15, s15, (.LBB2_24845-.Lpost_getpc26758)>>32
	s_setpc_b64 s[14:15]
.LBB2_10509:
	s_or_saveexec_b64 s[6:7], s[6:7]
	v_mov_b32_e32 v14, s10
	s_xor_b64 exec, exec, s[6:7]
	s_cbranch_execz .LBB2_10510
; %bb.46351:
	s_getpc_b64 s[14:15]
.Lpost_getpc26759:
	s_add_u32 s14, s14, (.LBB2_24848-.Lpost_getpc26759)&4294967295
	s_addc_u32 s15, s15, (.LBB2_24848-.Lpost_getpc26759)>>32
	s_setpc_b64 s[14:15]
.LBB2_10510:
	s_or_b64 exec, exec, s[6:7]
	s_and_saveexec_b64 s[6:7], s[4:5]
	s_cbranch_execz .LBB2_10512
.LBB2_10511:
	v_bfe_u32 v14, v2, 8, 3
	v_ffbh_u32_e32 v16, v14
	v_min_u32_e32 v16, 32, v16
	v_lshrrev_b16_e32 v15, 3, v13
	v_subrev_u32_e32 v17, 28, v16
	v_and_b32_e32 v15, 15, v15
	v_lshlrev_b32_e32 v13, v17, v13
	v_sub_u32_e32 v16, 29, v16
	v_and_b32_e32 v13, 7, v13
	v_cmp_eq_u16_e32 vcc, 0, v15
	v_cndmask_b32_e32 v13, v14, v13, vcc
	v_cndmask_b32_e32 v14, v15, v16, vcc
	v_lshlrev_b32_e32 v15, 16, v2
	v_mov_b32_e32 v16, 0x3b800000
	v_lshlrev_b32_e32 v13, 20, v13
	v_and_b32_e32 v15, 0x80000000, v15
	v_lshl_add_u32 v14, v14, 23, v16
	v_or3_b32 v14, v15, v14, v13
.LBB2_10512:
	s_or_b64 exec, exec, s[6:7]
	s_nop 0
	v_mfma_f32_16x16x4f32 a[0:3], v12, v14, a[0:3]
	s_movk_i32 s4, 0xff
	v_and_b32_sdwa v13, v6, s4 dst_sel:DWORD dst_unused:UNUSED_PAD src0_sel:WORD_1 src1_sel:DWORD
	s_movk_i32 s4, 0x7f
	v_cmp_lt_i16_e32 vcc, s4, v13
	s_mov_b64 s[4:5], 0
                                        ; implicit-def: $sgpr10
	s_and_saveexec_b64 s[6:7], vcc
	s_xor_b64 s[6:7], exec, s[6:7]
	s_cbranch_execz .LBB2_10513
; %bb.46353:
	s_getpc_b64 s[14:15]
.Lpost_getpc26760:
	s_add_u32 s14, s14, (.LBB2_24849-.Lpost_getpc26760)&4294967295
	s_addc_u32 s15, s15, (.LBB2_24849-.Lpost_getpc26760)>>32
	s_setpc_b64 s[14:15]
.LBB2_10513:
	s_or_saveexec_b64 s[6:7], s[6:7]
	v_mov_b32_e32 v12, s10
	s_xor_b64 exec, exec, s[6:7]
	s_cbranch_execz .LBB2_10514
; %bb.46355:
	s_getpc_b64 s[14:15]
.Lpost_getpc26761:
	s_add_u32 s14, s14, (.LBB2_24852-.Lpost_getpc26761)&4294967295
	s_addc_u32 s15, s15, (.LBB2_24852-.Lpost_getpc26761)>>32
	s_setpc_b64 s[14:15]
.LBB2_10514:
	s_or_b64 exec, exec, s[6:7]
	s_and_saveexec_b64 s[6:7], s[4:5]
	s_cbranch_execz .LBB2_10516
.LBB2_10515:
	v_bfe_u32 v12, v6, 16, 3
	v_ffbh_u32_e32 v15, v12
	v_min_u32_e32 v15, 32, v15
	v_lshrrev_b32_e32 v13, 19, v6
	v_subrev_u32_e32 v16, 28, v15
	v_and_b32_e32 v13, 15, v13
	v_lshlrev_b32_sdwa v16, v16, v6 dst_sel:DWORD dst_unused:UNUSED_PAD src0_sel:DWORD src1_sel:WORD_1
	v_bfe_u32 v14, v6, 19, 4
	v_sub_u32_e32 v15, 29, v15
	v_and_b32_e32 v16, 7, v16
	v_cmp_eq_u16_e32 vcc, 0, v13
	v_cndmask_b32_e32 v12, v12, v16, vcc
	v_cndmask_b32_e32 v13, v14, v15, vcc
	v_lshlrev_b32_e32 v14, 8, v6
	v_mov_b32_e32 v15, 0x3b800000
	v_lshlrev_b32_e32 v12, 20, v12
	v_and_b32_e32 v14, 0x80000000, v14
	v_lshl_add_u32 v13, v13, 23, v15
	v_or3_b32 v12, v14, v13, v12
.LBB2_10516:
	s_or_b64 exec, exec, s[6:7]
	s_movk_i32 s4, 0xff
	v_and_b32_sdwa v13, v2, s4 dst_sel:DWORD dst_unused:UNUSED_PAD src0_sel:WORD_1 src1_sel:DWORD
	s_movk_i32 s4, 0x7f
	v_cmp_lt_i16_e32 vcc, s4, v13
	s_mov_b64 s[4:5], 0
                                        ; implicit-def: $sgpr10
	s_and_saveexec_b64 s[6:7], vcc
	s_xor_b64 s[6:7], exec, s[6:7]
	s_cbranch_execz .LBB2_10517
; %bb.46357:
	s_getpc_b64 s[14:15]
.Lpost_getpc26762:
	s_add_u32 s14, s14, (.LBB2_24853-.Lpost_getpc26762)&4294967295
	s_addc_u32 s15, s15, (.LBB2_24853-.Lpost_getpc26762)>>32
	s_setpc_b64 s[14:15]
.LBB2_10517:
	s_or_saveexec_b64 s[6:7], s[6:7]
	v_mov_b32_e32 v14, s10
	s_xor_b64 exec, exec, s[6:7]
	s_cbranch_execz .LBB2_10518
; %bb.46359:
	s_getpc_b64 s[14:15]
.Lpost_getpc26763:
	s_add_u32 s14, s14, (.LBB2_24856-.Lpost_getpc26763)&4294967295
	s_addc_u32 s15, s15, (.LBB2_24856-.Lpost_getpc26763)>>32
	s_setpc_b64 s[14:15]
.LBB2_10518:
	s_or_b64 exec, exec, s[6:7]
	s_and_saveexec_b64 s[6:7], s[4:5]
	s_cbranch_execz .LBB2_10520
.LBB2_10519:
	v_bfe_u32 v13, v2, 16, 3
	v_ffbh_u32_e32 v16, v13
	v_min_u32_e32 v16, 32, v16
	v_lshrrev_b32_e32 v14, 19, v2
	v_subrev_u32_e32 v17, 28, v16
	v_and_b32_e32 v14, 15, v14
	v_lshlrev_b32_sdwa v17, v17, v2 dst_sel:DWORD dst_unused:UNUSED_PAD src0_sel:DWORD src1_sel:WORD_1
	v_bfe_u32 v15, v2, 19, 4
	v_sub_u32_e32 v16, 29, v16
	v_and_b32_e32 v17, 7, v17
	v_cmp_eq_u16_e32 vcc, 0, v14
	v_cndmask_b32_e32 v13, v13, v17, vcc
	v_cndmask_b32_e32 v14, v15, v16, vcc
	v_lshlrev_b32_e32 v15, 8, v2
	v_mov_b32_e32 v16, 0x3b800000
	v_lshlrev_b32_e32 v13, 20, v13
	v_and_b32_e32 v15, 0x80000000, v15
	v_lshl_add_u32 v14, v14, 23, v16
	v_or3_b32 v14, v15, v14, v13
.LBB2_10520:
	s_or_b64 exec, exec, s[6:7]
	s_nop 0
	v_mfma_f32_16x16x4f32 a[0:3], v12, v14, a[0:3]
	s_movk_i32 s4, 0x7f
	v_cmp_gt_i16_sdwa s[6:7], v6, s4 src0_sel:BYTE_3 src1_sel:DWORD
	s_mov_b64 s[4:5], 0
                                        ; implicit-def: $sgpr10
	s_and_saveexec_b64 s[8:9], s[6:7]
	s_xor_b64 s[6:7], exec, s[8:9]
	s_cbranch_execz .LBB2_10521
; %bb.46361:
	s_getpc_b64 s[14:15]
.Lpost_getpc26764:
	s_add_u32 s14, s14, (.LBB2_24857-.Lpost_getpc26764)&4294967295
	s_addc_u32 s15, s15, (.LBB2_24857-.Lpost_getpc26764)>>32
	s_setpc_b64 s[14:15]
.LBB2_10521:
	s_or_saveexec_b64 s[6:7], s[6:7]
	v_mov_b32_e32 v12, s10
	s_xor_b64 exec, exec, s[6:7]
	s_cbranch_execz .LBB2_10522
; %bb.46363:
	s_getpc_b64 s[14:15]
.Lpost_getpc26765:
	s_add_u32 s14, s14, (.LBB2_24860-.Lpost_getpc26765)&4294967295
	s_addc_u32 s15, s15, (.LBB2_24860-.Lpost_getpc26765)>>32
	s_setpc_b64 s[14:15]
.LBB2_10522:
	s_or_b64 exec, exec, s[6:7]
	s_and_saveexec_b64 s[6:7], s[4:5]
	s_cbranch_execz .LBB2_10524
.LBB2_10523:
	v_bfe_u32 v12, v6, 24, 3
	v_ffbh_u32_e32 v16, v12
	v_min_u32_e32 v16, 32, v16
	v_lshrrev_b32_e32 v14, 27, v6
	v_subrev_u32_e32 v17, 28, v16
	v_and_b32_e32 v13, 0x80000000, v6
	v_and_b32_e32 v14, 15, v14
	v_bfe_u32 v15, v6, 27, 4
	v_lshlrev_b32_sdwa v6, v17, v6 dst_sel:DWORD dst_unused:UNUSED_PAD src0_sel:DWORD src1_sel:BYTE_3
	v_sub_u32_e32 v16, 29, v16
	v_and_b32_e32 v6, 7, v6
	v_cmp_eq_u16_e32 vcc, 0, v14
	v_cndmask_b32_e32 v6, v12, v6, vcc
	v_cndmask_b32_e32 v12, v15, v16, vcc
	v_mov_b32_e32 v14, 0x3b800000
	v_lshlrev_b32_e32 v6, 20, v6
	v_lshl_add_u32 v12, v12, 23, v14
	v_or3_b32 v12, v13, v12, v6
.LBB2_10524:
	s_or_b64 exec, exec, s[6:7]
	s_movk_i32 s4, 0x7f
	v_cmp_gt_i16_sdwa s[6:7], v2, s4 src0_sel:BYTE_3 src1_sel:DWORD
	s_mov_b64 s[4:5], 0
                                        ; implicit-def: $sgpr10
	s_and_saveexec_b64 s[8:9], s[6:7]
	s_xor_b64 s[6:7], exec, s[8:9]
	s_cbranch_execz .LBB2_10525
; %bb.46365:
	s_getpc_b64 s[14:15]
.Lpost_getpc26766:
	s_add_u32 s14, s14, (.LBB2_24861-.Lpost_getpc26766)&4294967295
	s_addc_u32 s15, s15, (.LBB2_24861-.Lpost_getpc26766)>>32
	s_setpc_b64 s[14:15]
.LBB2_10525:
	s_or_saveexec_b64 s[6:7], s[6:7]
	v_mov_b32_e32 v6, s10
	s_xor_b64 exec, exec, s[6:7]
	s_cbranch_execz .LBB2_10526
; %bb.46367:
	s_getpc_b64 s[14:15]
.Lpost_getpc26767:
	s_add_u32 s14, s14, (.LBB2_24864-.Lpost_getpc26767)&4294967295
	s_addc_u32 s15, s15, (.LBB2_24864-.Lpost_getpc26767)>>32
	s_setpc_b64 s[14:15]
.LBB2_10526:
	s_or_b64 exec, exec, s[6:7]
	s_and_saveexec_b64 s[6:7], s[4:5]
	s_cbranch_execz .LBB2_10528
.LBB2_10527:
	v_bfe_u32 v6, v2, 24, 3
	v_ffbh_u32_e32 v16, v6
	v_min_u32_e32 v16, 32, v16
	v_lshrrev_b32_e32 v14, 27, v2
	v_subrev_u32_e32 v17, 28, v16
	v_and_b32_e32 v13, 0x80000000, v2
	v_and_b32_e32 v14, 15, v14
	v_bfe_u32 v15, v2, 27, 4
	v_lshlrev_b32_sdwa v2, v17, v2 dst_sel:DWORD dst_unused:UNUSED_PAD src0_sel:DWORD src1_sel:BYTE_3
	v_sub_u32_e32 v16, 29, v16
	v_and_b32_e32 v2, 7, v2
	v_cmp_eq_u16_e32 vcc, 0, v14
	v_cndmask_b32_e32 v2, v6, v2, vcc
	v_cndmask_b32_e32 v6, v15, v16, vcc
	v_mov_b32_e32 v14, 0x3b800000
	v_lshlrev_b32_e32 v2, 20, v2
	v_lshl_add_u32 v6, v6, 23, v14
	v_or3_b32 v6, v13, v6, v2
.LBB2_10528:
	s_or_b64 exec, exec, s[6:7]
	s_nop 0
	v_mfma_f32_16x16x4f32 a[0:3], v12, v6, a[0:3]
	s_movk_i32 s4, 0x7f
	v_cmp_gt_i16_sdwa s[6:7], v7, s4 src0_sel:BYTE_0 src1_sel:DWORD
	s_mov_b64 s[4:5], 0
                                        ; implicit-def: $sgpr10
	s_and_saveexec_b64 s[8:9], s[6:7]
	s_xor_b64 s[6:7], exec, s[8:9]
	s_cbranch_execz .LBB2_10529
; %bb.46369:
	s_getpc_b64 s[14:15]
.Lpost_getpc26768:
	s_add_u32 s14, s14, (.LBB2_24865-.Lpost_getpc26768)&4294967295
	s_addc_u32 s15, s15, (.LBB2_24865-.Lpost_getpc26768)>>32
	s_setpc_b64 s[14:15]
.LBB2_10529:
	s_or_saveexec_b64 s[6:7], s[6:7]
	v_mov_b32_e32 v2, s10
	s_xor_b64 exec, exec, s[6:7]
	s_cbranch_execz .LBB2_10530
; %bb.46371:
	s_getpc_b64 s[14:15]
.Lpost_getpc26769:
	s_add_u32 s14, s14, (.LBB2_24868-.Lpost_getpc26769)&4294967295
	s_addc_u32 s15, s15, (.LBB2_24868-.Lpost_getpc26769)>>32
	s_setpc_b64 s[14:15]
.LBB2_10530:
	s_or_b64 exec, exec, s[6:7]
	s_and_saveexec_b64 s[6:7], s[4:5]
	s_cbranch_execz .LBB2_10532
.LBB2_10531:
	v_and_b32_e32 v2, 7, v7
	v_ffbh_u32_e32 v12, v2
	v_min_u32_e32 v12, 32, v12
	v_lshrrev_b16_e32 v6, 3, v7
	v_subrev_u32_e32 v13, 28, v12
	v_and_b32_e32 v6, 15, v6
	v_lshlrev_b32_e32 v13, v13, v7
	v_sub_u32_e32 v12, 29, v12
	v_and_b32_e32 v13, 7, v13
	v_cmp_eq_u16_e32 vcc, 0, v6
	v_cndmask_b32_e32 v2, v2, v13, vcc
	v_cndmask_b32_e32 v6, v6, v12, vcc
	v_lshlrev_b32_e32 v12, 24, v7
	v_mov_b32_e32 v13, 0x3b800000
	v_lshlrev_b32_e32 v2, 20, v2
	v_and_b32_e32 v12, 0x80000000, v12
	v_lshl_add_u32 v6, v6, 23, v13
	v_or3_b32 v2, v12, v6, v2
.LBB2_10532:
	s_or_b64 exec, exec, s[6:7]
	s_movk_i32 s4, 0x7f
	v_cmp_gt_i16_sdwa s[6:7], v3, s4 src0_sel:BYTE_0 src1_sel:DWORD
	s_mov_b64 s[4:5], 0
                                        ; implicit-def: $sgpr10
	s_and_saveexec_b64 s[8:9], s[6:7]
	s_xor_b64 s[6:7], exec, s[8:9]
	s_cbranch_execz .LBB2_10533
; %bb.46373:
	s_getpc_b64 s[14:15]
.Lpost_getpc26770:
	s_add_u32 s14, s14, (.LBB2_24869-.Lpost_getpc26770)&4294967295
	s_addc_u32 s15, s15, (.LBB2_24869-.Lpost_getpc26770)>>32
	s_setpc_b64 s[14:15]
.LBB2_10533:
	s_or_saveexec_b64 s[6:7], s[6:7]
	v_mov_b32_e32 v6, s10
	s_xor_b64 exec, exec, s[6:7]
	s_cbranch_execz .LBB2_10534
; %bb.46375:
	s_getpc_b64 s[14:15]
.Lpost_getpc26771:
	s_add_u32 s14, s14, (.LBB2_24872-.Lpost_getpc26771)&4294967295
	s_addc_u32 s15, s15, (.LBB2_24872-.Lpost_getpc26771)>>32
	s_setpc_b64 s[14:15]
.LBB2_10534:
	s_or_b64 exec, exec, s[6:7]
	s_and_saveexec_b64 s[6:7], s[4:5]
	s_cbranch_execz .LBB2_10536
.LBB2_10535:
	v_and_b32_e32 v6, 7, v3
	v_ffbh_u32_e32 v13, v6
	v_min_u32_e32 v13, 32, v13
	v_lshrrev_b16_e32 v12, 3, v3
	v_subrev_u32_e32 v14, 28, v13
	v_and_b32_e32 v12, 15, v12
	v_lshlrev_b32_e32 v14, v14, v3
	v_sub_u32_e32 v13, 29, v13
	v_and_b32_e32 v14, 7, v14
	v_cmp_eq_u16_e32 vcc, 0, v12
	v_cndmask_b32_e32 v6, v6, v14, vcc
	v_cndmask_b32_e32 v12, v12, v13, vcc
	v_lshlrev_b32_e32 v13, 24, v3
	v_mov_b32_e32 v14, 0x3b800000
	v_lshlrev_b32_e32 v6, 20, v6
	v_and_b32_e32 v13, 0x80000000, v13
	v_lshl_add_u32 v12, v12, 23, v14
	v_or3_b32 v6, v13, v12, v6
.LBB2_10536:
	s_or_b64 exec, exec, s[6:7]
	s_nop 0
	v_mfma_f32_16x16x4f32 a[0:3], v2, v6, a[0:3]
	v_lshrrev_b32_e32 v6, 8, v7
	s_movk_i32 s4, 0x7f
	v_cmp_gt_i16_sdwa s[6:7], v6, s4 src0_sel:BYTE_0 src1_sel:DWORD
	s_mov_b64 s[4:5], 0
                                        ; implicit-def: $sgpr10
	s_and_saveexec_b64 s[8:9], s[6:7]
	s_xor_b64 s[6:7], exec, s[8:9]
	s_cbranch_execz .LBB2_10537
; %bb.46377:
	s_getpc_b64 s[14:15]
.Lpost_getpc26772:
	s_add_u32 s14, s14, (.LBB2_24873-.Lpost_getpc26772)&4294967295
	s_addc_u32 s15, s15, (.LBB2_24873-.Lpost_getpc26772)>>32
	s_setpc_b64 s[14:15]
.LBB2_10537:
	s_or_saveexec_b64 s[6:7], s[6:7]
	v_mov_b32_e32 v2, s10
	s_xor_b64 exec, exec, s[6:7]
	s_cbranch_execz .LBB2_10538
; %bb.46379:
	s_getpc_b64 s[14:15]
.Lpost_getpc26773:
	s_add_u32 s14, s14, (.LBB2_24876-.Lpost_getpc26773)&4294967295
	s_addc_u32 s15, s15, (.LBB2_24876-.Lpost_getpc26773)>>32
	s_setpc_b64 s[14:15]
.LBB2_10538:
	s_or_b64 exec, exec, s[6:7]
	s_and_saveexec_b64 s[6:7], s[4:5]
	s_cbranch_execz .LBB2_10540
.LBB2_10539:
	v_bfe_u32 v2, v7, 8, 3
	v_ffbh_u32_e32 v13, v2
	v_min_u32_e32 v13, 32, v13
	v_lshrrev_b16_e32 v12, 3, v6
	v_subrev_u32_e32 v14, 28, v13
	v_and_b32_e32 v12, 15, v12
	v_lshlrev_b32_e32 v6, v14, v6
	v_sub_u32_e32 v13, 29, v13
	v_and_b32_e32 v6, 7, v6
	v_cmp_eq_u16_e32 vcc, 0, v12
	v_cndmask_b32_e32 v2, v2, v6, vcc
	v_cndmask_b32_e32 v6, v12, v13, vcc
	v_lshlrev_b32_e32 v12, 16, v7
	v_mov_b32_e32 v13, 0x3b800000
	v_lshlrev_b32_e32 v2, 20, v2
	v_and_b32_e32 v12, 0x80000000, v12
	v_lshl_add_u32 v6, v6, 23, v13
	v_or3_b32 v2, v12, v6, v2
.LBB2_10540:
	s_or_b64 exec, exec, s[6:7]
	v_lshrrev_b32_e32 v6, 8, v3
	s_movk_i32 s4, 0x7f
	v_cmp_gt_i16_sdwa s[6:7], v6, s4 src0_sel:BYTE_0 src1_sel:DWORD
	s_mov_b64 s[4:5], 0
                                        ; implicit-def: $sgpr10
	s_and_saveexec_b64 s[8:9], s[6:7]
	s_xor_b64 s[6:7], exec, s[8:9]
	s_cbranch_execz .LBB2_10541
; %bb.46381:
	s_getpc_b64 s[14:15]
.Lpost_getpc26774:
	s_add_u32 s14, s14, (.LBB2_24877-.Lpost_getpc26774)&4294967295
	s_addc_u32 s15, s15, (.LBB2_24877-.Lpost_getpc26774)>>32
	s_setpc_b64 s[14:15]
.LBB2_10541:
	s_or_saveexec_b64 s[6:7], s[6:7]
	v_mov_b32_e32 v12, s10
	s_xor_b64 exec, exec, s[6:7]
	s_cbranch_execz .LBB2_10542
; %bb.46383:
	s_getpc_b64 s[14:15]
.Lpost_getpc26775:
	s_add_u32 s14, s14, (.LBB2_24880-.Lpost_getpc26775)&4294967295
	s_addc_u32 s15, s15, (.LBB2_24880-.Lpost_getpc26775)>>32
	s_setpc_b64 s[14:15]
.LBB2_10542:
	s_or_b64 exec, exec, s[6:7]
	s_and_saveexec_b64 s[6:7], s[4:5]
	s_cbranch_execz .LBB2_10544
.LBB2_10543:
	v_bfe_u32 v12, v3, 8, 3
	v_ffbh_u32_e32 v14, v12
	v_min_u32_e32 v14, 32, v14
	v_lshrrev_b16_e32 v13, 3, v6
	v_subrev_u32_e32 v15, 28, v14
	v_and_b32_e32 v13, 15, v13
	v_lshlrev_b32_e32 v6, v15, v6
	v_sub_u32_e32 v14, 29, v14
	v_and_b32_e32 v6, 7, v6
	v_cmp_eq_u16_e32 vcc, 0, v13
	v_cndmask_b32_e32 v6, v12, v6, vcc
	v_cndmask_b32_e32 v12, v13, v14, vcc
	v_lshlrev_b32_e32 v13, 16, v3
	v_mov_b32_e32 v14, 0x3b800000
	v_lshlrev_b32_e32 v6, 20, v6
	v_and_b32_e32 v13, 0x80000000, v13
	v_lshl_add_u32 v12, v12, 23, v14
	v_or3_b32 v12, v13, v12, v6
.LBB2_10544:
	s_or_b64 exec, exec, s[6:7]
	s_nop 0
	v_mfma_f32_16x16x4f32 a[0:3], v2, v12, a[0:3]
	s_movk_i32 s4, 0xff
	v_and_b32_sdwa v6, v7, s4 dst_sel:DWORD dst_unused:UNUSED_PAD src0_sel:WORD_1 src1_sel:DWORD
	s_movk_i32 s4, 0x7f
	v_cmp_lt_i16_e32 vcc, s4, v6
	s_mov_b64 s[4:5], 0
                                        ; implicit-def: $sgpr10
	s_and_saveexec_b64 s[6:7], vcc
	s_xor_b64 s[6:7], exec, s[6:7]
	s_cbranch_execz .LBB2_10545
; %bb.46385:
	s_getpc_b64 s[14:15]
.Lpost_getpc26776:
	s_add_u32 s14, s14, (.LBB2_24881-.Lpost_getpc26776)&4294967295
	s_addc_u32 s15, s15, (.LBB2_24881-.Lpost_getpc26776)>>32
	s_setpc_b64 s[14:15]
.LBB2_10545:
	s_or_saveexec_b64 s[6:7], s[6:7]
	v_mov_b32_e32 v2, s10
	s_xor_b64 exec, exec, s[6:7]
	s_cbranch_execz .LBB2_10546
; %bb.46387:
	s_getpc_b64 s[14:15]
.Lpost_getpc26777:
	s_add_u32 s14, s14, (.LBB2_24884-.Lpost_getpc26777)&4294967295
	s_addc_u32 s15, s15, (.LBB2_24884-.Lpost_getpc26777)>>32
	s_setpc_b64 s[14:15]
.LBB2_10546:
	s_or_b64 exec, exec, s[6:7]
	s_and_saveexec_b64 s[6:7], s[4:5]
	s_cbranch_execz .LBB2_10548
.LBB2_10547:
	v_bfe_u32 v2, v7, 16, 3
	v_ffbh_u32_e32 v13, v2
	v_min_u32_e32 v13, 32, v13
	v_lshrrev_b32_e32 v6, 19, v7
	v_subrev_u32_e32 v14, 28, v13
	v_and_b32_e32 v6, 15, v6
	v_lshlrev_b32_sdwa v14, v14, v7 dst_sel:DWORD dst_unused:UNUSED_PAD src0_sel:DWORD src1_sel:WORD_1
	v_bfe_u32 v12, v7, 19, 4
	v_sub_u32_e32 v13, 29, v13
	v_and_b32_e32 v14, 7, v14
	v_cmp_eq_u16_e32 vcc, 0, v6
	v_cndmask_b32_e32 v2, v2, v14, vcc
	v_cndmask_b32_e32 v6, v12, v13, vcc
	v_lshlrev_b32_e32 v12, 8, v7
	v_mov_b32_e32 v13, 0x3b800000
	v_lshlrev_b32_e32 v2, 20, v2
	v_and_b32_e32 v12, 0x80000000, v12
	v_lshl_add_u32 v6, v6, 23, v13
	v_or3_b32 v2, v12, v6, v2
.LBB2_10548:
	s_or_b64 exec, exec, s[6:7]
	s_movk_i32 s4, 0xff
	v_and_b32_sdwa v6, v3, s4 dst_sel:DWORD dst_unused:UNUSED_PAD src0_sel:WORD_1 src1_sel:DWORD
	s_movk_i32 s4, 0x7f
	v_cmp_lt_i16_e32 vcc, s4, v6
	s_mov_b64 s[4:5], 0
                                        ; implicit-def: $sgpr10
	s_and_saveexec_b64 s[6:7], vcc
	s_xor_b64 s[6:7], exec, s[6:7]
	s_cbranch_execz .LBB2_10549
; %bb.46389:
	s_getpc_b64 s[14:15]
.Lpost_getpc26778:
	s_add_u32 s14, s14, (.LBB2_24885-.Lpost_getpc26778)&4294967295
	s_addc_u32 s15, s15, (.LBB2_24885-.Lpost_getpc26778)>>32
	s_setpc_b64 s[14:15]
.LBB2_10549:
	s_or_saveexec_b64 s[6:7], s[6:7]
	v_mov_b32_e32 v12, s10
	s_xor_b64 exec, exec, s[6:7]
	s_cbranch_execz .LBB2_10550
; %bb.46391:
	s_getpc_b64 s[14:15]
.Lpost_getpc26779:
	s_add_u32 s14, s14, (.LBB2_24888-.Lpost_getpc26779)&4294967295
	s_addc_u32 s15, s15, (.LBB2_24888-.Lpost_getpc26779)>>32
	s_setpc_b64 s[14:15]
.LBB2_10550:
	s_or_b64 exec, exec, s[6:7]
	s_and_saveexec_b64 s[6:7], s[4:5]
	s_cbranch_execz .LBB2_10552
.LBB2_10551:
	v_bfe_u32 v6, v3, 16, 3
	v_ffbh_u32_e32 v14, v6
	v_min_u32_e32 v14, 32, v14
	v_lshrrev_b32_e32 v12, 19, v3
	v_subrev_u32_e32 v15, 28, v14
	v_and_b32_e32 v12, 15, v12
	v_lshlrev_b32_sdwa v15, v15, v3 dst_sel:DWORD dst_unused:UNUSED_PAD src0_sel:DWORD src1_sel:WORD_1
	v_bfe_u32 v13, v3, 19, 4
	v_sub_u32_e32 v14, 29, v14
	v_and_b32_e32 v15, 7, v15
	v_cmp_eq_u16_e32 vcc, 0, v12
	v_cndmask_b32_e32 v6, v6, v15, vcc
	v_cndmask_b32_e32 v12, v13, v14, vcc
	v_lshlrev_b32_e32 v13, 8, v3
	v_mov_b32_e32 v14, 0x3b800000
	v_lshlrev_b32_e32 v6, 20, v6
	v_and_b32_e32 v13, 0x80000000, v13
	v_lshl_add_u32 v12, v12, 23, v14
	v_or3_b32 v12, v13, v12, v6
.LBB2_10552:
	s_or_b64 exec, exec, s[6:7]
	s_nop 0
	v_mfma_f32_16x16x4f32 a[0:3], v2, v12, a[0:3]
	s_movk_i32 s4, 0x7f
	v_cmp_gt_i16_sdwa s[6:7], v7, s4 src0_sel:BYTE_3 src1_sel:DWORD
	s_mov_b64 s[4:5], 0
                                        ; implicit-def: $sgpr10
	s_and_saveexec_b64 s[8:9], s[6:7]
	s_xor_b64 s[6:7], exec, s[8:9]
	s_cbranch_execz .LBB2_10553
; %bb.46393:
	s_getpc_b64 s[14:15]
.Lpost_getpc26780:
	s_add_u32 s14, s14, (.LBB2_24889-.Lpost_getpc26780)&4294967295
	s_addc_u32 s15, s15, (.LBB2_24889-.Lpost_getpc26780)>>32
	s_setpc_b64 s[14:15]
.LBB2_10553:
	s_or_saveexec_b64 s[6:7], s[6:7]
	v_mov_b32_e32 v2, s10
	s_xor_b64 exec, exec, s[6:7]
	s_cbranch_execz .LBB2_10554
; %bb.46395:
	s_getpc_b64 s[14:15]
.Lpost_getpc26781:
	s_add_u32 s14, s14, (.LBB2_24892-.Lpost_getpc26781)&4294967295
	s_addc_u32 s15, s15, (.LBB2_24892-.Lpost_getpc26781)>>32
	s_setpc_b64 s[14:15]
.LBB2_10554:
	s_or_b64 exec, exec, s[6:7]
	s_and_saveexec_b64 s[6:7], s[4:5]
	s_cbranch_execz .LBB2_10556
.LBB2_10555:
	v_bfe_u32 v2, v7, 24, 3
	v_ffbh_u32_e32 v14, v2
	v_min_u32_e32 v14, 32, v14
	v_lshrrev_b32_e32 v12, 27, v7
	v_subrev_u32_e32 v15, 28, v14
	v_and_b32_e32 v6, 0x80000000, v7
	v_and_b32_e32 v12, 15, v12
	v_bfe_u32 v13, v7, 27, 4
	v_lshlrev_b32_sdwa v7, v15, v7 dst_sel:DWORD dst_unused:UNUSED_PAD src0_sel:DWORD src1_sel:BYTE_3
	v_sub_u32_e32 v14, 29, v14
	v_and_b32_e32 v7, 7, v7
	v_cmp_eq_u16_e32 vcc, 0, v12
	v_cndmask_b32_e32 v2, v2, v7, vcc
	v_cndmask_b32_e32 v7, v13, v14, vcc
	v_mov_b32_e32 v12, 0x3b800000
	v_lshlrev_b32_e32 v2, 20, v2
	v_lshl_add_u32 v7, v7, 23, v12
	v_or3_b32 v2, v6, v7, v2
.LBB2_10556:
	s_or_b64 exec, exec, s[6:7]
	s_movk_i32 s4, 0x7f
	v_cmp_gt_i16_sdwa s[6:7], v3, s4 src0_sel:BYTE_3 src1_sel:DWORD
	s_mov_b64 s[4:5], 0
                                        ; implicit-def: $sgpr10
	s_and_saveexec_b64 s[8:9], s[6:7]
	s_xor_b64 s[6:7], exec, s[8:9]
	s_cbranch_execz .LBB2_10557
; %bb.46397:
	s_getpc_b64 s[14:15]
.Lpost_getpc26782:
	s_add_u32 s14, s14, (.LBB2_24893-.Lpost_getpc26782)&4294967295
	s_addc_u32 s15, s15, (.LBB2_24893-.Lpost_getpc26782)>>32
	s_setpc_b64 s[14:15]
.LBB2_10557:
	s_or_saveexec_b64 s[6:7], s[6:7]
	v_mov_b32_e32 v6, s10
	s_xor_b64 exec, exec, s[6:7]
	s_cbranch_execz .LBB2_10558
; %bb.46399:
	s_getpc_b64 s[14:15]
.Lpost_getpc26783:
	s_add_u32 s14, s14, (.LBB2_24896-.Lpost_getpc26783)&4294967295
	s_addc_u32 s15, s15, (.LBB2_24896-.Lpost_getpc26783)>>32
	s_setpc_b64 s[14:15]
.LBB2_10558:
	s_or_b64 exec, exec, s[6:7]
	s_and_saveexec_b64 s[6:7], s[4:5]
	s_cbranch_execz .LBB2_10560
.LBB2_10559:
	v_bfe_u32 v6, v3, 24, 3
	v_ffbh_u32_e32 v14, v6
	v_min_u32_e32 v14, 32, v14
	v_lshrrev_b32_e32 v12, 27, v3
	v_subrev_u32_e32 v15, 28, v14
	v_and_b32_e32 v7, 0x80000000, v3
	v_and_b32_e32 v12, 15, v12
	v_bfe_u32 v13, v3, 27, 4
	v_lshlrev_b32_sdwa v3, v15, v3 dst_sel:DWORD dst_unused:UNUSED_PAD src0_sel:DWORD src1_sel:BYTE_3
	v_sub_u32_e32 v14, 29, v14
	v_and_b32_e32 v3, 7, v3
	v_cmp_eq_u16_e32 vcc, 0, v12
	v_cndmask_b32_e32 v3, v6, v3, vcc
	v_cndmask_b32_e32 v6, v13, v14, vcc
	v_mov_b32_e32 v12, 0x3b800000
	v_lshlrev_b32_e32 v3, 20, v3
	v_lshl_add_u32 v6, v6, 23, v12
	v_or3_b32 v6, v7, v6, v3
.LBB2_10560:
	s_or_b64 exec, exec, s[6:7]
	s_nop 0
	v_mfma_f32_16x16x4f32 a[0:3], v2, v6, a[0:3]
	s_movk_i32 s4, 0x7f
	v_cmp_gt_i16_sdwa s[6:7], v8, s4 src0_sel:BYTE_0 src1_sel:DWORD
	s_mov_b64 s[4:5], 0
                                        ; implicit-def: $sgpr10
	s_and_saveexec_b64 s[8:9], s[6:7]
	s_xor_b64 s[6:7], exec, s[8:9]
	s_cbranch_execz .LBB2_10561
; %bb.46401:
	s_getpc_b64 s[14:15]
.Lpost_getpc26784:
	s_add_u32 s14, s14, (.LBB2_24897-.Lpost_getpc26784)&4294967295
	s_addc_u32 s15, s15, (.LBB2_24897-.Lpost_getpc26784)>>32
	s_setpc_b64 s[14:15]
.LBB2_10561:
	s_or_saveexec_b64 s[6:7], s[6:7]
	v_mov_b32_e32 v2, s10
	s_xor_b64 exec, exec, s[6:7]
	s_cbranch_execz .LBB2_10562
; %bb.46403:
	s_getpc_b64 s[14:15]
.Lpost_getpc26785:
	s_add_u32 s14, s14, (.LBB2_24900-.Lpost_getpc26785)&4294967295
	s_addc_u32 s15, s15, (.LBB2_24900-.Lpost_getpc26785)>>32
	s_setpc_b64 s[14:15]
.LBB2_10562:
	s_or_b64 exec, exec, s[6:7]
	s_and_saveexec_b64 s[6:7], s[4:5]
	s_cbranch_execz .LBB2_10564
.LBB2_10563:
	v_and_b32_e32 v2, 7, v8
	v_ffbh_u32_e32 v6, v2
	v_min_u32_e32 v6, 32, v6
	v_lshrrev_b16_e32 v3, 3, v8
	v_subrev_u32_e32 v7, 28, v6
	v_and_b32_e32 v3, 15, v3
	v_lshlrev_b32_e32 v7, v7, v8
	v_sub_u32_e32 v6, 29, v6
	v_and_b32_e32 v7, 7, v7
	v_cmp_eq_u16_e32 vcc, 0, v3
	v_cndmask_b32_e32 v2, v2, v7, vcc
	v_cndmask_b32_e32 v3, v3, v6, vcc
	v_lshlrev_b32_e32 v6, 24, v8
	v_mov_b32_e32 v7, 0x3b800000
	v_lshlrev_b32_e32 v2, 20, v2
	v_and_b32_e32 v6, 0x80000000, v6
	v_lshl_add_u32 v3, v3, 23, v7
	v_or3_b32 v2, v6, v3, v2
.LBB2_10564:
	s_or_b64 exec, exec, s[6:7]
	s_movk_i32 s4, 0x7f
	v_cmp_gt_i16_sdwa s[6:7], v4, s4 src0_sel:BYTE_0 src1_sel:DWORD
	s_mov_b64 s[4:5], 0
                                        ; implicit-def: $sgpr10
	s_and_saveexec_b64 s[8:9], s[6:7]
	s_xor_b64 s[6:7], exec, s[8:9]
	s_cbranch_execz .LBB2_10565
; %bb.46405:
	s_getpc_b64 s[14:15]
.Lpost_getpc26786:
	s_add_u32 s14, s14, (.LBB2_24901-.Lpost_getpc26786)&4294967295
	s_addc_u32 s15, s15, (.LBB2_24901-.Lpost_getpc26786)>>32
	s_setpc_b64 s[14:15]
.LBB2_10565:
	s_or_saveexec_b64 s[6:7], s[6:7]
	v_mov_b32_e32 v3, s10
	s_xor_b64 exec, exec, s[6:7]
	s_cbranch_execz .LBB2_10566
; %bb.46407:
	s_getpc_b64 s[14:15]
.Lpost_getpc26787:
	s_add_u32 s14, s14, (.LBB2_24904-.Lpost_getpc26787)&4294967295
	s_addc_u32 s15, s15, (.LBB2_24904-.Lpost_getpc26787)>>32
	s_setpc_b64 s[14:15]
.LBB2_10566:
	s_or_b64 exec, exec, s[6:7]
	s_and_saveexec_b64 s[6:7], s[4:5]
	s_cbranch_execz .LBB2_10568
.LBB2_10567:
	v_and_b32_e32 v3, 7, v4
	v_ffbh_u32_e32 v7, v3
	v_min_u32_e32 v7, 32, v7
	v_lshrrev_b16_e32 v6, 3, v4
	v_subrev_u32_e32 v12, 28, v7
	v_and_b32_e32 v6, 15, v6
	v_lshlrev_b32_e32 v12, v12, v4
	v_sub_u32_e32 v7, 29, v7
	v_and_b32_e32 v12, 7, v12
	v_cmp_eq_u16_e32 vcc, 0, v6
	v_cndmask_b32_e32 v3, v3, v12, vcc
	v_cndmask_b32_e32 v6, v6, v7, vcc
	v_lshlrev_b32_e32 v7, 24, v4
	v_mov_b32_e32 v12, 0x3b800000
	v_lshlrev_b32_e32 v3, 20, v3
	v_and_b32_e32 v7, 0x80000000, v7
	v_lshl_add_u32 v6, v6, 23, v12
	v_or3_b32 v3, v7, v6, v3
.LBB2_10568:
	s_or_b64 exec, exec, s[6:7]
	s_nop 0
	v_mfma_f32_16x16x4f32 a[0:3], v2, v3, a[0:3]
	v_lshrrev_b32_e32 v3, 8, v8
	s_movk_i32 s4, 0x7f
	v_cmp_gt_i16_sdwa s[6:7], v3, s4 src0_sel:BYTE_0 src1_sel:DWORD
	s_mov_b64 s[4:5], 0
                                        ; implicit-def: $sgpr10
	s_and_saveexec_b64 s[8:9], s[6:7]
	s_xor_b64 s[6:7], exec, s[8:9]
	s_cbranch_execz .LBB2_10569
; %bb.46409:
	s_getpc_b64 s[14:15]
.Lpost_getpc26788:
	s_add_u32 s14, s14, (.LBB2_24905-.Lpost_getpc26788)&4294967295
	s_addc_u32 s15, s15, (.LBB2_24905-.Lpost_getpc26788)>>32
	s_setpc_b64 s[14:15]
.LBB2_10569:
	s_or_saveexec_b64 s[6:7], s[6:7]
	v_mov_b32_e32 v2, s10
	s_xor_b64 exec, exec, s[6:7]
	s_cbranch_execz .LBB2_10570
; %bb.46411:
	s_getpc_b64 s[14:15]
.Lpost_getpc26789:
	s_add_u32 s14, s14, (.LBB2_24908-.Lpost_getpc26789)&4294967295
	s_addc_u32 s15, s15, (.LBB2_24908-.Lpost_getpc26789)>>32
	s_setpc_b64 s[14:15]
.LBB2_10570:
	s_or_b64 exec, exec, s[6:7]
	s_and_saveexec_b64 s[6:7], s[4:5]
	s_cbranch_execz .LBB2_10572
.LBB2_10571:
	v_bfe_u32 v2, v8, 8, 3
	v_ffbh_u32_e32 v7, v2
	v_min_u32_e32 v7, 32, v7
	v_lshrrev_b16_e32 v6, 3, v3
	v_subrev_u32_e32 v12, 28, v7
	v_and_b32_e32 v6, 15, v6
	v_lshlrev_b32_e32 v3, v12, v3
	v_sub_u32_e32 v7, 29, v7
	v_and_b32_e32 v3, 7, v3
	v_cmp_eq_u16_e32 vcc, 0, v6
	v_cndmask_b32_e32 v2, v2, v3, vcc
	v_cndmask_b32_e32 v3, v6, v7, vcc
	v_lshlrev_b32_e32 v6, 16, v8
	v_mov_b32_e32 v7, 0x3b800000
	v_lshlrev_b32_e32 v2, 20, v2
	v_and_b32_e32 v6, 0x80000000, v6
	v_lshl_add_u32 v3, v3, 23, v7
	v_or3_b32 v2, v6, v3, v2
.LBB2_10572:
	s_or_b64 exec, exec, s[6:7]
	v_lshrrev_b32_e32 v3, 8, v4
	s_movk_i32 s4, 0x7f
	v_cmp_gt_i16_sdwa s[6:7], v3, s4 src0_sel:BYTE_0 src1_sel:DWORD
	s_mov_b64 s[4:5], 0
                                        ; implicit-def: $sgpr10
	s_and_saveexec_b64 s[8:9], s[6:7]
	s_xor_b64 s[6:7], exec, s[8:9]
	s_cbranch_execz .LBB2_10573
; %bb.46413:
	s_getpc_b64 s[14:15]
.Lpost_getpc26790:
	s_add_u32 s14, s14, (.LBB2_24909-.Lpost_getpc26790)&4294967295
	s_addc_u32 s15, s15, (.LBB2_24909-.Lpost_getpc26790)>>32
	s_setpc_b64 s[14:15]
.LBB2_10573:
	s_or_saveexec_b64 s[6:7], s[6:7]
	v_mov_b32_e32 v6, s10
	s_xor_b64 exec, exec, s[6:7]
	s_cbranch_execz .LBB2_10574
; %bb.46415:
	s_getpc_b64 s[14:15]
.Lpost_getpc26791:
	s_add_u32 s14, s14, (.LBB2_24912-.Lpost_getpc26791)&4294967295
	s_addc_u32 s15, s15, (.LBB2_24912-.Lpost_getpc26791)>>32
	s_setpc_b64 s[14:15]
.LBB2_10574:
	s_or_b64 exec, exec, s[6:7]
	s_and_saveexec_b64 s[6:7], s[4:5]
	s_cbranch_execz .LBB2_10576
.LBB2_10575:
	v_bfe_u32 v6, v4, 8, 3
	v_ffbh_u32_e32 v12, v6
	v_min_u32_e32 v12, 32, v12
	v_lshrrev_b16_e32 v7, 3, v3
	v_subrev_u32_e32 v13, 28, v12
	v_and_b32_e32 v7, 15, v7
	v_lshlrev_b32_e32 v3, v13, v3
	v_sub_u32_e32 v12, 29, v12
	v_and_b32_e32 v3, 7, v3
	v_cmp_eq_u16_e32 vcc, 0, v7
	v_cndmask_b32_e32 v3, v6, v3, vcc
	v_cndmask_b32_e32 v6, v7, v12, vcc
	v_lshlrev_b32_e32 v7, 16, v4
	v_mov_b32_e32 v12, 0x3b800000
	v_lshlrev_b32_e32 v3, 20, v3
	v_and_b32_e32 v7, 0x80000000, v7
	v_lshl_add_u32 v6, v6, 23, v12
	v_or3_b32 v6, v7, v6, v3
.LBB2_10576:
	s_or_b64 exec, exec, s[6:7]
	s_nop 0
	v_mfma_f32_16x16x4f32 a[0:3], v2, v6, a[0:3]
	s_movk_i32 s4, 0xff
	v_and_b32_sdwa v3, v8, s4 dst_sel:DWORD dst_unused:UNUSED_PAD src0_sel:WORD_1 src1_sel:DWORD
	s_movk_i32 s4, 0x7f
	v_cmp_lt_i16_e32 vcc, s4, v3
	s_mov_b64 s[4:5], 0
                                        ; implicit-def: $sgpr10
	s_and_saveexec_b64 s[6:7], vcc
	s_xor_b64 s[6:7], exec, s[6:7]
	s_cbranch_execz .LBB2_10577
; %bb.46417:
	s_getpc_b64 s[14:15]
.Lpost_getpc26792:
	s_add_u32 s14, s14, (.LBB2_24913-.Lpost_getpc26792)&4294967295
	s_addc_u32 s15, s15, (.LBB2_24913-.Lpost_getpc26792)>>32
	s_setpc_b64 s[14:15]
.LBB2_10577:
	s_or_saveexec_b64 s[6:7], s[6:7]
	v_mov_b32_e32 v2, s10
	s_xor_b64 exec, exec, s[6:7]
	s_cbranch_execz .LBB2_10578
; %bb.46419:
	s_getpc_b64 s[14:15]
.Lpost_getpc26793:
	s_add_u32 s14, s14, (.LBB2_24916-.Lpost_getpc26793)&4294967295
	s_addc_u32 s15, s15, (.LBB2_24916-.Lpost_getpc26793)>>32
	s_setpc_b64 s[14:15]
.LBB2_10578:
	s_or_b64 exec, exec, s[6:7]
	s_and_saveexec_b64 s[6:7], s[4:5]
	s_cbranch_execz .LBB2_10580
.LBB2_10579:
	v_bfe_u32 v2, v8, 16, 3
	v_ffbh_u32_e32 v7, v2
	v_min_u32_e32 v7, 32, v7
	v_lshrrev_b32_e32 v3, 19, v8
	v_subrev_u32_e32 v12, 28, v7
	v_and_b32_e32 v3, 15, v3
	v_lshlrev_b32_sdwa v12, v12, v8 dst_sel:DWORD dst_unused:UNUSED_PAD src0_sel:DWORD src1_sel:WORD_1
	v_bfe_u32 v6, v8, 19, 4
	v_sub_u32_e32 v7, 29, v7
	v_and_b32_e32 v12, 7, v12
	v_cmp_eq_u16_e32 vcc, 0, v3
	v_cndmask_b32_e32 v2, v2, v12, vcc
	v_cndmask_b32_e32 v3, v6, v7, vcc
	v_lshlrev_b32_e32 v6, 8, v8
	v_mov_b32_e32 v7, 0x3b800000
	v_lshlrev_b32_e32 v2, 20, v2
	v_and_b32_e32 v6, 0x80000000, v6
	v_lshl_add_u32 v3, v3, 23, v7
	v_or3_b32 v2, v6, v3, v2
.LBB2_10580:
	s_or_b64 exec, exec, s[6:7]
	s_movk_i32 s4, 0xff
	v_and_b32_sdwa v3, v4, s4 dst_sel:DWORD dst_unused:UNUSED_PAD src0_sel:WORD_1 src1_sel:DWORD
	s_movk_i32 s4, 0x7f
	v_cmp_lt_i16_e32 vcc, s4, v3
	s_mov_b64 s[4:5], 0
                                        ; implicit-def: $sgpr10
	s_and_saveexec_b64 s[6:7], vcc
	s_xor_b64 s[6:7], exec, s[6:7]
	s_cbranch_execz .LBB2_10581
; %bb.46421:
	s_getpc_b64 s[14:15]
.Lpost_getpc26794:
	s_add_u32 s14, s14, (.LBB2_24917-.Lpost_getpc26794)&4294967295
	s_addc_u32 s15, s15, (.LBB2_24917-.Lpost_getpc26794)>>32
	s_setpc_b64 s[14:15]
.LBB2_10581:
	s_or_saveexec_b64 s[6:7], s[6:7]
	v_mov_b32_e32 v6, s10
	s_xor_b64 exec, exec, s[6:7]
	s_cbranch_execz .LBB2_10582
; %bb.46423:
	s_getpc_b64 s[14:15]
.Lpost_getpc26795:
	s_add_u32 s14, s14, (.LBB2_24920-.Lpost_getpc26795)&4294967295
	s_addc_u32 s15, s15, (.LBB2_24920-.Lpost_getpc26795)>>32
	s_setpc_b64 s[14:15]
.LBB2_10582:
	s_or_b64 exec, exec, s[6:7]
	s_and_saveexec_b64 s[6:7], s[4:5]
	s_cbranch_execz .LBB2_10584
.LBB2_10583:
	v_bfe_u32 v3, v4, 16, 3
	v_ffbh_u32_e32 v12, v3
	v_min_u32_e32 v12, 32, v12
	v_lshrrev_b32_e32 v6, 19, v4
	v_subrev_u32_e32 v13, 28, v12
	v_and_b32_e32 v6, 15, v6
	v_lshlrev_b32_sdwa v13, v13, v4 dst_sel:DWORD dst_unused:UNUSED_PAD src0_sel:DWORD src1_sel:WORD_1
	v_bfe_u32 v7, v4, 19, 4
	v_sub_u32_e32 v12, 29, v12
	v_and_b32_e32 v13, 7, v13
	v_cmp_eq_u16_e32 vcc, 0, v6
	v_cndmask_b32_e32 v3, v3, v13, vcc
	v_cndmask_b32_e32 v6, v7, v12, vcc
	v_lshlrev_b32_e32 v7, 8, v4
	v_mov_b32_e32 v12, 0x3b800000
	v_lshlrev_b32_e32 v3, 20, v3
	v_and_b32_e32 v7, 0x80000000, v7
	v_lshl_add_u32 v6, v6, 23, v12
	v_or3_b32 v6, v7, v6, v3
.LBB2_10584:
	s_or_b64 exec, exec, s[6:7]
	s_nop 0
	v_mfma_f32_16x16x4f32 a[0:3], v2, v6, a[0:3]
	s_movk_i32 s4, 0x7f
	v_cmp_gt_i16_sdwa s[6:7], v8, s4 src0_sel:BYTE_3 src1_sel:DWORD
	s_mov_b64 s[4:5], 0
                                        ; implicit-def: $sgpr10
	s_and_saveexec_b64 s[8:9], s[6:7]
	s_xor_b64 s[6:7], exec, s[8:9]
	s_cbranch_execz .LBB2_10585
; %bb.46425:
	s_getpc_b64 s[14:15]
.Lpost_getpc26796:
	s_add_u32 s14, s14, (.LBB2_24921-.Lpost_getpc26796)&4294967295
	s_addc_u32 s15, s15, (.LBB2_24921-.Lpost_getpc26796)>>32
	s_setpc_b64 s[14:15]
.LBB2_10585:
	s_or_saveexec_b64 s[6:7], s[6:7]
	v_mov_b32_e32 v2, s10
	s_xor_b64 exec, exec, s[6:7]
	s_cbranch_execz .LBB2_10586
; %bb.46427:
	s_getpc_b64 s[14:15]
.Lpost_getpc26797:
	s_add_u32 s14, s14, (.LBB2_24924-.Lpost_getpc26797)&4294967295
	s_addc_u32 s15, s15, (.LBB2_24924-.Lpost_getpc26797)>>32
	s_setpc_b64 s[14:15]
.LBB2_10586:
	s_or_b64 exec, exec, s[6:7]
	s_and_saveexec_b64 s[6:7], s[4:5]
	s_cbranch_execz .LBB2_10588
.LBB2_10587:
	v_bfe_u32 v2, v8, 24, 3
	v_ffbh_u32_e32 v12, v2
	v_min_u32_e32 v12, 32, v12
	v_lshrrev_b32_e32 v6, 27, v8
	v_subrev_u32_e32 v13, 28, v12
	v_and_b32_e32 v3, 0x80000000, v8
	v_and_b32_e32 v6, 15, v6
	v_bfe_u32 v7, v8, 27, 4
	v_lshlrev_b32_sdwa v8, v13, v8 dst_sel:DWORD dst_unused:UNUSED_PAD src0_sel:DWORD src1_sel:BYTE_3
	v_sub_u32_e32 v12, 29, v12
	v_and_b32_e32 v8, 7, v8
	v_cmp_eq_u16_e32 vcc, 0, v6
	v_cndmask_b32_e32 v2, v2, v8, vcc
	v_cndmask_b32_e32 v6, v7, v12, vcc
	v_mov_b32_e32 v7, 0x3b800000
	v_lshlrev_b32_e32 v2, 20, v2
	v_lshl_add_u32 v6, v6, 23, v7
	v_or3_b32 v2, v3, v6, v2
.LBB2_10588:
	s_or_b64 exec, exec, s[6:7]
	s_movk_i32 s4, 0x7f
	v_cmp_gt_i16_sdwa s[6:7], v4, s4 src0_sel:BYTE_3 src1_sel:DWORD
	s_mov_b64 s[4:5], 0
                                        ; implicit-def: $sgpr10
	s_and_saveexec_b64 s[8:9], s[6:7]
	s_xor_b64 s[6:7], exec, s[8:9]
	s_cbranch_execz .LBB2_10589
; %bb.46429:
	s_getpc_b64 s[14:15]
.Lpost_getpc26798:
	s_add_u32 s14, s14, (.LBB2_24925-.Lpost_getpc26798)&4294967295
	s_addc_u32 s15, s15, (.LBB2_24925-.Lpost_getpc26798)>>32
	s_setpc_b64 s[14:15]
.LBB2_10589:
	s_or_saveexec_b64 s[6:7], s[6:7]
	v_mov_b32_e32 v3, s10
	s_xor_b64 exec, exec, s[6:7]
	s_cbranch_execz .LBB2_10590
; %bb.46431:
	s_getpc_b64 s[14:15]
.Lpost_getpc26799:
	s_add_u32 s14, s14, (.LBB2_24928-.Lpost_getpc26799)&4294967295
	s_addc_u32 s15, s15, (.LBB2_24928-.Lpost_getpc26799)>>32
	s_setpc_b64 s[14:15]
.LBB2_10590:
	s_or_b64 exec, exec, s[6:7]
	s_and_saveexec_b64 s[6:7], s[4:5]
	s_cbranch_execz .LBB2_10592
.LBB2_10591:
	v_bfe_u32 v3, v4, 24, 3
	v_ffbh_u32_e32 v12, v3
	v_min_u32_e32 v12, 32, v12
	v_lshrrev_b32_e32 v7, 27, v4
	v_subrev_u32_e32 v13, 28, v12
	v_and_b32_e32 v6, 0x80000000, v4
	v_and_b32_e32 v7, 15, v7
	v_bfe_u32 v8, v4, 27, 4
	v_lshlrev_b32_sdwa v4, v13, v4 dst_sel:DWORD dst_unused:UNUSED_PAD src0_sel:DWORD src1_sel:BYTE_3
	v_sub_u32_e32 v12, 29, v12
	v_and_b32_e32 v4, 7, v4
	v_cmp_eq_u16_e32 vcc, 0, v7
	v_cndmask_b32_e32 v3, v3, v4, vcc
	v_cndmask_b32_e32 v4, v8, v12, vcc
	v_mov_b32_e32 v7, 0x3b800000
	v_lshlrev_b32_e32 v3, 20, v3
	v_lshl_add_u32 v4, v4, 23, v7
	v_or3_b32 v3, v6, v4, v3
.LBB2_10592:
	s_or_b64 exec, exec, s[6:7]
	s_nop 0
	v_mfma_f32_16x16x4f32 a[0:3], v2, v3, a[0:3]
	s_movk_i32 s4, 0x7f
	v_cmp_gt_i16_sdwa s[6:7], v9, s4 src0_sel:BYTE_0 src1_sel:DWORD
	s_mov_b64 s[4:5], 0
                                        ; implicit-def: $sgpr10
	s_and_saveexec_b64 s[8:9], s[6:7]
	s_xor_b64 s[6:7], exec, s[8:9]
	s_cbranch_execz .LBB2_10593
; %bb.46433:
	s_getpc_b64 s[14:15]
.Lpost_getpc26800:
	s_add_u32 s14, s14, (.LBB2_24929-.Lpost_getpc26800)&4294967295
	s_addc_u32 s15, s15, (.LBB2_24929-.Lpost_getpc26800)>>32
	s_setpc_b64 s[14:15]
.LBB2_10593:
	s_or_saveexec_b64 s[6:7], s[6:7]
	v_mov_b32_e32 v2, s10
	s_xor_b64 exec, exec, s[6:7]
	s_cbranch_execz .LBB2_10594
; %bb.46435:
	s_getpc_b64 s[14:15]
.Lpost_getpc26801:
	s_add_u32 s14, s14, (.LBB2_24932-.Lpost_getpc26801)&4294967295
	s_addc_u32 s15, s15, (.LBB2_24932-.Lpost_getpc26801)>>32
	s_setpc_b64 s[14:15]
.LBB2_10594:
	s_or_b64 exec, exec, s[6:7]
	s_and_saveexec_b64 s[6:7], s[4:5]
	s_cbranch_execz .LBB2_10596
.LBB2_10595:
	v_mov_b32_e32 v2, 8
	v_and_b32_e32 v3, 7, v9
	v_lshrrev_b32_sdwa v2, v2, v9 dst_sel:BYTE_1 dst_unused:UNUSED_PAD src0_sel:DWORD src1_sel:DWORD
	v_ffbh_u32_e32 v4, v3
	v_or_b32_sdwa v2, v9, v2 dst_sel:DWORD dst_unused:UNUSED_PAD src0_sel:BYTE_0 src1_sel:DWORD
	v_min_u32_e32 v4, 32, v4
	v_lshrrev_b16_e32 v2, 3, v2
	v_subrev_u32_e32 v6, 28, v4
	v_and_b32_e32 v2, 15, v2
	v_lshlrev_b32_e32 v6, v6, v9
	v_sub_u32_e32 v4, 29, v4
	v_and_b32_e32 v6, 7, v6
	v_cmp_eq_u16_e32 vcc, 0, v2
	v_cndmask_b32_e32 v3, v3, v6, vcc
	v_cndmask_b32_e32 v2, v2, v4, vcc
	v_lshlrev_b32_e32 v4, 24, v9
	v_mov_b32_e32 v6, 0x3b800000
	v_lshlrev_b32_e32 v3, 20, v3
	v_and_b32_e32 v4, 0x80000000, v4
	v_lshl_add_u32 v2, v2, 23, v6
	v_or3_b32 v2, v4, v2, v3
.LBB2_10596:
	s_or_b64 exec, exec, s[6:7]
	s_movk_i32 s4, 0x7f
	v_cmp_gt_i16_sdwa s[6:7], v5, s4 src0_sel:BYTE_0 src1_sel:DWORD
	s_mov_b64 s[4:5], 0
                                        ; implicit-def: $sgpr10
	s_and_saveexec_b64 s[8:9], s[6:7]
	s_xor_b64 s[6:7], exec, s[8:9]
	s_cbranch_execz .LBB2_10597
; %bb.46437:
	s_getpc_b64 s[14:15]
.Lpost_getpc26802:
	s_add_u32 s14, s14, (.LBB2_24933-.Lpost_getpc26802)&4294967295
	s_addc_u32 s15, s15, (.LBB2_24933-.Lpost_getpc26802)>>32
	s_setpc_b64 s[14:15]
.LBB2_10597:
	s_or_saveexec_b64 s[6:7], s[6:7]
	v_mov_b32_e32 v3, s10
	s_xor_b64 exec, exec, s[6:7]
	s_cbranch_execz .LBB2_10598
; %bb.46439:
	s_getpc_b64 s[14:15]
.Lpost_getpc26803:
	s_add_u32 s14, s14, (.LBB2_24936-.Lpost_getpc26803)&4294967295
	s_addc_u32 s15, s15, (.LBB2_24936-.Lpost_getpc26803)>>32
	s_setpc_b64 s[14:15]
.LBB2_10598:
	s_or_b64 exec, exec, s[6:7]
	s_and_saveexec_b64 s[6:7], s[4:5]
	s_cbranch_execz .LBB2_10600
.LBB2_10599:
	v_mov_b32_e32 v3, 8
	v_and_b32_e32 v4, 7, v5
	v_lshrrev_b32_sdwa v3, v3, v5 dst_sel:BYTE_1 dst_unused:UNUSED_PAD src0_sel:DWORD src1_sel:DWORD
	v_ffbh_u32_e32 v6, v4
	v_or_b32_sdwa v3, v5, v3 dst_sel:DWORD dst_unused:UNUSED_PAD src0_sel:BYTE_0 src1_sel:DWORD
	v_min_u32_e32 v6, 32, v6
	v_lshrrev_b16_e32 v3, 3, v3
	v_subrev_u32_e32 v7, 28, v6
	v_and_b32_e32 v3, 15, v3
	v_lshlrev_b32_e32 v7, v7, v5
	v_sub_u32_e32 v6, 29, v6
	v_and_b32_e32 v7, 7, v7
	v_cmp_eq_u16_e32 vcc, 0, v3
	v_cndmask_b32_e32 v4, v4, v7, vcc
	v_cndmask_b32_e32 v3, v3, v6, vcc
	v_lshlrev_b32_e32 v6, 24, v5
	v_mov_b32_e32 v7, 0x3b800000
	v_lshlrev_b32_e32 v4, 20, v4
	v_and_b32_e32 v6, 0x80000000, v6
	v_lshl_add_u32 v3, v3, 23, v7
	v_or3_b32 v3, v6, v3, v4
.LBB2_10600:
	s_or_b64 exec, exec, s[6:7]
	s_nop 0
	v_mfma_f32_16x16x4f32 a[0:3], v2, v3, a[0:3]
	v_lshrrev_b32_e32 v3, 8, v9
	s_movk_i32 s4, 0x7f
	v_cmp_gt_i16_sdwa s[6:7], v3, s4 src0_sel:BYTE_0 src1_sel:DWORD
	s_mov_b64 s[4:5], 0
                                        ; implicit-def: $sgpr10
	s_and_saveexec_b64 s[8:9], s[6:7]
	s_xor_b64 s[6:7], exec, s[8:9]
	s_cbranch_execz .LBB2_10601
; %bb.46441:
	s_getpc_b64 s[14:15]
.Lpost_getpc26804:
	s_add_u32 s14, s14, (.LBB2_24937-.Lpost_getpc26804)&4294967295
	s_addc_u32 s15, s15, (.LBB2_24937-.Lpost_getpc26804)>>32
	s_setpc_b64 s[14:15]
.LBB2_10601:
	s_or_saveexec_b64 s[6:7], s[6:7]
	v_mov_b32_e32 v2, s10
	s_xor_b64 exec, exec, s[6:7]
	s_cbranch_execz .LBB2_10602
; %bb.46443:
	s_getpc_b64 s[14:15]
.Lpost_getpc26805:
	s_add_u32 s14, s14, (.LBB2_24940-.Lpost_getpc26805)&4294967295
	s_addc_u32 s15, s15, (.LBB2_24940-.Lpost_getpc26805)>>32
	s_setpc_b64 s[14:15]
.LBB2_10602:
	s_or_b64 exec, exec, s[6:7]
	s_and_saveexec_b64 s[6:7], s[4:5]
	s_cbranch_execz .LBB2_10604
.LBB2_10603:
	v_bfe_u32 v2, v9, 8, 3
	v_ffbh_u32_e32 v6, v2
	v_min_u32_e32 v6, 32, v6
	v_lshrrev_b16_e32 v4, 3, v3
	v_subrev_u32_e32 v7, 28, v6
	v_and_b32_e32 v4, 15, v4
	v_lshlrev_b32_e32 v3, v7, v3
	v_sub_u32_e32 v6, 29, v6
	v_and_b32_e32 v3, 7, v3
	v_cmp_eq_u16_e32 vcc, 0, v4
	v_cndmask_b32_e32 v2, v2, v3, vcc
	v_cndmask_b32_e32 v3, v4, v6, vcc
	v_lshlrev_b32_e32 v4, 16, v9
	v_mov_b32_e32 v6, 0x3b800000
	v_lshlrev_b32_e32 v2, 20, v2
	v_and_b32_e32 v4, 0x80000000, v4
	v_lshl_add_u32 v3, v3, 23, v6
	v_or3_b32 v2, v4, v3, v2
.LBB2_10604:
	s_or_b64 exec, exec, s[6:7]
	v_lshrrev_b32_e32 v3, 8, v5
	s_movk_i32 s4, 0x7f
	v_cmp_gt_i16_sdwa s[6:7], v3, s4 src0_sel:BYTE_0 src1_sel:DWORD
	s_mov_b64 s[4:5], 0
                                        ; implicit-def: $sgpr10
	s_and_saveexec_b64 s[8:9], s[6:7]
	s_xor_b64 s[6:7], exec, s[8:9]
	s_cbranch_execz .LBB2_10605
; %bb.46445:
	s_getpc_b64 s[14:15]
.Lpost_getpc26806:
	s_add_u32 s14, s14, (.LBB2_24941-.Lpost_getpc26806)&4294967295
	s_addc_u32 s15, s15, (.LBB2_24941-.Lpost_getpc26806)>>32
	s_setpc_b64 s[14:15]
.LBB2_10605:
	s_or_saveexec_b64 s[6:7], s[6:7]
	v_mov_b32_e32 v4, s10
	s_xor_b64 exec, exec, s[6:7]
	s_cbranch_execz .LBB2_10606
; %bb.46447:
	s_getpc_b64 s[14:15]
.Lpost_getpc26807:
	s_add_u32 s14, s14, (.LBB2_24944-.Lpost_getpc26807)&4294967295
	s_addc_u32 s15, s15, (.LBB2_24944-.Lpost_getpc26807)>>32
	s_setpc_b64 s[14:15]
.LBB2_10606:
	s_or_b64 exec, exec, s[6:7]
	s_and_saveexec_b64 s[6:7], s[4:5]
	s_cbranch_execz .LBB2_10608
.LBB2_10607:
	v_bfe_u32 v4, v5, 8, 3
	v_ffbh_u32_e32 v7, v4
	v_min_u32_e32 v7, 32, v7
	v_lshrrev_b16_e32 v6, 3, v3
	v_subrev_u32_e32 v8, 28, v7
	v_and_b32_e32 v6, 15, v6
	v_lshlrev_b32_e32 v3, v8, v3
	v_sub_u32_e32 v7, 29, v7
	v_and_b32_e32 v3, 7, v3
	v_cmp_eq_u16_e32 vcc, 0, v6
	v_cndmask_b32_e32 v3, v4, v3, vcc
	v_cndmask_b32_e32 v4, v6, v7, vcc
	v_lshlrev_b32_e32 v6, 16, v5
	v_mov_b32_e32 v7, 0x3b800000
	v_lshlrev_b32_e32 v3, 20, v3
	v_and_b32_e32 v6, 0x80000000, v6
	v_lshl_add_u32 v4, v4, 23, v7
	v_or3_b32 v4, v6, v4, v3
.LBB2_10608:
	s_or_b64 exec, exec, s[6:7]
	s_nop 0
	v_mfma_f32_16x16x4f32 a[0:3], v2, v4, a[0:3]
	s_movk_i32 s4, 0xff
	v_and_b32_sdwa v3, v9, s4 dst_sel:DWORD dst_unused:UNUSED_PAD src0_sel:WORD_1 src1_sel:DWORD
	s_movk_i32 s4, 0x7f
	v_cmp_lt_i16_e32 vcc, s4, v3
	s_mov_b64 s[4:5], 0
                                        ; implicit-def: $sgpr10
	s_and_saveexec_b64 s[6:7], vcc
	s_xor_b64 s[6:7], exec, s[6:7]
	s_cbranch_execz .LBB2_10609
; %bb.46449:
	s_getpc_b64 s[14:15]
.Lpost_getpc26808:
	s_add_u32 s14, s14, (.LBB2_24945-.Lpost_getpc26808)&4294967295
	s_addc_u32 s15, s15, (.LBB2_24945-.Lpost_getpc26808)>>32
	s_setpc_b64 s[14:15]
.LBB2_10609:
	s_or_saveexec_b64 s[6:7], s[6:7]
	v_mov_b32_e32 v2, s10
	s_xor_b64 exec, exec, s[6:7]
	s_cbranch_execz .LBB2_10610
; %bb.46451:
	s_getpc_b64 s[14:15]
.Lpost_getpc26809:
	s_add_u32 s14, s14, (.LBB2_24948-.Lpost_getpc26809)&4294967295
	s_addc_u32 s15, s15, (.LBB2_24948-.Lpost_getpc26809)>>32
	s_setpc_b64 s[14:15]
.LBB2_10610:
	s_or_b64 exec, exec, s[6:7]
	s_and_saveexec_b64 s[6:7], s[4:5]
	s_cbranch_execz .LBB2_10612
.LBB2_10611:
	v_bfe_u32 v2, v9, 16, 3
	v_ffbh_u32_e32 v6, v2
	v_min_u32_e32 v6, 32, v6
	v_lshrrev_b32_e32 v3, 19, v9
	v_subrev_u32_e32 v7, 28, v6
	v_and_b32_e32 v3, 15, v3
	v_lshlrev_b32_sdwa v7, v7, v9 dst_sel:DWORD dst_unused:UNUSED_PAD src0_sel:DWORD src1_sel:WORD_1
	v_bfe_u32 v4, v9, 19, 4
	v_sub_u32_e32 v6, 29, v6
	v_and_b32_e32 v7, 7, v7
	v_cmp_eq_u16_e32 vcc, 0, v3
	v_cndmask_b32_e32 v2, v2, v7, vcc
	v_cndmask_b32_e32 v3, v4, v6, vcc
	v_lshlrev_b32_e32 v4, 8, v9
	v_mov_b32_e32 v6, 0x3b800000
	v_lshlrev_b32_e32 v2, 20, v2
	v_and_b32_e32 v4, 0x80000000, v4
	v_lshl_add_u32 v3, v3, 23, v6
	v_or3_b32 v2, v4, v3, v2
.LBB2_10612:
	s_or_b64 exec, exec, s[6:7]
	s_movk_i32 s4, 0xff
	v_and_b32_sdwa v3, v5, s4 dst_sel:DWORD dst_unused:UNUSED_PAD src0_sel:WORD_1 src1_sel:DWORD
	s_movk_i32 s4, 0x7f
	v_cmp_lt_i16_e32 vcc, s4, v3
	s_mov_b64 s[4:5], 0
                                        ; implicit-def: $sgpr10
	s_and_saveexec_b64 s[6:7], vcc
	s_xor_b64 s[6:7], exec, s[6:7]
	s_cbranch_execz .LBB2_10613
; %bb.46453:
	s_getpc_b64 s[14:15]
.Lpost_getpc26810:
	s_add_u32 s14, s14, (.LBB2_24949-.Lpost_getpc26810)&4294967295
	s_addc_u32 s15, s15, (.LBB2_24949-.Lpost_getpc26810)>>32
	s_setpc_b64 s[14:15]
.LBB2_10613:
	s_or_saveexec_b64 s[6:7], s[6:7]
	v_mov_b32_e32 v4, s10
	s_xor_b64 exec, exec, s[6:7]
	s_cbranch_execz .LBB2_10614
; %bb.46455:
	s_getpc_b64 s[14:15]
.Lpost_getpc26811:
	s_add_u32 s14, s14, (.LBB2_24952-.Lpost_getpc26811)&4294967295
	s_addc_u32 s15, s15, (.LBB2_24952-.Lpost_getpc26811)>>32
	s_setpc_b64 s[14:15]
.LBB2_10614:
	s_or_b64 exec, exec, s[6:7]
	s_and_saveexec_b64 s[6:7], s[4:5]
	s_cbranch_execz .LBB2_10616
.LBB2_10615:
	v_bfe_u32 v3, v5, 16, 3
	v_ffbh_u32_e32 v7, v3
	v_min_u32_e32 v7, 32, v7
	v_lshrrev_b32_e32 v4, 19, v5
	v_subrev_u32_e32 v8, 28, v7
	v_and_b32_e32 v4, 15, v4
	v_lshlrev_b32_sdwa v8, v8, v5 dst_sel:DWORD dst_unused:UNUSED_PAD src0_sel:DWORD src1_sel:WORD_1
	v_bfe_u32 v6, v5, 19, 4
	v_sub_u32_e32 v7, 29, v7
	v_and_b32_e32 v8, 7, v8
	v_cmp_eq_u16_e32 vcc, 0, v4
	v_cndmask_b32_e32 v3, v3, v8, vcc
	v_cndmask_b32_e32 v4, v6, v7, vcc
	v_lshlrev_b32_e32 v6, 8, v5
	v_mov_b32_e32 v7, 0x3b800000
	v_lshlrev_b32_e32 v3, 20, v3
	v_and_b32_e32 v6, 0x80000000, v6
	v_lshl_add_u32 v4, v4, 23, v7
	v_or3_b32 v4, v6, v4, v3
.LBB2_10616:
	s_or_b64 exec, exec, s[6:7]
	s_nop 0
	v_mfma_f32_16x16x4f32 a[0:3], v2, v4, a[0:3]
	s_movk_i32 s4, 0x7f
	v_cmp_gt_i16_sdwa s[6:7], v9, s4 src0_sel:BYTE_3 src1_sel:DWORD
	s_mov_b64 s[4:5], 0
                                        ; implicit-def: $sgpr10
	s_and_saveexec_b64 s[8:9], s[6:7]
	s_xor_b64 s[6:7], exec, s[8:9]
	s_cbranch_execz .LBB2_10617
; %bb.46457:
	s_getpc_b64 s[14:15]
.Lpost_getpc26812:
	s_add_u32 s14, s14, (.LBB2_24953-.Lpost_getpc26812)&4294967295
	s_addc_u32 s15, s15, (.LBB2_24953-.Lpost_getpc26812)>>32
	s_setpc_b64 s[14:15]
.LBB2_10617:
	s_or_saveexec_b64 s[6:7], s[6:7]
	v_mov_b32_e32 v2, s10
	s_xor_b64 exec, exec, s[6:7]
	s_cbranch_execz .LBB2_10618
; %bb.46459:
	s_getpc_b64 s[14:15]
.Lpost_getpc26813:
	s_add_u32 s14, s14, (.LBB2_24956-.Lpost_getpc26813)&4294967295
	s_addc_u32 s15, s15, (.LBB2_24956-.Lpost_getpc26813)>>32
	s_setpc_b64 s[14:15]
.LBB2_10618:
	s_or_b64 exec, exec, s[6:7]
	s_and_saveexec_b64 s[6:7], s[4:5]
	s_cbranch_execz .LBB2_10620
.LBB2_10619:
	v_bfe_u32 v2, v9, 24, 3
	v_ffbh_u32_e32 v7, v2
	v_min_u32_e32 v7, 32, v7
	v_lshrrev_b32_e32 v4, 27, v9
	v_subrev_u32_e32 v8, 28, v7
	v_and_b32_e32 v4, 15, v4
	v_lshlrev_b32_sdwa v8, v8, v9 dst_sel:DWORD dst_unused:UNUSED_PAD src0_sel:DWORD src1_sel:BYTE_3
	v_bfe_u32 v6, v9, 27, 4
	v_sub_u32_e32 v7, 29, v7
	v_and_b32_e32 v8, 7, v8
	v_cmp_eq_u16_e32 vcc, 0, v4
	v_cndmask_b32_e32 v2, v2, v8, vcc
	v_cndmask_b32_e32 v4, v6, v7, vcc
	v_mov_b32_e32 v6, 0x3b800000
	v_and_b32_e32 v3, 0x80000000, v9
	v_lshlrev_b32_e32 v2, 20, v2
	v_lshl_add_u32 v4, v4, 23, v6
	v_or3_b32 v2, v3, v4, v2
.LBB2_10620:
	s_or_b64 exec, exec, s[6:7]
	s_movk_i32 s4, 0x7f
	v_cmp_gt_i16_sdwa s[6:7], v5, s4 src0_sel:BYTE_3 src1_sel:DWORD
	s_mov_b64 s[4:5], 0
                                        ; implicit-def: $sgpr10
	s_and_saveexec_b64 s[8:9], s[6:7]
	s_xor_b64 s[6:7], exec, s[8:9]
	s_cbranch_execz .LBB2_10621
; %bb.46461:
	s_getpc_b64 s[14:15]
.Lpost_getpc26814:
	s_add_u32 s14, s14, (.LBB2_24957-.Lpost_getpc26814)&4294967295
	s_addc_u32 s15, s15, (.LBB2_24957-.Lpost_getpc26814)>>32
	s_setpc_b64 s[14:15]
.LBB2_10621:
	s_or_saveexec_b64 s[6:7], s[6:7]
	v_mov_b32_e32 v3, s10
	s_xor_b64 exec, exec, s[6:7]
	s_cbranch_execz .LBB2_10622
; %bb.46463:
	s_getpc_b64 s[14:15]
.Lpost_getpc26815:
	s_add_u32 s14, s14, (.LBB2_24960-.Lpost_getpc26815)&4294967295
	s_addc_u32 s15, s15, (.LBB2_24960-.Lpost_getpc26815)>>32
	s_setpc_b64 s[14:15]
.LBB2_10622:
	s_or_b64 exec, exec, s[6:7]
	s_and_saveexec_b64 s[6:7], s[4:5]
	s_cbranch_execz .LBB2_10624
.LBB2_10623:
	v_bfe_u32 v3, v5, 24, 3
	v_ffbh_u32_e32 v8, v3
	v_min_u32_e32 v8, 32, v8
	v_lshrrev_b32_e32 v6, 27, v5
	v_subrev_u32_e32 v9, 28, v8
	v_and_b32_e32 v4, 0x80000000, v5
	v_and_b32_e32 v6, 15, v6
	v_bfe_u32 v7, v5, 27, 4
	v_lshlrev_b32_sdwa v5, v9, v5 dst_sel:DWORD dst_unused:UNUSED_PAD src0_sel:DWORD src1_sel:BYTE_3
	v_sub_u32_e32 v8, 29, v8
	v_and_b32_e32 v5, 7, v5
	v_cmp_eq_u16_e32 vcc, 0, v6
	v_cndmask_b32_e32 v3, v3, v5, vcc
	v_cndmask_b32_e32 v5, v7, v8, vcc
	v_mov_b32_e32 v6, 0x3b800000
	v_lshlrev_b32_e32 v3, 20, v3
	v_lshl_add_u32 v5, v5, 23, v6
	v_or3_b32 v3, v4, v5, v3
.LBB2_10624:
	s_or_b64 exec, exec, s[6:7]
	s_nop 0
	v_mfma_f32_16x16x4f32 a[0:3], v2, v3, a[0:3]
	s_movk_i32 s4, 0x7f
                                        ; implicit-def: $sgpr10
	s_nop 7
	s_nop 1
	flat_store_dwordx4 v[10:11], a[0:3] offset:416
	flat_load_dwordx4 v[12:15], v[0:1]
	s_nop 0
	flat_load_dwordx2 v[10:11], v[0:1] offset:16
	s_waitcnt vmcnt(0) lgkmcnt(0)
	flat_load_dwordx4 v[6:9], v[12:13] offset:160
	flat_load_dwordx4 v[2:5], v[14:15] offset:176
	s_waitcnt vmcnt(0) lgkmcnt(0)
	v_cmp_gt_i16_sdwa s[6:7], v6, s4 src0_sel:BYTE_0 src1_sel:DWORD
	s_mov_b64 s[4:5], 0
	s_and_saveexec_b64 s[8:9], s[6:7]
	s_xor_b64 s[6:7], exec, s[8:9]
	s_cbranch_execz .LBB2_10625
; %bb.46465:
	s_getpc_b64 s[14:15]
.Lpost_getpc26816:
	s_add_u32 s14, s14, (.LBB2_24961-.Lpost_getpc26816)&4294967295
	s_addc_u32 s15, s15, (.LBB2_24961-.Lpost_getpc26816)>>32
	s_setpc_b64 s[14:15]
.LBB2_10625:
	s_or_saveexec_b64 s[6:7], s[6:7]
	v_mov_b32_e32 v12, s10
	s_xor_b64 exec, exec, s[6:7]
	s_cbranch_execz .LBB2_10626
; %bb.46467:
	s_getpc_b64 s[14:15]
.Lpost_getpc26817:
	s_add_u32 s14, s14, (.LBB2_24964-.Lpost_getpc26817)&4294967295
	s_addc_u32 s15, s15, (.LBB2_24964-.Lpost_getpc26817)>>32
	s_setpc_b64 s[14:15]
.LBB2_10626:
	s_or_b64 exec, exec, s[6:7]
	s_and_saveexec_b64 s[6:7], s[4:5]
	s_cbranch_execz .LBB2_10628
.LBB2_10627:
	v_and_b32_e32 v12, 7, v6
	v_ffbh_u32_e32 v14, v12
	v_min_u32_e32 v14, 32, v14
	v_lshrrev_b16_e32 v13, 3, v6
	v_subrev_u32_e32 v15, 28, v14
	v_and_b32_e32 v13, 15, v13
	v_lshlrev_b32_e32 v15, v15, v6
	v_sub_u32_e32 v14, 29, v14
	v_and_b32_e32 v15, 7, v15
	v_cmp_eq_u16_e32 vcc, 0, v13
	v_cndmask_b32_e32 v12, v12, v15, vcc
	v_cndmask_b32_e32 v13, v13, v14, vcc
	v_lshlrev_b32_e32 v14, 24, v6
	v_mov_b32_e32 v15, 0x3b800000
	v_lshlrev_b32_e32 v12, 20, v12
	v_and_b32_e32 v14, 0x80000000, v14
	v_lshl_add_u32 v13, v13, 23, v15
	v_or3_b32 v12, v14, v13, v12
.LBB2_10628:
	s_or_b64 exec, exec, s[6:7]
	s_movk_i32 s4, 0x7f
	v_cmp_gt_i16_sdwa s[6:7], v2, s4 src0_sel:BYTE_0 src1_sel:DWORD
	s_mov_b64 s[4:5], 0
                                        ; implicit-def: $sgpr10
	s_and_saveexec_b64 s[8:9], s[6:7]
	s_xor_b64 s[6:7], exec, s[8:9]
	s_cbranch_execz .LBB2_10629
; %bb.46469:
	s_getpc_b64 s[14:15]
.Lpost_getpc26818:
	s_add_u32 s14, s14, (.LBB2_24965-.Lpost_getpc26818)&4294967295
	s_addc_u32 s15, s15, (.LBB2_24965-.Lpost_getpc26818)>>32
	s_setpc_b64 s[14:15]
.LBB2_10629:
	s_or_saveexec_b64 s[6:7], s[6:7]
	v_mov_b32_e32 v13, s10
	s_xor_b64 exec, exec, s[6:7]
	s_cbranch_execz .LBB2_10630
; %bb.46471:
	s_getpc_b64 s[14:15]
.Lpost_getpc26819:
	s_add_u32 s14, s14, (.LBB2_24968-.Lpost_getpc26819)&4294967295
	s_addc_u32 s15, s15, (.LBB2_24968-.Lpost_getpc26819)>>32
	s_setpc_b64 s[14:15]
.LBB2_10630:
	s_or_b64 exec, exec, s[6:7]
	s_and_saveexec_b64 s[6:7], s[4:5]
	s_cbranch_execz .LBB2_10632
.LBB2_10631:
	v_and_b32_e32 v13, 7, v2
	v_ffbh_u32_e32 v15, v13
	v_min_u32_e32 v15, 32, v15
	v_lshrrev_b16_e32 v14, 3, v2
	v_subrev_u32_e32 v16, 28, v15
	v_and_b32_e32 v14, 15, v14
	v_lshlrev_b32_e32 v16, v16, v2
	v_sub_u32_e32 v15, 29, v15
	v_and_b32_e32 v16, 7, v16
	v_cmp_eq_u16_e32 vcc, 0, v14
	v_cndmask_b32_e32 v13, v13, v16, vcc
	v_cndmask_b32_e32 v14, v14, v15, vcc
	v_lshlrev_b32_e32 v15, 24, v2
	v_mov_b32_e32 v16, 0x3b800000
	v_lshlrev_b32_e32 v13, 20, v13
	v_and_b32_e32 v15, 0x80000000, v15
	v_lshl_add_u32 v14, v14, 23, v16
	v_or3_b32 v13, v15, v14, v13
.LBB2_10632:
	s_or_b64 exec, exec, s[6:7]
	flat_load_dwordx4 a[0:3], v[10:11] offset:432
	s_movk_i32 s4, 0x7f
                                        ; implicit-def: $sgpr10
	s_waitcnt vmcnt(0) lgkmcnt(0)
	v_mfma_f32_16x16x4f32 a[0:3], v12, v13, a[0:3]
	v_lshrrev_b32_e32 v13, 8, v6
	v_cmp_gt_i16_sdwa s[6:7], v13, s4 src0_sel:BYTE_0 src1_sel:DWORD
	s_mov_b64 s[4:5], 0
	s_and_saveexec_b64 s[8:9], s[6:7]
	s_xor_b64 s[6:7], exec, s[8:9]
	s_cbranch_execz .LBB2_10633
; %bb.46473:
	s_getpc_b64 s[14:15]
.Lpost_getpc26820:
	s_add_u32 s14, s14, (.LBB2_24969-.Lpost_getpc26820)&4294967295
	s_addc_u32 s15, s15, (.LBB2_24969-.Lpost_getpc26820)>>32
	s_setpc_b64 s[14:15]
.LBB2_10633:
	s_or_saveexec_b64 s[6:7], s[6:7]
	v_mov_b32_e32 v12, s10
	s_xor_b64 exec, exec, s[6:7]
	s_cbranch_execz .LBB2_10634
; %bb.46475:
	s_getpc_b64 s[14:15]
.Lpost_getpc26821:
	s_add_u32 s14, s14, (.LBB2_24972-.Lpost_getpc26821)&4294967295
	s_addc_u32 s15, s15, (.LBB2_24972-.Lpost_getpc26821)>>32
	s_setpc_b64 s[14:15]
.LBB2_10634:
	s_or_b64 exec, exec, s[6:7]
	s_and_saveexec_b64 s[6:7], s[4:5]
	s_cbranch_execz .LBB2_10636
.LBB2_10635:
	v_bfe_u32 v12, v6, 8, 3
	v_ffbh_u32_e32 v15, v12
	v_min_u32_e32 v15, 32, v15
	v_lshrrev_b16_e32 v14, 3, v13
	v_subrev_u32_e32 v16, 28, v15
	v_and_b32_e32 v14, 15, v14
	v_lshlrev_b32_e32 v13, v16, v13
	v_sub_u32_e32 v15, 29, v15
	v_and_b32_e32 v13, 7, v13
	v_cmp_eq_u16_e32 vcc, 0, v14
	v_cndmask_b32_e32 v12, v12, v13, vcc
	v_cndmask_b32_e32 v13, v14, v15, vcc
	v_lshlrev_b32_e32 v14, 16, v6
	v_mov_b32_e32 v15, 0x3b800000
	v_lshlrev_b32_e32 v12, 20, v12
	v_and_b32_e32 v14, 0x80000000, v14
	v_lshl_add_u32 v13, v13, 23, v15
	v_or3_b32 v12, v14, v13, v12
.LBB2_10636:
	s_or_b64 exec, exec, s[6:7]
	v_lshrrev_b32_e32 v13, 8, v2
	s_movk_i32 s4, 0x7f
	v_cmp_gt_i16_sdwa s[6:7], v13, s4 src0_sel:BYTE_0 src1_sel:DWORD
	s_mov_b64 s[4:5], 0
                                        ; implicit-def: $sgpr10
	s_and_saveexec_b64 s[8:9], s[6:7]
	s_xor_b64 s[6:7], exec, s[8:9]
	s_cbranch_execz .LBB2_10637
; %bb.46477:
	s_getpc_b64 s[14:15]
.Lpost_getpc26822:
	s_add_u32 s14, s14, (.LBB2_24973-.Lpost_getpc26822)&4294967295
	s_addc_u32 s15, s15, (.LBB2_24973-.Lpost_getpc26822)>>32
	s_setpc_b64 s[14:15]
.LBB2_10637:
	s_or_saveexec_b64 s[6:7], s[6:7]
	v_mov_b32_e32 v14, s10
	s_xor_b64 exec, exec, s[6:7]
	s_cbranch_execz .LBB2_10638
; %bb.46479:
	s_getpc_b64 s[14:15]
.Lpost_getpc26823:
	s_add_u32 s14, s14, (.LBB2_24976-.Lpost_getpc26823)&4294967295
	s_addc_u32 s15, s15, (.LBB2_24976-.Lpost_getpc26823)>>32
	s_setpc_b64 s[14:15]
.LBB2_10638:
	s_or_b64 exec, exec, s[6:7]
	s_and_saveexec_b64 s[6:7], s[4:5]
	s_cbranch_execz .LBB2_10640
.LBB2_10639:
	v_bfe_u32 v14, v2, 8, 3
	v_ffbh_u32_e32 v16, v14
	v_min_u32_e32 v16, 32, v16
	v_lshrrev_b16_e32 v15, 3, v13
	v_subrev_u32_e32 v17, 28, v16
	v_and_b32_e32 v15, 15, v15
	v_lshlrev_b32_e32 v13, v17, v13
	v_sub_u32_e32 v16, 29, v16
	v_and_b32_e32 v13, 7, v13
	v_cmp_eq_u16_e32 vcc, 0, v15
	v_cndmask_b32_e32 v13, v14, v13, vcc
	v_cndmask_b32_e32 v14, v15, v16, vcc
	v_lshlrev_b32_e32 v15, 16, v2
	v_mov_b32_e32 v16, 0x3b800000
	v_lshlrev_b32_e32 v13, 20, v13
	v_and_b32_e32 v15, 0x80000000, v15
	v_lshl_add_u32 v14, v14, 23, v16
	v_or3_b32 v14, v15, v14, v13
.LBB2_10640:
	s_or_b64 exec, exec, s[6:7]
	s_nop 0
	v_mfma_f32_16x16x4f32 a[0:3], v12, v14, a[0:3]
	s_movk_i32 s4, 0xff
	v_and_b32_sdwa v13, v6, s4 dst_sel:DWORD dst_unused:UNUSED_PAD src0_sel:WORD_1 src1_sel:DWORD
	s_movk_i32 s4, 0x7f
	v_cmp_lt_i16_e32 vcc, s4, v13
	s_mov_b64 s[4:5], 0
                                        ; implicit-def: $sgpr10
	s_and_saveexec_b64 s[6:7], vcc
	s_xor_b64 s[6:7], exec, s[6:7]
	s_cbranch_execz .LBB2_10641
; %bb.46481:
	s_getpc_b64 s[14:15]
.Lpost_getpc26824:
	s_add_u32 s14, s14, (.LBB2_24977-.Lpost_getpc26824)&4294967295
	s_addc_u32 s15, s15, (.LBB2_24977-.Lpost_getpc26824)>>32
	s_setpc_b64 s[14:15]
.LBB2_10641:
	s_or_saveexec_b64 s[6:7], s[6:7]
	v_mov_b32_e32 v12, s10
	s_xor_b64 exec, exec, s[6:7]
	s_cbranch_execz .LBB2_10642
; %bb.46483:
	s_getpc_b64 s[14:15]
.Lpost_getpc26825:
	s_add_u32 s14, s14, (.LBB2_24980-.Lpost_getpc26825)&4294967295
	s_addc_u32 s15, s15, (.LBB2_24980-.Lpost_getpc26825)>>32
	s_setpc_b64 s[14:15]
.LBB2_10642:
	s_or_b64 exec, exec, s[6:7]
	s_and_saveexec_b64 s[6:7], s[4:5]
	s_cbranch_execz .LBB2_10644
.LBB2_10643:
	v_bfe_u32 v12, v6, 16, 3
	v_ffbh_u32_e32 v15, v12
	v_min_u32_e32 v15, 32, v15
	v_lshrrev_b32_e32 v13, 19, v6
	v_subrev_u32_e32 v16, 28, v15
	v_and_b32_e32 v13, 15, v13
	v_lshlrev_b32_sdwa v16, v16, v6 dst_sel:DWORD dst_unused:UNUSED_PAD src0_sel:DWORD src1_sel:WORD_1
	v_bfe_u32 v14, v6, 19, 4
	v_sub_u32_e32 v15, 29, v15
	v_and_b32_e32 v16, 7, v16
	v_cmp_eq_u16_e32 vcc, 0, v13
	v_cndmask_b32_e32 v12, v12, v16, vcc
	v_cndmask_b32_e32 v13, v14, v15, vcc
	v_lshlrev_b32_e32 v14, 8, v6
	v_mov_b32_e32 v15, 0x3b800000
	v_lshlrev_b32_e32 v12, 20, v12
	v_and_b32_e32 v14, 0x80000000, v14
	v_lshl_add_u32 v13, v13, 23, v15
	v_or3_b32 v12, v14, v13, v12
.LBB2_10644:
	s_or_b64 exec, exec, s[6:7]
	s_movk_i32 s4, 0xff
	v_and_b32_sdwa v13, v2, s4 dst_sel:DWORD dst_unused:UNUSED_PAD src0_sel:WORD_1 src1_sel:DWORD
	s_movk_i32 s4, 0x7f
	v_cmp_lt_i16_e32 vcc, s4, v13
	s_mov_b64 s[4:5], 0
                                        ; implicit-def: $sgpr10
	s_and_saveexec_b64 s[6:7], vcc
	s_xor_b64 s[6:7], exec, s[6:7]
	s_cbranch_execz .LBB2_10645
; %bb.46485:
	s_getpc_b64 s[14:15]
.Lpost_getpc26826:
	s_add_u32 s14, s14, (.LBB2_24981-.Lpost_getpc26826)&4294967295
	s_addc_u32 s15, s15, (.LBB2_24981-.Lpost_getpc26826)>>32
	s_setpc_b64 s[14:15]
.LBB2_10645:
	s_or_saveexec_b64 s[6:7], s[6:7]
	v_mov_b32_e32 v14, s10
	s_xor_b64 exec, exec, s[6:7]
	s_cbranch_execz .LBB2_10646
; %bb.46487:
	s_getpc_b64 s[14:15]
.Lpost_getpc26827:
	s_add_u32 s14, s14, (.LBB2_24984-.Lpost_getpc26827)&4294967295
	s_addc_u32 s15, s15, (.LBB2_24984-.Lpost_getpc26827)>>32
	s_setpc_b64 s[14:15]
.LBB2_10646:
	s_or_b64 exec, exec, s[6:7]
	s_and_saveexec_b64 s[6:7], s[4:5]
	s_cbranch_execz .LBB2_10648
.LBB2_10647:
	v_bfe_u32 v13, v2, 16, 3
	v_ffbh_u32_e32 v16, v13
	v_min_u32_e32 v16, 32, v16
	v_lshrrev_b32_e32 v14, 19, v2
	v_subrev_u32_e32 v17, 28, v16
	v_and_b32_e32 v14, 15, v14
	v_lshlrev_b32_sdwa v17, v17, v2 dst_sel:DWORD dst_unused:UNUSED_PAD src0_sel:DWORD src1_sel:WORD_1
	v_bfe_u32 v15, v2, 19, 4
	v_sub_u32_e32 v16, 29, v16
	v_and_b32_e32 v17, 7, v17
	v_cmp_eq_u16_e32 vcc, 0, v14
	v_cndmask_b32_e32 v13, v13, v17, vcc
	v_cndmask_b32_e32 v14, v15, v16, vcc
	v_lshlrev_b32_e32 v15, 8, v2
	v_mov_b32_e32 v16, 0x3b800000
	v_lshlrev_b32_e32 v13, 20, v13
	v_and_b32_e32 v15, 0x80000000, v15
	v_lshl_add_u32 v14, v14, 23, v16
	v_or3_b32 v14, v15, v14, v13
.LBB2_10648:
	s_or_b64 exec, exec, s[6:7]
	s_nop 0
	v_mfma_f32_16x16x4f32 a[0:3], v12, v14, a[0:3]
	s_movk_i32 s4, 0x7f
	v_cmp_gt_i16_sdwa s[6:7], v6, s4 src0_sel:BYTE_3 src1_sel:DWORD
	s_mov_b64 s[4:5], 0
                                        ; implicit-def: $sgpr10
	s_and_saveexec_b64 s[8:9], s[6:7]
	s_xor_b64 s[6:7], exec, s[8:9]
	s_cbranch_execz .LBB2_10649
; %bb.46489:
	s_getpc_b64 s[14:15]
.Lpost_getpc26828:
	s_add_u32 s14, s14, (.LBB2_24985-.Lpost_getpc26828)&4294967295
	s_addc_u32 s15, s15, (.LBB2_24985-.Lpost_getpc26828)>>32
	s_setpc_b64 s[14:15]
.LBB2_10649:
	s_or_saveexec_b64 s[6:7], s[6:7]
	v_mov_b32_e32 v12, s10
	s_xor_b64 exec, exec, s[6:7]
	s_cbranch_execz .LBB2_10650
; %bb.46491:
	s_getpc_b64 s[14:15]
.Lpost_getpc26829:
	s_add_u32 s14, s14, (.LBB2_24988-.Lpost_getpc26829)&4294967295
	s_addc_u32 s15, s15, (.LBB2_24988-.Lpost_getpc26829)>>32
	s_setpc_b64 s[14:15]
.LBB2_10650:
	s_or_b64 exec, exec, s[6:7]
	s_and_saveexec_b64 s[6:7], s[4:5]
	s_cbranch_execz .LBB2_10652
.LBB2_10651:
	v_bfe_u32 v12, v6, 24, 3
	v_ffbh_u32_e32 v16, v12
	v_min_u32_e32 v16, 32, v16
	v_lshrrev_b32_e32 v14, 27, v6
	v_subrev_u32_e32 v17, 28, v16
	v_and_b32_e32 v13, 0x80000000, v6
	v_and_b32_e32 v14, 15, v14
	v_bfe_u32 v15, v6, 27, 4
	v_lshlrev_b32_sdwa v6, v17, v6 dst_sel:DWORD dst_unused:UNUSED_PAD src0_sel:DWORD src1_sel:BYTE_3
	v_sub_u32_e32 v16, 29, v16
	v_and_b32_e32 v6, 7, v6
	v_cmp_eq_u16_e32 vcc, 0, v14
	v_cndmask_b32_e32 v6, v12, v6, vcc
	v_cndmask_b32_e32 v12, v15, v16, vcc
	v_mov_b32_e32 v14, 0x3b800000
	v_lshlrev_b32_e32 v6, 20, v6
	v_lshl_add_u32 v12, v12, 23, v14
	v_or3_b32 v12, v13, v12, v6
.LBB2_10652:
	s_or_b64 exec, exec, s[6:7]
	s_movk_i32 s4, 0x7f
	v_cmp_gt_i16_sdwa s[6:7], v2, s4 src0_sel:BYTE_3 src1_sel:DWORD
	s_mov_b64 s[4:5], 0
                                        ; implicit-def: $sgpr10
	s_and_saveexec_b64 s[8:9], s[6:7]
	s_xor_b64 s[6:7], exec, s[8:9]
	s_cbranch_execz .LBB2_10653
; %bb.46493:
	s_getpc_b64 s[14:15]
.Lpost_getpc26830:
	s_add_u32 s14, s14, (.LBB2_24989-.Lpost_getpc26830)&4294967295
	s_addc_u32 s15, s15, (.LBB2_24989-.Lpost_getpc26830)>>32
	s_setpc_b64 s[14:15]
.LBB2_10653:
	s_or_saveexec_b64 s[6:7], s[6:7]
	v_mov_b32_e32 v6, s10
	s_xor_b64 exec, exec, s[6:7]
	s_cbranch_execz .LBB2_10654
; %bb.46495:
	s_getpc_b64 s[14:15]
.Lpost_getpc26831:
	s_add_u32 s14, s14, (.LBB2_24992-.Lpost_getpc26831)&4294967295
	s_addc_u32 s15, s15, (.LBB2_24992-.Lpost_getpc26831)>>32
	s_setpc_b64 s[14:15]
.LBB2_10654:
	s_or_b64 exec, exec, s[6:7]
	s_and_saveexec_b64 s[6:7], s[4:5]
	s_cbranch_execz .LBB2_10656
.LBB2_10655:
	v_bfe_u32 v6, v2, 24, 3
	v_ffbh_u32_e32 v16, v6
	v_min_u32_e32 v16, 32, v16
	v_lshrrev_b32_e32 v14, 27, v2
	v_subrev_u32_e32 v17, 28, v16
	v_and_b32_e32 v13, 0x80000000, v2
	v_and_b32_e32 v14, 15, v14
	v_bfe_u32 v15, v2, 27, 4
	v_lshlrev_b32_sdwa v2, v17, v2 dst_sel:DWORD dst_unused:UNUSED_PAD src0_sel:DWORD src1_sel:BYTE_3
	v_sub_u32_e32 v16, 29, v16
	v_and_b32_e32 v2, 7, v2
	v_cmp_eq_u16_e32 vcc, 0, v14
	v_cndmask_b32_e32 v2, v6, v2, vcc
	v_cndmask_b32_e32 v6, v15, v16, vcc
	v_mov_b32_e32 v14, 0x3b800000
	v_lshlrev_b32_e32 v2, 20, v2
	v_lshl_add_u32 v6, v6, 23, v14
	v_or3_b32 v6, v13, v6, v2
.LBB2_10656:
	s_or_b64 exec, exec, s[6:7]
	s_nop 0
	v_mfma_f32_16x16x4f32 a[0:3], v12, v6, a[0:3]
	s_movk_i32 s4, 0x7f
	v_cmp_gt_i16_sdwa s[6:7], v7, s4 src0_sel:BYTE_0 src1_sel:DWORD
	s_mov_b64 s[4:5], 0
                                        ; implicit-def: $sgpr10
	s_and_saveexec_b64 s[8:9], s[6:7]
	s_xor_b64 s[6:7], exec, s[8:9]
	s_cbranch_execz .LBB2_10657
; %bb.46497:
	s_getpc_b64 s[14:15]
.Lpost_getpc26832:
	s_add_u32 s14, s14, (.LBB2_24993-.Lpost_getpc26832)&4294967295
	s_addc_u32 s15, s15, (.LBB2_24993-.Lpost_getpc26832)>>32
	s_setpc_b64 s[14:15]
.LBB2_10657:
	s_or_saveexec_b64 s[6:7], s[6:7]
	v_mov_b32_e32 v2, s10
	s_xor_b64 exec, exec, s[6:7]
	s_cbranch_execz .LBB2_10658
; %bb.46499:
	s_getpc_b64 s[14:15]
.Lpost_getpc26833:
	s_add_u32 s14, s14, (.LBB2_24996-.Lpost_getpc26833)&4294967295
	s_addc_u32 s15, s15, (.LBB2_24996-.Lpost_getpc26833)>>32
	s_setpc_b64 s[14:15]
.LBB2_10658:
	s_or_b64 exec, exec, s[6:7]
	s_and_saveexec_b64 s[6:7], s[4:5]
	s_cbranch_execz .LBB2_10660
.LBB2_10659:
	v_and_b32_e32 v2, 7, v7
	v_ffbh_u32_e32 v12, v2
	v_min_u32_e32 v12, 32, v12
	v_lshrrev_b16_e32 v6, 3, v7
	v_subrev_u32_e32 v13, 28, v12
	v_and_b32_e32 v6, 15, v6
	v_lshlrev_b32_e32 v13, v13, v7
	v_sub_u32_e32 v12, 29, v12
	v_and_b32_e32 v13, 7, v13
	v_cmp_eq_u16_e32 vcc, 0, v6
	v_cndmask_b32_e32 v2, v2, v13, vcc
	v_cndmask_b32_e32 v6, v6, v12, vcc
	v_lshlrev_b32_e32 v12, 24, v7
	v_mov_b32_e32 v13, 0x3b800000
	v_lshlrev_b32_e32 v2, 20, v2
	v_and_b32_e32 v12, 0x80000000, v12
	v_lshl_add_u32 v6, v6, 23, v13
	v_or3_b32 v2, v12, v6, v2
.LBB2_10660:
	s_or_b64 exec, exec, s[6:7]
	s_movk_i32 s4, 0x7f
	v_cmp_gt_i16_sdwa s[6:7], v3, s4 src0_sel:BYTE_0 src1_sel:DWORD
	s_mov_b64 s[4:5], 0
                                        ; implicit-def: $sgpr10
	s_and_saveexec_b64 s[8:9], s[6:7]
	s_xor_b64 s[6:7], exec, s[8:9]
	s_cbranch_execz .LBB2_10661
; %bb.46501:
	s_getpc_b64 s[14:15]
.Lpost_getpc26834:
	s_add_u32 s14, s14, (.LBB2_24997-.Lpost_getpc26834)&4294967295
	s_addc_u32 s15, s15, (.LBB2_24997-.Lpost_getpc26834)>>32
	s_setpc_b64 s[14:15]
.LBB2_10661:
	s_or_saveexec_b64 s[6:7], s[6:7]
	v_mov_b32_e32 v6, s10
	s_xor_b64 exec, exec, s[6:7]
	s_cbranch_execz .LBB2_10662
; %bb.46503:
	s_getpc_b64 s[14:15]
.Lpost_getpc26835:
	s_add_u32 s14, s14, (.LBB2_25000-.Lpost_getpc26835)&4294967295
	s_addc_u32 s15, s15, (.LBB2_25000-.Lpost_getpc26835)>>32
	s_setpc_b64 s[14:15]
.LBB2_10662:
	s_or_b64 exec, exec, s[6:7]
	s_and_saveexec_b64 s[6:7], s[4:5]
	s_cbranch_execz .LBB2_10664
.LBB2_10663:
	v_and_b32_e32 v6, 7, v3
	v_ffbh_u32_e32 v13, v6
	v_min_u32_e32 v13, 32, v13
	v_lshrrev_b16_e32 v12, 3, v3
	v_subrev_u32_e32 v14, 28, v13
	v_and_b32_e32 v12, 15, v12
	v_lshlrev_b32_e32 v14, v14, v3
	v_sub_u32_e32 v13, 29, v13
	v_and_b32_e32 v14, 7, v14
	v_cmp_eq_u16_e32 vcc, 0, v12
	v_cndmask_b32_e32 v6, v6, v14, vcc
	v_cndmask_b32_e32 v12, v12, v13, vcc
	v_lshlrev_b32_e32 v13, 24, v3
	v_mov_b32_e32 v14, 0x3b800000
	v_lshlrev_b32_e32 v6, 20, v6
	v_and_b32_e32 v13, 0x80000000, v13
	v_lshl_add_u32 v12, v12, 23, v14
	v_or3_b32 v6, v13, v12, v6
.LBB2_10664:
	s_or_b64 exec, exec, s[6:7]
	s_nop 0
	v_mfma_f32_16x16x4f32 a[0:3], v2, v6, a[0:3]
	v_lshrrev_b32_e32 v6, 8, v7
	s_movk_i32 s4, 0x7f
	v_cmp_gt_i16_sdwa s[6:7], v6, s4 src0_sel:BYTE_0 src1_sel:DWORD
	s_mov_b64 s[4:5], 0
                                        ; implicit-def: $sgpr10
	s_and_saveexec_b64 s[8:9], s[6:7]
	s_xor_b64 s[6:7], exec, s[8:9]
	s_cbranch_execz .LBB2_10665
; %bb.46505:
	s_getpc_b64 s[14:15]
.Lpost_getpc26836:
	s_add_u32 s14, s14, (.LBB2_25001-.Lpost_getpc26836)&4294967295
	s_addc_u32 s15, s15, (.LBB2_25001-.Lpost_getpc26836)>>32
	s_setpc_b64 s[14:15]
.LBB2_10665:
	s_or_saveexec_b64 s[6:7], s[6:7]
	v_mov_b32_e32 v2, s10
	s_xor_b64 exec, exec, s[6:7]
	s_cbranch_execz .LBB2_10666
; %bb.46507:
	s_getpc_b64 s[14:15]
.Lpost_getpc26837:
	s_add_u32 s14, s14, (.LBB2_25004-.Lpost_getpc26837)&4294967295
	s_addc_u32 s15, s15, (.LBB2_25004-.Lpost_getpc26837)>>32
	s_setpc_b64 s[14:15]
.LBB2_10666:
	s_or_b64 exec, exec, s[6:7]
	s_and_saveexec_b64 s[6:7], s[4:5]
	s_cbranch_execz .LBB2_10668
.LBB2_10667:
	v_bfe_u32 v2, v7, 8, 3
	v_ffbh_u32_e32 v13, v2
	v_min_u32_e32 v13, 32, v13
	v_lshrrev_b16_e32 v12, 3, v6
	v_subrev_u32_e32 v14, 28, v13
	v_and_b32_e32 v12, 15, v12
	v_lshlrev_b32_e32 v6, v14, v6
	v_sub_u32_e32 v13, 29, v13
	v_and_b32_e32 v6, 7, v6
	v_cmp_eq_u16_e32 vcc, 0, v12
	v_cndmask_b32_e32 v2, v2, v6, vcc
	v_cndmask_b32_e32 v6, v12, v13, vcc
	v_lshlrev_b32_e32 v12, 16, v7
	v_mov_b32_e32 v13, 0x3b800000
	v_lshlrev_b32_e32 v2, 20, v2
	v_and_b32_e32 v12, 0x80000000, v12
	v_lshl_add_u32 v6, v6, 23, v13
	v_or3_b32 v2, v12, v6, v2
.LBB2_10668:
	s_or_b64 exec, exec, s[6:7]
	v_lshrrev_b32_e32 v6, 8, v3
	s_movk_i32 s4, 0x7f
	v_cmp_gt_i16_sdwa s[6:7], v6, s4 src0_sel:BYTE_0 src1_sel:DWORD
	s_mov_b64 s[4:5], 0
                                        ; implicit-def: $sgpr10
	s_and_saveexec_b64 s[8:9], s[6:7]
	s_xor_b64 s[6:7], exec, s[8:9]
	s_cbranch_execz .LBB2_10669
; %bb.46509:
	s_getpc_b64 s[14:15]
.Lpost_getpc26838:
	s_add_u32 s14, s14, (.LBB2_25005-.Lpost_getpc26838)&4294967295
	s_addc_u32 s15, s15, (.LBB2_25005-.Lpost_getpc26838)>>32
	s_setpc_b64 s[14:15]
.LBB2_10669:
	s_or_saveexec_b64 s[6:7], s[6:7]
	v_mov_b32_e32 v12, s10
	s_xor_b64 exec, exec, s[6:7]
	s_cbranch_execz .LBB2_10670
; %bb.46511:
	s_getpc_b64 s[14:15]
.Lpost_getpc26839:
	s_add_u32 s14, s14, (.LBB2_25008-.Lpost_getpc26839)&4294967295
	s_addc_u32 s15, s15, (.LBB2_25008-.Lpost_getpc26839)>>32
	s_setpc_b64 s[14:15]
.LBB2_10670:
	s_or_b64 exec, exec, s[6:7]
	s_and_saveexec_b64 s[6:7], s[4:5]
	s_cbranch_execz .LBB2_10672
.LBB2_10671:
	v_bfe_u32 v12, v3, 8, 3
	v_ffbh_u32_e32 v14, v12
	v_min_u32_e32 v14, 32, v14
	v_lshrrev_b16_e32 v13, 3, v6
	v_subrev_u32_e32 v15, 28, v14
	v_and_b32_e32 v13, 15, v13
	v_lshlrev_b32_e32 v6, v15, v6
	v_sub_u32_e32 v14, 29, v14
	v_and_b32_e32 v6, 7, v6
	v_cmp_eq_u16_e32 vcc, 0, v13
	v_cndmask_b32_e32 v6, v12, v6, vcc
	v_cndmask_b32_e32 v12, v13, v14, vcc
	v_lshlrev_b32_e32 v13, 16, v3
	v_mov_b32_e32 v14, 0x3b800000
	v_lshlrev_b32_e32 v6, 20, v6
	v_and_b32_e32 v13, 0x80000000, v13
	v_lshl_add_u32 v12, v12, 23, v14
	v_or3_b32 v12, v13, v12, v6
.LBB2_10672:
	s_or_b64 exec, exec, s[6:7]
	s_nop 0
	v_mfma_f32_16x16x4f32 a[0:3], v2, v12, a[0:3]
	s_movk_i32 s4, 0xff
	v_and_b32_sdwa v6, v7, s4 dst_sel:DWORD dst_unused:UNUSED_PAD src0_sel:WORD_1 src1_sel:DWORD
	s_movk_i32 s4, 0x7f
	v_cmp_lt_i16_e32 vcc, s4, v6
	s_mov_b64 s[4:5], 0
                                        ; implicit-def: $sgpr10
	s_and_saveexec_b64 s[6:7], vcc
	s_xor_b64 s[6:7], exec, s[6:7]
	s_cbranch_execz .LBB2_10673
; %bb.46513:
	s_getpc_b64 s[14:15]
.Lpost_getpc26840:
	s_add_u32 s14, s14, (.LBB2_25009-.Lpost_getpc26840)&4294967295
	s_addc_u32 s15, s15, (.LBB2_25009-.Lpost_getpc26840)>>32
	s_setpc_b64 s[14:15]
.LBB2_10673:
	s_or_saveexec_b64 s[6:7], s[6:7]
	v_mov_b32_e32 v2, s10
	s_xor_b64 exec, exec, s[6:7]
	s_cbranch_execz .LBB2_10674
; %bb.46515:
	s_getpc_b64 s[14:15]
.Lpost_getpc26841:
	s_add_u32 s14, s14, (.LBB2_25012-.Lpost_getpc26841)&4294967295
	s_addc_u32 s15, s15, (.LBB2_25012-.Lpost_getpc26841)>>32
	s_setpc_b64 s[14:15]
.LBB2_10674:
	s_or_b64 exec, exec, s[6:7]
	s_and_saveexec_b64 s[6:7], s[4:5]
	s_cbranch_execz .LBB2_10676
.LBB2_10675:
	v_bfe_u32 v2, v7, 16, 3
	v_ffbh_u32_e32 v13, v2
	v_min_u32_e32 v13, 32, v13
	v_lshrrev_b32_e32 v6, 19, v7
	v_subrev_u32_e32 v14, 28, v13
	v_and_b32_e32 v6, 15, v6
	v_lshlrev_b32_sdwa v14, v14, v7 dst_sel:DWORD dst_unused:UNUSED_PAD src0_sel:DWORD src1_sel:WORD_1
	v_bfe_u32 v12, v7, 19, 4
	v_sub_u32_e32 v13, 29, v13
	v_and_b32_e32 v14, 7, v14
	v_cmp_eq_u16_e32 vcc, 0, v6
	v_cndmask_b32_e32 v2, v2, v14, vcc
	v_cndmask_b32_e32 v6, v12, v13, vcc
	v_lshlrev_b32_e32 v12, 8, v7
	v_mov_b32_e32 v13, 0x3b800000
	v_lshlrev_b32_e32 v2, 20, v2
	v_and_b32_e32 v12, 0x80000000, v12
	v_lshl_add_u32 v6, v6, 23, v13
	v_or3_b32 v2, v12, v6, v2
.LBB2_10676:
	s_or_b64 exec, exec, s[6:7]
	s_movk_i32 s4, 0xff
	v_and_b32_sdwa v6, v3, s4 dst_sel:DWORD dst_unused:UNUSED_PAD src0_sel:WORD_1 src1_sel:DWORD
	s_movk_i32 s4, 0x7f
	v_cmp_lt_i16_e32 vcc, s4, v6
	s_mov_b64 s[4:5], 0
                                        ; implicit-def: $sgpr10
	s_and_saveexec_b64 s[6:7], vcc
	s_xor_b64 s[6:7], exec, s[6:7]
	s_cbranch_execz .LBB2_10677
; %bb.46517:
	s_getpc_b64 s[14:15]
.Lpost_getpc26842:
	s_add_u32 s14, s14, (.LBB2_25013-.Lpost_getpc26842)&4294967295
	s_addc_u32 s15, s15, (.LBB2_25013-.Lpost_getpc26842)>>32
	s_setpc_b64 s[14:15]
.LBB2_10677:
	s_or_saveexec_b64 s[6:7], s[6:7]
	v_mov_b32_e32 v12, s10
	s_xor_b64 exec, exec, s[6:7]
	s_cbranch_execz .LBB2_10678
; %bb.46519:
	s_getpc_b64 s[14:15]
.Lpost_getpc26843:
	s_add_u32 s14, s14, (.LBB2_25016-.Lpost_getpc26843)&4294967295
	s_addc_u32 s15, s15, (.LBB2_25016-.Lpost_getpc26843)>>32
	s_setpc_b64 s[14:15]
.LBB2_10678:
	s_or_b64 exec, exec, s[6:7]
	s_and_saveexec_b64 s[6:7], s[4:5]
	s_cbranch_execz .LBB2_10680
.LBB2_10679:
	v_bfe_u32 v6, v3, 16, 3
	v_ffbh_u32_e32 v14, v6
	v_min_u32_e32 v14, 32, v14
	v_lshrrev_b32_e32 v12, 19, v3
	v_subrev_u32_e32 v15, 28, v14
	v_and_b32_e32 v12, 15, v12
	v_lshlrev_b32_sdwa v15, v15, v3 dst_sel:DWORD dst_unused:UNUSED_PAD src0_sel:DWORD src1_sel:WORD_1
	v_bfe_u32 v13, v3, 19, 4
	v_sub_u32_e32 v14, 29, v14
	v_and_b32_e32 v15, 7, v15
	v_cmp_eq_u16_e32 vcc, 0, v12
	v_cndmask_b32_e32 v6, v6, v15, vcc
	v_cndmask_b32_e32 v12, v13, v14, vcc
	v_lshlrev_b32_e32 v13, 8, v3
	v_mov_b32_e32 v14, 0x3b800000
	v_lshlrev_b32_e32 v6, 20, v6
	v_and_b32_e32 v13, 0x80000000, v13
	v_lshl_add_u32 v12, v12, 23, v14
	v_or3_b32 v12, v13, v12, v6
.LBB2_10680:
	s_or_b64 exec, exec, s[6:7]
	s_nop 0
	v_mfma_f32_16x16x4f32 a[0:3], v2, v12, a[0:3]
	s_movk_i32 s4, 0x7f
	v_cmp_gt_i16_sdwa s[6:7], v7, s4 src0_sel:BYTE_3 src1_sel:DWORD
	s_mov_b64 s[4:5], 0
                                        ; implicit-def: $sgpr10
	s_and_saveexec_b64 s[8:9], s[6:7]
	s_xor_b64 s[6:7], exec, s[8:9]
	s_cbranch_execz .LBB2_10681
; %bb.46521:
	s_getpc_b64 s[14:15]
.Lpost_getpc26844:
	s_add_u32 s14, s14, (.LBB2_25017-.Lpost_getpc26844)&4294967295
	s_addc_u32 s15, s15, (.LBB2_25017-.Lpost_getpc26844)>>32
	s_setpc_b64 s[14:15]
.LBB2_10681:
	s_or_saveexec_b64 s[6:7], s[6:7]
	v_mov_b32_e32 v2, s10
	s_xor_b64 exec, exec, s[6:7]
	s_cbranch_execz .LBB2_10682
; %bb.46523:
	s_getpc_b64 s[14:15]
.Lpost_getpc26845:
	s_add_u32 s14, s14, (.LBB2_25020-.Lpost_getpc26845)&4294967295
	s_addc_u32 s15, s15, (.LBB2_25020-.Lpost_getpc26845)>>32
	s_setpc_b64 s[14:15]
.LBB2_10682:
	s_or_b64 exec, exec, s[6:7]
	s_and_saveexec_b64 s[6:7], s[4:5]
	s_cbranch_execz .LBB2_10684
.LBB2_10683:
	v_bfe_u32 v2, v7, 24, 3
	v_ffbh_u32_e32 v14, v2
	v_min_u32_e32 v14, 32, v14
	v_lshrrev_b32_e32 v12, 27, v7
	v_subrev_u32_e32 v15, 28, v14
	v_and_b32_e32 v6, 0x80000000, v7
	v_and_b32_e32 v12, 15, v12
	v_bfe_u32 v13, v7, 27, 4
	v_lshlrev_b32_sdwa v7, v15, v7 dst_sel:DWORD dst_unused:UNUSED_PAD src0_sel:DWORD src1_sel:BYTE_3
	v_sub_u32_e32 v14, 29, v14
	v_and_b32_e32 v7, 7, v7
	v_cmp_eq_u16_e32 vcc, 0, v12
	v_cndmask_b32_e32 v2, v2, v7, vcc
	v_cndmask_b32_e32 v7, v13, v14, vcc
	v_mov_b32_e32 v12, 0x3b800000
	v_lshlrev_b32_e32 v2, 20, v2
	v_lshl_add_u32 v7, v7, 23, v12
	v_or3_b32 v2, v6, v7, v2
.LBB2_10684:
	s_or_b64 exec, exec, s[6:7]
	s_movk_i32 s4, 0x7f
	v_cmp_gt_i16_sdwa s[6:7], v3, s4 src0_sel:BYTE_3 src1_sel:DWORD
	s_mov_b64 s[4:5], 0
                                        ; implicit-def: $sgpr10
	s_and_saveexec_b64 s[8:9], s[6:7]
	s_xor_b64 s[6:7], exec, s[8:9]
	s_cbranch_execz .LBB2_10685
; %bb.46525:
	s_getpc_b64 s[14:15]
.Lpost_getpc26846:
	s_add_u32 s14, s14, (.LBB2_25021-.Lpost_getpc26846)&4294967295
	s_addc_u32 s15, s15, (.LBB2_25021-.Lpost_getpc26846)>>32
	s_setpc_b64 s[14:15]
.LBB2_10685:
	s_or_saveexec_b64 s[6:7], s[6:7]
	v_mov_b32_e32 v6, s10
	s_xor_b64 exec, exec, s[6:7]
	s_cbranch_execz .LBB2_10686
; %bb.46527:
	s_getpc_b64 s[14:15]
.Lpost_getpc26847:
	s_add_u32 s14, s14, (.LBB2_25024-.Lpost_getpc26847)&4294967295
	s_addc_u32 s15, s15, (.LBB2_25024-.Lpost_getpc26847)>>32
	s_setpc_b64 s[14:15]
.LBB2_10686:
	s_or_b64 exec, exec, s[6:7]
	s_and_saveexec_b64 s[6:7], s[4:5]
	s_cbranch_execz .LBB2_10688
.LBB2_10687:
	v_bfe_u32 v6, v3, 24, 3
	v_ffbh_u32_e32 v14, v6
	v_min_u32_e32 v14, 32, v14
	v_lshrrev_b32_e32 v12, 27, v3
	v_subrev_u32_e32 v15, 28, v14
	v_and_b32_e32 v7, 0x80000000, v3
	v_and_b32_e32 v12, 15, v12
	v_bfe_u32 v13, v3, 27, 4
	v_lshlrev_b32_sdwa v3, v15, v3 dst_sel:DWORD dst_unused:UNUSED_PAD src0_sel:DWORD src1_sel:BYTE_3
	v_sub_u32_e32 v14, 29, v14
	v_and_b32_e32 v3, 7, v3
	v_cmp_eq_u16_e32 vcc, 0, v12
	v_cndmask_b32_e32 v3, v6, v3, vcc
	v_cndmask_b32_e32 v6, v13, v14, vcc
	v_mov_b32_e32 v12, 0x3b800000
	v_lshlrev_b32_e32 v3, 20, v3
	v_lshl_add_u32 v6, v6, 23, v12
	v_or3_b32 v6, v7, v6, v3
.LBB2_10688:
	s_or_b64 exec, exec, s[6:7]
	s_nop 0
	v_mfma_f32_16x16x4f32 a[0:3], v2, v6, a[0:3]
	s_movk_i32 s4, 0x7f
	v_cmp_gt_i16_sdwa s[6:7], v8, s4 src0_sel:BYTE_0 src1_sel:DWORD
	s_mov_b64 s[4:5], 0
                                        ; implicit-def: $sgpr10
	s_and_saveexec_b64 s[8:9], s[6:7]
	s_xor_b64 s[6:7], exec, s[8:9]
	s_cbranch_execz .LBB2_10689
; %bb.46529:
	s_getpc_b64 s[14:15]
.Lpost_getpc26848:
	s_add_u32 s14, s14, (.LBB2_25025-.Lpost_getpc26848)&4294967295
	s_addc_u32 s15, s15, (.LBB2_25025-.Lpost_getpc26848)>>32
	s_setpc_b64 s[14:15]
.LBB2_10689:
	s_or_saveexec_b64 s[6:7], s[6:7]
	v_mov_b32_e32 v2, s10
	s_xor_b64 exec, exec, s[6:7]
	s_cbranch_execz .LBB2_10690
; %bb.46531:
	s_getpc_b64 s[14:15]
.Lpost_getpc26849:
	s_add_u32 s14, s14, (.LBB2_25028-.Lpost_getpc26849)&4294967295
	s_addc_u32 s15, s15, (.LBB2_25028-.Lpost_getpc26849)>>32
	s_setpc_b64 s[14:15]
.LBB2_10690:
	s_or_b64 exec, exec, s[6:7]
	s_and_saveexec_b64 s[6:7], s[4:5]
	s_cbranch_execz .LBB2_10692
.LBB2_10691:
	v_and_b32_e32 v2, 7, v8
	v_ffbh_u32_e32 v6, v2
	v_min_u32_e32 v6, 32, v6
	v_lshrrev_b16_e32 v3, 3, v8
	v_subrev_u32_e32 v7, 28, v6
	v_and_b32_e32 v3, 15, v3
	v_lshlrev_b32_e32 v7, v7, v8
	v_sub_u32_e32 v6, 29, v6
	v_and_b32_e32 v7, 7, v7
	v_cmp_eq_u16_e32 vcc, 0, v3
	v_cndmask_b32_e32 v2, v2, v7, vcc
	v_cndmask_b32_e32 v3, v3, v6, vcc
	v_lshlrev_b32_e32 v6, 24, v8
	v_mov_b32_e32 v7, 0x3b800000
	v_lshlrev_b32_e32 v2, 20, v2
	v_and_b32_e32 v6, 0x80000000, v6
	v_lshl_add_u32 v3, v3, 23, v7
	v_or3_b32 v2, v6, v3, v2
.LBB2_10692:
	s_or_b64 exec, exec, s[6:7]
	s_movk_i32 s4, 0x7f
	v_cmp_gt_i16_sdwa s[6:7], v4, s4 src0_sel:BYTE_0 src1_sel:DWORD
	s_mov_b64 s[4:5], 0
                                        ; implicit-def: $sgpr10
	s_and_saveexec_b64 s[8:9], s[6:7]
	s_xor_b64 s[6:7], exec, s[8:9]
	s_cbranch_execz .LBB2_10693
; %bb.46533:
	s_getpc_b64 s[14:15]
.Lpost_getpc26850:
	s_add_u32 s14, s14, (.LBB2_25029-.Lpost_getpc26850)&4294967295
	s_addc_u32 s15, s15, (.LBB2_25029-.Lpost_getpc26850)>>32
	s_setpc_b64 s[14:15]
.LBB2_10693:
	s_or_saveexec_b64 s[6:7], s[6:7]
	v_mov_b32_e32 v3, s10
	s_xor_b64 exec, exec, s[6:7]
	s_cbranch_execz .LBB2_10694
; %bb.46535:
	s_getpc_b64 s[14:15]
.Lpost_getpc26851:
	s_add_u32 s14, s14, (.LBB2_25032-.Lpost_getpc26851)&4294967295
	s_addc_u32 s15, s15, (.LBB2_25032-.Lpost_getpc26851)>>32
	s_setpc_b64 s[14:15]
.LBB2_10694:
	s_or_b64 exec, exec, s[6:7]
	s_and_saveexec_b64 s[6:7], s[4:5]
	s_cbranch_execz .LBB2_10696
.LBB2_10695:
	v_and_b32_e32 v3, 7, v4
	v_ffbh_u32_e32 v7, v3
	v_min_u32_e32 v7, 32, v7
	v_lshrrev_b16_e32 v6, 3, v4
	v_subrev_u32_e32 v12, 28, v7
	v_and_b32_e32 v6, 15, v6
	v_lshlrev_b32_e32 v12, v12, v4
	v_sub_u32_e32 v7, 29, v7
	v_and_b32_e32 v12, 7, v12
	v_cmp_eq_u16_e32 vcc, 0, v6
	v_cndmask_b32_e32 v3, v3, v12, vcc
	v_cndmask_b32_e32 v6, v6, v7, vcc
	v_lshlrev_b32_e32 v7, 24, v4
	v_mov_b32_e32 v12, 0x3b800000
	v_lshlrev_b32_e32 v3, 20, v3
	v_and_b32_e32 v7, 0x80000000, v7
	v_lshl_add_u32 v6, v6, 23, v12
	v_or3_b32 v3, v7, v6, v3
.LBB2_10696:
	s_or_b64 exec, exec, s[6:7]
	s_nop 0
	v_mfma_f32_16x16x4f32 a[0:3], v2, v3, a[0:3]
	v_lshrrev_b32_e32 v3, 8, v8
	s_movk_i32 s4, 0x7f
	v_cmp_gt_i16_sdwa s[6:7], v3, s4 src0_sel:BYTE_0 src1_sel:DWORD
	s_mov_b64 s[4:5], 0
                                        ; implicit-def: $sgpr10
	s_and_saveexec_b64 s[8:9], s[6:7]
	s_xor_b64 s[6:7], exec, s[8:9]
	s_cbranch_execz .LBB2_10697
; %bb.46537:
	s_getpc_b64 s[14:15]
.Lpost_getpc26852:
	s_add_u32 s14, s14, (.LBB2_25033-.Lpost_getpc26852)&4294967295
	s_addc_u32 s15, s15, (.LBB2_25033-.Lpost_getpc26852)>>32
	s_setpc_b64 s[14:15]
.LBB2_10697:
	s_or_saveexec_b64 s[6:7], s[6:7]
	v_mov_b32_e32 v2, s10
	s_xor_b64 exec, exec, s[6:7]
	s_cbranch_execz .LBB2_10698
; %bb.46539:
	s_getpc_b64 s[14:15]
.Lpost_getpc26853:
	s_add_u32 s14, s14, (.LBB2_25036-.Lpost_getpc26853)&4294967295
	s_addc_u32 s15, s15, (.LBB2_25036-.Lpost_getpc26853)>>32
	s_setpc_b64 s[14:15]
.LBB2_10698:
	s_or_b64 exec, exec, s[6:7]
	s_and_saveexec_b64 s[6:7], s[4:5]
	s_cbranch_execz .LBB2_10700
.LBB2_10699:
	v_bfe_u32 v2, v8, 8, 3
	v_ffbh_u32_e32 v7, v2
	v_min_u32_e32 v7, 32, v7
	v_lshrrev_b16_e32 v6, 3, v3
	v_subrev_u32_e32 v12, 28, v7
	v_and_b32_e32 v6, 15, v6
	v_lshlrev_b32_e32 v3, v12, v3
	v_sub_u32_e32 v7, 29, v7
	v_and_b32_e32 v3, 7, v3
	v_cmp_eq_u16_e32 vcc, 0, v6
	v_cndmask_b32_e32 v2, v2, v3, vcc
	v_cndmask_b32_e32 v3, v6, v7, vcc
	v_lshlrev_b32_e32 v6, 16, v8
	v_mov_b32_e32 v7, 0x3b800000
	v_lshlrev_b32_e32 v2, 20, v2
	v_and_b32_e32 v6, 0x80000000, v6
	v_lshl_add_u32 v3, v3, 23, v7
	v_or3_b32 v2, v6, v3, v2
.LBB2_10700:
	s_or_b64 exec, exec, s[6:7]
	v_lshrrev_b32_e32 v3, 8, v4
	s_movk_i32 s4, 0x7f
	v_cmp_gt_i16_sdwa s[6:7], v3, s4 src0_sel:BYTE_0 src1_sel:DWORD
	s_mov_b64 s[4:5], 0
                                        ; implicit-def: $sgpr10
	s_and_saveexec_b64 s[8:9], s[6:7]
	s_xor_b64 s[6:7], exec, s[8:9]
	s_cbranch_execz .LBB2_10701
; %bb.46541:
	s_getpc_b64 s[14:15]
.Lpost_getpc26854:
	s_add_u32 s14, s14, (.LBB2_25037-.Lpost_getpc26854)&4294967295
	s_addc_u32 s15, s15, (.LBB2_25037-.Lpost_getpc26854)>>32
	s_setpc_b64 s[14:15]
.LBB2_10701:
	s_or_saveexec_b64 s[6:7], s[6:7]
	v_mov_b32_e32 v6, s10
	s_xor_b64 exec, exec, s[6:7]
	s_cbranch_execz .LBB2_10702
; %bb.46543:
	s_getpc_b64 s[14:15]
.Lpost_getpc26855:
	s_add_u32 s14, s14, (.LBB2_25040-.Lpost_getpc26855)&4294967295
	s_addc_u32 s15, s15, (.LBB2_25040-.Lpost_getpc26855)>>32
	s_setpc_b64 s[14:15]
.LBB2_10702:
	s_or_b64 exec, exec, s[6:7]
	s_and_saveexec_b64 s[6:7], s[4:5]
	s_cbranch_execz .LBB2_10704
.LBB2_10703:
	v_bfe_u32 v6, v4, 8, 3
	v_ffbh_u32_e32 v12, v6
	v_min_u32_e32 v12, 32, v12
	v_lshrrev_b16_e32 v7, 3, v3
	v_subrev_u32_e32 v13, 28, v12
	v_and_b32_e32 v7, 15, v7
	v_lshlrev_b32_e32 v3, v13, v3
	v_sub_u32_e32 v12, 29, v12
	v_and_b32_e32 v3, 7, v3
	v_cmp_eq_u16_e32 vcc, 0, v7
	v_cndmask_b32_e32 v3, v6, v3, vcc
	v_cndmask_b32_e32 v6, v7, v12, vcc
	v_lshlrev_b32_e32 v7, 16, v4
	v_mov_b32_e32 v12, 0x3b800000
	v_lshlrev_b32_e32 v3, 20, v3
	v_and_b32_e32 v7, 0x80000000, v7
	v_lshl_add_u32 v6, v6, 23, v12
	v_or3_b32 v6, v7, v6, v3
.LBB2_10704:
	s_or_b64 exec, exec, s[6:7]
	s_nop 0
	v_mfma_f32_16x16x4f32 a[0:3], v2, v6, a[0:3]
	s_movk_i32 s4, 0xff
	v_and_b32_sdwa v3, v8, s4 dst_sel:DWORD dst_unused:UNUSED_PAD src0_sel:WORD_1 src1_sel:DWORD
	s_movk_i32 s4, 0x7f
	v_cmp_lt_i16_e32 vcc, s4, v3
	s_mov_b64 s[4:5], 0
                                        ; implicit-def: $sgpr10
	s_and_saveexec_b64 s[6:7], vcc
	s_xor_b64 s[6:7], exec, s[6:7]
	s_cbranch_execz .LBB2_10705
; %bb.46545:
	s_getpc_b64 s[14:15]
.Lpost_getpc26856:
	s_add_u32 s14, s14, (.LBB2_25041-.Lpost_getpc26856)&4294967295
	s_addc_u32 s15, s15, (.LBB2_25041-.Lpost_getpc26856)>>32
	s_setpc_b64 s[14:15]
.LBB2_10705:
	s_or_saveexec_b64 s[6:7], s[6:7]
	v_mov_b32_e32 v2, s10
	s_xor_b64 exec, exec, s[6:7]
	s_cbranch_execz .LBB2_10706
; %bb.46547:
	s_getpc_b64 s[14:15]
.Lpost_getpc26857:
	s_add_u32 s14, s14, (.LBB2_25044-.Lpost_getpc26857)&4294967295
	s_addc_u32 s15, s15, (.LBB2_25044-.Lpost_getpc26857)>>32
	s_setpc_b64 s[14:15]
.LBB2_10706:
	s_or_b64 exec, exec, s[6:7]
	s_and_saveexec_b64 s[6:7], s[4:5]
	s_cbranch_execz .LBB2_10708
.LBB2_10707:
	v_bfe_u32 v2, v8, 16, 3
	v_ffbh_u32_e32 v7, v2
	v_min_u32_e32 v7, 32, v7
	v_lshrrev_b32_e32 v3, 19, v8
	v_subrev_u32_e32 v12, 28, v7
	v_and_b32_e32 v3, 15, v3
	v_lshlrev_b32_sdwa v12, v12, v8 dst_sel:DWORD dst_unused:UNUSED_PAD src0_sel:DWORD src1_sel:WORD_1
	v_bfe_u32 v6, v8, 19, 4
	v_sub_u32_e32 v7, 29, v7
	v_and_b32_e32 v12, 7, v12
	v_cmp_eq_u16_e32 vcc, 0, v3
	v_cndmask_b32_e32 v2, v2, v12, vcc
	v_cndmask_b32_e32 v3, v6, v7, vcc
	v_lshlrev_b32_e32 v6, 8, v8
	v_mov_b32_e32 v7, 0x3b800000
	v_lshlrev_b32_e32 v2, 20, v2
	v_and_b32_e32 v6, 0x80000000, v6
	v_lshl_add_u32 v3, v3, 23, v7
	v_or3_b32 v2, v6, v3, v2
.LBB2_10708:
	s_or_b64 exec, exec, s[6:7]
	s_movk_i32 s4, 0xff
	v_and_b32_sdwa v3, v4, s4 dst_sel:DWORD dst_unused:UNUSED_PAD src0_sel:WORD_1 src1_sel:DWORD
	s_movk_i32 s4, 0x7f
	v_cmp_lt_i16_e32 vcc, s4, v3
	s_mov_b64 s[4:5], 0
                                        ; implicit-def: $sgpr10
	s_and_saveexec_b64 s[6:7], vcc
	s_xor_b64 s[6:7], exec, s[6:7]
	s_cbranch_execz .LBB2_10709
; %bb.46549:
	s_getpc_b64 s[14:15]
.Lpost_getpc26858:
	s_add_u32 s14, s14, (.LBB2_25045-.Lpost_getpc26858)&4294967295
	s_addc_u32 s15, s15, (.LBB2_25045-.Lpost_getpc26858)>>32
	s_setpc_b64 s[14:15]
.LBB2_10709:
	s_or_saveexec_b64 s[6:7], s[6:7]
	v_mov_b32_e32 v6, s10
	s_xor_b64 exec, exec, s[6:7]
	s_cbranch_execz .LBB2_10710
; %bb.46551:
	s_getpc_b64 s[14:15]
.Lpost_getpc26859:
	s_add_u32 s14, s14, (.LBB2_25048-.Lpost_getpc26859)&4294967295
	s_addc_u32 s15, s15, (.LBB2_25048-.Lpost_getpc26859)>>32
	s_setpc_b64 s[14:15]
.LBB2_10710:
	s_or_b64 exec, exec, s[6:7]
	s_and_saveexec_b64 s[6:7], s[4:5]
	s_cbranch_execz .LBB2_10712
.LBB2_10711:
	v_bfe_u32 v3, v4, 16, 3
	v_ffbh_u32_e32 v12, v3
	v_min_u32_e32 v12, 32, v12
	v_lshrrev_b32_e32 v6, 19, v4
	v_subrev_u32_e32 v13, 28, v12
	v_and_b32_e32 v6, 15, v6
	v_lshlrev_b32_sdwa v13, v13, v4 dst_sel:DWORD dst_unused:UNUSED_PAD src0_sel:DWORD src1_sel:WORD_1
	v_bfe_u32 v7, v4, 19, 4
	v_sub_u32_e32 v12, 29, v12
	v_and_b32_e32 v13, 7, v13
	v_cmp_eq_u16_e32 vcc, 0, v6
	v_cndmask_b32_e32 v3, v3, v13, vcc
	v_cndmask_b32_e32 v6, v7, v12, vcc
	v_lshlrev_b32_e32 v7, 8, v4
	v_mov_b32_e32 v12, 0x3b800000
	v_lshlrev_b32_e32 v3, 20, v3
	v_and_b32_e32 v7, 0x80000000, v7
	v_lshl_add_u32 v6, v6, 23, v12
	v_or3_b32 v6, v7, v6, v3
.LBB2_10712:
	s_or_b64 exec, exec, s[6:7]
	s_nop 0
	v_mfma_f32_16x16x4f32 a[0:3], v2, v6, a[0:3]
	s_movk_i32 s4, 0x7f
	v_cmp_gt_i16_sdwa s[6:7], v8, s4 src0_sel:BYTE_3 src1_sel:DWORD
	s_mov_b64 s[4:5], 0
                                        ; implicit-def: $sgpr10
	s_and_saveexec_b64 s[8:9], s[6:7]
	s_xor_b64 s[6:7], exec, s[8:9]
	s_cbranch_execz .LBB2_10713
; %bb.46553:
	s_getpc_b64 s[14:15]
.Lpost_getpc26860:
	s_add_u32 s14, s14, (.LBB2_25049-.Lpost_getpc26860)&4294967295
	s_addc_u32 s15, s15, (.LBB2_25049-.Lpost_getpc26860)>>32
	s_setpc_b64 s[14:15]
.LBB2_10713:
	s_or_saveexec_b64 s[6:7], s[6:7]
	v_mov_b32_e32 v2, s10
	s_xor_b64 exec, exec, s[6:7]
	s_cbranch_execz .LBB2_10714
; %bb.46555:
	s_getpc_b64 s[14:15]
.Lpost_getpc26861:
	s_add_u32 s14, s14, (.LBB2_25052-.Lpost_getpc26861)&4294967295
	s_addc_u32 s15, s15, (.LBB2_25052-.Lpost_getpc26861)>>32
	s_setpc_b64 s[14:15]
.LBB2_10714:
	s_or_b64 exec, exec, s[6:7]
	s_and_saveexec_b64 s[6:7], s[4:5]
	s_cbranch_execz .LBB2_10716
.LBB2_10715:
	v_bfe_u32 v2, v8, 24, 3
	v_ffbh_u32_e32 v12, v2
	v_min_u32_e32 v12, 32, v12
	v_lshrrev_b32_e32 v6, 27, v8
	v_subrev_u32_e32 v13, 28, v12
	v_and_b32_e32 v3, 0x80000000, v8
	v_and_b32_e32 v6, 15, v6
	v_bfe_u32 v7, v8, 27, 4
	v_lshlrev_b32_sdwa v8, v13, v8 dst_sel:DWORD dst_unused:UNUSED_PAD src0_sel:DWORD src1_sel:BYTE_3
	v_sub_u32_e32 v12, 29, v12
	v_and_b32_e32 v8, 7, v8
	v_cmp_eq_u16_e32 vcc, 0, v6
	v_cndmask_b32_e32 v2, v2, v8, vcc
	v_cndmask_b32_e32 v6, v7, v12, vcc
	v_mov_b32_e32 v7, 0x3b800000
	v_lshlrev_b32_e32 v2, 20, v2
	v_lshl_add_u32 v6, v6, 23, v7
	v_or3_b32 v2, v3, v6, v2
.LBB2_10716:
	s_or_b64 exec, exec, s[6:7]
	s_movk_i32 s4, 0x7f
	v_cmp_gt_i16_sdwa s[6:7], v4, s4 src0_sel:BYTE_3 src1_sel:DWORD
	s_mov_b64 s[4:5], 0
                                        ; implicit-def: $sgpr10
	s_and_saveexec_b64 s[8:9], s[6:7]
	s_xor_b64 s[6:7], exec, s[8:9]
	s_cbranch_execz .LBB2_10717
; %bb.46557:
	s_getpc_b64 s[14:15]
.Lpost_getpc26862:
	s_add_u32 s14, s14, (.LBB2_25053-.Lpost_getpc26862)&4294967295
	s_addc_u32 s15, s15, (.LBB2_25053-.Lpost_getpc26862)>>32
	s_setpc_b64 s[14:15]
.LBB2_10717:
	s_or_saveexec_b64 s[6:7], s[6:7]
	v_mov_b32_e32 v3, s10
	s_xor_b64 exec, exec, s[6:7]
	s_cbranch_execz .LBB2_10718
; %bb.46559:
	s_getpc_b64 s[14:15]
.Lpost_getpc26863:
	s_add_u32 s14, s14, (.LBB2_25056-.Lpost_getpc26863)&4294967295
	s_addc_u32 s15, s15, (.LBB2_25056-.Lpost_getpc26863)>>32
	s_setpc_b64 s[14:15]
.LBB2_10718:
	s_or_b64 exec, exec, s[6:7]
	s_and_saveexec_b64 s[6:7], s[4:5]
	s_cbranch_execz .LBB2_10720
.LBB2_10719:
	v_bfe_u32 v3, v4, 24, 3
	v_ffbh_u32_e32 v12, v3
	v_min_u32_e32 v12, 32, v12
	v_lshrrev_b32_e32 v7, 27, v4
	v_subrev_u32_e32 v13, 28, v12
	v_and_b32_e32 v6, 0x80000000, v4
	v_and_b32_e32 v7, 15, v7
	v_bfe_u32 v8, v4, 27, 4
	v_lshlrev_b32_sdwa v4, v13, v4 dst_sel:DWORD dst_unused:UNUSED_PAD src0_sel:DWORD src1_sel:BYTE_3
	v_sub_u32_e32 v12, 29, v12
	v_and_b32_e32 v4, 7, v4
	v_cmp_eq_u16_e32 vcc, 0, v7
	v_cndmask_b32_e32 v3, v3, v4, vcc
	v_cndmask_b32_e32 v4, v8, v12, vcc
	v_mov_b32_e32 v7, 0x3b800000
	v_lshlrev_b32_e32 v3, 20, v3
	v_lshl_add_u32 v4, v4, 23, v7
	v_or3_b32 v3, v6, v4, v3
.LBB2_10720:
	s_or_b64 exec, exec, s[6:7]
	s_nop 0
	v_mfma_f32_16x16x4f32 a[0:3], v2, v3, a[0:3]
	s_movk_i32 s4, 0x7f
	v_cmp_gt_i16_sdwa s[6:7], v9, s4 src0_sel:BYTE_0 src1_sel:DWORD
	s_mov_b64 s[4:5], 0
                                        ; implicit-def: $sgpr10
	s_and_saveexec_b64 s[8:9], s[6:7]
	s_xor_b64 s[6:7], exec, s[8:9]
	s_cbranch_execz .LBB2_10721
; %bb.46561:
	s_getpc_b64 s[14:15]
.Lpost_getpc26864:
	s_add_u32 s14, s14, (.LBB2_25057-.Lpost_getpc26864)&4294967295
	s_addc_u32 s15, s15, (.LBB2_25057-.Lpost_getpc26864)>>32
	s_setpc_b64 s[14:15]
.LBB2_10721:
	s_or_saveexec_b64 s[6:7], s[6:7]
	v_mov_b32_e32 v2, s10
	s_xor_b64 exec, exec, s[6:7]
	s_cbranch_execz .LBB2_10722
; %bb.46563:
	s_getpc_b64 s[14:15]
.Lpost_getpc26865:
	s_add_u32 s14, s14, (.LBB2_25060-.Lpost_getpc26865)&4294967295
	s_addc_u32 s15, s15, (.LBB2_25060-.Lpost_getpc26865)>>32
	s_setpc_b64 s[14:15]
.LBB2_10722:
	s_or_b64 exec, exec, s[6:7]
	s_and_saveexec_b64 s[6:7], s[4:5]
	s_cbranch_execz .LBB2_10724
.LBB2_10723:
	v_mov_b32_e32 v2, 8
	v_and_b32_e32 v3, 7, v9
	v_lshrrev_b32_sdwa v2, v2, v9 dst_sel:BYTE_1 dst_unused:UNUSED_PAD src0_sel:DWORD src1_sel:DWORD
	v_ffbh_u32_e32 v4, v3
	v_or_b32_sdwa v2, v9, v2 dst_sel:DWORD dst_unused:UNUSED_PAD src0_sel:BYTE_0 src1_sel:DWORD
	v_min_u32_e32 v4, 32, v4
	v_lshrrev_b16_e32 v2, 3, v2
	v_subrev_u32_e32 v6, 28, v4
	v_and_b32_e32 v2, 15, v2
	v_lshlrev_b32_e32 v6, v6, v9
	v_sub_u32_e32 v4, 29, v4
	v_and_b32_e32 v6, 7, v6
	v_cmp_eq_u16_e32 vcc, 0, v2
	v_cndmask_b32_e32 v3, v3, v6, vcc
	v_cndmask_b32_e32 v2, v2, v4, vcc
	v_lshlrev_b32_e32 v4, 24, v9
	v_mov_b32_e32 v6, 0x3b800000
	v_lshlrev_b32_e32 v3, 20, v3
	v_and_b32_e32 v4, 0x80000000, v4
	v_lshl_add_u32 v2, v2, 23, v6
	v_or3_b32 v2, v4, v2, v3
.LBB2_10724:
	s_or_b64 exec, exec, s[6:7]
	s_movk_i32 s4, 0x7f
	v_cmp_gt_i16_sdwa s[6:7], v5, s4 src0_sel:BYTE_0 src1_sel:DWORD
	s_mov_b64 s[4:5], 0
                                        ; implicit-def: $sgpr10
	s_and_saveexec_b64 s[8:9], s[6:7]
	s_xor_b64 s[6:7], exec, s[8:9]
	s_cbranch_execz .LBB2_10725
; %bb.46565:
	s_getpc_b64 s[14:15]
.Lpost_getpc26866:
	s_add_u32 s14, s14, (.LBB2_25061-.Lpost_getpc26866)&4294967295
	s_addc_u32 s15, s15, (.LBB2_25061-.Lpost_getpc26866)>>32
	s_setpc_b64 s[14:15]
.LBB2_10725:
	s_or_saveexec_b64 s[6:7], s[6:7]
	v_mov_b32_e32 v3, s10
	s_xor_b64 exec, exec, s[6:7]
	s_cbranch_execz .LBB2_10726
; %bb.46567:
	s_getpc_b64 s[14:15]
.Lpost_getpc26867:
	s_add_u32 s14, s14, (.LBB2_25064-.Lpost_getpc26867)&4294967295
	s_addc_u32 s15, s15, (.LBB2_25064-.Lpost_getpc26867)>>32
	s_setpc_b64 s[14:15]
.LBB2_10726:
	s_or_b64 exec, exec, s[6:7]
	s_and_saveexec_b64 s[6:7], s[4:5]
	s_cbranch_execz .LBB2_10728
.LBB2_10727:
	v_mov_b32_e32 v3, 8
	v_and_b32_e32 v4, 7, v5
	v_lshrrev_b32_sdwa v3, v3, v5 dst_sel:BYTE_1 dst_unused:UNUSED_PAD src0_sel:DWORD src1_sel:DWORD
	v_ffbh_u32_e32 v6, v4
	v_or_b32_sdwa v3, v5, v3 dst_sel:DWORD dst_unused:UNUSED_PAD src0_sel:BYTE_0 src1_sel:DWORD
	v_min_u32_e32 v6, 32, v6
	v_lshrrev_b16_e32 v3, 3, v3
	v_subrev_u32_e32 v7, 28, v6
	v_and_b32_e32 v3, 15, v3
	v_lshlrev_b32_e32 v7, v7, v5
	v_sub_u32_e32 v6, 29, v6
	v_and_b32_e32 v7, 7, v7
	v_cmp_eq_u16_e32 vcc, 0, v3
	v_cndmask_b32_e32 v4, v4, v7, vcc
	v_cndmask_b32_e32 v3, v3, v6, vcc
	v_lshlrev_b32_e32 v6, 24, v5
	v_mov_b32_e32 v7, 0x3b800000
	v_lshlrev_b32_e32 v4, 20, v4
	v_and_b32_e32 v6, 0x80000000, v6
	v_lshl_add_u32 v3, v3, 23, v7
	v_or3_b32 v3, v6, v3, v4
.LBB2_10728:
	s_or_b64 exec, exec, s[6:7]
	s_nop 0
	v_mfma_f32_16x16x4f32 a[0:3], v2, v3, a[0:3]
	v_lshrrev_b32_e32 v3, 8, v9
	s_movk_i32 s4, 0x7f
	v_cmp_gt_i16_sdwa s[6:7], v3, s4 src0_sel:BYTE_0 src1_sel:DWORD
	s_mov_b64 s[4:5], 0
                                        ; implicit-def: $sgpr10
	s_and_saveexec_b64 s[8:9], s[6:7]
	s_xor_b64 s[6:7], exec, s[8:9]
	s_cbranch_execz .LBB2_10729
; %bb.46569:
	s_getpc_b64 s[14:15]
.Lpost_getpc26868:
	s_add_u32 s14, s14, (.LBB2_25065-.Lpost_getpc26868)&4294967295
	s_addc_u32 s15, s15, (.LBB2_25065-.Lpost_getpc26868)>>32
	s_setpc_b64 s[14:15]
.LBB2_10729:
	s_or_saveexec_b64 s[6:7], s[6:7]
	v_mov_b32_e32 v2, s10
	s_xor_b64 exec, exec, s[6:7]
	s_cbranch_execz .LBB2_10730
; %bb.46571:
	s_getpc_b64 s[14:15]
.Lpost_getpc26869:
	s_add_u32 s14, s14, (.LBB2_25068-.Lpost_getpc26869)&4294967295
	s_addc_u32 s15, s15, (.LBB2_25068-.Lpost_getpc26869)>>32
	s_setpc_b64 s[14:15]
.LBB2_10730:
	s_or_b64 exec, exec, s[6:7]
	s_and_saveexec_b64 s[6:7], s[4:5]
	s_cbranch_execz .LBB2_10732
.LBB2_10731:
	v_bfe_u32 v2, v9, 8, 3
	v_ffbh_u32_e32 v6, v2
	v_min_u32_e32 v6, 32, v6
	v_lshrrev_b16_e32 v4, 3, v3
	v_subrev_u32_e32 v7, 28, v6
	v_and_b32_e32 v4, 15, v4
	v_lshlrev_b32_e32 v3, v7, v3
	v_sub_u32_e32 v6, 29, v6
	v_and_b32_e32 v3, 7, v3
	v_cmp_eq_u16_e32 vcc, 0, v4
	v_cndmask_b32_e32 v2, v2, v3, vcc
	v_cndmask_b32_e32 v3, v4, v6, vcc
	v_lshlrev_b32_e32 v4, 16, v9
	v_mov_b32_e32 v6, 0x3b800000
	v_lshlrev_b32_e32 v2, 20, v2
	v_and_b32_e32 v4, 0x80000000, v4
	v_lshl_add_u32 v3, v3, 23, v6
	v_or3_b32 v2, v4, v3, v2
.LBB2_10732:
	s_or_b64 exec, exec, s[6:7]
	v_lshrrev_b32_e32 v3, 8, v5
	s_movk_i32 s4, 0x7f
	v_cmp_gt_i16_sdwa s[6:7], v3, s4 src0_sel:BYTE_0 src1_sel:DWORD
	s_mov_b64 s[4:5], 0
                                        ; implicit-def: $sgpr10
	s_and_saveexec_b64 s[8:9], s[6:7]
	s_xor_b64 s[6:7], exec, s[8:9]
	s_cbranch_execz .LBB2_10733
; %bb.46573:
	s_getpc_b64 s[14:15]
.Lpost_getpc26870:
	s_add_u32 s14, s14, (.LBB2_25069-.Lpost_getpc26870)&4294967295
	s_addc_u32 s15, s15, (.LBB2_25069-.Lpost_getpc26870)>>32
	s_setpc_b64 s[14:15]
.LBB2_10733:
	s_or_saveexec_b64 s[6:7], s[6:7]
	v_mov_b32_e32 v4, s10
	s_xor_b64 exec, exec, s[6:7]
	s_cbranch_execz .LBB2_10734
; %bb.46575:
	s_getpc_b64 s[14:15]
.Lpost_getpc26871:
	s_add_u32 s14, s14, (.LBB2_25072-.Lpost_getpc26871)&4294967295
	s_addc_u32 s15, s15, (.LBB2_25072-.Lpost_getpc26871)>>32
	s_setpc_b64 s[14:15]
.LBB2_10734:
	s_or_b64 exec, exec, s[6:7]
	s_and_saveexec_b64 s[6:7], s[4:5]
	s_cbranch_execz .LBB2_10736
.LBB2_10735:
	v_bfe_u32 v4, v5, 8, 3
	v_ffbh_u32_e32 v7, v4
	v_min_u32_e32 v7, 32, v7
	v_lshrrev_b16_e32 v6, 3, v3
	v_subrev_u32_e32 v8, 28, v7
	v_and_b32_e32 v6, 15, v6
	v_lshlrev_b32_e32 v3, v8, v3
	v_sub_u32_e32 v7, 29, v7
	v_and_b32_e32 v3, 7, v3
	v_cmp_eq_u16_e32 vcc, 0, v6
	v_cndmask_b32_e32 v3, v4, v3, vcc
	v_cndmask_b32_e32 v4, v6, v7, vcc
	v_lshlrev_b32_e32 v6, 16, v5
	v_mov_b32_e32 v7, 0x3b800000
	v_lshlrev_b32_e32 v3, 20, v3
	v_and_b32_e32 v6, 0x80000000, v6
	v_lshl_add_u32 v4, v4, 23, v7
	v_or3_b32 v4, v6, v4, v3
.LBB2_10736:
	s_or_b64 exec, exec, s[6:7]
	s_nop 0
	v_mfma_f32_16x16x4f32 a[0:3], v2, v4, a[0:3]
	s_movk_i32 s4, 0xff
	v_and_b32_sdwa v3, v9, s4 dst_sel:DWORD dst_unused:UNUSED_PAD src0_sel:WORD_1 src1_sel:DWORD
	s_movk_i32 s4, 0x7f
	v_cmp_lt_i16_e32 vcc, s4, v3
	s_mov_b64 s[4:5], 0
                                        ; implicit-def: $sgpr10
	s_and_saveexec_b64 s[6:7], vcc
	s_xor_b64 s[6:7], exec, s[6:7]
	s_cbranch_execz .LBB2_10737
; %bb.46577:
	s_getpc_b64 s[14:15]
.Lpost_getpc26872:
	s_add_u32 s14, s14, (.LBB2_25073-.Lpost_getpc26872)&4294967295
	s_addc_u32 s15, s15, (.LBB2_25073-.Lpost_getpc26872)>>32
	s_setpc_b64 s[14:15]
.LBB2_10737:
	s_or_saveexec_b64 s[6:7], s[6:7]
	v_mov_b32_e32 v2, s10
	s_xor_b64 exec, exec, s[6:7]
	s_cbranch_execz .LBB2_10738
; %bb.46579:
	s_getpc_b64 s[14:15]
.Lpost_getpc26873:
	s_add_u32 s14, s14, (.LBB2_25076-.Lpost_getpc26873)&4294967295
	s_addc_u32 s15, s15, (.LBB2_25076-.Lpost_getpc26873)>>32
	s_setpc_b64 s[14:15]
.LBB2_10738:
	s_or_b64 exec, exec, s[6:7]
	s_and_saveexec_b64 s[6:7], s[4:5]
	s_cbranch_execz .LBB2_10740
.LBB2_10739:
	v_bfe_u32 v2, v9, 16, 3
	v_ffbh_u32_e32 v6, v2
	v_min_u32_e32 v6, 32, v6
	v_lshrrev_b32_e32 v3, 19, v9
	v_subrev_u32_e32 v7, 28, v6
	v_and_b32_e32 v3, 15, v3
	v_lshlrev_b32_sdwa v7, v7, v9 dst_sel:DWORD dst_unused:UNUSED_PAD src0_sel:DWORD src1_sel:WORD_1
	v_bfe_u32 v4, v9, 19, 4
	v_sub_u32_e32 v6, 29, v6
	v_and_b32_e32 v7, 7, v7
	v_cmp_eq_u16_e32 vcc, 0, v3
	v_cndmask_b32_e32 v2, v2, v7, vcc
	v_cndmask_b32_e32 v3, v4, v6, vcc
	v_lshlrev_b32_e32 v4, 8, v9
	v_mov_b32_e32 v6, 0x3b800000
	v_lshlrev_b32_e32 v2, 20, v2
	v_and_b32_e32 v4, 0x80000000, v4
	v_lshl_add_u32 v3, v3, 23, v6
	v_or3_b32 v2, v4, v3, v2
.LBB2_10740:
	s_or_b64 exec, exec, s[6:7]
	s_movk_i32 s4, 0xff
	v_and_b32_sdwa v3, v5, s4 dst_sel:DWORD dst_unused:UNUSED_PAD src0_sel:WORD_1 src1_sel:DWORD
	s_movk_i32 s4, 0x7f
	v_cmp_lt_i16_e32 vcc, s4, v3
	s_mov_b64 s[4:5], 0
                                        ; implicit-def: $sgpr10
	s_and_saveexec_b64 s[6:7], vcc
	s_xor_b64 s[6:7], exec, s[6:7]
	s_cbranch_execz .LBB2_10741
; %bb.46581:
	s_getpc_b64 s[14:15]
.Lpost_getpc26874:
	s_add_u32 s14, s14, (.LBB2_25077-.Lpost_getpc26874)&4294967295
	s_addc_u32 s15, s15, (.LBB2_25077-.Lpost_getpc26874)>>32
	s_setpc_b64 s[14:15]
.LBB2_10741:
	s_or_saveexec_b64 s[6:7], s[6:7]
	v_mov_b32_e32 v4, s10
	s_xor_b64 exec, exec, s[6:7]
	s_cbranch_execz .LBB2_10742
; %bb.46583:
	s_getpc_b64 s[14:15]
.Lpost_getpc26875:
	s_add_u32 s14, s14, (.LBB2_25080-.Lpost_getpc26875)&4294967295
	s_addc_u32 s15, s15, (.LBB2_25080-.Lpost_getpc26875)>>32
	s_setpc_b64 s[14:15]
.LBB2_10742:
	s_or_b64 exec, exec, s[6:7]
	s_and_saveexec_b64 s[6:7], s[4:5]
	s_cbranch_execz .LBB2_10744
.LBB2_10743:
	v_bfe_u32 v3, v5, 16, 3
	v_ffbh_u32_e32 v7, v3
	v_min_u32_e32 v7, 32, v7
	v_lshrrev_b32_e32 v4, 19, v5
	v_subrev_u32_e32 v8, 28, v7
	v_and_b32_e32 v4, 15, v4
	v_lshlrev_b32_sdwa v8, v8, v5 dst_sel:DWORD dst_unused:UNUSED_PAD src0_sel:DWORD src1_sel:WORD_1
	v_bfe_u32 v6, v5, 19, 4
	v_sub_u32_e32 v7, 29, v7
	v_and_b32_e32 v8, 7, v8
	v_cmp_eq_u16_e32 vcc, 0, v4
	v_cndmask_b32_e32 v3, v3, v8, vcc
	v_cndmask_b32_e32 v4, v6, v7, vcc
	v_lshlrev_b32_e32 v6, 8, v5
	v_mov_b32_e32 v7, 0x3b800000
	v_lshlrev_b32_e32 v3, 20, v3
	v_and_b32_e32 v6, 0x80000000, v6
	v_lshl_add_u32 v4, v4, 23, v7
	v_or3_b32 v4, v6, v4, v3
.LBB2_10744:
	s_or_b64 exec, exec, s[6:7]
	s_nop 0
	v_mfma_f32_16x16x4f32 a[0:3], v2, v4, a[0:3]
	s_movk_i32 s4, 0x7f
	v_cmp_gt_i16_sdwa s[6:7], v9, s4 src0_sel:BYTE_3 src1_sel:DWORD
	s_mov_b64 s[4:5], 0
                                        ; implicit-def: $sgpr10
	s_and_saveexec_b64 s[8:9], s[6:7]
	s_xor_b64 s[6:7], exec, s[8:9]
	s_cbranch_execz .LBB2_10745
; %bb.46585:
	s_getpc_b64 s[14:15]
.Lpost_getpc26876:
	s_add_u32 s14, s14, (.LBB2_25081-.Lpost_getpc26876)&4294967295
	s_addc_u32 s15, s15, (.LBB2_25081-.Lpost_getpc26876)>>32
	s_setpc_b64 s[14:15]
.LBB2_10745:
	s_or_saveexec_b64 s[6:7], s[6:7]
	v_mov_b32_e32 v2, s10
	s_xor_b64 exec, exec, s[6:7]
	s_cbranch_execz .LBB2_10746
; %bb.46587:
	s_getpc_b64 s[14:15]
.Lpost_getpc26877:
	s_add_u32 s14, s14, (.LBB2_25084-.Lpost_getpc26877)&4294967295
	s_addc_u32 s15, s15, (.LBB2_25084-.Lpost_getpc26877)>>32
	s_setpc_b64 s[14:15]
.LBB2_10746:
	s_or_b64 exec, exec, s[6:7]
	s_and_saveexec_b64 s[6:7], s[4:5]
	s_cbranch_execz .LBB2_10748
.LBB2_10747:
	v_bfe_u32 v2, v9, 24, 3
	v_ffbh_u32_e32 v7, v2
	v_min_u32_e32 v7, 32, v7
	v_lshrrev_b32_e32 v4, 27, v9
	v_subrev_u32_e32 v8, 28, v7
	v_and_b32_e32 v4, 15, v4
	v_lshlrev_b32_sdwa v8, v8, v9 dst_sel:DWORD dst_unused:UNUSED_PAD src0_sel:DWORD src1_sel:BYTE_3
	v_bfe_u32 v6, v9, 27, 4
	v_sub_u32_e32 v7, 29, v7
	v_and_b32_e32 v8, 7, v8
	v_cmp_eq_u16_e32 vcc, 0, v4
	v_cndmask_b32_e32 v2, v2, v8, vcc
	v_cndmask_b32_e32 v4, v6, v7, vcc
	v_mov_b32_e32 v6, 0x3b800000
	v_and_b32_e32 v3, 0x80000000, v9
	v_lshlrev_b32_e32 v2, 20, v2
	v_lshl_add_u32 v4, v4, 23, v6
	v_or3_b32 v2, v3, v4, v2
.LBB2_10748:
	s_or_b64 exec, exec, s[6:7]
	s_movk_i32 s4, 0x7f
	v_cmp_gt_i16_sdwa s[6:7], v5, s4 src0_sel:BYTE_3 src1_sel:DWORD
	s_mov_b64 s[4:5], 0
                                        ; implicit-def: $sgpr10
	s_and_saveexec_b64 s[8:9], s[6:7]
	s_xor_b64 s[6:7], exec, s[8:9]
	s_cbranch_execz .LBB2_10749
; %bb.46589:
	s_getpc_b64 s[14:15]
.Lpost_getpc26878:
	s_add_u32 s14, s14, (.LBB2_25085-.Lpost_getpc26878)&4294967295
	s_addc_u32 s15, s15, (.LBB2_25085-.Lpost_getpc26878)>>32
	s_setpc_b64 s[14:15]
.LBB2_10749:
	s_or_saveexec_b64 s[6:7], s[6:7]
	v_mov_b32_e32 v3, s10
	s_xor_b64 exec, exec, s[6:7]
	s_cbranch_execz .LBB2_10750
; %bb.46591:
	s_getpc_b64 s[14:15]
.Lpost_getpc26879:
	s_add_u32 s14, s14, (.LBB2_25088-.Lpost_getpc26879)&4294967295
	s_addc_u32 s15, s15, (.LBB2_25088-.Lpost_getpc26879)>>32
	s_setpc_b64 s[14:15]
.LBB2_10750:
	s_or_b64 exec, exec, s[6:7]
	s_and_saveexec_b64 s[6:7], s[4:5]
	s_cbranch_execz .LBB2_10752
.LBB2_10751:
	v_bfe_u32 v3, v5, 24, 3
	v_ffbh_u32_e32 v8, v3
	v_min_u32_e32 v8, 32, v8
	v_lshrrev_b32_e32 v6, 27, v5
	v_subrev_u32_e32 v9, 28, v8
	v_and_b32_e32 v4, 0x80000000, v5
	v_and_b32_e32 v6, 15, v6
	v_bfe_u32 v7, v5, 27, 4
	v_lshlrev_b32_sdwa v5, v9, v5 dst_sel:DWORD dst_unused:UNUSED_PAD src0_sel:DWORD src1_sel:BYTE_3
	v_sub_u32_e32 v8, 29, v8
	v_and_b32_e32 v5, 7, v5
	v_cmp_eq_u16_e32 vcc, 0, v6
	v_cndmask_b32_e32 v3, v3, v5, vcc
	v_cndmask_b32_e32 v5, v7, v8, vcc
	v_mov_b32_e32 v6, 0x3b800000
	v_lshlrev_b32_e32 v3, 20, v3
	v_lshl_add_u32 v5, v5, 23, v6
	v_or3_b32 v3, v4, v5, v3
.LBB2_10752:
	s_or_b64 exec, exec, s[6:7]
	s_nop 0
	v_mfma_f32_16x16x4f32 a[0:3], v2, v3, a[0:3]
	s_movk_i32 s4, 0x7f
                                        ; implicit-def: $sgpr10
	s_nop 7
	s_nop 1
	flat_store_dwordx4 v[10:11], a[0:3] offset:432
	flat_load_dwordx4 v[12:15], v[0:1]
	s_nop 0
	flat_load_dwordx2 v[10:11], v[0:1] offset:16
	s_waitcnt vmcnt(0) lgkmcnt(0)
	flat_load_dwordx4 v[6:9], v[12:13] offset:160
	flat_load_dwordx4 v[2:5], v[14:15] offset:192
	s_waitcnt vmcnt(0) lgkmcnt(0)
	v_cmp_gt_i16_sdwa s[6:7], v6, s4 src0_sel:BYTE_0 src1_sel:DWORD
	s_mov_b64 s[4:5], 0
	s_and_saveexec_b64 s[8:9], s[6:7]
	s_xor_b64 s[6:7], exec, s[8:9]
	s_cbranch_execz .LBB2_10753
; %bb.46593:
	s_getpc_b64 s[14:15]
.Lpost_getpc26880:
	s_add_u32 s14, s14, (.LBB2_25089-.Lpost_getpc26880)&4294967295
	s_addc_u32 s15, s15, (.LBB2_25089-.Lpost_getpc26880)>>32
	s_setpc_b64 s[14:15]
.LBB2_10753:
	s_or_saveexec_b64 s[6:7], s[6:7]
	v_mov_b32_e32 v12, s10
	s_xor_b64 exec, exec, s[6:7]
	s_cbranch_execz .LBB2_10754
; %bb.46595:
	s_getpc_b64 s[14:15]
.Lpost_getpc26881:
	s_add_u32 s14, s14, (.LBB2_25092-.Lpost_getpc26881)&4294967295
	s_addc_u32 s15, s15, (.LBB2_25092-.Lpost_getpc26881)>>32
	s_setpc_b64 s[14:15]
.LBB2_10754:
	s_or_b64 exec, exec, s[6:7]
	s_and_saveexec_b64 s[6:7], s[4:5]
	s_cbranch_execz .LBB2_10756
.LBB2_10755:
	v_and_b32_e32 v12, 7, v6
	v_ffbh_u32_e32 v14, v12
	v_min_u32_e32 v14, 32, v14
	v_lshrrev_b16_e32 v13, 3, v6
	v_subrev_u32_e32 v15, 28, v14
	v_and_b32_e32 v13, 15, v13
	v_lshlrev_b32_e32 v15, v15, v6
	v_sub_u32_e32 v14, 29, v14
	v_and_b32_e32 v15, 7, v15
	v_cmp_eq_u16_e32 vcc, 0, v13
	v_cndmask_b32_e32 v12, v12, v15, vcc
	v_cndmask_b32_e32 v13, v13, v14, vcc
	v_lshlrev_b32_e32 v14, 24, v6
	v_mov_b32_e32 v15, 0x3b800000
	v_lshlrev_b32_e32 v12, 20, v12
	v_and_b32_e32 v14, 0x80000000, v14
	v_lshl_add_u32 v13, v13, 23, v15
	v_or3_b32 v12, v14, v13, v12
.LBB2_10756:
	s_or_b64 exec, exec, s[6:7]
	s_movk_i32 s4, 0x7f
	v_cmp_gt_i16_sdwa s[6:7], v2, s4 src0_sel:BYTE_0 src1_sel:DWORD
	s_mov_b64 s[4:5], 0
                                        ; implicit-def: $sgpr10
	s_and_saveexec_b64 s[8:9], s[6:7]
	s_xor_b64 s[6:7], exec, s[8:9]
	s_cbranch_execz .LBB2_10757
; %bb.46597:
	s_getpc_b64 s[14:15]
.Lpost_getpc26882:
	s_add_u32 s14, s14, (.LBB2_25093-.Lpost_getpc26882)&4294967295
	s_addc_u32 s15, s15, (.LBB2_25093-.Lpost_getpc26882)>>32
	s_setpc_b64 s[14:15]
.LBB2_10757:
	s_or_saveexec_b64 s[6:7], s[6:7]
	v_mov_b32_e32 v13, s10
	s_xor_b64 exec, exec, s[6:7]
	s_cbranch_execz .LBB2_10758
; %bb.46599:
	s_getpc_b64 s[14:15]
.Lpost_getpc26883:
	s_add_u32 s14, s14, (.LBB2_25096-.Lpost_getpc26883)&4294967295
	s_addc_u32 s15, s15, (.LBB2_25096-.Lpost_getpc26883)>>32
	s_setpc_b64 s[14:15]
.LBB2_10758:
	s_or_b64 exec, exec, s[6:7]
	s_and_saveexec_b64 s[6:7], s[4:5]
	s_cbranch_execz .LBB2_10760
.LBB2_10759:
	v_and_b32_e32 v13, 7, v2
	v_ffbh_u32_e32 v15, v13
	v_min_u32_e32 v15, 32, v15
	v_lshrrev_b16_e32 v14, 3, v2
	v_subrev_u32_e32 v16, 28, v15
	v_and_b32_e32 v14, 15, v14
	v_lshlrev_b32_e32 v16, v16, v2
	v_sub_u32_e32 v15, 29, v15
	v_and_b32_e32 v16, 7, v16
	v_cmp_eq_u16_e32 vcc, 0, v14
	v_cndmask_b32_e32 v13, v13, v16, vcc
	v_cndmask_b32_e32 v14, v14, v15, vcc
	v_lshlrev_b32_e32 v15, 24, v2
	v_mov_b32_e32 v16, 0x3b800000
	v_lshlrev_b32_e32 v13, 20, v13
	v_and_b32_e32 v15, 0x80000000, v15
	v_lshl_add_u32 v14, v14, 23, v16
	v_or3_b32 v13, v15, v14, v13
.LBB2_10760:
	s_or_b64 exec, exec, s[6:7]
	flat_load_dwordx4 a[0:3], v[10:11] offset:448
	s_movk_i32 s4, 0x7f
                                        ; implicit-def: $sgpr10
	s_waitcnt vmcnt(0) lgkmcnt(0)
	v_mfma_f32_16x16x4f32 a[0:3], v12, v13, a[0:3]
	v_lshrrev_b32_e32 v13, 8, v6
	v_cmp_gt_i16_sdwa s[6:7], v13, s4 src0_sel:BYTE_0 src1_sel:DWORD
	s_mov_b64 s[4:5], 0
	s_and_saveexec_b64 s[8:9], s[6:7]
	s_xor_b64 s[6:7], exec, s[8:9]
	s_cbranch_execz .LBB2_10761
; %bb.46601:
	s_getpc_b64 s[14:15]
.Lpost_getpc26884:
	s_add_u32 s14, s14, (.LBB2_25097-.Lpost_getpc26884)&4294967295
	s_addc_u32 s15, s15, (.LBB2_25097-.Lpost_getpc26884)>>32
	s_setpc_b64 s[14:15]
.LBB2_10761:
	s_or_saveexec_b64 s[6:7], s[6:7]
	v_mov_b32_e32 v12, s10
	s_xor_b64 exec, exec, s[6:7]
	s_cbranch_execz .LBB2_10762
; %bb.46603:
	s_getpc_b64 s[14:15]
.Lpost_getpc26885:
	s_add_u32 s14, s14, (.LBB2_25100-.Lpost_getpc26885)&4294967295
	s_addc_u32 s15, s15, (.LBB2_25100-.Lpost_getpc26885)>>32
	s_setpc_b64 s[14:15]
.LBB2_10762:
	s_or_b64 exec, exec, s[6:7]
	s_and_saveexec_b64 s[6:7], s[4:5]
	s_cbranch_execz .LBB2_10764
.LBB2_10763:
	v_bfe_u32 v12, v6, 8, 3
	v_ffbh_u32_e32 v15, v12
	v_min_u32_e32 v15, 32, v15
	v_lshrrev_b16_e32 v14, 3, v13
	v_subrev_u32_e32 v16, 28, v15
	v_and_b32_e32 v14, 15, v14
	v_lshlrev_b32_e32 v13, v16, v13
	v_sub_u32_e32 v15, 29, v15
	v_and_b32_e32 v13, 7, v13
	v_cmp_eq_u16_e32 vcc, 0, v14
	v_cndmask_b32_e32 v12, v12, v13, vcc
	v_cndmask_b32_e32 v13, v14, v15, vcc
	v_lshlrev_b32_e32 v14, 16, v6
	v_mov_b32_e32 v15, 0x3b800000
	v_lshlrev_b32_e32 v12, 20, v12
	v_and_b32_e32 v14, 0x80000000, v14
	v_lshl_add_u32 v13, v13, 23, v15
	v_or3_b32 v12, v14, v13, v12
.LBB2_10764:
	s_or_b64 exec, exec, s[6:7]
	v_lshrrev_b32_e32 v13, 8, v2
	s_movk_i32 s4, 0x7f
	v_cmp_gt_i16_sdwa s[6:7], v13, s4 src0_sel:BYTE_0 src1_sel:DWORD
	s_mov_b64 s[4:5], 0
                                        ; implicit-def: $sgpr10
	s_and_saveexec_b64 s[8:9], s[6:7]
	s_xor_b64 s[6:7], exec, s[8:9]
	s_cbranch_execz .LBB2_10765
; %bb.46605:
	s_getpc_b64 s[14:15]
.Lpost_getpc26886:
	s_add_u32 s14, s14, (.LBB2_25101-.Lpost_getpc26886)&4294967295
	s_addc_u32 s15, s15, (.LBB2_25101-.Lpost_getpc26886)>>32
	s_setpc_b64 s[14:15]
.LBB2_10765:
	s_or_saveexec_b64 s[6:7], s[6:7]
	v_mov_b32_e32 v14, s10
	s_xor_b64 exec, exec, s[6:7]
	s_cbranch_execz .LBB2_10766
; %bb.46607:
	s_getpc_b64 s[14:15]
.Lpost_getpc26887:
	s_add_u32 s14, s14, (.LBB2_25104-.Lpost_getpc26887)&4294967295
	s_addc_u32 s15, s15, (.LBB2_25104-.Lpost_getpc26887)>>32
	s_setpc_b64 s[14:15]
.LBB2_10766:
	s_or_b64 exec, exec, s[6:7]
	s_and_saveexec_b64 s[6:7], s[4:5]
	s_cbranch_execz .LBB2_10768
.LBB2_10767:
	v_bfe_u32 v14, v2, 8, 3
	v_ffbh_u32_e32 v16, v14
	v_min_u32_e32 v16, 32, v16
	v_lshrrev_b16_e32 v15, 3, v13
	v_subrev_u32_e32 v17, 28, v16
	v_and_b32_e32 v15, 15, v15
	v_lshlrev_b32_e32 v13, v17, v13
	v_sub_u32_e32 v16, 29, v16
	v_and_b32_e32 v13, 7, v13
	v_cmp_eq_u16_e32 vcc, 0, v15
	v_cndmask_b32_e32 v13, v14, v13, vcc
	v_cndmask_b32_e32 v14, v15, v16, vcc
	v_lshlrev_b32_e32 v15, 16, v2
	v_mov_b32_e32 v16, 0x3b800000
	v_lshlrev_b32_e32 v13, 20, v13
	v_and_b32_e32 v15, 0x80000000, v15
	v_lshl_add_u32 v14, v14, 23, v16
	v_or3_b32 v14, v15, v14, v13
.LBB2_10768:
	s_or_b64 exec, exec, s[6:7]
	s_nop 0
	v_mfma_f32_16x16x4f32 a[0:3], v12, v14, a[0:3]
	s_movk_i32 s4, 0xff
	v_and_b32_sdwa v13, v6, s4 dst_sel:DWORD dst_unused:UNUSED_PAD src0_sel:WORD_1 src1_sel:DWORD
	s_movk_i32 s4, 0x7f
	v_cmp_lt_i16_e32 vcc, s4, v13
	s_mov_b64 s[4:5], 0
                                        ; implicit-def: $sgpr10
	s_and_saveexec_b64 s[6:7], vcc
	s_xor_b64 s[6:7], exec, s[6:7]
	s_cbranch_execz .LBB2_10769
; %bb.46609:
	s_getpc_b64 s[14:15]
.Lpost_getpc26888:
	s_add_u32 s14, s14, (.LBB2_25105-.Lpost_getpc26888)&4294967295
	s_addc_u32 s15, s15, (.LBB2_25105-.Lpost_getpc26888)>>32
	s_setpc_b64 s[14:15]
.LBB2_10769:
	s_or_saveexec_b64 s[6:7], s[6:7]
	v_mov_b32_e32 v12, s10
	s_xor_b64 exec, exec, s[6:7]
	s_cbranch_execz .LBB2_10770
; %bb.46611:
	s_getpc_b64 s[14:15]
.Lpost_getpc26889:
	s_add_u32 s14, s14, (.LBB2_25108-.Lpost_getpc26889)&4294967295
	s_addc_u32 s15, s15, (.LBB2_25108-.Lpost_getpc26889)>>32
	s_setpc_b64 s[14:15]
.LBB2_10770:
	s_or_b64 exec, exec, s[6:7]
	s_and_saveexec_b64 s[6:7], s[4:5]
	s_cbranch_execz .LBB2_10772
.LBB2_10771:
	v_bfe_u32 v12, v6, 16, 3
	v_ffbh_u32_e32 v15, v12
	v_min_u32_e32 v15, 32, v15
	v_lshrrev_b32_e32 v13, 19, v6
	v_subrev_u32_e32 v16, 28, v15
	v_and_b32_e32 v13, 15, v13
	v_lshlrev_b32_sdwa v16, v16, v6 dst_sel:DWORD dst_unused:UNUSED_PAD src0_sel:DWORD src1_sel:WORD_1
	v_bfe_u32 v14, v6, 19, 4
	v_sub_u32_e32 v15, 29, v15
	v_and_b32_e32 v16, 7, v16
	v_cmp_eq_u16_e32 vcc, 0, v13
	v_cndmask_b32_e32 v12, v12, v16, vcc
	v_cndmask_b32_e32 v13, v14, v15, vcc
	v_lshlrev_b32_e32 v14, 8, v6
	v_mov_b32_e32 v15, 0x3b800000
	v_lshlrev_b32_e32 v12, 20, v12
	v_and_b32_e32 v14, 0x80000000, v14
	v_lshl_add_u32 v13, v13, 23, v15
	v_or3_b32 v12, v14, v13, v12
.LBB2_10772:
	s_or_b64 exec, exec, s[6:7]
	s_movk_i32 s4, 0xff
	v_and_b32_sdwa v13, v2, s4 dst_sel:DWORD dst_unused:UNUSED_PAD src0_sel:WORD_1 src1_sel:DWORD
	s_movk_i32 s4, 0x7f
	v_cmp_lt_i16_e32 vcc, s4, v13
	s_mov_b64 s[4:5], 0
                                        ; implicit-def: $sgpr10
	s_and_saveexec_b64 s[6:7], vcc
	s_xor_b64 s[6:7], exec, s[6:7]
	s_cbranch_execz .LBB2_10773
; %bb.46613:
	s_getpc_b64 s[14:15]
.Lpost_getpc26890:
	s_add_u32 s14, s14, (.LBB2_25109-.Lpost_getpc26890)&4294967295
	s_addc_u32 s15, s15, (.LBB2_25109-.Lpost_getpc26890)>>32
	s_setpc_b64 s[14:15]
.LBB2_10773:
	s_or_saveexec_b64 s[6:7], s[6:7]
	v_mov_b32_e32 v14, s10
	s_xor_b64 exec, exec, s[6:7]
	s_cbranch_execz .LBB2_10774
; %bb.46615:
	s_getpc_b64 s[14:15]
.Lpost_getpc26891:
	s_add_u32 s14, s14, (.LBB2_25112-.Lpost_getpc26891)&4294967295
	s_addc_u32 s15, s15, (.LBB2_25112-.Lpost_getpc26891)>>32
	s_setpc_b64 s[14:15]
.LBB2_10774:
	s_or_b64 exec, exec, s[6:7]
	s_and_saveexec_b64 s[6:7], s[4:5]
	s_cbranch_execz .LBB2_10776
.LBB2_10775:
	v_bfe_u32 v13, v2, 16, 3
	v_ffbh_u32_e32 v16, v13
	v_min_u32_e32 v16, 32, v16
	v_lshrrev_b32_e32 v14, 19, v2
	v_subrev_u32_e32 v17, 28, v16
	v_and_b32_e32 v14, 15, v14
	v_lshlrev_b32_sdwa v17, v17, v2 dst_sel:DWORD dst_unused:UNUSED_PAD src0_sel:DWORD src1_sel:WORD_1
	v_bfe_u32 v15, v2, 19, 4
	v_sub_u32_e32 v16, 29, v16
	v_and_b32_e32 v17, 7, v17
	v_cmp_eq_u16_e32 vcc, 0, v14
	v_cndmask_b32_e32 v13, v13, v17, vcc
	v_cndmask_b32_e32 v14, v15, v16, vcc
	v_lshlrev_b32_e32 v15, 8, v2
	v_mov_b32_e32 v16, 0x3b800000
	v_lshlrev_b32_e32 v13, 20, v13
	v_and_b32_e32 v15, 0x80000000, v15
	v_lshl_add_u32 v14, v14, 23, v16
	v_or3_b32 v14, v15, v14, v13
.LBB2_10776:
	s_or_b64 exec, exec, s[6:7]
	s_nop 0
	v_mfma_f32_16x16x4f32 a[0:3], v12, v14, a[0:3]
	s_movk_i32 s4, 0x7f
	v_cmp_gt_i16_sdwa s[6:7], v6, s4 src0_sel:BYTE_3 src1_sel:DWORD
	s_mov_b64 s[4:5], 0
                                        ; implicit-def: $sgpr10
	s_and_saveexec_b64 s[8:9], s[6:7]
	s_xor_b64 s[6:7], exec, s[8:9]
	s_cbranch_execz .LBB2_10777
; %bb.46617:
	s_getpc_b64 s[14:15]
.Lpost_getpc26892:
	s_add_u32 s14, s14, (.LBB2_25113-.Lpost_getpc26892)&4294967295
	s_addc_u32 s15, s15, (.LBB2_25113-.Lpost_getpc26892)>>32
	s_setpc_b64 s[14:15]
.LBB2_10777:
	s_or_saveexec_b64 s[6:7], s[6:7]
	v_mov_b32_e32 v12, s10
	s_xor_b64 exec, exec, s[6:7]
	s_cbranch_execz .LBB2_10778
; %bb.46619:
	s_getpc_b64 s[14:15]
.Lpost_getpc26893:
	s_add_u32 s14, s14, (.LBB2_25116-.Lpost_getpc26893)&4294967295
	s_addc_u32 s15, s15, (.LBB2_25116-.Lpost_getpc26893)>>32
	s_setpc_b64 s[14:15]
.LBB2_10778:
	s_or_b64 exec, exec, s[6:7]
	s_and_saveexec_b64 s[6:7], s[4:5]
	s_cbranch_execz .LBB2_10780
.LBB2_10779:
	v_bfe_u32 v12, v6, 24, 3
	v_ffbh_u32_e32 v16, v12
	v_min_u32_e32 v16, 32, v16
	v_lshrrev_b32_e32 v14, 27, v6
	v_subrev_u32_e32 v17, 28, v16
	v_and_b32_e32 v13, 0x80000000, v6
	v_and_b32_e32 v14, 15, v14
	v_bfe_u32 v15, v6, 27, 4
	v_lshlrev_b32_sdwa v6, v17, v6 dst_sel:DWORD dst_unused:UNUSED_PAD src0_sel:DWORD src1_sel:BYTE_3
	v_sub_u32_e32 v16, 29, v16
	v_and_b32_e32 v6, 7, v6
	v_cmp_eq_u16_e32 vcc, 0, v14
	v_cndmask_b32_e32 v6, v12, v6, vcc
	v_cndmask_b32_e32 v12, v15, v16, vcc
	v_mov_b32_e32 v14, 0x3b800000
	v_lshlrev_b32_e32 v6, 20, v6
	v_lshl_add_u32 v12, v12, 23, v14
	v_or3_b32 v12, v13, v12, v6
.LBB2_10780:
	s_or_b64 exec, exec, s[6:7]
	s_movk_i32 s4, 0x7f
	v_cmp_gt_i16_sdwa s[6:7], v2, s4 src0_sel:BYTE_3 src1_sel:DWORD
	s_mov_b64 s[4:5], 0
                                        ; implicit-def: $sgpr10
	s_and_saveexec_b64 s[8:9], s[6:7]
	s_xor_b64 s[6:7], exec, s[8:9]
	s_cbranch_execz .LBB2_10781
; %bb.46621:
	s_getpc_b64 s[14:15]
.Lpost_getpc26894:
	s_add_u32 s14, s14, (.LBB2_25117-.Lpost_getpc26894)&4294967295
	s_addc_u32 s15, s15, (.LBB2_25117-.Lpost_getpc26894)>>32
	s_setpc_b64 s[14:15]
.LBB2_10781:
	s_or_saveexec_b64 s[6:7], s[6:7]
	v_mov_b32_e32 v6, s10
	s_xor_b64 exec, exec, s[6:7]
	s_cbranch_execz .LBB2_10782
; %bb.46623:
	s_getpc_b64 s[14:15]
.Lpost_getpc26895:
	s_add_u32 s14, s14, (.LBB2_25120-.Lpost_getpc26895)&4294967295
	s_addc_u32 s15, s15, (.LBB2_25120-.Lpost_getpc26895)>>32
	s_setpc_b64 s[14:15]
.LBB2_10782:
	s_or_b64 exec, exec, s[6:7]
	s_and_saveexec_b64 s[6:7], s[4:5]
	s_cbranch_execz .LBB2_10784
.LBB2_10783:
	v_bfe_u32 v6, v2, 24, 3
	v_ffbh_u32_e32 v16, v6
	v_min_u32_e32 v16, 32, v16
	v_lshrrev_b32_e32 v14, 27, v2
	v_subrev_u32_e32 v17, 28, v16
	v_and_b32_e32 v13, 0x80000000, v2
	v_and_b32_e32 v14, 15, v14
	v_bfe_u32 v15, v2, 27, 4
	v_lshlrev_b32_sdwa v2, v17, v2 dst_sel:DWORD dst_unused:UNUSED_PAD src0_sel:DWORD src1_sel:BYTE_3
	v_sub_u32_e32 v16, 29, v16
	v_and_b32_e32 v2, 7, v2
	v_cmp_eq_u16_e32 vcc, 0, v14
	v_cndmask_b32_e32 v2, v6, v2, vcc
	v_cndmask_b32_e32 v6, v15, v16, vcc
	v_mov_b32_e32 v14, 0x3b800000
	v_lshlrev_b32_e32 v2, 20, v2
	v_lshl_add_u32 v6, v6, 23, v14
	v_or3_b32 v6, v13, v6, v2
.LBB2_10784:
	s_or_b64 exec, exec, s[6:7]
	s_nop 0
	v_mfma_f32_16x16x4f32 a[0:3], v12, v6, a[0:3]
	s_movk_i32 s4, 0x7f
	v_cmp_gt_i16_sdwa s[6:7], v7, s4 src0_sel:BYTE_0 src1_sel:DWORD
	s_mov_b64 s[4:5], 0
                                        ; implicit-def: $sgpr10
	s_and_saveexec_b64 s[8:9], s[6:7]
	s_xor_b64 s[6:7], exec, s[8:9]
	s_cbranch_execz .LBB2_10785
; %bb.46625:
	s_getpc_b64 s[14:15]
.Lpost_getpc26896:
	s_add_u32 s14, s14, (.LBB2_25121-.Lpost_getpc26896)&4294967295
	s_addc_u32 s15, s15, (.LBB2_25121-.Lpost_getpc26896)>>32
	s_setpc_b64 s[14:15]
.LBB2_10785:
	s_or_saveexec_b64 s[6:7], s[6:7]
	v_mov_b32_e32 v2, s10
	s_xor_b64 exec, exec, s[6:7]
	s_cbranch_execz .LBB2_10786
; %bb.46627:
	s_getpc_b64 s[14:15]
.Lpost_getpc26897:
	s_add_u32 s14, s14, (.LBB2_25124-.Lpost_getpc26897)&4294967295
	s_addc_u32 s15, s15, (.LBB2_25124-.Lpost_getpc26897)>>32
	s_setpc_b64 s[14:15]
.LBB2_10786:
	s_or_b64 exec, exec, s[6:7]
	s_and_saveexec_b64 s[6:7], s[4:5]
	s_cbranch_execz .LBB2_10788
.LBB2_10787:
	v_and_b32_e32 v2, 7, v7
	v_ffbh_u32_e32 v12, v2
	v_min_u32_e32 v12, 32, v12
	v_lshrrev_b16_e32 v6, 3, v7
	v_subrev_u32_e32 v13, 28, v12
	v_and_b32_e32 v6, 15, v6
	v_lshlrev_b32_e32 v13, v13, v7
	v_sub_u32_e32 v12, 29, v12
	v_and_b32_e32 v13, 7, v13
	v_cmp_eq_u16_e32 vcc, 0, v6
	v_cndmask_b32_e32 v2, v2, v13, vcc
	v_cndmask_b32_e32 v6, v6, v12, vcc
	v_lshlrev_b32_e32 v12, 24, v7
	v_mov_b32_e32 v13, 0x3b800000
	v_lshlrev_b32_e32 v2, 20, v2
	v_and_b32_e32 v12, 0x80000000, v12
	v_lshl_add_u32 v6, v6, 23, v13
	v_or3_b32 v2, v12, v6, v2
.LBB2_10788:
	s_or_b64 exec, exec, s[6:7]
	s_movk_i32 s4, 0x7f
	v_cmp_gt_i16_sdwa s[6:7], v3, s4 src0_sel:BYTE_0 src1_sel:DWORD
	s_mov_b64 s[4:5], 0
                                        ; implicit-def: $sgpr10
	s_and_saveexec_b64 s[8:9], s[6:7]
	s_xor_b64 s[6:7], exec, s[8:9]
	s_cbranch_execz .LBB2_10789
; %bb.46629:
	s_getpc_b64 s[14:15]
.Lpost_getpc26898:
	s_add_u32 s14, s14, (.LBB2_25125-.Lpost_getpc26898)&4294967295
	s_addc_u32 s15, s15, (.LBB2_25125-.Lpost_getpc26898)>>32
	s_setpc_b64 s[14:15]
.LBB2_10789:
	s_or_saveexec_b64 s[6:7], s[6:7]
	v_mov_b32_e32 v6, s10
	s_xor_b64 exec, exec, s[6:7]
	s_cbranch_execz .LBB2_10790
; %bb.46631:
	s_getpc_b64 s[14:15]
.Lpost_getpc26899:
	s_add_u32 s14, s14, (.LBB2_25128-.Lpost_getpc26899)&4294967295
	s_addc_u32 s15, s15, (.LBB2_25128-.Lpost_getpc26899)>>32
	s_setpc_b64 s[14:15]
.LBB2_10790:
	s_or_b64 exec, exec, s[6:7]
	s_and_saveexec_b64 s[6:7], s[4:5]
	s_cbranch_execz .LBB2_10792
.LBB2_10791:
	v_and_b32_e32 v6, 7, v3
	v_ffbh_u32_e32 v13, v6
	v_min_u32_e32 v13, 32, v13
	v_lshrrev_b16_e32 v12, 3, v3
	v_subrev_u32_e32 v14, 28, v13
	v_and_b32_e32 v12, 15, v12
	v_lshlrev_b32_e32 v14, v14, v3
	v_sub_u32_e32 v13, 29, v13
	v_and_b32_e32 v14, 7, v14
	v_cmp_eq_u16_e32 vcc, 0, v12
	v_cndmask_b32_e32 v6, v6, v14, vcc
	v_cndmask_b32_e32 v12, v12, v13, vcc
	v_lshlrev_b32_e32 v13, 24, v3
	v_mov_b32_e32 v14, 0x3b800000
	v_lshlrev_b32_e32 v6, 20, v6
	v_and_b32_e32 v13, 0x80000000, v13
	v_lshl_add_u32 v12, v12, 23, v14
	v_or3_b32 v6, v13, v12, v6
.LBB2_10792:
	s_or_b64 exec, exec, s[6:7]
	s_nop 0
	v_mfma_f32_16x16x4f32 a[0:3], v2, v6, a[0:3]
	v_lshrrev_b32_e32 v6, 8, v7
	s_movk_i32 s4, 0x7f
	v_cmp_gt_i16_sdwa s[6:7], v6, s4 src0_sel:BYTE_0 src1_sel:DWORD
	s_mov_b64 s[4:5], 0
                                        ; implicit-def: $sgpr10
	s_and_saveexec_b64 s[8:9], s[6:7]
	s_xor_b64 s[6:7], exec, s[8:9]
	s_cbranch_execz .LBB2_10793
; %bb.46633:
	s_getpc_b64 s[14:15]
.Lpost_getpc26900:
	s_add_u32 s14, s14, (.LBB2_25129-.Lpost_getpc26900)&4294967295
	s_addc_u32 s15, s15, (.LBB2_25129-.Lpost_getpc26900)>>32
	s_setpc_b64 s[14:15]
.LBB2_10793:
	s_or_saveexec_b64 s[6:7], s[6:7]
	v_mov_b32_e32 v2, s10
	s_xor_b64 exec, exec, s[6:7]
	s_cbranch_execz .LBB2_10794
; %bb.46635:
	s_getpc_b64 s[14:15]
.Lpost_getpc26901:
	s_add_u32 s14, s14, (.LBB2_25132-.Lpost_getpc26901)&4294967295
	s_addc_u32 s15, s15, (.LBB2_25132-.Lpost_getpc26901)>>32
	s_setpc_b64 s[14:15]
.LBB2_10794:
	s_or_b64 exec, exec, s[6:7]
	s_and_saveexec_b64 s[6:7], s[4:5]
	s_cbranch_execz .LBB2_10796
.LBB2_10795:
	v_bfe_u32 v2, v7, 8, 3
	v_ffbh_u32_e32 v13, v2
	v_min_u32_e32 v13, 32, v13
	v_lshrrev_b16_e32 v12, 3, v6
	v_subrev_u32_e32 v14, 28, v13
	v_and_b32_e32 v12, 15, v12
	v_lshlrev_b32_e32 v6, v14, v6
	v_sub_u32_e32 v13, 29, v13
	v_and_b32_e32 v6, 7, v6
	v_cmp_eq_u16_e32 vcc, 0, v12
	v_cndmask_b32_e32 v2, v2, v6, vcc
	v_cndmask_b32_e32 v6, v12, v13, vcc
	v_lshlrev_b32_e32 v12, 16, v7
	v_mov_b32_e32 v13, 0x3b800000
	v_lshlrev_b32_e32 v2, 20, v2
	v_and_b32_e32 v12, 0x80000000, v12
	v_lshl_add_u32 v6, v6, 23, v13
	v_or3_b32 v2, v12, v6, v2
.LBB2_10796:
	s_or_b64 exec, exec, s[6:7]
	v_lshrrev_b32_e32 v6, 8, v3
	s_movk_i32 s4, 0x7f
	v_cmp_gt_i16_sdwa s[6:7], v6, s4 src0_sel:BYTE_0 src1_sel:DWORD
	s_mov_b64 s[4:5], 0
                                        ; implicit-def: $sgpr10
	s_and_saveexec_b64 s[8:9], s[6:7]
	s_xor_b64 s[6:7], exec, s[8:9]
	s_cbranch_execz .LBB2_10797
; %bb.46637:
	s_getpc_b64 s[14:15]
.Lpost_getpc26902:
	s_add_u32 s14, s14, (.LBB2_25133-.Lpost_getpc26902)&4294967295
	s_addc_u32 s15, s15, (.LBB2_25133-.Lpost_getpc26902)>>32
	s_setpc_b64 s[14:15]
.LBB2_10797:
	s_or_saveexec_b64 s[6:7], s[6:7]
	v_mov_b32_e32 v12, s10
	s_xor_b64 exec, exec, s[6:7]
	s_cbranch_execz .LBB2_10798
; %bb.46639:
	s_getpc_b64 s[14:15]
.Lpost_getpc26903:
	s_add_u32 s14, s14, (.LBB2_25136-.Lpost_getpc26903)&4294967295
	s_addc_u32 s15, s15, (.LBB2_25136-.Lpost_getpc26903)>>32
	s_setpc_b64 s[14:15]
.LBB2_10798:
	s_or_b64 exec, exec, s[6:7]
	s_and_saveexec_b64 s[6:7], s[4:5]
	s_cbranch_execz .LBB2_10800
.LBB2_10799:
	v_bfe_u32 v12, v3, 8, 3
	v_ffbh_u32_e32 v14, v12
	v_min_u32_e32 v14, 32, v14
	v_lshrrev_b16_e32 v13, 3, v6
	v_subrev_u32_e32 v15, 28, v14
	v_and_b32_e32 v13, 15, v13
	v_lshlrev_b32_e32 v6, v15, v6
	v_sub_u32_e32 v14, 29, v14
	v_and_b32_e32 v6, 7, v6
	v_cmp_eq_u16_e32 vcc, 0, v13
	v_cndmask_b32_e32 v6, v12, v6, vcc
	v_cndmask_b32_e32 v12, v13, v14, vcc
	v_lshlrev_b32_e32 v13, 16, v3
	v_mov_b32_e32 v14, 0x3b800000
	v_lshlrev_b32_e32 v6, 20, v6
	v_and_b32_e32 v13, 0x80000000, v13
	v_lshl_add_u32 v12, v12, 23, v14
	v_or3_b32 v12, v13, v12, v6
.LBB2_10800:
	s_or_b64 exec, exec, s[6:7]
	s_nop 0
	v_mfma_f32_16x16x4f32 a[0:3], v2, v12, a[0:3]
	s_movk_i32 s4, 0xff
	v_and_b32_sdwa v6, v7, s4 dst_sel:DWORD dst_unused:UNUSED_PAD src0_sel:WORD_1 src1_sel:DWORD
	s_movk_i32 s4, 0x7f
	v_cmp_lt_i16_e32 vcc, s4, v6
	s_mov_b64 s[4:5], 0
                                        ; implicit-def: $sgpr10
	s_and_saveexec_b64 s[6:7], vcc
	s_xor_b64 s[6:7], exec, s[6:7]
	s_cbranch_execz .LBB2_10801
; %bb.46641:
	s_getpc_b64 s[14:15]
.Lpost_getpc26904:
	s_add_u32 s14, s14, (.LBB2_25137-.Lpost_getpc26904)&4294967295
	s_addc_u32 s15, s15, (.LBB2_25137-.Lpost_getpc26904)>>32
	s_setpc_b64 s[14:15]
.LBB2_10801:
	s_or_saveexec_b64 s[6:7], s[6:7]
	v_mov_b32_e32 v2, s10
	s_xor_b64 exec, exec, s[6:7]
	s_cbranch_execz .LBB2_10802
; %bb.46643:
	s_getpc_b64 s[14:15]
.Lpost_getpc26905:
	s_add_u32 s14, s14, (.LBB2_25140-.Lpost_getpc26905)&4294967295
	s_addc_u32 s15, s15, (.LBB2_25140-.Lpost_getpc26905)>>32
	s_setpc_b64 s[14:15]
.LBB2_10802:
	s_or_b64 exec, exec, s[6:7]
	s_and_saveexec_b64 s[6:7], s[4:5]
	s_cbranch_execz .LBB2_10804
.LBB2_10803:
	v_bfe_u32 v2, v7, 16, 3
	v_ffbh_u32_e32 v13, v2
	v_min_u32_e32 v13, 32, v13
	v_lshrrev_b32_e32 v6, 19, v7
	v_subrev_u32_e32 v14, 28, v13
	v_and_b32_e32 v6, 15, v6
	v_lshlrev_b32_sdwa v14, v14, v7 dst_sel:DWORD dst_unused:UNUSED_PAD src0_sel:DWORD src1_sel:WORD_1
	v_bfe_u32 v12, v7, 19, 4
	v_sub_u32_e32 v13, 29, v13
	v_and_b32_e32 v14, 7, v14
	v_cmp_eq_u16_e32 vcc, 0, v6
	v_cndmask_b32_e32 v2, v2, v14, vcc
	v_cndmask_b32_e32 v6, v12, v13, vcc
	v_lshlrev_b32_e32 v12, 8, v7
	v_mov_b32_e32 v13, 0x3b800000
	v_lshlrev_b32_e32 v2, 20, v2
	v_and_b32_e32 v12, 0x80000000, v12
	v_lshl_add_u32 v6, v6, 23, v13
	v_or3_b32 v2, v12, v6, v2
.LBB2_10804:
	s_or_b64 exec, exec, s[6:7]
	s_movk_i32 s4, 0xff
	v_and_b32_sdwa v6, v3, s4 dst_sel:DWORD dst_unused:UNUSED_PAD src0_sel:WORD_1 src1_sel:DWORD
	s_movk_i32 s4, 0x7f
	v_cmp_lt_i16_e32 vcc, s4, v6
	s_mov_b64 s[4:5], 0
                                        ; implicit-def: $sgpr10
	s_and_saveexec_b64 s[6:7], vcc
	s_xor_b64 s[6:7], exec, s[6:7]
	s_cbranch_execz .LBB2_10805
; %bb.46645:
	s_getpc_b64 s[14:15]
.Lpost_getpc26906:
	s_add_u32 s14, s14, (.LBB2_25141-.Lpost_getpc26906)&4294967295
	s_addc_u32 s15, s15, (.LBB2_25141-.Lpost_getpc26906)>>32
	s_setpc_b64 s[14:15]
.LBB2_10805:
	s_or_saveexec_b64 s[6:7], s[6:7]
	v_mov_b32_e32 v12, s10
	s_xor_b64 exec, exec, s[6:7]
	s_cbranch_execz .LBB2_10806
; %bb.46647:
	s_getpc_b64 s[14:15]
.Lpost_getpc26907:
	s_add_u32 s14, s14, (.LBB2_25144-.Lpost_getpc26907)&4294967295
	s_addc_u32 s15, s15, (.LBB2_25144-.Lpost_getpc26907)>>32
	s_setpc_b64 s[14:15]
.LBB2_10806:
	s_or_b64 exec, exec, s[6:7]
	s_and_saveexec_b64 s[6:7], s[4:5]
	s_cbranch_execz .LBB2_10808
.LBB2_10807:
	v_bfe_u32 v6, v3, 16, 3
	v_ffbh_u32_e32 v14, v6
	v_min_u32_e32 v14, 32, v14
	v_lshrrev_b32_e32 v12, 19, v3
	v_subrev_u32_e32 v15, 28, v14
	v_and_b32_e32 v12, 15, v12
	v_lshlrev_b32_sdwa v15, v15, v3 dst_sel:DWORD dst_unused:UNUSED_PAD src0_sel:DWORD src1_sel:WORD_1
	v_bfe_u32 v13, v3, 19, 4
	v_sub_u32_e32 v14, 29, v14
	v_and_b32_e32 v15, 7, v15
	v_cmp_eq_u16_e32 vcc, 0, v12
	v_cndmask_b32_e32 v6, v6, v15, vcc
	v_cndmask_b32_e32 v12, v13, v14, vcc
	v_lshlrev_b32_e32 v13, 8, v3
	v_mov_b32_e32 v14, 0x3b800000
	v_lshlrev_b32_e32 v6, 20, v6
	v_and_b32_e32 v13, 0x80000000, v13
	v_lshl_add_u32 v12, v12, 23, v14
	v_or3_b32 v12, v13, v12, v6
.LBB2_10808:
	s_or_b64 exec, exec, s[6:7]
	s_nop 0
	v_mfma_f32_16x16x4f32 a[0:3], v2, v12, a[0:3]
	s_movk_i32 s4, 0x7f
	v_cmp_gt_i16_sdwa s[6:7], v7, s4 src0_sel:BYTE_3 src1_sel:DWORD
	s_mov_b64 s[4:5], 0
                                        ; implicit-def: $sgpr10
	s_and_saveexec_b64 s[8:9], s[6:7]
	s_xor_b64 s[6:7], exec, s[8:9]
	s_cbranch_execz .LBB2_10809
; %bb.46649:
	s_getpc_b64 s[14:15]
.Lpost_getpc26908:
	s_add_u32 s14, s14, (.LBB2_25145-.Lpost_getpc26908)&4294967295
	s_addc_u32 s15, s15, (.LBB2_25145-.Lpost_getpc26908)>>32
	s_setpc_b64 s[14:15]
.LBB2_10809:
	s_or_saveexec_b64 s[6:7], s[6:7]
	v_mov_b32_e32 v2, s10
	s_xor_b64 exec, exec, s[6:7]
	s_cbranch_execz .LBB2_10810
; %bb.46651:
	s_getpc_b64 s[14:15]
.Lpost_getpc26909:
	s_add_u32 s14, s14, (.LBB2_25148-.Lpost_getpc26909)&4294967295
	s_addc_u32 s15, s15, (.LBB2_25148-.Lpost_getpc26909)>>32
	s_setpc_b64 s[14:15]
.LBB2_10810:
	s_or_b64 exec, exec, s[6:7]
	s_and_saveexec_b64 s[6:7], s[4:5]
	s_cbranch_execz .LBB2_10812
.LBB2_10811:
	v_bfe_u32 v2, v7, 24, 3
	v_ffbh_u32_e32 v14, v2
	v_min_u32_e32 v14, 32, v14
	v_lshrrev_b32_e32 v12, 27, v7
	v_subrev_u32_e32 v15, 28, v14
	v_and_b32_e32 v6, 0x80000000, v7
	v_and_b32_e32 v12, 15, v12
	v_bfe_u32 v13, v7, 27, 4
	v_lshlrev_b32_sdwa v7, v15, v7 dst_sel:DWORD dst_unused:UNUSED_PAD src0_sel:DWORD src1_sel:BYTE_3
	v_sub_u32_e32 v14, 29, v14
	v_and_b32_e32 v7, 7, v7
	v_cmp_eq_u16_e32 vcc, 0, v12
	v_cndmask_b32_e32 v2, v2, v7, vcc
	v_cndmask_b32_e32 v7, v13, v14, vcc
	v_mov_b32_e32 v12, 0x3b800000
	v_lshlrev_b32_e32 v2, 20, v2
	v_lshl_add_u32 v7, v7, 23, v12
	v_or3_b32 v2, v6, v7, v2
.LBB2_10812:
	s_or_b64 exec, exec, s[6:7]
	s_movk_i32 s4, 0x7f
	v_cmp_gt_i16_sdwa s[6:7], v3, s4 src0_sel:BYTE_3 src1_sel:DWORD
	s_mov_b64 s[4:5], 0
                                        ; implicit-def: $sgpr10
	s_and_saveexec_b64 s[8:9], s[6:7]
	s_xor_b64 s[6:7], exec, s[8:9]
	s_cbranch_execz .LBB2_10813
; %bb.46653:
	s_getpc_b64 s[14:15]
.Lpost_getpc26910:
	s_add_u32 s14, s14, (.LBB2_25149-.Lpost_getpc26910)&4294967295
	s_addc_u32 s15, s15, (.LBB2_25149-.Lpost_getpc26910)>>32
	s_setpc_b64 s[14:15]
.LBB2_10813:
	s_or_saveexec_b64 s[6:7], s[6:7]
	v_mov_b32_e32 v6, s10
	s_xor_b64 exec, exec, s[6:7]
	s_cbranch_execz .LBB2_10814
; %bb.46655:
	s_getpc_b64 s[14:15]
.Lpost_getpc26911:
	s_add_u32 s14, s14, (.LBB2_25152-.Lpost_getpc26911)&4294967295
	s_addc_u32 s15, s15, (.LBB2_25152-.Lpost_getpc26911)>>32
	s_setpc_b64 s[14:15]
.LBB2_10814:
	s_or_b64 exec, exec, s[6:7]
	s_and_saveexec_b64 s[6:7], s[4:5]
	s_cbranch_execz .LBB2_10816
.LBB2_10815:
	v_bfe_u32 v6, v3, 24, 3
	v_ffbh_u32_e32 v14, v6
	v_min_u32_e32 v14, 32, v14
	v_lshrrev_b32_e32 v12, 27, v3
	v_subrev_u32_e32 v15, 28, v14
	v_and_b32_e32 v7, 0x80000000, v3
	v_and_b32_e32 v12, 15, v12
	v_bfe_u32 v13, v3, 27, 4
	v_lshlrev_b32_sdwa v3, v15, v3 dst_sel:DWORD dst_unused:UNUSED_PAD src0_sel:DWORD src1_sel:BYTE_3
	v_sub_u32_e32 v14, 29, v14
	v_and_b32_e32 v3, 7, v3
	v_cmp_eq_u16_e32 vcc, 0, v12
	v_cndmask_b32_e32 v3, v6, v3, vcc
	v_cndmask_b32_e32 v6, v13, v14, vcc
	v_mov_b32_e32 v12, 0x3b800000
	v_lshlrev_b32_e32 v3, 20, v3
	v_lshl_add_u32 v6, v6, 23, v12
	v_or3_b32 v6, v7, v6, v3
.LBB2_10816:
	s_or_b64 exec, exec, s[6:7]
	s_nop 0
	v_mfma_f32_16x16x4f32 a[0:3], v2, v6, a[0:3]
	s_movk_i32 s4, 0x7f
	v_cmp_gt_i16_sdwa s[6:7], v8, s4 src0_sel:BYTE_0 src1_sel:DWORD
	s_mov_b64 s[4:5], 0
                                        ; implicit-def: $sgpr10
	s_and_saveexec_b64 s[8:9], s[6:7]
	s_xor_b64 s[6:7], exec, s[8:9]
	s_cbranch_execz .LBB2_10817
; %bb.46657:
	s_getpc_b64 s[14:15]
.Lpost_getpc26912:
	s_add_u32 s14, s14, (.LBB2_25153-.Lpost_getpc26912)&4294967295
	s_addc_u32 s15, s15, (.LBB2_25153-.Lpost_getpc26912)>>32
	s_setpc_b64 s[14:15]
.LBB2_10817:
	s_or_saveexec_b64 s[6:7], s[6:7]
	v_mov_b32_e32 v2, s10
	s_xor_b64 exec, exec, s[6:7]
	s_cbranch_execz .LBB2_10818
; %bb.46659:
	s_getpc_b64 s[14:15]
.Lpost_getpc26913:
	s_add_u32 s14, s14, (.LBB2_25156-.Lpost_getpc26913)&4294967295
	s_addc_u32 s15, s15, (.LBB2_25156-.Lpost_getpc26913)>>32
	s_setpc_b64 s[14:15]
.LBB2_10818:
	s_or_b64 exec, exec, s[6:7]
	s_and_saveexec_b64 s[6:7], s[4:5]
	s_cbranch_execz .LBB2_10820
.LBB2_10819:
	v_and_b32_e32 v2, 7, v8
	v_ffbh_u32_e32 v6, v2
	v_min_u32_e32 v6, 32, v6
	v_lshrrev_b16_e32 v3, 3, v8
	v_subrev_u32_e32 v7, 28, v6
	v_and_b32_e32 v3, 15, v3
	v_lshlrev_b32_e32 v7, v7, v8
	v_sub_u32_e32 v6, 29, v6
	v_and_b32_e32 v7, 7, v7
	v_cmp_eq_u16_e32 vcc, 0, v3
	v_cndmask_b32_e32 v2, v2, v7, vcc
	v_cndmask_b32_e32 v3, v3, v6, vcc
	v_lshlrev_b32_e32 v6, 24, v8
	v_mov_b32_e32 v7, 0x3b800000
	v_lshlrev_b32_e32 v2, 20, v2
	v_and_b32_e32 v6, 0x80000000, v6
	v_lshl_add_u32 v3, v3, 23, v7
	v_or3_b32 v2, v6, v3, v2
.LBB2_10820:
	s_or_b64 exec, exec, s[6:7]
	s_movk_i32 s4, 0x7f
	v_cmp_gt_i16_sdwa s[6:7], v4, s4 src0_sel:BYTE_0 src1_sel:DWORD
	s_mov_b64 s[4:5], 0
                                        ; implicit-def: $sgpr10
	s_and_saveexec_b64 s[8:9], s[6:7]
	s_xor_b64 s[6:7], exec, s[8:9]
	s_cbranch_execz .LBB2_10821
; %bb.46661:
	s_getpc_b64 s[14:15]
.Lpost_getpc26914:
	s_add_u32 s14, s14, (.LBB2_25157-.Lpost_getpc26914)&4294967295
	s_addc_u32 s15, s15, (.LBB2_25157-.Lpost_getpc26914)>>32
	s_setpc_b64 s[14:15]
.LBB2_10821:
	s_or_saveexec_b64 s[6:7], s[6:7]
	v_mov_b32_e32 v3, s10
	s_xor_b64 exec, exec, s[6:7]
	s_cbranch_execz .LBB2_10822
; %bb.46663:
	s_getpc_b64 s[14:15]
.Lpost_getpc26915:
	s_add_u32 s14, s14, (.LBB2_25160-.Lpost_getpc26915)&4294967295
	s_addc_u32 s15, s15, (.LBB2_25160-.Lpost_getpc26915)>>32
	s_setpc_b64 s[14:15]
.LBB2_10822:
	s_or_b64 exec, exec, s[6:7]
	s_and_saveexec_b64 s[6:7], s[4:5]
	s_cbranch_execz .LBB2_10824
.LBB2_10823:
	v_and_b32_e32 v3, 7, v4
	v_ffbh_u32_e32 v7, v3
	v_min_u32_e32 v7, 32, v7
	v_lshrrev_b16_e32 v6, 3, v4
	v_subrev_u32_e32 v12, 28, v7
	v_and_b32_e32 v6, 15, v6
	v_lshlrev_b32_e32 v12, v12, v4
	v_sub_u32_e32 v7, 29, v7
	v_and_b32_e32 v12, 7, v12
	v_cmp_eq_u16_e32 vcc, 0, v6
	v_cndmask_b32_e32 v3, v3, v12, vcc
	v_cndmask_b32_e32 v6, v6, v7, vcc
	v_lshlrev_b32_e32 v7, 24, v4
	v_mov_b32_e32 v12, 0x3b800000
	v_lshlrev_b32_e32 v3, 20, v3
	v_and_b32_e32 v7, 0x80000000, v7
	v_lshl_add_u32 v6, v6, 23, v12
	v_or3_b32 v3, v7, v6, v3
.LBB2_10824:
	s_or_b64 exec, exec, s[6:7]
	s_nop 0
	v_mfma_f32_16x16x4f32 a[0:3], v2, v3, a[0:3]
	v_lshrrev_b32_e32 v3, 8, v8
	s_movk_i32 s4, 0x7f
	v_cmp_gt_i16_sdwa s[6:7], v3, s4 src0_sel:BYTE_0 src1_sel:DWORD
	s_mov_b64 s[4:5], 0
                                        ; implicit-def: $sgpr10
	s_and_saveexec_b64 s[8:9], s[6:7]
	s_xor_b64 s[6:7], exec, s[8:9]
	s_cbranch_execz .LBB2_10825
; %bb.46665:
	s_getpc_b64 s[14:15]
.Lpost_getpc26916:
	s_add_u32 s14, s14, (.LBB2_25161-.Lpost_getpc26916)&4294967295
	s_addc_u32 s15, s15, (.LBB2_25161-.Lpost_getpc26916)>>32
	s_setpc_b64 s[14:15]
.LBB2_10825:
	s_or_saveexec_b64 s[6:7], s[6:7]
	v_mov_b32_e32 v2, s10
	s_xor_b64 exec, exec, s[6:7]
	s_cbranch_execz .LBB2_10826
; %bb.46667:
	s_getpc_b64 s[14:15]
.Lpost_getpc26917:
	s_add_u32 s14, s14, (.LBB2_25164-.Lpost_getpc26917)&4294967295
	s_addc_u32 s15, s15, (.LBB2_25164-.Lpost_getpc26917)>>32
	s_setpc_b64 s[14:15]
.LBB2_10826:
	s_or_b64 exec, exec, s[6:7]
	s_and_saveexec_b64 s[6:7], s[4:5]
	s_cbranch_execz .LBB2_10828
.LBB2_10827:
	v_bfe_u32 v2, v8, 8, 3
	v_ffbh_u32_e32 v7, v2
	v_min_u32_e32 v7, 32, v7
	v_lshrrev_b16_e32 v6, 3, v3
	v_subrev_u32_e32 v12, 28, v7
	v_and_b32_e32 v6, 15, v6
	v_lshlrev_b32_e32 v3, v12, v3
	v_sub_u32_e32 v7, 29, v7
	v_and_b32_e32 v3, 7, v3
	v_cmp_eq_u16_e32 vcc, 0, v6
	v_cndmask_b32_e32 v2, v2, v3, vcc
	v_cndmask_b32_e32 v3, v6, v7, vcc
	v_lshlrev_b32_e32 v6, 16, v8
	v_mov_b32_e32 v7, 0x3b800000
	v_lshlrev_b32_e32 v2, 20, v2
	v_and_b32_e32 v6, 0x80000000, v6
	v_lshl_add_u32 v3, v3, 23, v7
	v_or3_b32 v2, v6, v3, v2
.LBB2_10828:
	s_or_b64 exec, exec, s[6:7]
	v_lshrrev_b32_e32 v3, 8, v4
	s_movk_i32 s4, 0x7f
	v_cmp_gt_i16_sdwa s[6:7], v3, s4 src0_sel:BYTE_0 src1_sel:DWORD
	s_mov_b64 s[4:5], 0
                                        ; implicit-def: $sgpr10
	s_and_saveexec_b64 s[8:9], s[6:7]
	s_xor_b64 s[6:7], exec, s[8:9]
	s_cbranch_execz .LBB2_10829
; %bb.46669:
	s_getpc_b64 s[14:15]
.Lpost_getpc26918:
	s_add_u32 s14, s14, (.LBB2_25165-.Lpost_getpc26918)&4294967295
	s_addc_u32 s15, s15, (.LBB2_25165-.Lpost_getpc26918)>>32
	s_setpc_b64 s[14:15]
.LBB2_10829:
	s_or_saveexec_b64 s[6:7], s[6:7]
	v_mov_b32_e32 v6, s10
	s_xor_b64 exec, exec, s[6:7]
	s_cbranch_execz .LBB2_10830
; %bb.46671:
	s_getpc_b64 s[14:15]
.Lpost_getpc26919:
	s_add_u32 s14, s14, (.LBB2_25168-.Lpost_getpc26919)&4294967295
	s_addc_u32 s15, s15, (.LBB2_25168-.Lpost_getpc26919)>>32
	s_setpc_b64 s[14:15]
.LBB2_10830:
	s_or_b64 exec, exec, s[6:7]
	s_and_saveexec_b64 s[6:7], s[4:5]
	s_cbranch_execz .LBB2_10832
.LBB2_10831:
	v_bfe_u32 v6, v4, 8, 3
	v_ffbh_u32_e32 v12, v6
	v_min_u32_e32 v12, 32, v12
	v_lshrrev_b16_e32 v7, 3, v3
	v_subrev_u32_e32 v13, 28, v12
	v_and_b32_e32 v7, 15, v7
	v_lshlrev_b32_e32 v3, v13, v3
	v_sub_u32_e32 v12, 29, v12
	v_and_b32_e32 v3, 7, v3
	v_cmp_eq_u16_e32 vcc, 0, v7
	v_cndmask_b32_e32 v3, v6, v3, vcc
	v_cndmask_b32_e32 v6, v7, v12, vcc
	v_lshlrev_b32_e32 v7, 16, v4
	v_mov_b32_e32 v12, 0x3b800000
	v_lshlrev_b32_e32 v3, 20, v3
	v_and_b32_e32 v7, 0x80000000, v7
	v_lshl_add_u32 v6, v6, 23, v12
	v_or3_b32 v6, v7, v6, v3
.LBB2_10832:
	s_or_b64 exec, exec, s[6:7]
	s_nop 0
	v_mfma_f32_16x16x4f32 a[0:3], v2, v6, a[0:3]
	s_movk_i32 s4, 0xff
	v_and_b32_sdwa v3, v8, s4 dst_sel:DWORD dst_unused:UNUSED_PAD src0_sel:WORD_1 src1_sel:DWORD
	s_movk_i32 s4, 0x7f
	v_cmp_lt_i16_e32 vcc, s4, v3
	s_mov_b64 s[4:5], 0
                                        ; implicit-def: $sgpr10
	s_and_saveexec_b64 s[6:7], vcc
	s_xor_b64 s[6:7], exec, s[6:7]
	s_cbranch_execz .LBB2_10833
; %bb.46673:
	s_getpc_b64 s[14:15]
.Lpost_getpc26920:
	s_add_u32 s14, s14, (.LBB2_25169-.Lpost_getpc26920)&4294967295
	s_addc_u32 s15, s15, (.LBB2_25169-.Lpost_getpc26920)>>32
	s_setpc_b64 s[14:15]
.LBB2_10833:
	s_or_saveexec_b64 s[6:7], s[6:7]
	v_mov_b32_e32 v2, s10
	s_xor_b64 exec, exec, s[6:7]
	s_cbranch_execz .LBB2_10834
; %bb.46675:
	s_getpc_b64 s[14:15]
.Lpost_getpc26921:
	s_add_u32 s14, s14, (.LBB2_25172-.Lpost_getpc26921)&4294967295
	s_addc_u32 s15, s15, (.LBB2_25172-.Lpost_getpc26921)>>32
	s_setpc_b64 s[14:15]
.LBB2_10834:
	s_or_b64 exec, exec, s[6:7]
	s_and_saveexec_b64 s[6:7], s[4:5]
	s_cbranch_execz .LBB2_10836
.LBB2_10835:
	v_bfe_u32 v2, v8, 16, 3
	v_ffbh_u32_e32 v7, v2
	v_min_u32_e32 v7, 32, v7
	v_lshrrev_b32_e32 v3, 19, v8
	v_subrev_u32_e32 v12, 28, v7
	v_and_b32_e32 v3, 15, v3
	v_lshlrev_b32_sdwa v12, v12, v8 dst_sel:DWORD dst_unused:UNUSED_PAD src0_sel:DWORD src1_sel:WORD_1
	v_bfe_u32 v6, v8, 19, 4
	v_sub_u32_e32 v7, 29, v7
	v_and_b32_e32 v12, 7, v12
	v_cmp_eq_u16_e32 vcc, 0, v3
	v_cndmask_b32_e32 v2, v2, v12, vcc
	v_cndmask_b32_e32 v3, v6, v7, vcc
	v_lshlrev_b32_e32 v6, 8, v8
	v_mov_b32_e32 v7, 0x3b800000
	v_lshlrev_b32_e32 v2, 20, v2
	v_and_b32_e32 v6, 0x80000000, v6
	v_lshl_add_u32 v3, v3, 23, v7
	v_or3_b32 v2, v6, v3, v2
.LBB2_10836:
	s_or_b64 exec, exec, s[6:7]
	s_movk_i32 s4, 0xff
	v_and_b32_sdwa v3, v4, s4 dst_sel:DWORD dst_unused:UNUSED_PAD src0_sel:WORD_1 src1_sel:DWORD
	s_movk_i32 s4, 0x7f
	v_cmp_lt_i16_e32 vcc, s4, v3
	s_mov_b64 s[4:5], 0
                                        ; implicit-def: $sgpr10
	s_and_saveexec_b64 s[6:7], vcc
	s_xor_b64 s[6:7], exec, s[6:7]
	s_cbranch_execz .LBB2_10837
; %bb.46677:
	s_getpc_b64 s[14:15]
.Lpost_getpc26922:
	s_add_u32 s14, s14, (.LBB2_25173-.Lpost_getpc26922)&4294967295
	s_addc_u32 s15, s15, (.LBB2_25173-.Lpost_getpc26922)>>32
	s_setpc_b64 s[14:15]
.LBB2_10837:
	s_or_saveexec_b64 s[6:7], s[6:7]
	v_mov_b32_e32 v6, s10
	s_xor_b64 exec, exec, s[6:7]
	s_cbranch_execz .LBB2_10838
; %bb.46679:
	s_getpc_b64 s[14:15]
.Lpost_getpc26923:
	s_add_u32 s14, s14, (.LBB2_25176-.Lpost_getpc26923)&4294967295
	s_addc_u32 s15, s15, (.LBB2_25176-.Lpost_getpc26923)>>32
	s_setpc_b64 s[14:15]
.LBB2_10838:
	s_or_b64 exec, exec, s[6:7]
	s_and_saveexec_b64 s[6:7], s[4:5]
	s_cbranch_execz .LBB2_10840
.LBB2_10839:
	v_bfe_u32 v3, v4, 16, 3
	v_ffbh_u32_e32 v12, v3
	v_min_u32_e32 v12, 32, v12
	v_lshrrev_b32_e32 v6, 19, v4
	v_subrev_u32_e32 v13, 28, v12
	v_and_b32_e32 v6, 15, v6
	v_lshlrev_b32_sdwa v13, v13, v4 dst_sel:DWORD dst_unused:UNUSED_PAD src0_sel:DWORD src1_sel:WORD_1
	v_bfe_u32 v7, v4, 19, 4
	v_sub_u32_e32 v12, 29, v12
	v_and_b32_e32 v13, 7, v13
	v_cmp_eq_u16_e32 vcc, 0, v6
	v_cndmask_b32_e32 v3, v3, v13, vcc
	v_cndmask_b32_e32 v6, v7, v12, vcc
	v_lshlrev_b32_e32 v7, 8, v4
	v_mov_b32_e32 v12, 0x3b800000
	v_lshlrev_b32_e32 v3, 20, v3
	v_and_b32_e32 v7, 0x80000000, v7
	v_lshl_add_u32 v6, v6, 23, v12
	v_or3_b32 v6, v7, v6, v3
.LBB2_10840:
	s_or_b64 exec, exec, s[6:7]
	s_nop 0
	v_mfma_f32_16x16x4f32 a[0:3], v2, v6, a[0:3]
	s_movk_i32 s4, 0x7f
	v_cmp_gt_i16_sdwa s[6:7], v8, s4 src0_sel:BYTE_3 src1_sel:DWORD
	s_mov_b64 s[4:5], 0
                                        ; implicit-def: $sgpr10
	s_and_saveexec_b64 s[8:9], s[6:7]
	s_xor_b64 s[6:7], exec, s[8:9]
	s_cbranch_execz .LBB2_10841
; %bb.46681:
	s_getpc_b64 s[14:15]
.Lpost_getpc26924:
	s_add_u32 s14, s14, (.LBB2_25177-.Lpost_getpc26924)&4294967295
	s_addc_u32 s15, s15, (.LBB2_25177-.Lpost_getpc26924)>>32
	s_setpc_b64 s[14:15]
.LBB2_10841:
	s_or_saveexec_b64 s[6:7], s[6:7]
	v_mov_b32_e32 v2, s10
	s_xor_b64 exec, exec, s[6:7]
	s_cbranch_execz .LBB2_10842
; %bb.46683:
	s_getpc_b64 s[14:15]
.Lpost_getpc26925:
	s_add_u32 s14, s14, (.LBB2_25180-.Lpost_getpc26925)&4294967295
	s_addc_u32 s15, s15, (.LBB2_25180-.Lpost_getpc26925)>>32
	s_setpc_b64 s[14:15]
.LBB2_10842:
	s_or_b64 exec, exec, s[6:7]
	s_and_saveexec_b64 s[6:7], s[4:5]
	s_cbranch_execz .LBB2_10844
.LBB2_10843:
	v_bfe_u32 v2, v8, 24, 3
	v_ffbh_u32_e32 v12, v2
	v_min_u32_e32 v12, 32, v12
	v_lshrrev_b32_e32 v6, 27, v8
	v_subrev_u32_e32 v13, 28, v12
	v_and_b32_e32 v3, 0x80000000, v8
	v_and_b32_e32 v6, 15, v6
	v_bfe_u32 v7, v8, 27, 4
	v_lshlrev_b32_sdwa v8, v13, v8 dst_sel:DWORD dst_unused:UNUSED_PAD src0_sel:DWORD src1_sel:BYTE_3
	v_sub_u32_e32 v12, 29, v12
	v_and_b32_e32 v8, 7, v8
	v_cmp_eq_u16_e32 vcc, 0, v6
	v_cndmask_b32_e32 v2, v2, v8, vcc
	v_cndmask_b32_e32 v6, v7, v12, vcc
	v_mov_b32_e32 v7, 0x3b800000
	v_lshlrev_b32_e32 v2, 20, v2
	v_lshl_add_u32 v6, v6, 23, v7
	v_or3_b32 v2, v3, v6, v2
.LBB2_10844:
	s_or_b64 exec, exec, s[6:7]
	s_movk_i32 s4, 0x7f
	v_cmp_gt_i16_sdwa s[6:7], v4, s4 src0_sel:BYTE_3 src1_sel:DWORD
	s_mov_b64 s[4:5], 0
                                        ; implicit-def: $sgpr10
	s_and_saveexec_b64 s[8:9], s[6:7]
	s_xor_b64 s[6:7], exec, s[8:9]
	s_cbranch_execz .LBB2_10845
; %bb.46685:
	s_getpc_b64 s[14:15]
.Lpost_getpc26926:
	s_add_u32 s14, s14, (.LBB2_25181-.Lpost_getpc26926)&4294967295
	s_addc_u32 s15, s15, (.LBB2_25181-.Lpost_getpc26926)>>32
	s_setpc_b64 s[14:15]
.LBB2_10845:
	s_or_saveexec_b64 s[6:7], s[6:7]
	v_mov_b32_e32 v3, s10
	s_xor_b64 exec, exec, s[6:7]
	s_cbranch_execz .LBB2_10846
; %bb.46687:
	s_getpc_b64 s[14:15]
.Lpost_getpc26927:
	s_add_u32 s14, s14, (.LBB2_25184-.Lpost_getpc26927)&4294967295
	s_addc_u32 s15, s15, (.LBB2_25184-.Lpost_getpc26927)>>32
	s_setpc_b64 s[14:15]
.LBB2_10846:
	s_or_b64 exec, exec, s[6:7]
	s_and_saveexec_b64 s[6:7], s[4:5]
	s_cbranch_execz .LBB2_10848
.LBB2_10847:
	v_bfe_u32 v3, v4, 24, 3
	v_ffbh_u32_e32 v12, v3
	v_min_u32_e32 v12, 32, v12
	v_lshrrev_b32_e32 v7, 27, v4
	v_subrev_u32_e32 v13, 28, v12
	v_and_b32_e32 v6, 0x80000000, v4
	v_and_b32_e32 v7, 15, v7
	v_bfe_u32 v8, v4, 27, 4
	v_lshlrev_b32_sdwa v4, v13, v4 dst_sel:DWORD dst_unused:UNUSED_PAD src0_sel:DWORD src1_sel:BYTE_3
	v_sub_u32_e32 v12, 29, v12
	v_and_b32_e32 v4, 7, v4
	v_cmp_eq_u16_e32 vcc, 0, v7
	v_cndmask_b32_e32 v3, v3, v4, vcc
	v_cndmask_b32_e32 v4, v8, v12, vcc
	v_mov_b32_e32 v7, 0x3b800000
	v_lshlrev_b32_e32 v3, 20, v3
	v_lshl_add_u32 v4, v4, 23, v7
	v_or3_b32 v3, v6, v4, v3
.LBB2_10848:
	s_or_b64 exec, exec, s[6:7]
	s_nop 0
	v_mfma_f32_16x16x4f32 a[0:3], v2, v3, a[0:3]
	s_movk_i32 s4, 0x7f
	v_cmp_gt_i16_sdwa s[6:7], v9, s4 src0_sel:BYTE_0 src1_sel:DWORD
	s_mov_b64 s[4:5], 0
                                        ; implicit-def: $sgpr10
	s_and_saveexec_b64 s[8:9], s[6:7]
	s_xor_b64 s[6:7], exec, s[8:9]
	s_cbranch_execz .LBB2_10849
; %bb.46689:
	s_getpc_b64 s[14:15]
.Lpost_getpc26928:
	s_add_u32 s14, s14, (.LBB2_25185-.Lpost_getpc26928)&4294967295
	s_addc_u32 s15, s15, (.LBB2_25185-.Lpost_getpc26928)>>32
	s_setpc_b64 s[14:15]
.LBB2_10849:
	s_or_saveexec_b64 s[6:7], s[6:7]
	v_mov_b32_e32 v2, s10
	s_xor_b64 exec, exec, s[6:7]
	s_cbranch_execz .LBB2_10850
; %bb.46691:
	s_getpc_b64 s[14:15]
.Lpost_getpc26929:
	s_add_u32 s14, s14, (.LBB2_25188-.Lpost_getpc26929)&4294967295
	s_addc_u32 s15, s15, (.LBB2_25188-.Lpost_getpc26929)>>32
	s_setpc_b64 s[14:15]
.LBB2_10850:
	s_or_b64 exec, exec, s[6:7]
	s_and_saveexec_b64 s[6:7], s[4:5]
	s_cbranch_execz .LBB2_10852
.LBB2_10851:
	v_mov_b32_e32 v2, 8
	v_and_b32_e32 v3, 7, v9
	v_lshrrev_b32_sdwa v2, v2, v9 dst_sel:BYTE_1 dst_unused:UNUSED_PAD src0_sel:DWORD src1_sel:DWORD
	v_ffbh_u32_e32 v4, v3
	v_or_b32_sdwa v2, v9, v2 dst_sel:DWORD dst_unused:UNUSED_PAD src0_sel:BYTE_0 src1_sel:DWORD
	v_min_u32_e32 v4, 32, v4
	v_lshrrev_b16_e32 v2, 3, v2
	v_subrev_u32_e32 v6, 28, v4
	v_and_b32_e32 v2, 15, v2
	v_lshlrev_b32_e32 v6, v6, v9
	v_sub_u32_e32 v4, 29, v4
	v_and_b32_e32 v6, 7, v6
	v_cmp_eq_u16_e32 vcc, 0, v2
	v_cndmask_b32_e32 v3, v3, v6, vcc
	v_cndmask_b32_e32 v2, v2, v4, vcc
	v_lshlrev_b32_e32 v4, 24, v9
	v_mov_b32_e32 v6, 0x3b800000
	v_lshlrev_b32_e32 v3, 20, v3
	v_and_b32_e32 v4, 0x80000000, v4
	v_lshl_add_u32 v2, v2, 23, v6
	v_or3_b32 v2, v4, v2, v3
.LBB2_10852:
	s_or_b64 exec, exec, s[6:7]
	s_movk_i32 s4, 0x7f
	v_cmp_gt_i16_sdwa s[6:7], v5, s4 src0_sel:BYTE_0 src1_sel:DWORD
	s_mov_b64 s[4:5], 0
                                        ; implicit-def: $sgpr10
	s_and_saveexec_b64 s[8:9], s[6:7]
	s_xor_b64 s[6:7], exec, s[8:9]
	s_cbranch_execz .LBB2_10853
; %bb.46693:
	s_getpc_b64 s[14:15]
.Lpost_getpc26930:
	s_add_u32 s14, s14, (.LBB2_25189-.Lpost_getpc26930)&4294967295
	s_addc_u32 s15, s15, (.LBB2_25189-.Lpost_getpc26930)>>32
	s_setpc_b64 s[14:15]
.LBB2_10853:
	s_or_saveexec_b64 s[6:7], s[6:7]
	v_mov_b32_e32 v3, s10
	s_xor_b64 exec, exec, s[6:7]
	s_cbranch_execz .LBB2_10854
; %bb.46695:
	s_getpc_b64 s[14:15]
.Lpost_getpc26931:
	s_add_u32 s14, s14, (.LBB2_25192-.Lpost_getpc26931)&4294967295
	s_addc_u32 s15, s15, (.LBB2_25192-.Lpost_getpc26931)>>32
	s_setpc_b64 s[14:15]
.LBB2_10854:
	s_or_b64 exec, exec, s[6:7]
	s_and_saveexec_b64 s[6:7], s[4:5]
	s_cbranch_execz .LBB2_10856
.LBB2_10855:
	v_mov_b32_e32 v3, 8
	v_and_b32_e32 v4, 7, v5
	v_lshrrev_b32_sdwa v3, v3, v5 dst_sel:BYTE_1 dst_unused:UNUSED_PAD src0_sel:DWORD src1_sel:DWORD
	v_ffbh_u32_e32 v6, v4
	v_or_b32_sdwa v3, v5, v3 dst_sel:DWORD dst_unused:UNUSED_PAD src0_sel:BYTE_0 src1_sel:DWORD
	v_min_u32_e32 v6, 32, v6
	v_lshrrev_b16_e32 v3, 3, v3
	v_subrev_u32_e32 v7, 28, v6
	v_and_b32_e32 v3, 15, v3
	v_lshlrev_b32_e32 v7, v7, v5
	v_sub_u32_e32 v6, 29, v6
	v_and_b32_e32 v7, 7, v7
	v_cmp_eq_u16_e32 vcc, 0, v3
	v_cndmask_b32_e32 v4, v4, v7, vcc
	v_cndmask_b32_e32 v3, v3, v6, vcc
	v_lshlrev_b32_e32 v6, 24, v5
	v_mov_b32_e32 v7, 0x3b800000
	v_lshlrev_b32_e32 v4, 20, v4
	v_and_b32_e32 v6, 0x80000000, v6
	v_lshl_add_u32 v3, v3, 23, v7
	v_or3_b32 v3, v6, v3, v4
.LBB2_10856:
	s_or_b64 exec, exec, s[6:7]
	s_nop 0
	v_mfma_f32_16x16x4f32 a[0:3], v2, v3, a[0:3]
	v_lshrrev_b32_e32 v3, 8, v9
	s_movk_i32 s4, 0x7f
	v_cmp_gt_i16_sdwa s[6:7], v3, s4 src0_sel:BYTE_0 src1_sel:DWORD
	s_mov_b64 s[4:5], 0
                                        ; implicit-def: $sgpr10
	s_and_saveexec_b64 s[8:9], s[6:7]
	s_xor_b64 s[6:7], exec, s[8:9]
	s_cbranch_execz .LBB2_10857
; %bb.46697:
	s_getpc_b64 s[14:15]
.Lpost_getpc26932:
	s_add_u32 s14, s14, (.LBB2_25193-.Lpost_getpc26932)&4294967295
	s_addc_u32 s15, s15, (.LBB2_25193-.Lpost_getpc26932)>>32
	s_setpc_b64 s[14:15]
.LBB2_10857:
	s_or_saveexec_b64 s[6:7], s[6:7]
	v_mov_b32_e32 v2, s10
	s_xor_b64 exec, exec, s[6:7]
	s_cbranch_execz .LBB2_10858
; %bb.46699:
	s_getpc_b64 s[14:15]
.Lpost_getpc26933:
	s_add_u32 s14, s14, (.LBB2_25196-.Lpost_getpc26933)&4294967295
	s_addc_u32 s15, s15, (.LBB2_25196-.Lpost_getpc26933)>>32
	s_setpc_b64 s[14:15]
.LBB2_10858:
	s_or_b64 exec, exec, s[6:7]
	s_and_saveexec_b64 s[6:7], s[4:5]
	s_cbranch_execz .LBB2_10860
.LBB2_10859:
	v_bfe_u32 v2, v9, 8, 3
	v_ffbh_u32_e32 v6, v2
	v_min_u32_e32 v6, 32, v6
	v_lshrrev_b16_e32 v4, 3, v3
	v_subrev_u32_e32 v7, 28, v6
	v_and_b32_e32 v4, 15, v4
	v_lshlrev_b32_e32 v3, v7, v3
	v_sub_u32_e32 v6, 29, v6
	v_and_b32_e32 v3, 7, v3
	v_cmp_eq_u16_e32 vcc, 0, v4
	v_cndmask_b32_e32 v2, v2, v3, vcc
	v_cndmask_b32_e32 v3, v4, v6, vcc
	v_lshlrev_b32_e32 v4, 16, v9
	v_mov_b32_e32 v6, 0x3b800000
	v_lshlrev_b32_e32 v2, 20, v2
	v_and_b32_e32 v4, 0x80000000, v4
	v_lshl_add_u32 v3, v3, 23, v6
	v_or3_b32 v2, v4, v3, v2
.LBB2_10860:
	s_or_b64 exec, exec, s[6:7]
	v_lshrrev_b32_e32 v3, 8, v5
	s_movk_i32 s4, 0x7f
	v_cmp_gt_i16_sdwa s[6:7], v3, s4 src0_sel:BYTE_0 src1_sel:DWORD
	s_mov_b64 s[4:5], 0
                                        ; implicit-def: $sgpr10
	s_and_saveexec_b64 s[8:9], s[6:7]
	s_xor_b64 s[6:7], exec, s[8:9]
	s_cbranch_execz .LBB2_10861
; %bb.46701:
	s_getpc_b64 s[14:15]
.Lpost_getpc26934:
	s_add_u32 s14, s14, (.LBB2_25197-.Lpost_getpc26934)&4294967295
	s_addc_u32 s15, s15, (.LBB2_25197-.Lpost_getpc26934)>>32
	s_setpc_b64 s[14:15]
.LBB2_10861:
	s_or_saveexec_b64 s[6:7], s[6:7]
	v_mov_b32_e32 v4, s10
	s_xor_b64 exec, exec, s[6:7]
	s_cbranch_execz .LBB2_10862
; %bb.46703:
	s_getpc_b64 s[14:15]
.Lpost_getpc26935:
	s_add_u32 s14, s14, (.LBB2_25200-.Lpost_getpc26935)&4294967295
	s_addc_u32 s15, s15, (.LBB2_25200-.Lpost_getpc26935)>>32
	s_setpc_b64 s[14:15]
.LBB2_10862:
	s_or_b64 exec, exec, s[6:7]
	s_and_saveexec_b64 s[6:7], s[4:5]
	s_cbranch_execz .LBB2_10864
.LBB2_10863:
	v_bfe_u32 v4, v5, 8, 3
	v_ffbh_u32_e32 v7, v4
	v_min_u32_e32 v7, 32, v7
	v_lshrrev_b16_e32 v6, 3, v3
	v_subrev_u32_e32 v8, 28, v7
	v_and_b32_e32 v6, 15, v6
	v_lshlrev_b32_e32 v3, v8, v3
	v_sub_u32_e32 v7, 29, v7
	v_and_b32_e32 v3, 7, v3
	v_cmp_eq_u16_e32 vcc, 0, v6
	v_cndmask_b32_e32 v3, v4, v3, vcc
	v_cndmask_b32_e32 v4, v6, v7, vcc
	v_lshlrev_b32_e32 v6, 16, v5
	v_mov_b32_e32 v7, 0x3b800000
	v_lshlrev_b32_e32 v3, 20, v3
	v_and_b32_e32 v6, 0x80000000, v6
	v_lshl_add_u32 v4, v4, 23, v7
	v_or3_b32 v4, v6, v4, v3
.LBB2_10864:
	s_or_b64 exec, exec, s[6:7]
	s_nop 0
	v_mfma_f32_16x16x4f32 a[0:3], v2, v4, a[0:3]
	s_movk_i32 s4, 0xff
	v_and_b32_sdwa v3, v9, s4 dst_sel:DWORD dst_unused:UNUSED_PAD src0_sel:WORD_1 src1_sel:DWORD
	s_movk_i32 s4, 0x7f
	v_cmp_lt_i16_e32 vcc, s4, v3
	s_mov_b64 s[4:5], 0
                                        ; implicit-def: $sgpr10
	s_and_saveexec_b64 s[6:7], vcc
	s_xor_b64 s[6:7], exec, s[6:7]
	s_cbranch_execz .LBB2_10865
; %bb.46705:
	s_getpc_b64 s[14:15]
.Lpost_getpc26936:
	s_add_u32 s14, s14, (.LBB2_25201-.Lpost_getpc26936)&4294967295
	s_addc_u32 s15, s15, (.LBB2_25201-.Lpost_getpc26936)>>32
	s_setpc_b64 s[14:15]
.LBB2_10865:
	s_or_saveexec_b64 s[6:7], s[6:7]
	v_mov_b32_e32 v2, s10
	s_xor_b64 exec, exec, s[6:7]
	s_cbranch_execz .LBB2_10866
; %bb.46707:
	s_getpc_b64 s[14:15]
.Lpost_getpc26937:
	s_add_u32 s14, s14, (.LBB2_25204-.Lpost_getpc26937)&4294967295
	s_addc_u32 s15, s15, (.LBB2_25204-.Lpost_getpc26937)>>32
	s_setpc_b64 s[14:15]
.LBB2_10866:
	s_or_b64 exec, exec, s[6:7]
	s_and_saveexec_b64 s[6:7], s[4:5]
	s_cbranch_execz .LBB2_10868
.LBB2_10867:
	v_bfe_u32 v2, v9, 16, 3
	v_ffbh_u32_e32 v6, v2
	v_min_u32_e32 v6, 32, v6
	v_lshrrev_b32_e32 v3, 19, v9
	v_subrev_u32_e32 v7, 28, v6
	v_and_b32_e32 v3, 15, v3
	v_lshlrev_b32_sdwa v7, v7, v9 dst_sel:DWORD dst_unused:UNUSED_PAD src0_sel:DWORD src1_sel:WORD_1
	v_bfe_u32 v4, v9, 19, 4
	v_sub_u32_e32 v6, 29, v6
	v_and_b32_e32 v7, 7, v7
	v_cmp_eq_u16_e32 vcc, 0, v3
	v_cndmask_b32_e32 v2, v2, v7, vcc
	v_cndmask_b32_e32 v3, v4, v6, vcc
	v_lshlrev_b32_e32 v4, 8, v9
	v_mov_b32_e32 v6, 0x3b800000
	v_lshlrev_b32_e32 v2, 20, v2
	v_and_b32_e32 v4, 0x80000000, v4
	v_lshl_add_u32 v3, v3, 23, v6
	v_or3_b32 v2, v4, v3, v2
.LBB2_10868:
	s_or_b64 exec, exec, s[6:7]
	s_movk_i32 s4, 0xff
	v_and_b32_sdwa v3, v5, s4 dst_sel:DWORD dst_unused:UNUSED_PAD src0_sel:WORD_1 src1_sel:DWORD
	s_movk_i32 s4, 0x7f
	v_cmp_lt_i16_e32 vcc, s4, v3
	s_mov_b64 s[4:5], 0
                                        ; implicit-def: $sgpr10
	s_and_saveexec_b64 s[6:7], vcc
	s_xor_b64 s[6:7], exec, s[6:7]
	s_cbranch_execz .LBB2_10869
; %bb.46709:
	s_getpc_b64 s[14:15]
.Lpost_getpc26938:
	s_add_u32 s14, s14, (.LBB2_25205-.Lpost_getpc26938)&4294967295
	s_addc_u32 s15, s15, (.LBB2_25205-.Lpost_getpc26938)>>32
	s_setpc_b64 s[14:15]
.LBB2_10869:
	s_or_saveexec_b64 s[6:7], s[6:7]
	v_mov_b32_e32 v4, s10
	s_xor_b64 exec, exec, s[6:7]
	s_cbranch_execz .LBB2_10870
; %bb.46711:
	s_getpc_b64 s[14:15]
.Lpost_getpc26939:
	s_add_u32 s14, s14, (.LBB2_25208-.Lpost_getpc26939)&4294967295
	s_addc_u32 s15, s15, (.LBB2_25208-.Lpost_getpc26939)>>32
	s_setpc_b64 s[14:15]
.LBB2_10870:
	s_or_b64 exec, exec, s[6:7]
	s_and_saveexec_b64 s[6:7], s[4:5]
	s_cbranch_execz .LBB2_10872
.LBB2_10871:
	v_bfe_u32 v3, v5, 16, 3
	v_ffbh_u32_e32 v7, v3
	v_min_u32_e32 v7, 32, v7
	v_lshrrev_b32_e32 v4, 19, v5
	v_subrev_u32_e32 v8, 28, v7
	v_and_b32_e32 v4, 15, v4
	v_lshlrev_b32_sdwa v8, v8, v5 dst_sel:DWORD dst_unused:UNUSED_PAD src0_sel:DWORD src1_sel:WORD_1
	v_bfe_u32 v6, v5, 19, 4
	v_sub_u32_e32 v7, 29, v7
	v_and_b32_e32 v8, 7, v8
	v_cmp_eq_u16_e32 vcc, 0, v4
	v_cndmask_b32_e32 v3, v3, v8, vcc
	v_cndmask_b32_e32 v4, v6, v7, vcc
	v_lshlrev_b32_e32 v6, 8, v5
	v_mov_b32_e32 v7, 0x3b800000
	v_lshlrev_b32_e32 v3, 20, v3
	v_and_b32_e32 v6, 0x80000000, v6
	v_lshl_add_u32 v4, v4, 23, v7
	v_or3_b32 v4, v6, v4, v3
.LBB2_10872:
	s_or_b64 exec, exec, s[6:7]
	s_nop 0
	v_mfma_f32_16x16x4f32 a[0:3], v2, v4, a[0:3]
	s_movk_i32 s4, 0x7f
	v_cmp_gt_i16_sdwa s[6:7], v9, s4 src0_sel:BYTE_3 src1_sel:DWORD
	s_mov_b64 s[4:5], 0
                                        ; implicit-def: $sgpr10
	s_and_saveexec_b64 s[8:9], s[6:7]
	s_xor_b64 s[6:7], exec, s[8:9]
	s_cbranch_execz .LBB2_10873
; %bb.46713:
	s_getpc_b64 s[14:15]
.Lpost_getpc26940:
	s_add_u32 s14, s14, (.LBB2_25209-.Lpost_getpc26940)&4294967295
	s_addc_u32 s15, s15, (.LBB2_25209-.Lpost_getpc26940)>>32
	s_setpc_b64 s[14:15]
.LBB2_10873:
	s_or_saveexec_b64 s[6:7], s[6:7]
	v_mov_b32_e32 v2, s10
	s_xor_b64 exec, exec, s[6:7]
	s_cbranch_execz .LBB2_10874
; %bb.46715:
	s_getpc_b64 s[14:15]
.Lpost_getpc26941:
	s_add_u32 s14, s14, (.LBB2_25212-.Lpost_getpc26941)&4294967295
	s_addc_u32 s15, s15, (.LBB2_25212-.Lpost_getpc26941)>>32
	s_setpc_b64 s[14:15]
.LBB2_10874:
	s_or_b64 exec, exec, s[6:7]
	s_and_saveexec_b64 s[6:7], s[4:5]
	s_cbranch_execz .LBB2_10876
.LBB2_10875:
	v_bfe_u32 v2, v9, 24, 3
	v_ffbh_u32_e32 v7, v2
	v_min_u32_e32 v7, 32, v7
	v_lshrrev_b32_e32 v4, 27, v9
	v_subrev_u32_e32 v8, 28, v7
	v_and_b32_e32 v4, 15, v4
	v_lshlrev_b32_sdwa v8, v8, v9 dst_sel:DWORD dst_unused:UNUSED_PAD src0_sel:DWORD src1_sel:BYTE_3
	v_bfe_u32 v6, v9, 27, 4
	v_sub_u32_e32 v7, 29, v7
	v_and_b32_e32 v8, 7, v8
	v_cmp_eq_u16_e32 vcc, 0, v4
	v_cndmask_b32_e32 v2, v2, v8, vcc
	v_cndmask_b32_e32 v4, v6, v7, vcc
	v_mov_b32_e32 v6, 0x3b800000
	v_and_b32_e32 v3, 0x80000000, v9
	v_lshlrev_b32_e32 v2, 20, v2
	v_lshl_add_u32 v4, v4, 23, v6
	v_or3_b32 v2, v3, v4, v2
.LBB2_10876:
	s_or_b64 exec, exec, s[6:7]
	s_movk_i32 s4, 0x7f
	v_cmp_gt_i16_sdwa s[6:7], v5, s4 src0_sel:BYTE_3 src1_sel:DWORD
	s_mov_b64 s[4:5], 0
                                        ; implicit-def: $sgpr10
	s_and_saveexec_b64 s[8:9], s[6:7]
	s_xor_b64 s[6:7], exec, s[8:9]
	s_cbranch_execz .LBB2_10877
; %bb.46717:
	s_getpc_b64 s[14:15]
.Lpost_getpc26942:
	s_add_u32 s14, s14, (.LBB2_25213-.Lpost_getpc26942)&4294967295
	s_addc_u32 s15, s15, (.LBB2_25213-.Lpost_getpc26942)>>32
	s_setpc_b64 s[14:15]
.LBB2_10877:
	s_or_saveexec_b64 s[6:7], s[6:7]
	v_mov_b32_e32 v3, s10
	s_xor_b64 exec, exec, s[6:7]
	s_cbranch_execz .LBB2_10878
; %bb.46719:
	s_getpc_b64 s[14:15]
.Lpost_getpc26943:
	s_add_u32 s14, s14, (.LBB2_25216-.Lpost_getpc26943)&4294967295
	s_addc_u32 s15, s15, (.LBB2_25216-.Lpost_getpc26943)>>32
	s_setpc_b64 s[14:15]
.LBB2_10878:
	s_or_b64 exec, exec, s[6:7]
	s_and_saveexec_b64 s[6:7], s[4:5]
	s_cbranch_execz .LBB2_10880
.LBB2_10879:
	v_bfe_u32 v3, v5, 24, 3
	v_ffbh_u32_e32 v8, v3
	v_min_u32_e32 v8, 32, v8
	v_lshrrev_b32_e32 v6, 27, v5
	v_subrev_u32_e32 v9, 28, v8
	v_and_b32_e32 v4, 0x80000000, v5
	v_and_b32_e32 v6, 15, v6
	v_bfe_u32 v7, v5, 27, 4
	v_lshlrev_b32_sdwa v5, v9, v5 dst_sel:DWORD dst_unused:UNUSED_PAD src0_sel:DWORD src1_sel:BYTE_3
	v_sub_u32_e32 v8, 29, v8
	v_and_b32_e32 v5, 7, v5
	v_cmp_eq_u16_e32 vcc, 0, v6
	v_cndmask_b32_e32 v3, v3, v5, vcc
	v_cndmask_b32_e32 v5, v7, v8, vcc
	v_mov_b32_e32 v6, 0x3b800000
	v_lshlrev_b32_e32 v3, 20, v3
	v_lshl_add_u32 v5, v5, 23, v6
	v_or3_b32 v3, v4, v5, v3
.LBB2_10880:
	s_or_b64 exec, exec, s[6:7]
	s_nop 0
	v_mfma_f32_16x16x4f32 a[0:3], v2, v3, a[0:3]
	s_movk_i32 s4, 0x7f
                                        ; implicit-def: $sgpr10
	s_nop 7
	s_nop 1
	flat_store_dwordx4 v[10:11], a[0:3] offset:448
	flat_load_dwordx4 v[12:15], v[0:1]
	s_nop 0
	flat_load_dwordx2 v[10:11], v[0:1] offset:16
	s_waitcnt vmcnt(0) lgkmcnt(0)
	flat_load_dwordx4 v[6:9], v[12:13] offset:160
	flat_load_dwordx4 v[2:5], v[14:15] offset:208
	s_waitcnt vmcnt(0) lgkmcnt(0)
	v_cmp_gt_i16_sdwa s[6:7], v6, s4 src0_sel:BYTE_0 src1_sel:DWORD
	s_mov_b64 s[4:5], 0
	s_and_saveexec_b64 s[8:9], s[6:7]
	s_xor_b64 s[6:7], exec, s[8:9]
	s_cbranch_execz .LBB2_10881
; %bb.46721:
	s_getpc_b64 s[14:15]
.Lpost_getpc26944:
	s_add_u32 s14, s14, (.LBB2_25217-.Lpost_getpc26944)&4294967295
	s_addc_u32 s15, s15, (.LBB2_25217-.Lpost_getpc26944)>>32
	s_setpc_b64 s[14:15]
.LBB2_10881:
	s_or_saveexec_b64 s[6:7], s[6:7]
	v_mov_b32_e32 v12, s10
	s_xor_b64 exec, exec, s[6:7]
	s_cbranch_execz .LBB2_10882
; %bb.46723:
	s_getpc_b64 s[14:15]
.Lpost_getpc26945:
	s_add_u32 s14, s14, (.LBB2_25220-.Lpost_getpc26945)&4294967295
	s_addc_u32 s15, s15, (.LBB2_25220-.Lpost_getpc26945)>>32
	s_setpc_b64 s[14:15]
.LBB2_10882:
	s_or_b64 exec, exec, s[6:7]
	s_and_saveexec_b64 s[6:7], s[4:5]
	s_cbranch_execz .LBB2_10884
.LBB2_10883:
	v_and_b32_e32 v12, 7, v6
	v_ffbh_u32_e32 v14, v12
	v_min_u32_e32 v14, 32, v14
	v_lshrrev_b16_e32 v13, 3, v6
	v_subrev_u32_e32 v15, 28, v14
	v_and_b32_e32 v13, 15, v13
	v_lshlrev_b32_e32 v15, v15, v6
	v_sub_u32_e32 v14, 29, v14
	v_and_b32_e32 v15, 7, v15
	v_cmp_eq_u16_e32 vcc, 0, v13
	v_cndmask_b32_e32 v12, v12, v15, vcc
	v_cndmask_b32_e32 v13, v13, v14, vcc
	v_lshlrev_b32_e32 v14, 24, v6
	v_mov_b32_e32 v15, 0x3b800000
	v_lshlrev_b32_e32 v12, 20, v12
	v_and_b32_e32 v14, 0x80000000, v14
	v_lshl_add_u32 v13, v13, 23, v15
	v_or3_b32 v12, v14, v13, v12
.LBB2_10884:
	s_or_b64 exec, exec, s[6:7]
	s_movk_i32 s4, 0x7f
	v_cmp_gt_i16_sdwa s[6:7], v2, s4 src0_sel:BYTE_0 src1_sel:DWORD
	s_mov_b64 s[4:5], 0
                                        ; implicit-def: $sgpr10
	s_and_saveexec_b64 s[8:9], s[6:7]
	s_xor_b64 s[6:7], exec, s[8:9]
	s_cbranch_execz .LBB2_10885
; %bb.46725:
	s_getpc_b64 s[14:15]
.Lpost_getpc26946:
	s_add_u32 s14, s14, (.LBB2_25221-.Lpost_getpc26946)&4294967295
	s_addc_u32 s15, s15, (.LBB2_25221-.Lpost_getpc26946)>>32
	s_setpc_b64 s[14:15]
.LBB2_10885:
	s_or_saveexec_b64 s[6:7], s[6:7]
	v_mov_b32_e32 v13, s10
	s_xor_b64 exec, exec, s[6:7]
	s_cbranch_execz .LBB2_10886
; %bb.46727:
	s_getpc_b64 s[14:15]
.Lpost_getpc26947:
	s_add_u32 s14, s14, (.LBB2_25224-.Lpost_getpc26947)&4294967295
	s_addc_u32 s15, s15, (.LBB2_25224-.Lpost_getpc26947)>>32
	s_setpc_b64 s[14:15]
.LBB2_10886:
	s_or_b64 exec, exec, s[6:7]
	s_and_saveexec_b64 s[6:7], s[4:5]
	s_cbranch_execz .LBB2_10888
.LBB2_10887:
	v_and_b32_e32 v13, 7, v2
	v_ffbh_u32_e32 v15, v13
	v_min_u32_e32 v15, 32, v15
	v_lshrrev_b16_e32 v14, 3, v2
	v_subrev_u32_e32 v16, 28, v15
	v_and_b32_e32 v14, 15, v14
	v_lshlrev_b32_e32 v16, v16, v2
	v_sub_u32_e32 v15, 29, v15
	v_and_b32_e32 v16, 7, v16
	v_cmp_eq_u16_e32 vcc, 0, v14
	v_cndmask_b32_e32 v13, v13, v16, vcc
	v_cndmask_b32_e32 v14, v14, v15, vcc
	v_lshlrev_b32_e32 v15, 24, v2
	v_mov_b32_e32 v16, 0x3b800000
	v_lshlrev_b32_e32 v13, 20, v13
	v_and_b32_e32 v15, 0x80000000, v15
	v_lshl_add_u32 v14, v14, 23, v16
	v_or3_b32 v13, v15, v14, v13
.LBB2_10888:
	s_or_b64 exec, exec, s[6:7]
	flat_load_dwordx4 a[0:3], v[10:11] offset:464
	s_movk_i32 s4, 0x7f
                                        ; implicit-def: $sgpr10
	s_waitcnt vmcnt(0) lgkmcnt(0)
	v_mfma_f32_16x16x4f32 a[0:3], v12, v13, a[0:3]
	v_lshrrev_b32_e32 v13, 8, v6
	v_cmp_gt_i16_sdwa s[6:7], v13, s4 src0_sel:BYTE_0 src1_sel:DWORD
	s_mov_b64 s[4:5], 0
	s_and_saveexec_b64 s[8:9], s[6:7]
	s_xor_b64 s[6:7], exec, s[8:9]
	s_cbranch_execz .LBB2_10889
; %bb.46729:
	s_getpc_b64 s[14:15]
.Lpost_getpc26948:
	s_add_u32 s14, s14, (.LBB2_25225-.Lpost_getpc26948)&4294967295
	s_addc_u32 s15, s15, (.LBB2_25225-.Lpost_getpc26948)>>32
	s_setpc_b64 s[14:15]
.LBB2_10889:
	s_or_saveexec_b64 s[6:7], s[6:7]
	v_mov_b32_e32 v12, s10
	s_xor_b64 exec, exec, s[6:7]
	s_cbranch_execz .LBB2_10890
; %bb.46731:
	s_getpc_b64 s[14:15]
.Lpost_getpc26949:
	s_add_u32 s14, s14, (.LBB2_25228-.Lpost_getpc26949)&4294967295
	s_addc_u32 s15, s15, (.LBB2_25228-.Lpost_getpc26949)>>32
	s_setpc_b64 s[14:15]
.LBB2_10890:
	s_or_b64 exec, exec, s[6:7]
	s_and_saveexec_b64 s[6:7], s[4:5]
	s_cbranch_execz .LBB2_10892
.LBB2_10891:
	v_bfe_u32 v12, v6, 8, 3
	v_ffbh_u32_e32 v15, v12
	v_min_u32_e32 v15, 32, v15
	v_lshrrev_b16_e32 v14, 3, v13
	v_subrev_u32_e32 v16, 28, v15
	v_and_b32_e32 v14, 15, v14
	v_lshlrev_b32_e32 v13, v16, v13
	v_sub_u32_e32 v15, 29, v15
	v_and_b32_e32 v13, 7, v13
	v_cmp_eq_u16_e32 vcc, 0, v14
	v_cndmask_b32_e32 v12, v12, v13, vcc
	v_cndmask_b32_e32 v13, v14, v15, vcc
	v_lshlrev_b32_e32 v14, 16, v6
	v_mov_b32_e32 v15, 0x3b800000
	v_lshlrev_b32_e32 v12, 20, v12
	v_and_b32_e32 v14, 0x80000000, v14
	v_lshl_add_u32 v13, v13, 23, v15
	v_or3_b32 v12, v14, v13, v12
.LBB2_10892:
	s_or_b64 exec, exec, s[6:7]
	v_lshrrev_b32_e32 v13, 8, v2
	s_movk_i32 s4, 0x7f
	v_cmp_gt_i16_sdwa s[6:7], v13, s4 src0_sel:BYTE_0 src1_sel:DWORD
	s_mov_b64 s[4:5], 0
                                        ; implicit-def: $sgpr10
	s_and_saveexec_b64 s[8:9], s[6:7]
	s_xor_b64 s[6:7], exec, s[8:9]
	s_cbranch_execz .LBB2_10893
; %bb.46733:
	s_getpc_b64 s[14:15]
.Lpost_getpc26950:
	s_add_u32 s14, s14, (.LBB2_25229-.Lpost_getpc26950)&4294967295
	s_addc_u32 s15, s15, (.LBB2_25229-.Lpost_getpc26950)>>32
	s_setpc_b64 s[14:15]
.LBB2_10893:
	s_or_saveexec_b64 s[6:7], s[6:7]
	v_mov_b32_e32 v14, s10
	s_xor_b64 exec, exec, s[6:7]
	s_cbranch_execz .LBB2_10894
; %bb.46735:
	s_getpc_b64 s[14:15]
.Lpost_getpc26951:
	s_add_u32 s14, s14, (.LBB2_25232-.Lpost_getpc26951)&4294967295
	s_addc_u32 s15, s15, (.LBB2_25232-.Lpost_getpc26951)>>32
	s_setpc_b64 s[14:15]
.LBB2_10894:
	s_or_b64 exec, exec, s[6:7]
	s_and_saveexec_b64 s[6:7], s[4:5]
	s_cbranch_execz .LBB2_10896
.LBB2_10895:
	v_bfe_u32 v14, v2, 8, 3
	v_ffbh_u32_e32 v16, v14
	v_min_u32_e32 v16, 32, v16
	v_lshrrev_b16_e32 v15, 3, v13
	v_subrev_u32_e32 v17, 28, v16
	v_and_b32_e32 v15, 15, v15
	v_lshlrev_b32_e32 v13, v17, v13
	v_sub_u32_e32 v16, 29, v16
	v_and_b32_e32 v13, 7, v13
	v_cmp_eq_u16_e32 vcc, 0, v15
	v_cndmask_b32_e32 v13, v14, v13, vcc
	v_cndmask_b32_e32 v14, v15, v16, vcc
	v_lshlrev_b32_e32 v15, 16, v2
	v_mov_b32_e32 v16, 0x3b800000
	v_lshlrev_b32_e32 v13, 20, v13
	v_and_b32_e32 v15, 0x80000000, v15
	v_lshl_add_u32 v14, v14, 23, v16
	v_or3_b32 v14, v15, v14, v13
.LBB2_10896:
	s_or_b64 exec, exec, s[6:7]
	s_nop 0
	v_mfma_f32_16x16x4f32 a[0:3], v12, v14, a[0:3]
	s_movk_i32 s4, 0xff
	v_and_b32_sdwa v13, v6, s4 dst_sel:DWORD dst_unused:UNUSED_PAD src0_sel:WORD_1 src1_sel:DWORD
	s_movk_i32 s4, 0x7f
	v_cmp_lt_i16_e32 vcc, s4, v13
	s_mov_b64 s[4:5], 0
                                        ; implicit-def: $sgpr10
	s_and_saveexec_b64 s[6:7], vcc
	s_xor_b64 s[6:7], exec, s[6:7]
	s_cbranch_execz .LBB2_10897
; %bb.46737:
	s_getpc_b64 s[14:15]
.Lpost_getpc26952:
	s_add_u32 s14, s14, (.LBB2_25233-.Lpost_getpc26952)&4294967295
	s_addc_u32 s15, s15, (.LBB2_25233-.Lpost_getpc26952)>>32
	s_setpc_b64 s[14:15]
.LBB2_10897:
	s_or_saveexec_b64 s[6:7], s[6:7]
	v_mov_b32_e32 v12, s10
	s_xor_b64 exec, exec, s[6:7]
	s_cbranch_execz .LBB2_10898
; %bb.46739:
	s_getpc_b64 s[14:15]
.Lpost_getpc26953:
	s_add_u32 s14, s14, (.LBB2_25236-.Lpost_getpc26953)&4294967295
	s_addc_u32 s15, s15, (.LBB2_25236-.Lpost_getpc26953)>>32
	s_setpc_b64 s[14:15]
.LBB2_10898:
	s_or_b64 exec, exec, s[6:7]
	s_and_saveexec_b64 s[6:7], s[4:5]
	s_cbranch_execz .LBB2_10900
.LBB2_10899:
	v_bfe_u32 v12, v6, 16, 3
	v_ffbh_u32_e32 v15, v12
	v_min_u32_e32 v15, 32, v15
	v_lshrrev_b32_e32 v13, 19, v6
	v_subrev_u32_e32 v16, 28, v15
	v_and_b32_e32 v13, 15, v13
	v_lshlrev_b32_sdwa v16, v16, v6 dst_sel:DWORD dst_unused:UNUSED_PAD src0_sel:DWORD src1_sel:WORD_1
	v_bfe_u32 v14, v6, 19, 4
	v_sub_u32_e32 v15, 29, v15
	v_and_b32_e32 v16, 7, v16
	v_cmp_eq_u16_e32 vcc, 0, v13
	v_cndmask_b32_e32 v12, v12, v16, vcc
	v_cndmask_b32_e32 v13, v14, v15, vcc
	v_lshlrev_b32_e32 v14, 8, v6
	v_mov_b32_e32 v15, 0x3b800000
	v_lshlrev_b32_e32 v12, 20, v12
	v_and_b32_e32 v14, 0x80000000, v14
	v_lshl_add_u32 v13, v13, 23, v15
	v_or3_b32 v12, v14, v13, v12
.LBB2_10900:
	s_or_b64 exec, exec, s[6:7]
	s_movk_i32 s4, 0xff
	v_and_b32_sdwa v13, v2, s4 dst_sel:DWORD dst_unused:UNUSED_PAD src0_sel:WORD_1 src1_sel:DWORD
	s_movk_i32 s4, 0x7f
	v_cmp_lt_i16_e32 vcc, s4, v13
	s_mov_b64 s[4:5], 0
                                        ; implicit-def: $sgpr10
	s_and_saveexec_b64 s[6:7], vcc
	s_xor_b64 s[6:7], exec, s[6:7]
	s_cbranch_execz .LBB2_10901
; %bb.46741:
	s_getpc_b64 s[14:15]
.Lpost_getpc26954:
	s_add_u32 s14, s14, (.LBB2_25237-.Lpost_getpc26954)&4294967295
	s_addc_u32 s15, s15, (.LBB2_25237-.Lpost_getpc26954)>>32
	s_setpc_b64 s[14:15]
.LBB2_10901:
	s_or_saveexec_b64 s[6:7], s[6:7]
	v_mov_b32_e32 v14, s10
	s_xor_b64 exec, exec, s[6:7]
	s_cbranch_execz .LBB2_10902
; %bb.46743:
	s_getpc_b64 s[14:15]
.Lpost_getpc26955:
	s_add_u32 s14, s14, (.LBB2_25240-.Lpost_getpc26955)&4294967295
	s_addc_u32 s15, s15, (.LBB2_25240-.Lpost_getpc26955)>>32
	s_setpc_b64 s[14:15]
.LBB2_10902:
	s_or_b64 exec, exec, s[6:7]
	s_and_saveexec_b64 s[6:7], s[4:5]
	s_cbranch_execz .LBB2_10904
.LBB2_10903:
	v_bfe_u32 v13, v2, 16, 3
	v_ffbh_u32_e32 v16, v13
	v_min_u32_e32 v16, 32, v16
	v_lshrrev_b32_e32 v14, 19, v2
	v_subrev_u32_e32 v17, 28, v16
	v_and_b32_e32 v14, 15, v14
	v_lshlrev_b32_sdwa v17, v17, v2 dst_sel:DWORD dst_unused:UNUSED_PAD src0_sel:DWORD src1_sel:WORD_1
	v_bfe_u32 v15, v2, 19, 4
	v_sub_u32_e32 v16, 29, v16
	v_and_b32_e32 v17, 7, v17
	v_cmp_eq_u16_e32 vcc, 0, v14
	v_cndmask_b32_e32 v13, v13, v17, vcc
	v_cndmask_b32_e32 v14, v15, v16, vcc
	v_lshlrev_b32_e32 v15, 8, v2
	v_mov_b32_e32 v16, 0x3b800000
	v_lshlrev_b32_e32 v13, 20, v13
	v_and_b32_e32 v15, 0x80000000, v15
	v_lshl_add_u32 v14, v14, 23, v16
	v_or3_b32 v14, v15, v14, v13
.LBB2_10904:
	s_or_b64 exec, exec, s[6:7]
	s_nop 0
	v_mfma_f32_16x16x4f32 a[0:3], v12, v14, a[0:3]
	s_movk_i32 s4, 0x7f
	v_cmp_gt_i16_sdwa s[6:7], v6, s4 src0_sel:BYTE_3 src1_sel:DWORD
	s_mov_b64 s[4:5], 0
                                        ; implicit-def: $sgpr10
	s_and_saveexec_b64 s[8:9], s[6:7]
	s_xor_b64 s[6:7], exec, s[8:9]
	s_cbranch_execz .LBB2_10905
; %bb.46745:
	s_getpc_b64 s[14:15]
.Lpost_getpc26956:
	s_add_u32 s14, s14, (.LBB2_25241-.Lpost_getpc26956)&4294967295
	s_addc_u32 s15, s15, (.LBB2_25241-.Lpost_getpc26956)>>32
	s_setpc_b64 s[14:15]
.LBB2_10905:
	s_or_saveexec_b64 s[6:7], s[6:7]
	v_mov_b32_e32 v12, s10
	s_xor_b64 exec, exec, s[6:7]
	s_cbranch_execz .LBB2_10906
; %bb.46747:
	s_getpc_b64 s[14:15]
.Lpost_getpc26957:
	s_add_u32 s14, s14, (.LBB2_25244-.Lpost_getpc26957)&4294967295
	s_addc_u32 s15, s15, (.LBB2_25244-.Lpost_getpc26957)>>32
	s_setpc_b64 s[14:15]
.LBB2_10906:
	s_or_b64 exec, exec, s[6:7]
	s_and_saveexec_b64 s[6:7], s[4:5]
	s_cbranch_execz .LBB2_10908
.LBB2_10907:
	v_bfe_u32 v12, v6, 24, 3
	v_ffbh_u32_e32 v16, v12
	v_min_u32_e32 v16, 32, v16
	v_lshrrev_b32_e32 v14, 27, v6
	v_subrev_u32_e32 v17, 28, v16
	v_and_b32_e32 v13, 0x80000000, v6
	v_and_b32_e32 v14, 15, v14
	v_bfe_u32 v15, v6, 27, 4
	v_lshlrev_b32_sdwa v6, v17, v6 dst_sel:DWORD dst_unused:UNUSED_PAD src0_sel:DWORD src1_sel:BYTE_3
	v_sub_u32_e32 v16, 29, v16
	v_and_b32_e32 v6, 7, v6
	v_cmp_eq_u16_e32 vcc, 0, v14
	v_cndmask_b32_e32 v6, v12, v6, vcc
	v_cndmask_b32_e32 v12, v15, v16, vcc
	v_mov_b32_e32 v14, 0x3b800000
	v_lshlrev_b32_e32 v6, 20, v6
	v_lshl_add_u32 v12, v12, 23, v14
	v_or3_b32 v12, v13, v12, v6
.LBB2_10908:
	s_or_b64 exec, exec, s[6:7]
	s_movk_i32 s4, 0x7f
	v_cmp_gt_i16_sdwa s[6:7], v2, s4 src0_sel:BYTE_3 src1_sel:DWORD
	s_mov_b64 s[4:5], 0
                                        ; implicit-def: $sgpr10
	s_and_saveexec_b64 s[8:9], s[6:7]
	s_xor_b64 s[6:7], exec, s[8:9]
	s_cbranch_execz .LBB2_10909
; %bb.46749:
	s_getpc_b64 s[14:15]
.Lpost_getpc26958:
	s_add_u32 s14, s14, (.LBB2_25245-.Lpost_getpc26958)&4294967295
	s_addc_u32 s15, s15, (.LBB2_25245-.Lpost_getpc26958)>>32
	s_setpc_b64 s[14:15]
.LBB2_10909:
	s_or_saveexec_b64 s[6:7], s[6:7]
	v_mov_b32_e32 v6, s10
	s_xor_b64 exec, exec, s[6:7]
	s_cbranch_execz .LBB2_10910
; %bb.46751:
	s_getpc_b64 s[14:15]
.Lpost_getpc26959:
	s_add_u32 s14, s14, (.LBB2_25248-.Lpost_getpc26959)&4294967295
	s_addc_u32 s15, s15, (.LBB2_25248-.Lpost_getpc26959)>>32
	s_setpc_b64 s[14:15]
.LBB2_10910:
	s_or_b64 exec, exec, s[6:7]
	s_and_saveexec_b64 s[6:7], s[4:5]
	s_cbranch_execz .LBB2_10912
.LBB2_10911:
	v_bfe_u32 v6, v2, 24, 3
	v_ffbh_u32_e32 v16, v6
	v_min_u32_e32 v16, 32, v16
	v_lshrrev_b32_e32 v14, 27, v2
	v_subrev_u32_e32 v17, 28, v16
	v_and_b32_e32 v13, 0x80000000, v2
	v_and_b32_e32 v14, 15, v14
	v_bfe_u32 v15, v2, 27, 4
	v_lshlrev_b32_sdwa v2, v17, v2 dst_sel:DWORD dst_unused:UNUSED_PAD src0_sel:DWORD src1_sel:BYTE_3
	v_sub_u32_e32 v16, 29, v16
	v_and_b32_e32 v2, 7, v2
	v_cmp_eq_u16_e32 vcc, 0, v14
	v_cndmask_b32_e32 v2, v6, v2, vcc
	v_cndmask_b32_e32 v6, v15, v16, vcc
	v_mov_b32_e32 v14, 0x3b800000
	v_lshlrev_b32_e32 v2, 20, v2
	v_lshl_add_u32 v6, v6, 23, v14
	v_or3_b32 v6, v13, v6, v2
.LBB2_10912:
	s_or_b64 exec, exec, s[6:7]
	s_nop 0
	v_mfma_f32_16x16x4f32 a[0:3], v12, v6, a[0:3]
	s_movk_i32 s4, 0x7f
	v_cmp_gt_i16_sdwa s[6:7], v7, s4 src0_sel:BYTE_0 src1_sel:DWORD
	s_mov_b64 s[4:5], 0
                                        ; implicit-def: $sgpr10
	s_and_saveexec_b64 s[8:9], s[6:7]
	s_xor_b64 s[6:7], exec, s[8:9]
	s_cbranch_execz .LBB2_10913
; %bb.46753:
	s_getpc_b64 s[14:15]
.Lpost_getpc26960:
	s_add_u32 s14, s14, (.LBB2_25249-.Lpost_getpc26960)&4294967295
	s_addc_u32 s15, s15, (.LBB2_25249-.Lpost_getpc26960)>>32
	s_setpc_b64 s[14:15]
.LBB2_10913:
	s_or_saveexec_b64 s[6:7], s[6:7]
	v_mov_b32_e32 v2, s10
	s_xor_b64 exec, exec, s[6:7]
	s_cbranch_execz .LBB2_10914
; %bb.46755:
	s_getpc_b64 s[14:15]
.Lpost_getpc26961:
	s_add_u32 s14, s14, (.LBB2_25252-.Lpost_getpc26961)&4294967295
	s_addc_u32 s15, s15, (.LBB2_25252-.Lpost_getpc26961)>>32
	s_setpc_b64 s[14:15]
.LBB2_10914:
	s_or_b64 exec, exec, s[6:7]
	s_and_saveexec_b64 s[6:7], s[4:5]
	s_cbranch_execz .LBB2_10916
.LBB2_10915:
	v_and_b32_e32 v2, 7, v7
	v_ffbh_u32_e32 v12, v2
	v_min_u32_e32 v12, 32, v12
	v_lshrrev_b16_e32 v6, 3, v7
	v_subrev_u32_e32 v13, 28, v12
	v_and_b32_e32 v6, 15, v6
	v_lshlrev_b32_e32 v13, v13, v7
	v_sub_u32_e32 v12, 29, v12
	v_and_b32_e32 v13, 7, v13
	v_cmp_eq_u16_e32 vcc, 0, v6
	v_cndmask_b32_e32 v2, v2, v13, vcc
	v_cndmask_b32_e32 v6, v6, v12, vcc
	v_lshlrev_b32_e32 v12, 24, v7
	v_mov_b32_e32 v13, 0x3b800000
	v_lshlrev_b32_e32 v2, 20, v2
	v_and_b32_e32 v12, 0x80000000, v12
	v_lshl_add_u32 v6, v6, 23, v13
	v_or3_b32 v2, v12, v6, v2
.LBB2_10916:
	s_or_b64 exec, exec, s[6:7]
	s_movk_i32 s4, 0x7f
	v_cmp_gt_i16_sdwa s[6:7], v3, s4 src0_sel:BYTE_0 src1_sel:DWORD
	s_mov_b64 s[4:5], 0
                                        ; implicit-def: $sgpr10
	s_and_saveexec_b64 s[8:9], s[6:7]
	s_xor_b64 s[6:7], exec, s[8:9]
	s_cbranch_execz .LBB2_10917
; %bb.46757:
	s_getpc_b64 s[14:15]
.Lpost_getpc26962:
	s_add_u32 s14, s14, (.LBB2_25253-.Lpost_getpc26962)&4294967295
	s_addc_u32 s15, s15, (.LBB2_25253-.Lpost_getpc26962)>>32
	s_setpc_b64 s[14:15]
.LBB2_10917:
	s_or_saveexec_b64 s[6:7], s[6:7]
	v_mov_b32_e32 v6, s10
	s_xor_b64 exec, exec, s[6:7]
	s_cbranch_execz .LBB2_10918
; %bb.46759:
	s_getpc_b64 s[14:15]
.Lpost_getpc26963:
	s_add_u32 s14, s14, (.LBB2_25256-.Lpost_getpc26963)&4294967295
	s_addc_u32 s15, s15, (.LBB2_25256-.Lpost_getpc26963)>>32
	s_setpc_b64 s[14:15]
.LBB2_10918:
	s_or_b64 exec, exec, s[6:7]
	s_and_saveexec_b64 s[6:7], s[4:5]
	s_cbranch_execz .LBB2_10920
.LBB2_10919:
	v_and_b32_e32 v6, 7, v3
	v_ffbh_u32_e32 v13, v6
	v_min_u32_e32 v13, 32, v13
	v_lshrrev_b16_e32 v12, 3, v3
	v_subrev_u32_e32 v14, 28, v13
	v_and_b32_e32 v12, 15, v12
	v_lshlrev_b32_e32 v14, v14, v3
	v_sub_u32_e32 v13, 29, v13
	v_and_b32_e32 v14, 7, v14
	v_cmp_eq_u16_e32 vcc, 0, v12
	v_cndmask_b32_e32 v6, v6, v14, vcc
	v_cndmask_b32_e32 v12, v12, v13, vcc
	v_lshlrev_b32_e32 v13, 24, v3
	v_mov_b32_e32 v14, 0x3b800000
	v_lshlrev_b32_e32 v6, 20, v6
	v_and_b32_e32 v13, 0x80000000, v13
	v_lshl_add_u32 v12, v12, 23, v14
	v_or3_b32 v6, v13, v12, v6
.LBB2_10920:
	s_or_b64 exec, exec, s[6:7]
	s_nop 0
	v_mfma_f32_16x16x4f32 a[0:3], v2, v6, a[0:3]
	v_lshrrev_b32_e32 v6, 8, v7
	s_movk_i32 s4, 0x7f
	v_cmp_gt_i16_sdwa s[6:7], v6, s4 src0_sel:BYTE_0 src1_sel:DWORD
	s_mov_b64 s[4:5], 0
                                        ; implicit-def: $sgpr10
	s_and_saveexec_b64 s[8:9], s[6:7]
	s_xor_b64 s[6:7], exec, s[8:9]
	s_cbranch_execz .LBB2_10921
; %bb.46761:
	s_getpc_b64 s[14:15]
.Lpost_getpc26964:
	s_add_u32 s14, s14, (.LBB2_25257-.Lpost_getpc26964)&4294967295
	s_addc_u32 s15, s15, (.LBB2_25257-.Lpost_getpc26964)>>32
	s_setpc_b64 s[14:15]
.LBB2_10921:
	s_or_saveexec_b64 s[6:7], s[6:7]
	v_mov_b32_e32 v2, s10
	s_xor_b64 exec, exec, s[6:7]
	s_cbranch_execz .LBB2_10922
; %bb.46763:
	s_getpc_b64 s[14:15]
.Lpost_getpc26965:
	s_add_u32 s14, s14, (.LBB2_25260-.Lpost_getpc26965)&4294967295
	s_addc_u32 s15, s15, (.LBB2_25260-.Lpost_getpc26965)>>32
	s_setpc_b64 s[14:15]
.LBB2_10922:
	s_or_b64 exec, exec, s[6:7]
	s_and_saveexec_b64 s[6:7], s[4:5]
	s_cbranch_execz .LBB2_10924
.LBB2_10923:
	v_bfe_u32 v2, v7, 8, 3
	v_ffbh_u32_e32 v13, v2
	v_min_u32_e32 v13, 32, v13
	v_lshrrev_b16_e32 v12, 3, v6
	v_subrev_u32_e32 v14, 28, v13
	v_and_b32_e32 v12, 15, v12
	v_lshlrev_b32_e32 v6, v14, v6
	v_sub_u32_e32 v13, 29, v13
	v_and_b32_e32 v6, 7, v6
	v_cmp_eq_u16_e32 vcc, 0, v12
	v_cndmask_b32_e32 v2, v2, v6, vcc
	v_cndmask_b32_e32 v6, v12, v13, vcc
	v_lshlrev_b32_e32 v12, 16, v7
	v_mov_b32_e32 v13, 0x3b800000
	v_lshlrev_b32_e32 v2, 20, v2
	v_and_b32_e32 v12, 0x80000000, v12
	v_lshl_add_u32 v6, v6, 23, v13
	v_or3_b32 v2, v12, v6, v2
.LBB2_10924:
	s_or_b64 exec, exec, s[6:7]
	v_lshrrev_b32_e32 v6, 8, v3
	s_movk_i32 s4, 0x7f
	v_cmp_gt_i16_sdwa s[6:7], v6, s4 src0_sel:BYTE_0 src1_sel:DWORD
	s_mov_b64 s[4:5], 0
                                        ; implicit-def: $sgpr10
	s_and_saveexec_b64 s[8:9], s[6:7]
	s_xor_b64 s[6:7], exec, s[8:9]
	s_cbranch_execz .LBB2_10925
; %bb.46765:
	s_getpc_b64 s[14:15]
.Lpost_getpc26966:
	s_add_u32 s14, s14, (.LBB2_25261-.Lpost_getpc26966)&4294967295
	s_addc_u32 s15, s15, (.LBB2_25261-.Lpost_getpc26966)>>32
	s_setpc_b64 s[14:15]
.LBB2_10925:
	s_or_saveexec_b64 s[6:7], s[6:7]
	v_mov_b32_e32 v12, s10
	s_xor_b64 exec, exec, s[6:7]
	s_cbranch_execz .LBB2_10926
; %bb.46767:
	s_getpc_b64 s[14:15]
.Lpost_getpc26967:
	s_add_u32 s14, s14, (.LBB2_25264-.Lpost_getpc26967)&4294967295
	s_addc_u32 s15, s15, (.LBB2_25264-.Lpost_getpc26967)>>32
	s_setpc_b64 s[14:15]
.LBB2_10926:
	s_or_b64 exec, exec, s[6:7]
	s_and_saveexec_b64 s[6:7], s[4:5]
	s_cbranch_execz .LBB2_10928
.LBB2_10927:
	v_bfe_u32 v12, v3, 8, 3
	v_ffbh_u32_e32 v14, v12
	v_min_u32_e32 v14, 32, v14
	v_lshrrev_b16_e32 v13, 3, v6
	v_subrev_u32_e32 v15, 28, v14
	v_and_b32_e32 v13, 15, v13
	v_lshlrev_b32_e32 v6, v15, v6
	v_sub_u32_e32 v14, 29, v14
	v_and_b32_e32 v6, 7, v6
	v_cmp_eq_u16_e32 vcc, 0, v13
	v_cndmask_b32_e32 v6, v12, v6, vcc
	v_cndmask_b32_e32 v12, v13, v14, vcc
	v_lshlrev_b32_e32 v13, 16, v3
	v_mov_b32_e32 v14, 0x3b800000
	v_lshlrev_b32_e32 v6, 20, v6
	v_and_b32_e32 v13, 0x80000000, v13
	v_lshl_add_u32 v12, v12, 23, v14
	v_or3_b32 v12, v13, v12, v6
.LBB2_10928:
	s_or_b64 exec, exec, s[6:7]
	s_nop 0
	v_mfma_f32_16x16x4f32 a[0:3], v2, v12, a[0:3]
	s_movk_i32 s4, 0xff
	v_and_b32_sdwa v6, v7, s4 dst_sel:DWORD dst_unused:UNUSED_PAD src0_sel:WORD_1 src1_sel:DWORD
	s_movk_i32 s4, 0x7f
	v_cmp_lt_i16_e32 vcc, s4, v6
	s_mov_b64 s[4:5], 0
                                        ; implicit-def: $sgpr10
	s_and_saveexec_b64 s[6:7], vcc
	s_xor_b64 s[6:7], exec, s[6:7]
	s_cbranch_execz .LBB2_10929
; %bb.46769:
	s_getpc_b64 s[14:15]
.Lpost_getpc26968:
	s_add_u32 s14, s14, (.LBB2_25265-.Lpost_getpc26968)&4294967295
	s_addc_u32 s15, s15, (.LBB2_25265-.Lpost_getpc26968)>>32
	s_setpc_b64 s[14:15]
.LBB2_10929:
	s_or_saveexec_b64 s[6:7], s[6:7]
	v_mov_b32_e32 v2, s10
	s_xor_b64 exec, exec, s[6:7]
	s_cbranch_execz .LBB2_10930
; %bb.46771:
	s_getpc_b64 s[14:15]
.Lpost_getpc26969:
	s_add_u32 s14, s14, (.LBB2_25268-.Lpost_getpc26969)&4294967295
	s_addc_u32 s15, s15, (.LBB2_25268-.Lpost_getpc26969)>>32
	s_setpc_b64 s[14:15]
.LBB2_10930:
	s_or_b64 exec, exec, s[6:7]
	s_and_saveexec_b64 s[6:7], s[4:5]
	s_cbranch_execz .LBB2_10932
.LBB2_10931:
	v_bfe_u32 v2, v7, 16, 3
	v_ffbh_u32_e32 v13, v2
	v_min_u32_e32 v13, 32, v13
	v_lshrrev_b32_e32 v6, 19, v7
	v_subrev_u32_e32 v14, 28, v13
	v_and_b32_e32 v6, 15, v6
	v_lshlrev_b32_sdwa v14, v14, v7 dst_sel:DWORD dst_unused:UNUSED_PAD src0_sel:DWORD src1_sel:WORD_1
	v_bfe_u32 v12, v7, 19, 4
	v_sub_u32_e32 v13, 29, v13
	v_and_b32_e32 v14, 7, v14
	v_cmp_eq_u16_e32 vcc, 0, v6
	v_cndmask_b32_e32 v2, v2, v14, vcc
	v_cndmask_b32_e32 v6, v12, v13, vcc
	v_lshlrev_b32_e32 v12, 8, v7
	v_mov_b32_e32 v13, 0x3b800000
	v_lshlrev_b32_e32 v2, 20, v2
	v_and_b32_e32 v12, 0x80000000, v12
	v_lshl_add_u32 v6, v6, 23, v13
	v_or3_b32 v2, v12, v6, v2
.LBB2_10932:
	s_or_b64 exec, exec, s[6:7]
	s_movk_i32 s4, 0xff
	v_and_b32_sdwa v6, v3, s4 dst_sel:DWORD dst_unused:UNUSED_PAD src0_sel:WORD_1 src1_sel:DWORD
	s_movk_i32 s4, 0x7f
	v_cmp_lt_i16_e32 vcc, s4, v6
	s_mov_b64 s[4:5], 0
                                        ; implicit-def: $sgpr10
	s_and_saveexec_b64 s[6:7], vcc
	s_xor_b64 s[6:7], exec, s[6:7]
	s_cbranch_execz .LBB2_10933
; %bb.46773:
	s_getpc_b64 s[14:15]
.Lpost_getpc26970:
	s_add_u32 s14, s14, (.LBB2_25269-.Lpost_getpc26970)&4294967295
	s_addc_u32 s15, s15, (.LBB2_25269-.Lpost_getpc26970)>>32
	s_setpc_b64 s[14:15]
.LBB2_10933:
	s_or_saveexec_b64 s[6:7], s[6:7]
	v_mov_b32_e32 v12, s10
	s_xor_b64 exec, exec, s[6:7]
	s_cbranch_execz .LBB2_10934
; %bb.46775:
	s_getpc_b64 s[14:15]
.Lpost_getpc26971:
	s_add_u32 s14, s14, (.LBB2_25272-.Lpost_getpc26971)&4294967295
	s_addc_u32 s15, s15, (.LBB2_25272-.Lpost_getpc26971)>>32
	s_setpc_b64 s[14:15]
.LBB2_10934:
	s_or_b64 exec, exec, s[6:7]
	s_and_saveexec_b64 s[6:7], s[4:5]
	s_cbranch_execz .LBB2_10936
.LBB2_10935:
	v_bfe_u32 v6, v3, 16, 3
	v_ffbh_u32_e32 v14, v6
	v_min_u32_e32 v14, 32, v14
	v_lshrrev_b32_e32 v12, 19, v3
	v_subrev_u32_e32 v15, 28, v14
	v_and_b32_e32 v12, 15, v12
	v_lshlrev_b32_sdwa v15, v15, v3 dst_sel:DWORD dst_unused:UNUSED_PAD src0_sel:DWORD src1_sel:WORD_1
	v_bfe_u32 v13, v3, 19, 4
	v_sub_u32_e32 v14, 29, v14
	v_and_b32_e32 v15, 7, v15
	v_cmp_eq_u16_e32 vcc, 0, v12
	v_cndmask_b32_e32 v6, v6, v15, vcc
	v_cndmask_b32_e32 v12, v13, v14, vcc
	v_lshlrev_b32_e32 v13, 8, v3
	v_mov_b32_e32 v14, 0x3b800000
	v_lshlrev_b32_e32 v6, 20, v6
	v_and_b32_e32 v13, 0x80000000, v13
	v_lshl_add_u32 v12, v12, 23, v14
	v_or3_b32 v12, v13, v12, v6
.LBB2_10936:
	s_or_b64 exec, exec, s[6:7]
	s_nop 0
	v_mfma_f32_16x16x4f32 a[0:3], v2, v12, a[0:3]
	s_movk_i32 s4, 0x7f
	v_cmp_gt_i16_sdwa s[6:7], v7, s4 src0_sel:BYTE_3 src1_sel:DWORD
	s_mov_b64 s[4:5], 0
                                        ; implicit-def: $sgpr10
	s_and_saveexec_b64 s[8:9], s[6:7]
	s_xor_b64 s[6:7], exec, s[8:9]
	s_cbranch_execz .LBB2_10937
; %bb.46777:
	s_getpc_b64 s[14:15]
.Lpost_getpc26972:
	s_add_u32 s14, s14, (.LBB2_25273-.Lpost_getpc26972)&4294967295
	s_addc_u32 s15, s15, (.LBB2_25273-.Lpost_getpc26972)>>32
	s_setpc_b64 s[14:15]
.LBB2_10937:
	s_or_saveexec_b64 s[6:7], s[6:7]
	v_mov_b32_e32 v2, s10
	s_xor_b64 exec, exec, s[6:7]
	s_cbranch_execz .LBB2_10938
; %bb.46779:
	s_getpc_b64 s[14:15]
.Lpost_getpc26973:
	s_add_u32 s14, s14, (.LBB2_25276-.Lpost_getpc26973)&4294967295
	s_addc_u32 s15, s15, (.LBB2_25276-.Lpost_getpc26973)>>32
	s_setpc_b64 s[14:15]
.LBB2_10938:
	s_or_b64 exec, exec, s[6:7]
	s_and_saveexec_b64 s[6:7], s[4:5]
	s_cbranch_execz .LBB2_10940
.LBB2_10939:
	v_bfe_u32 v2, v7, 24, 3
	v_ffbh_u32_e32 v14, v2
	v_min_u32_e32 v14, 32, v14
	v_lshrrev_b32_e32 v12, 27, v7
	v_subrev_u32_e32 v15, 28, v14
	v_and_b32_e32 v6, 0x80000000, v7
	v_and_b32_e32 v12, 15, v12
	v_bfe_u32 v13, v7, 27, 4
	v_lshlrev_b32_sdwa v7, v15, v7 dst_sel:DWORD dst_unused:UNUSED_PAD src0_sel:DWORD src1_sel:BYTE_3
	v_sub_u32_e32 v14, 29, v14
	v_and_b32_e32 v7, 7, v7
	v_cmp_eq_u16_e32 vcc, 0, v12
	v_cndmask_b32_e32 v2, v2, v7, vcc
	v_cndmask_b32_e32 v7, v13, v14, vcc
	v_mov_b32_e32 v12, 0x3b800000
	v_lshlrev_b32_e32 v2, 20, v2
	v_lshl_add_u32 v7, v7, 23, v12
	v_or3_b32 v2, v6, v7, v2
.LBB2_10940:
	s_or_b64 exec, exec, s[6:7]
	s_movk_i32 s4, 0x7f
	v_cmp_gt_i16_sdwa s[6:7], v3, s4 src0_sel:BYTE_3 src1_sel:DWORD
	s_mov_b64 s[4:5], 0
                                        ; implicit-def: $sgpr10
	s_and_saveexec_b64 s[8:9], s[6:7]
	s_xor_b64 s[6:7], exec, s[8:9]
	s_cbranch_execz .LBB2_10941
; %bb.46781:
	s_getpc_b64 s[14:15]
.Lpost_getpc26974:
	s_add_u32 s14, s14, (.LBB2_25277-.Lpost_getpc26974)&4294967295
	s_addc_u32 s15, s15, (.LBB2_25277-.Lpost_getpc26974)>>32
	s_setpc_b64 s[14:15]
.LBB2_10941:
	s_or_saveexec_b64 s[6:7], s[6:7]
	v_mov_b32_e32 v6, s10
	s_xor_b64 exec, exec, s[6:7]
	s_cbranch_execz .LBB2_10942
; %bb.46783:
	s_getpc_b64 s[14:15]
.Lpost_getpc26975:
	s_add_u32 s14, s14, (.LBB2_25280-.Lpost_getpc26975)&4294967295
	s_addc_u32 s15, s15, (.LBB2_25280-.Lpost_getpc26975)>>32
	s_setpc_b64 s[14:15]
.LBB2_10942:
	s_or_b64 exec, exec, s[6:7]
	s_and_saveexec_b64 s[6:7], s[4:5]
	s_cbranch_execz .LBB2_10944
.LBB2_10943:
	v_bfe_u32 v6, v3, 24, 3
	v_ffbh_u32_e32 v14, v6
	v_min_u32_e32 v14, 32, v14
	v_lshrrev_b32_e32 v12, 27, v3
	v_subrev_u32_e32 v15, 28, v14
	v_and_b32_e32 v7, 0x80000000, v3
	v_and_b32_e32 v12, 15, v12
	v_bfe_u32 v13, v3, 27, 4
	v_lshlrev_b32_sdwa v3, v15, v3 dst_sel:DWORD dst_unused:UNUSED_PAD src0_sel:DWORD src1_sel:BYTE_3
	v_sub_u32_e32 v14, 29, v14
	v_and_b32_e32 v3, 7, v3
	v_cmp_eq_u16_e32 vcc, 0, v12
	v_cndmask_b32_e32 v3, v6, v3, vcc
	v_cndmask_b32_e32 v6, v13, v14, vcc
	v_mov_b32_e32 v12, 0x3b800000
	v_lshlrev_b32_e32 v3, 20, v3
	v_lshl_add_u32 v6, v6, 23, v12
	v_or3_b32 v6, v7, v6, v3
.LBB2_10944:
	s_or_b64 exec, exec, s[6:7]
	s_nop 0
	v_mfma_f32_16x16x4f32 a[0:3], v2, v6, a[0:3]
	s_movk_i32 s4, 0x7f
	v_cmp_gt_i16_sdwa s[6:7], v8, s4 src0_sel:BYTE_0 src1_sel:DWORD
	s_mov_b64 s[4:5], 0
                                        ; implicit-def: $sgpr10
	s_and_saveexec_b64 s[8:9], s[6:7]
	s_xor_b64 s[6:7], exec, s[8:9]
	s_cbranch_execz .LBB2_10945
; %bb.46785:
	s_getpc_b64 s[14:15]
.Lpost_getpc26976:
	s_add_u32 s14, s14, (.LBB2_25281-.Lpost_getpc26976)&4294967295
	s_addc_u32 s15, s15, (.LBB2_25281-.Lpost_getpc26976)>>32
	s_setpc_b64 s[14:15]
.LBB2_10945:
	s_or_saveexec_b64 s[6:7], s[6:7]
	v_mov_b32_e32 v2, s10
	s_xor_b64 exec, exec, s[6:7]
	s_cbranch_execz .LBB2_10946
; %bb.46787:
	s_getpc_b64 s[14:15]
.Lpost_getpc26977:
	s_add_u32 s14, s14, (.LBB2_25284-.Lpost_getpc26977)&4294967295
	s_addc_u32 s15, s15, (.LBB2_25284-.Lpost_getpc26977)>>32
	s_setpc_b64 s[14:15]
.LBB2_10946:
	s_or_b64 exec, exec, s[6:7]
	s_and_saveexec_b64 s[6:7], s[4:5]
	s_cbranch_execz .LBB2_10948
.LBB2_10947:
	v_and_b32_e32 v2, 7, v8
	v_ffbh_u32_e32 v6, v2
	v_min_u32_e32 v6, 32, v6
	v_lshrrev_b16_e32 v3, 3, v8
	v_subrev_u32_e32 v7, 28, v6
	v_and_b32_e32 v3, 15, v3
	v_lshlrev_b32_e32 v7, v7, v8
	v_sub_u32_e32 v6, 29, v6
	v_and_b32_e32 v7, 7, v7
	v_cmp_eq_u16_e32 vcc, 0, v3
	v_cndmask_b32_e32 v2, v2, v7, vcc
	v_cndmask_b32_e32 v3, v3, v6, vcc
	v_lshlrev_b32_e32 v6, 24, v8
	v_mov_b32_e32 v7, 0x3b800000
	v_lshlrev_b32_e32 v2, 20, v2
	v_and_b32_e32 v6, 0x80000000, v6
	v_lshl_add_u32 v3, v3, 23, v7
	v_or3_b32 v2, v6, v3, v2
.LBB2_10948:
	s_or_b64 exec, exec, s[6:7]
	s_movk_i32 s4, 0x7f
	v_cmp_gt_i16_sdwa s[6:7], v4, s4 src0_sel:BYTE_0 src1_sel:DWORD
	s_mov_b64 s[4:5], 0
                                        ; implicit-def: $sgpr10
	s_and_saveexec_b64 s[8:9], s[6:7]
	s_xor_b64 s[6:7], exec, s[8:9]
	s_cbranch_execz .LBB2_10949
; %bb.46789:
	s_getpc_b64 s[14:15]
.Lpost_getpc26978:
	s_add_u32 s14, s14, (.LBB2_25285-.Lpost_getpc26978)&4294967295
	s_addc_u32 s15, s15, (.LBB2_25285-.Lpost_getpc26978)>>32
	s_setpc_b64 s[14:15]
.LBB2_10949:
	s_or_saveexec_b64 s[6:7], s[6:7]
	v_mov_b32_e32 v3, s10
	s_xor_b64 exec, exec, s[6:7]
	s_cbranch_execz .LBB2_10950
; %bb.46791:
	s_getpc_b64 s[14:15]
.Lpost_getpc26979:
	s_add_u32 s14, s14, (.LBB2_25288-.Lpost_getpc26979)&4294967295
	s_addc_u32 s15, s15, (.LBB2_25288-.Lpost_getpc26979)>>32
	s_setpc_b64 s[14:15]
.LBB2_10950:
	s_or_b64 exec, exec, s[6:7]
	s_and_saveexec_b64 s[6:7], s[4:5]
	s_cbranch_execz .LBB2_10952
.LBB2_10951:
	v_and_b32_e32 v3, 7, v4
	v_ffbh_u32_e32 v7, v3
	v_min_u32_e32 v7, 32, v7
	v_lshrrev_b16_e32 v6, 3, v4
	v_subrev_u32_e32 v12, 28, v7
	v_and_b32_e32 v6, 15, v6
	v_lshlrev_b32_e32 v12, v12, v4
	v_sub_u32_e32 v7, 29, v7
	v_and_b32_e32 v12, 7, v12
	v_cmp_eq_u16_e32 vcc, 0, v6
	v_cndmask_b32_e32 v3, v3, v12, vcc
	v_cndmask_b32_e32 v6, v6, v7, vcc
	v_lshlrev_b32_e32 v7, 24, v4
	v_mov_b32_e32 v12, 0x3b800000
	v_lshlrev_b32_e32 v3, 20, v3
	v_and_b32_e32 v7, 0x80000000, v7
	v_lshl_add_u32 v6, v6, 23, v12
	v_or3_b32 v3, v7, v6, v3
.LBB2_10952:
	s_or_b64 exec, exec, s[6:7]
	s_nop 0
	v_mfma_f32_16x16x4f32 a[0:3], v2, v3, a[0:3]
	v_lshrrev_b32_e32 v3, 8, v8
	s_movk_i32 s4, 0x7f
	v_cmp_gt_i16_sdwa s[6:7], v3, s4 src0_sel:BYTE_0 src1_sel:DWORD
	s_mov_b64 s[4:5], 0
                                        ; implicit-def: $sgpr10
	s_and_saveexec_b64 s[8:9], s[6:7]
	s_xor_b64 s[6:7], exec, s[8:9]
	s_cbranch_execz .LBB2_10953
; %bb.46793:
	s_getpc_b64 s[14:15]
.Lpost_getpc26980:
	s_add_u32 s14, s14, (.LBB2_25289-.Lpost_getpc26980)&4294967295
	s_addc_u32 s15, s15, (.LBB2_25289-.Lpost_getpc26980)>>32
	s_setpc_b64 s[14:15]
.LBB2_10953:
	s_or_saveexec_b64 s[6:7], s[6:7]
	v_mov_b32_e32 v2, s10
	s_xor_b64 exec, exec, s[6:7]
	s_cbranch_execz .LBB2_10954
; %bb.46795:
	s_getpc_b64 s[14:15]
.Lpost_getpc26981:
	s_add_u32 s14, s14, (.LBB2_25292-.Lpost_getpc26981)&4294967295
	s_addc_u32 s15, s15, (.LBB2_25292-.Lpost_getpc26981)>>32
	s_setpc_b64 s[14:15]
.LBB2_10954:
	s_or_b64 exec, exec, s[6:7]
	s_and_saveexec_b64 s[6:7], s[4:5]
	s_cbranch_execz .LBB2_10956
.LBB2_10955:
	v_bfe_u32 v2, v8, 8, 3
	v_ffbh_u32_e32 v7, v2
	v_min_u32_e32 v7, 32, v7
	v_lshrrev_b16_e32 v6, 3, v3
	v_subrev_u32_e32 v12, 28, v7
	v_and_b32_e32 v6, 15, v6
	v_lshlrev_b32_e32 v3, v12, v3
	v_sub_u32_e32 v7, 29, v7
	v_and_b32_e32 v3, 7, v3
	v_cmp_eq_u16_e32 vcc, 0, v6
	v_cndmask_b32_e32 v2, v2, v3, vcc
	v_cndmask_b32_e32 v3, v6, v7, vcc
	v_lshlrev_b32_e32 v6, 16, v8
	v_mov_b32_e32 v7, 0x3b800000
	v_lshlrev_b32_e32 v2, 20, v2
	v_and_b32_e32 v6, 0x80000000, v6
	v_lshl_add_u32 v3, v3, 23, v7
	v_or3_b32 v2, v6, v3, v2
.LBB2_10956:
	s_or_b64 exec, exec, s[6:7]
	v_lshrrev_b32_e32 v3, 8, v4
	s_movk_i32 s4, 0x7f
	v_cmp_gt_i16_sdwa s[6:7], v3, s4 src0_sel:BYTE_0 src1_sel:DWORD
	s_mov_b64 s[4:5], 0
                                        ; implicit-def: $sgpr10
	s_and_saveexec_b64 s[8:9], s[6:7]
	s_xor_b64 s[6:7], exec, s[8:9]
	s_cbranch_execz .LBB2_10957
; %bb.46797:
	s_getpc_b64 s[14:15]
.Lpost_getpc26982:
	s_add_u32 s14, s14, (.LBB2_25293-.Lpost_getpc26982)&4294967295
	s_addc_u32 s15, s15, (.LBB2_25293-.Lpost_getpc26982)>>32
	s_setpc_b64 s[14:15]
.LBB2_10957:
	s_or_saveexec_b64 s[6:7], s[6:7]
	v_mov_b32_e32 v6, s10
	s_xor_b64 exec, exec, s[6:7]
	s_cbranch_execz .LBB2_10958
; %bb.46799:
	s_getpc_b64 s[14:15]
.Lpost_getpc26983:
	s_add_u32 s14, s14, (.LBB2_25296-.Lpost_getpc26983)&4294967295
	s_addc_u32 s15, s15, (.LBB2_25296-.Lpost_getpc26983)>>32
	s_setpc_b64 s[14:15]
.LBB2_10958:
	s_or_b64 exec, exec, s[6:7]
	s_and_saveexec_b64 s[6:7], s[4:5]
	s_cbranch_execz .LBB2_10960
.LBB2_10959:
	v_bfe_u32 v6, v4, 8, 3
	v_ffbh_u32_e32 v12, v6
	v_min_u32_e32 v12, 32, v12
	v_lshrrev_b16_e32 v7, 3, v3
	v_subrev_u32_e32 v13, 28, v12
	v_and_b32_e32 v7, 15, v7
	v_lshlrev_b32_e32 v3, v13, v3
	v_sub_u32_e32 v12, 29, v12
	v_and_b32_e32 v3, 7, v3
	v_cmp_eq_u16_e32 vcc, 0, v7
	v_cndmask_b32_e32 v3, v6, v3, vcc
	v_cndmask_b32_e32 v6, v7, v12, vcc
	v_lshlrev_b32_e32 v7, 16, v4
	v_mov_b32_e32 v12, 0x3b800000
	v_lshlrev_b32_e32 v3, 20, v3
	v_and_b32_e32 v7, 0x80000000, v7
	v_lshl_add_u32 v6, v6, 23, v12
	v_or3_b32 v6, v7, v6, v3
.LBB2_10960:
	s_or_b64 exec, exec, s[6:7]
	s_nop 0
	v_mfma_f32_16x16x4f32 a[0:3], v2, v6, a[0:3]
	s_movk_i32 s4, 0xff
	v_and_b32_sdwa v3, v8, s4 dst_sel:DWORD dst_unused:UNUSED_PAD src0_sel:WORD_1 src1_sel:DWORD
	s_movk_i32 s4, 0x7f
	v_cmp_lt_i16_e32 vcc, s4, v3
	s_mov_b64 s[4:5], 0
                                        ; implicit-def: $sgpr10
	s_and_saveexec_b64 s[6:7], vcc
	s_xor_b64 s[6:7], exec, s[6:7]
	s_cbranch_execz .LBB2_10961
; %bb.46801:
	s_getpc_b64 s[14:15]
.Lpost_getpc26984:
	s_add_u32 s14, s14, (.LBB2_25297-.Lpost_getpc26984)&4294967295
	s_addc_u32 s15, s15, (.LBB2_25297-.Lpost_getpc26984)>>32
	s_setpc_b64 s[14:15]
.LBB2_10961:
	s_or_saveexec_b64 s[6:7], s[6:7]
	v_mov_b32_e32 v2, s10
	s_xor_b64 exec, exec, s[6:7]
	s_cbranch_execz .LBB2_10962
; %bb.46803:
	s_getpc_b64 s[14:15]
.Lpost_getpc26985:
	s_add_u32 s14, s14, (.LBB2_25300-.Lpost_getpc26985)&4294967295
	s_addc_u32 s15, s15, (.LBB2_25300-.Lpost_getpc26985)>>32
	s_setpc_b64 s[14:15]
.LBB2_10962:
	s_or_b64 exec, exec, s[6:7]
	s_and_saveexec_b64 s[6:7], s[4:5]
	s_cbranch_execz .LBB2_10964
.LBB2_10963:
	v_bfe_u32 v2, v8, 16, 3
	v_ffbh_u32_e32 v7, v2
	v_min_u32_e32 v7, 32, v7
	v_lshrrev_b32_e32 v3, 19, v8
	v_subrev_u32_e32 v12, 28, v7
	v_and_b32_e32 v3, 15, v3
	v_lshlrev_b32_sdwa v12, v12, v8 dst_sel:DWORD dst_unused:UNUSED_PAD src0_sel:DWORD src1_sel:WORD_1
	v_bfe_u32 v6, v8, 19, 4
	v_sub_u32_e32 v7, 29, v7
	v_and_b32_e32 v12, 7, v12
	v_cmp_eq_u16_e32 vcc, 0, v3
	v_cndmask_b32_e32 v2, v2, v12, vcc
	v_cndmask_b32_e32 v3, v6, v7, vcc
	v_lshlrev_b32_e32 v6, 8, v8
	v_mov_b32_e32 v7, 0x3b800000
	v_lshlrev_b32_e32 v2, 20, v2
	v_and_b32_e32 v6, 0x80000000, v6
	v_lshl_add_u32 v3, v3, 23, v7
	v_or3_b32 v2, v6, v3, v2
.LBB2_10964:
	s_or_b64 exec, exec, s[6:7]
	s_movk_i32 s4, 0xff
	v_and_b32_sdwa v3, v4, s4 dst_sel:DWORD dst_unused:UNUSED_PAD src0_sel:WORD_1 src1_sel:DWORD
	s_movk_i32 s4, 0x7f
	v_cmp_lt_i16_e32 vcc, s4, v3
	s_mov_b64 s[4:5], 0
                                        ; implicit-def: $sgpr10
	s_and_saveexec_b64 s[6:7], vcc
	s_xor_b64 s[6:7], exec, s[6:7]
	s_cbranch_execz .LBB2_10965
; %bb.46805:
	s_getpc_b64 s[14:15]
.Lpost_getpc26986:
	s_add_u32 s14, s14, (.LBB2_25301-.Lpost_getpc26986)&4294967295
	s_addc_u32 s15, s15, (.LBB2_25301-.Lpost_getpc26986)>>32
	s_setpc_b64 s[14:15]
.LBB2_10965:
	s_or_saveexec_b64 s[6:7], s[6:7]
	v_mov_b32_e32 v6, s10
	s_xor_b64 exec, exec, s[6:7]
	s_cbranch_execz .LBB2_10966
; %bb.46807:
	s_getpc_b64 s[14:15]
.Lpost_getpc26987:
	s_add_u32 s14, s14, (.LBB2_25304-.Lpost_getpc26987)&4294967295
	s_addc_u32 s15, s15, (.LBB2_25304-.Lpost_getpc26987)>>32
	s_setpc_b64 s[14:15]
.LBB2_10966:
	s_or_b64 exec, exec, s[6:7]
	s_and_saveexec_b64 s[6:7], s[4:5]
	s_cbranch_execz .LBB2_10968
.LBB2_10967:
	v_bfe_u32 v3, v4, 16, 3
	v_ffbh_u32_e32 v12, v3
	v_min_u32_e32 v12, 32, v12
	v_lshrrev_b32_e32 v6, 19, v4
	v_subrev_u32_e32 v13, 28, v12
	v_and_b32_e32 v6, 15, v6
	v_lshlrev_b32_sdwa v13, v13, v4 dst_sel:DWORD dst_unused:UNUSED_PAD src0_sel:DWORD src1_sel:WORD_1
	v_bfe_u32 v7, v4, 19, 4
	v_sub_u32_e32 v12, 29, v12
	v_and_b32_e32 v13, 7, v13
	v_cmp_eq_u16_e32 vcc, 0, v6
	v_cndmask_b32_e32 v3, v3, v13, vcc
	v_cndmask_b32_e32 v6, v7, v12, vcc
	v_lshlrev_b32_e32 v7, 8, v4
	v_mov_b32_e32 v12, 0x3b800000
	v_lshlrev_b32_e32 v3, 20, v3
	v_and_b32_e32 v7, 0x80000000, v7
	v_lshl_add_u32 v6, v6, 23, v12
	v_or3_b32 v6, v7, v6, v3
.LBB2_10968:
	s_or_b64 exec, exec, s[6:7]
	s_nop 0
	v_mfma_f32_16x16x4f32 a[0:3], v2, v6, a[0:3]
	s_movk_i32 s4, 0x7f
	v_cmp_gt_i16_sdwa s[6:7], v8, s4 src0_sel:BYTE_3 src1_sel:DWORD
	s_mov_b64 s[4:5], 0
                                        ; implicit-def: $sgpr10
	s_and_saveexec_b64 s[8:9], s[6:7]
	s_xor_b64 s[6:7], exec, s[8:9]
	s_cbranch_execz .LBB2_10969
; %bb.46809:
	s_getpc_b64 s[14:15]
.Lpost_getpc26988:
	s_add_u32 s14, s14, (.LBB2_25305-.Lpost_getpc26988)&4294967295
	s_addc_u32 s15, s15, (.LBB2_25305-.Lpost_getpc26988)>>32
	s_setpc_b64 s[14:15]
.LBB2_10969:
	s_or_saveexec_b64 s[6:7], s[6:7]
	v_mov_b32_e32 v2, s10
	s_xor_b64 exec, exec, s[6:7]
	s_cbranch_execz .LBB2_10970
; %bb.46811:
	s_getpc_b64 s[14:15]
.Lpost_getpc26989:
	s_add_u32 s14, s14, (.LBB2_25308-.Lpost_getpc26989)&4294967295
	s_addc_u32 s15, s15, (.LBB2_25308-.Lpost_getpc26989)>>32
	s_setpc_b64 s[14:15]
.LBB2_10970:
	s_or_b64 exec, exec, s[6:7]
	s_and_saveexec_b64 s[6:7], s[4:5]
	s_cbranch_execz .LBB2_10972
.LBB2_10971:
	v_bfe_u32 v2, v8, 24, 3
	v_ffbh_u32_e32 v12, v2
	v_min_u32_e32 v12, 32, v12
	v_lshrrev_b32_e32 v6, 27, v8
	v_subrev_u32_e32 v13, 28, v12
	v_and_b32_e32 v3, 0x80000000, v8
	v_and_b32_e32 v6, 15, v6
	v_bfe_u32 v7, v8, 27, 4
	v_lshlrev_b32_sdwa v8, v13, v8 dst_sel:DWORD dst_unused:UNUSED_PAD src0_sel:DWORD src1_sel:BYTE_3
	v_sub_u32_e32 v12, 29, v12
	v_and_b32_e32 v8, 7, v8
	v_cmp_eq_u16_e32 vcc, 0, v6
	v_cndmask_b32_e32 v2, v2, v8, vcc
	v_cndmask_b32_e32 v6, v7, v12, vcc
	v_mov_b32_e32 v7, 0x3b800000
	v_lshlrev_b32_e32 v2, 20, v2
	v_lshl_add_u32 v6, v6, 23, v7
	v_or3_b32 v2, v3, v6, v2
.LBB2_10972:
	s_or_b64 exec, exec, s[6:7]
	s_movk_i32 s4, 0x7f
	v_cmp_gt_i16_sdwa s[6:7], v4, s4 src0_sel:BYTE_3 src1_sel:DWORD
	s_mov_b64 s[4:5], 0
                                        ; implicit-def: $sgpr10
	s_and_saveexec_b64 s[8:9], s[6:7]
	s_xor_b64 s[6:7], exec, s[8:9]
	s_cbranch_execz .LBB2_10973
; %bb.46813:
	s_getpc_b64 s[14:15]
.Lpost_getpc26990:
	s_add_u32 s14, s14, (.LBB2_25309-.Lpost_getpc26990)&4294967295
	s_addc_u32 s15, s15, (.LBB2_25309-.Lpost_getpc26990)>>32
	s_setpc_b64 s[14:15]
.LBB2_10973:
	s_or_saveexec_b64 s[6:7], s[6:7]
	v_mov_b32_e32 v3, s10
	s_xor_b64 exec, exec, s[6:7]
	s_cbranch_execz .LBB2_10974
; %bb.46815:
	s_getpc_b64 s[14:15]
.Lpost_getpc26991:
	s_add_u32 s14, s14, (.LBB2_25312-.Lpost_getpc26991)&4294967295
	s_addc_u32 s15, s15, (.LBB2_25312-.Lpost_getpc26991)>>32
	s_setpc_b64 s[14:15]
.LBB2_10974:
	s_or_b64 exec, exec, s[6:7]
	s_and_saveexec_b64 s[6:7], s[4:5]
	s_cbranch_execz .LBB2_10976
.LBB2_10975:
	v_bfe_u32 v3, v4, 24, 3
	v_ffbh_u32_e32 v12, v3
	v_min_u32_e32 v12, 32, v12
	v_lshrrev_b32_e32 v7, 27, v4
	v_subrev_u32_e32 v13, 28, v12
	v_and_b32_e32 v6, 0x80000000, v4
	v_and_b32_e32 v7, 15, v7
	v_bfe_u32 v8, v4, 27, 4
	v_lshlrev_b32_sdwa v4, v13, v4 dst_sel:DWORD dst_unused:UNUSED_PAD src0_sel:DWORD src1_sel:BYTE_3
	v_sub_u32_e32 v12, 29, v12
	v_and_b32_e32 v4, 7, v4
	v_cmp_eq_u16_e32 vcc, 0, v7
	v_cndmask_b32_e32 v3, v3, v4, vcc
	v_cndmask_b32_e32 v4, v8, v12, vcc
	v_mov_b32_e32 v7, 0x3b800000
	v_lshlrev_b32_e32 v3, 20, v3
	v_lshl_add_u32 v4, v4, 23, v7
	v_or3_b32 v3, v6, v4, v3
.LBB2_10976:
	s_or_b64 exec, exec, s[6:7]
	s_nop 0
	v_mfma_f32_16x16x4f32 a[0:3], v2, v3, a[0:3]
	s_movk_i32 s4, 0x7f
	v_cmp_gt_i16_sdwa s[6:7], v9, s4 src0_sel:BYTE_0 src1_sel:DWORD
	s_mov_b64 s[4:5], 0
                                        ; implicit-def: $sgpr10
	s_and_saveexec_b64 s[8:9], s[6:7]
	s_xor_b64 s[6:7], exec, s[8:9]
	s_cbranch_execz .LBB2_10977
; %bb.46817:
	s_getpc_b64 s[14:15]
.Lpost_getpc26992:
	s_add_u32 s14, s14, (.LBB2_25313-.Lpost_getpc26992)&4294967295
	s_addc_u32 s15, s15, (.LBB2_25313-.Lpost_getpc26992)>>32
	s_setpc_b64 s[14:15]
.LBB2_10977:
	s_or_saveexec_b64 s[6:7], s[6:7]
	v_mov_b32_e32 v2, s10
	s_xor_b64 exec, exec, s[6:7]
	s_cbranch_execz .LBB2_10978
; %bb.46819:
	s_getpc_b64 s[14:15]
.Lpost_getpc26993:
	s_add_u32 s14, s14, (.LBB2_25316-.Lpost_getpc26993)&4294967295
	s_addc_u32 s15, s15, (.LBB2_25316-.Lpost_getpc26993)>>32
	s_setpc_b64 s[14:15]
.LBB2_10978:
	s_or_b64 exec, exec, s[6:7]
	s_and_saveexec_b64 s[6:7], s[4:5]
	s_cbranch_execz .LBB2_10980
.LBB2_10979:
	v_mov_b32_e32 v2, 8
	v_and_b32_e32 v3, 7, v9
	v_lshrrev_b32_sdwa v2, v2, v9 dst_sel:BYTE_1 dst_unused:UNUSED_PAD src0_sel:DWORD src1_sel:DWORD
	v_ffbh_u32_e32 v4, v3
	v_or_b32_sdwa v2, v9, v2 dst_sel:DWORD dst_unused:UNUSED_PAD src0_sel:BYTE_0 src1_sel:DWORD
	v_min_u32_e32 v4, 32, v4
	v_lshrrev_b16_e32 v2, 3, v2
	v_subrev_u32_e32 v6, 28, v4
	v_and_b32_e32 v2, 15, v2
	v_lshlrev_b32_e32 v6, v6, v9
	v_sub_u32_e32 v4, 29, v4
	v_and_b32_e32 v6, 7, v6
	v_cmp_eq_u16_e32 vcc, 0, v2
	v_cndmask_b32_e32 v3, v3, v6, vcc
	v_cndmask_b32_e32 v2, v2, v4, vcc
	v_lshlrev_b32_e32 v4, 24, v9
	v_mov_b32_e32 v6, 0x3b800000
	v_lshlrev_b32_e32 v3, 20, v3
	v_and_b32_e32 v4, 0x80000000, v4
	v_lshl_add_u32 v2, v2, 23, v6
	v_or3_b32 v2, v4, v2, v3
.LBB2_10980:
	s_or_b64 exec, exec, s[6:7]
	s_movk_i32 s4, 0x7f
	v_cmp_gt_i16_sdwa s[6:7], v5, s4 src0_sel:BYTE_0 src1_sel:DWORD
	s_mov_b64 s[4:5], 0
                                        ; implicit-def: $sgpr10
	s_and_saveexec_b64 s[8:9], s[6:7]
	s_xor_b64 s[6:7], exec, s[8:9]
	s_cbranch_execz .LBB2_10981
; %bb.46821:
	s_getpc_b64 s[14:15]
.Lpost_getpc26994:
	s_add_u32 s14, s14, (.LBB2_25317-.Lpost_getpc26994)&4294967295
	s_addc_u32 s15, s15, (.LBB2_25317-.Lpost_getpc26994)>>32
	s_setpc_b64 s[14:15]
.LBB2_10981:
	s_or_saveexec_b64 s[6:7], s[6:7]
	v_mov_b32_e32 v3, s10
	s_xor_b64 exec, exec, s[6:7]
	s_cbranch_execz .LBB2_10982
; %bb.46823:
	s_getpc_b64 s[14:15]
.Lpost_getpc26995:
	s_add_u32 s14, s14, (.LBB2_25320-.Lpost_getpc26995)&4294967295
	s_addc_u32 s15, s15, (.LBB2_25320-.Lpost_getpc26995)>>32
	s_setpc_b64 s[14:15]
.LBB2_10982:
	s_or_b64 exec, exec, s[6:7]
	s_and_saveexec_b64 s[6:7], s[4:5]
	s_cbranch_execz .LBB2_10984
.LBB2_10983:
	v_mov_b32_e32 v3, 8
	v_and_b32_e32 v4, 7, v5
	v_lshrrev_b32_sdwa v3, v3, v5 dst_sel:BYTE_1 dst_unused:UNUSED_PAD src0_sel:DWORD src1_sel:DWORD
	v_ffbh_u32_e32 v6, v4
	v_or_b32_sdwa v3, v5, v3 dst_sel:DWORD dst_unused:UNUSED_PAD src0_sel:BYTE_0 src1_sel:DWORD
	v_min_u32_e32 v6, 32, v6
	v_lshrrev_b16_e32 v3, 3, v3
	v_subrev_u32_e32 v7, 28, v6
	v_and_b32_e32 v3, 15, v3
	v_lshlrev_b32_e32 v7, v7, v5
	v_sub_u32_e32 v6, 29, v6
	v_and_b32_e32 v7, 7, v7
	v_cmp_eq_u16_e32 vcc, 0, v3
	v_cndmask_b32_e32 v4, v4, v7, vcc
	v_cndmask_b32_e32 v3, v3, v6, vcc
	v_lshlrev_b32_e32 v6, 24, v5
	v_mov_b32_e32 v7, 0x3b800000
	v_lshlrev_b32_e32 v4, 20, v4
	v_and_b32_e32 v6, 0x80000000, v6
	v_lshl_add_u32 v3, v3, 23, v7
	v_or3_b32 v3, v6, v3, v4
.LBB2_10984:
	s_or_b64 exec, exec, s[6:7]
	s_nop 0
	v_mfma_f32_16x16x4f32 a[0:3], v2, v3, a[0:3]
	v_lshrrev_b32_e32 v3, 8, v9
	s_movk_i32 s4, 0x7f
	v_cmp_gt_i16_sdwa s[6:7], v3, s4 src0_sel:BYTE_0 src1_sel:DWORD
	s_mov_b64 s[4:5], 0
                                        ; implicit-def: $sgpr10
	s_and_saveexec_b64 s[8:9], s[6:7]
	s_xor_b64 s[6:7], exec, s[8:9]
	s_cbranch_execz .LBB2_10985
; %bb.46825:
	s_getpc_b64 s[14:15]
.Lpost_getpc26996:
	s_add_u32 s14, s14, (.LBB2_25321-.Lpost_getpc26996)&4294967295
	s_addc_u32 s15, s15, (.LBB2_25321-.Lpost_getpc26996)>>32
	s_setpc_b64 s[14:15]
.LBB2_10985:
	s_or_saveexec_b64 s[6:7], s[6:7]
	v_mov_b32_e32 v2, s10
	s_xor_b64 exec, exec, s[6:7]
	s_cbranch_execz .LBB2_10986
; %bb.46827:
	s_getpc_b64 s[14:15]
.Lpost_getpc26997:
	s_add_u32 s14, s14, (.LBB2_25324-.Lpost_getpc26997)&4294967295
	s_addc_u32 s15, s15, (.LBB2_25324-.Lpost_getpc26997)>>32
	s_setpc_b64 s[14:15]
.LBB2_10986:
	s_or_b64 exec, exec, s[6:7]
	s_and_saveexec_b64 s[6:7], s[4:5]
	s_cbranch_execz .LBB2_10988
.LBB2_10987:
	v_bfe_u32 v2, v9, 8, 3
	v_ffbh_u32_e32 v6, v2
	v_min_u32_e32 v6, 32, v6
	v_lshrrev_b16_e32 v4, 3, v3
	v_subrev_u32_e32 v7, 28, v6
	v_and_b32_e32 v4, 15, v4
	v_lshlrev_b32_e32 v3, v7, v3
	v_sub_u32_e32 v6, 29, v6
	v_and_b32_e32 v3, 7, v3
	v_cmp_eq_u16_e32 vcc, 0, v4
	v_cndmask_b32_e32 v2, v2, v3, vcc
	v_cndmask_b32_e32 v3, v4, v6, vcc
	v_lshlrev_b32_e32 v4, 16, v9
	v_mov_b32_e32 v6, 0x3b800000
	v_lshlrev_b32_e32 v2, 20, v2
	v_and_b32_e32 v4, 0x80000000, v4
	v_lshl_add_u32 v3, v3, 23, v6
	v_or3_b32 v2, v4, v3, v2
.LBB2_10988:
	s_or_b64 exec, exec, s[6:7]
	v_lshrrev_b32_e32 v3, 8, v5
	s_movk_i32 s4, 0x7f
	v_cmp_gt_i16_sdwa s[6:7], v3, s4 src0_sel:BYTE_0 src1_sel:DWORD
	s_mov_b64 s[4:5], 0
                                        ; implicit-def: $sgpr10
	s_and_saveexec_b64 s[8:9], s[6:7]
	s_xor_b64 s[6:7], exec, s[8:9]
	s_cbranch_execz .LBB2_10989
; %bb.46829:
	s_getpc_b64 s[14:15]
.Lpost_getpc26998:
	s_add_u32 s14, s14, (.LBB2_25325-.Lpost_getpc26998)&4294967295
	s_addc_u32 s15, s15, (.LBB2_25325-.Lpost_getpc26998)>>32
	s_setpc_b64 s[14:15]
.LBB2_10989:
	s_or_saveexec_b64 s[6:7], s[6:7]
	v_mov_b32_e32 v4, s10
	s_xor_b64 exec, exec, s[6:7]
	s_cbranch_execz .LBB2_10990
; %bb.46831:
	s_getpc_b64 s[14:15]
.Lpost_getpc26999:
	s_add_u32 s14, s14, (.LBB2_25328-.Lpost_getpc26999)&4294967295
	s_addc_u32 s15, s15, (.LBB2_25328-.Lpost_getpc26999)>>32
	s_setpc_b64 s[14:15]
.LBB2_10990:
	s_or_b64 exec, exec, s[6:7]
	s_and_saveexec_b64 s[6:7], s[4:5]
	s_cbranch_execz .LBB2_10992
.LBB2_10991:
	v_bfe_u32 v4, v5, 8, 3
	v_ffbh_u32_e32 v7, v4
	v_min_u32_e32 v7, 32, v7
	v_lshrrev_b16_e32 v6, 3, v3
	v_subrev_u32_e32 v8, 28, v7
	v_and_b32_e32 v6, 15, v6
	v_lshlrev_b32_e32 v3, v8, v3
	v_sub_u32_e32 v7, 29, v7
	v_and_b32_e32 v3, 7, v3
	v_cmp_eq_u16_e32 vcc, 0, v6
	v_cndmask_b32_e32 v3, v4, v3, vcc
	v_cndmask_b32_e32 v4, v6, v7, vcc
	v_lshlrev_b32_e32 v6, 16, v5
	v_mov_b32_e32 v7, 0x3b800000
	v_lshlrev_b32_e32 v3, 20, v3
	v_and_b32_e32 v6, 0x80000000, v6
	v_lshl_add_u32 v4, v4, 23, v7
	v_or3_b32 v4, v6, v4, v3
.LBB2_10992:
	s_or_b64 exec, exec, s[6:7]
	s_nop 0
	v_mfma_f32_16x16x4f32 a[0:3], v2, v4, a[0:3]
	s_movk_i32 s4, 0xff
	v_and_b32_sdwa v3, v9, s4 dst_sel:DWORD dst_unused:UNUSED_PAD src0_sel:WORD_1 src1_sel:DWORD
	s_movk_i32 s4, 0x7f
	v_cmp_lt_i16_e32 vcc, s4, v3
	s_mov_b64 s[4:5], 0
                                        ; implicit-def: $sgpr10
	s_and_saveexec_b64 s[6:7], vcc
	s_xor_b64 s[6:7], exec, s[6:7]
	s_cbranch_execz .LBB2_10993
; %bb.46833:
	s_getpc_b64 s[14:15]
.Lpost_getpc27000:
	s_add_u32 s14, s14, (.LBB2_25329-.Lpost_getpc27000)&4294967295
	s_addc_u32 s15, s15, (.LBB2_25329-.Lpost_getpc27000)>>32
	s_setpc_b64 s[14:15]
.LBB2_10993:
	s_or_saveexec_b64 s[6:7], s[6:7]
	v_mov_b32_e32 v2, s10
	s_xor_b64 exec, exec, s[6:7]
	s_cbranch_execz .LBB2_10994
; %bb.46835:
	s_getpc_b64 s[14:15]
.Lpost_getpc27001:
	s_add_u32 s14, s14, (.LBB2_25332-.Lpost_getpc27001)&4294967295
	s_addc_u32 s15, s15, (.LBB2_25332-.Lpost_getpc27001)>>32
	s_setpc_b64 s[14:15]
.LBB2_10994:
	s_or_b64 exec, exec, s[6:7]
	s_and_saveexec_b64 s[6:7], s[4:5]
	s_cbranch_execz .LBB2_10996
.LBB2_10995:
	v_bfe_u32 v2, v9, 16, 3
	v_ffbh_u32_e32 v6, v2
	v_min_u32_e32 v6, 32, v6
	v_lshrrev_b32_e32 v3, 19, v9
	v_subrev_u32_e32 v7, 28, v6
	v_and_b32_e32 v3, 15, v3
	v_lshlrev_b32_sdwa v7, v7, v9 dst_sel:DWORD dst_unused:UNUSED_PAD src0_sel:DWORD src1_sel:WORD_1
	v_bfe_u32 v4, v9, 19, 4
	v_sub_u32_e32 v6, 29, v6
	v_and_b32_e32 v7, 7, v7
	v_cmp_eq_u16_e32 vcc, 0, v3
	v_cndmask_b32_e32 v2, v2, v7, vcc
	v_cndmask_b32_e32 v3, v4, v6, vcc
	v_lshlrev_b32_e32 v4, 8, v9
	v_mov_b32_e32 v6, 0x3b800000
	v_lshlrev_b32_e32 v2, 20, v2
	v_and_b32_e32 v4, 0x80000000, v4
	v_lshl_add_u32 v3, v3, 23, v6
	v_or3_b32 v2, v4, v3, v2
.LBB2_10996:
	s_or_b64 exec, exec, s[6:7]
	s_movk_i32 s4, 0xff
	v_and_b32_sdwa v3, v5, s4 dst_sel:DWORD dst_unused:UNUSED_PAD src0_sel:WORD_1 src1_sel:DWORD
	s_movk_i32 s4, 0x7f
	v_cmp_lt_i16_e32 vcc, s4, v3
	s_mov_b64 s[4:5], 0
                                        ; implicit-def: $sgpr10
	s_and_saveexec_b64 s[6:7], vcc
	s_xor_b64 s[6:7], exec, s[6:7]
	s_cbranch_execz .LBB2_10997
; %bb.46837:
	s_getpc_b64 s[14:15]
.Lpost_getpc27002:
	s_add_u32 s14, s14, (.LBB2_25333-.Lpost_getpc27002)&4294967295
	s_addc_u32 s15, s15, (.LBB2_25333-.Lpost_getpc27002)>>32
	s_setpc_b64 s[14:15]
.LBB2_10997:
	s_or_saveexec_b64 s[6:7], s[6:7]
	v_mov_b32_e32 v4, s10
	s_xor_b64 exec, exec, s[6:7]
	s_cbranch_execz .LBB2_10998
; %bb.46839:
	s_getpc_b64 s[14:15]
.Lpost_getpc27003:
	s_add_u32 s14, s14, (.LBB2_25336-.Lpost_getpc27003)&4294967295
	s_addc_u32 s15, s15, (.LBB2_25336-.Lpost_getpc27003)>>32
	s_setpc_b64 s[14:15]
.LBB2_10998:
	s_or_b64 exec, exec, s[6:7]
	s_and_saveexec_b64 s[6:7], s[4:5]
	s_cbranch_execz .LBB2_11000
.LBB2_10999:
	v_bfe_u32 v3, v5, 16, 3
	v_ffbh_u32_e32 v7, v3
	v_min_u32_e32 v7, 32, v7
	v_lshrrev_b32_e32 v4, 19, v5
	v_subrev_u32_e32 v8, 28, v7
	v_and_b32_e32 v4, 15, v4
	v_lshlrev_b32_sdwa v8, v8, v5 dst_sel:DWORD dst_unused:UNUSED_PAD src0_sel:DWORD src1_sel:WORD_1
	v_bfe_u32 v6, v5, 19, 4
	v_sub_u32_e32 v7, 29, v7
	v_and_b32_e32 v8, 7, v8
	v_cmp_eq_u16_e32 vcc, 0, v4
	v_cndmask_b32_e32 v3, v3, v8, vcc
	v_cndmask_b32_e32 v4, v6, v7, vcc
	v_lshlrev_b32_e32 v6, 8, v5
	v_mov_b32_e32 v7, 0x3b800000
	v_lshlrev_b32_e32 v3, 20, v3
	v_and_b32_e32 v6, 0x80000000, v6
	v_lshl_add_u32 v4, v4, 23, v7
	v_or3_b32 v4, v6, v4, v3
.LBB2_11000:
	s_or_b64 exec, exec, s[6:7]
	s_nop 0
	v_mfma_f32_16x16x4f32 a[0:3], v2, v4, a[0:3]
	s_movk_i32 s4, 0x7f
	v_cmp_gt_i16_sdwa s[6:7], v9, s4 src0_sel:BYTE_3 src1_sel:DWORD
	s_mov_b64 s[4:5], 0
                                        ; implicit-def: $sgpr10
	s_and_saveexec_b64 s[8:9], s[6:7]
	s_xor_b64 s[6:7], exec, s[8:9]
	s_cbranch_execz .LBB2_11001
; %bb.46841:
	s_getpc_b64 s[14:15]
.Lpost_getpc27004:
	s_add_u32 s14, s14, (.LBB2_25337-.Lpost_getpc27004)&4294967295
	s_addc_u32 s15, s15, (.LBB2_25337-.Lpost_getpc27004)>>32
	s_setpc_b64 s[14:15]
.LBB2_11001:
	s_or_saveexec_b64 s[6:7], s[6:7]
	v_mov_b32_e32 v2, s10
	s_xor_b64 exec, exec, s[6:7]
	s_cbranch_execz .LBB2_11002
; %bb.46843:
	s_getpc_b64 s[14:15]
.Lpost_getpc27005:
	s_add_u32 s14, s14, (.LBB2_25340-.Lpost_getpc27005)&4294967295
	s_addc_u32 s15, s15, (.LBB2_25340-.Lpost_getpc27005)>>32
	s_setpc_b64 s[14:15]
.LBB2_11002:
	s_or_b64 exec, exec, s[6:7]
	s_and_saveexec_b64 s[6:7], s[4:5]
	s_cbranch_execz .LBB2_11004
.LBB2_11003:
	v_bfe_u32 v2, v9, 24, 3
	v_ffbh_u32_e32 v7, v2
	v_min_u32_e32 v7, 32, v7
	v_lshrrev_b32_e32 v4, 27, v9
	v_subrev_u32_e32 v8, 28, v7
	v_and_b32_e32 v4, 15, v4
	v_lshlrev_b32_sdwa v8, v8, v9 dst_sel:DWORD dst_unused:UNUSED_PAD src0_sel:DWORD src1_sel:BYTE_3
	v_bfe_u32 v6, v9, 27, 4
	v_sub_u32_e32 v7, 29, v7
	v_and_b32_e32 v8, 7, v8
	v_cmp_eq_u16_e32 vcc, 0, v4
	v_cndmask_b32_e32 v2, v2, v8, vcc
	v_cndmask_b32_e32 v4, v6, v7, vcc
	v_mov_b32_e32 v6, 0x3b800000
	v_and_b32_e32 v3, 0x80000000, v9
	v_lshlrev_b32_e32 v2, 20, v2
	v_lshl_add_u32 v4, v4, 23, v6
	v_or3_b32 v2, v3, v4, v2
.LBB2_11004:
	s_or_b64 exec, exec, s[6:7]
	s_movk_i32 s4, 0x7f
	v_cmp_gt_i16_sdwa s[6:7], v5, s4 src0_sel:BYTE_3 src1_sel:DWORD
	s_mov_b64 s[4:5], 0
                                        ; implicit-def: $sgpr10
	s_and_saveexec_b64 s[8:9], s[6:7]
	s_xor_b64 s[6:7], exec, s[8:9]
	s_cbranch_execz .LBB2_11005
; %bb.46845:
	s_getpc_b64 s[14:15]
.Lpost_getpc27006:
	s_add_u32 s14, s14, (.LBB2_25341-.Lpost_getpc27006)&4294967295
	s_addc_u32 s15, s15, (.LBB2_25341-.Lpost_getpc27006)>>32
	s_setpc_b64 s[14:15]
.LBB2_11005:
	s_or_saveexec_b64 s[6:7], s[6:7]
	v_mov_b32_e32 v3, s10
	s_xor_b64 exec, exec, s[6:7]
	s_cbranch_execz .LBB2_11006
; %bb.46847:
	s_getpc_b64 s[14:15]
.Lpost_getpc27007:
	s_add_u32 s14, s14, (.LBB2_25344-.Lpost_getpc27007)&4294967295
	s_addc_u32 s15, s15, (.LBB2_25344-.Lpost_getpc27007)>>32
	s_setpc_b64 s[14:15]
.LBB2_11006:
	s_or_b64 exec, exec, s[6:7]
	s_and_saveexec_b64 s[6:7], s[4:5]
	s_cbranch_execz .LBB2_11008
.LBB2_11007:
	v_bfe_u32 v3, v5, 24, 3
	v_ffbh_u32_e32 v8, v3
	v_min_u32_e32 v8, 32, v8
	v_lshrrev_b32_e32 v6, 27, v5
	v_subrev_u32_e32 v9, 28, v8
	v_and_b32_e32 v4, 0x80000000, v5
	v_and_b32_e32 v6, 15, v6
	v_bfe_u32 v7, v5, 27, 4
	v_lshlrev_b32_sdwa v5, v9, v5 dst_sel:DWORD dst_unused:UNUSED_PAD src0_sel:DWORD src1_sel:BYTE_3
	v_sub_u32_e32 v8, 29, v8
	v_and_b32_e32 v5, 7, v5
	v_cmp_eq_u16_e32 vcc, 0, v6
	v_cndmask_b32_e32 v3, v3, v5, vcc
	v_cndmask_b32_e32 v5, v7, v8, vcc
	v_mov_b32_e32 v6, 0x3b800000
	v_lshlrev_b32_e32 v3, 20, v3
	v_lshl_add_u32 v5, v5, 23, v6
	v_or3_b32 v3, v4, v5, v3
.LBB2_11008:
	s_or_b64 exec, exec, s[6:7]
	s_nop 0
	v_mfma_f32_16x16x4f32 a[0:3], v2, v3, a[0:3]
	s_movk_i32 s4, 0x7f
                                        ; implicit-def: $sgpr10
	s_nop 7
	s_nop 1
	flat_store_dwordx4 v[10:11], a[0:3] offset:464
	flat_load_dwordx4 v[12:15], v[0:1]
	s_nop 0
	flat_load_dwordx2 v[10:11], v[0:1] offset:16
	s_waitcnt vmcnt(0) lgkmcnt(0)
	flat_load_dwordx4 v[6:9], v[12:13] offset:160
	flat_load_dwordx4 v[2:5], v[14:15] offset:224
	s_waitcnt vmcnt(0) lgkmcnt(0)
	v_cmp_gt_i16_sdwa s[6:7], v6, s4 src0_sel:BYTE_0 src1_sel:DWORD
	s_mov_b64 s[4:5], 0
	s_and_saveexec_b64 s[8:9], s[6:7]
	s_xor_b64 s[6:7], exec, s[8:9]
	s_cbranch_execz .LBB2_11009
; %bb.46849:
	s_getpc_b64 s[14:15]
.Lpost_getpc27008:
	s_add_u32 s14, s14, (.LBB2_25345-.Lpost_getpc27008)&4294967295
	s_addc_u32 s15, s15, (.LBB2_25345-.Lpost_getpc27008)>>32
	s_setpc_b64 s[14:15]
.LBB2_11009:
	s_or_saveexec_b64 s[6:7], s[6:7]
	v_mov_b32_e32 v12, s10
	s_xor_b64 exec, exec, s[6:7]
	s_cbranch_execz .LBB2_11010
; %bb.46851:
	s_getpc_b64 s[14:15]
.Lpost_getpc27009:
	s_add_u32 s14, s14, (.LBB2_25348-.Lpost_getpc27009)&4294967295
	s_addc_u32 s15, s15, (.LBB2_25348-.Lpost_getpc27009)>>32
	s_setpc_b64 s[14:15]
.LBB2_11010:
	s_or_b64 exec, exec, s[6:7]
	s_and_saveexec_b64 s[6:7], s[4:5]
	s_cbranch_execz .LBB2_11012
.LBB2_11011:
	v_and_b32_e32 v12, 7, v6
	v_ffbh_u32_e32 v14, v12
	v_min_u32_e32 v14, 32, v14
	v_lshrrev_b16_e32 v13, 3, v6
	v_subrev_u32_e32 v15, 28, v14
	v_and_b32_e32 v13, 15, v13
	v_lshlrev_b32_e32 v15, v15, v6
	v_sub_u32_e32 v14, 29, v14
	v_and_b32_e32 v15, 7, v15
	v_cmp_eq_u16_e32 vcc, 0, v13
	v_cndmask_b32_e32 v12, v12, v15, vcc
	v_cndmask_b32_e32 v13, v13, v14, vcc
	v_lshlrev_b32_e32 v14, 24, v6
	v_mov_b32_e32 v15, 0x3b800000
	v_lshlrev_b32_e32 v12, 20, v12
	v_and_b32_e32 v14, 0x80000000, v14
	v_lshl_add_u32 v13, v13, 23, v15
	v_or3_b32 v12, v14, v13, v12
.LBB2_11012:
	s_or_b64 exec, exec, s[6:7]
	s_movk_i32 s4, 0x7f
	v_cmp_gt_i16_sdwa s[6:7], v2, s4 src0_sel:BYTE_0 src1_sel:DWORD
	s_mov_b64 s[4:5], 0
                                        ; implicit-def: $sgpr10
	s_and_saveexec_b64 s[8:9], s[6:7]
	s_xor_b64 s[6:7], exec, s[8:9]
	s_cbranch_execz .LBB2_11013
; %bb.46853:
	s_getpc_b64 s[14:15]
.Lpost_getpc27010:
	s_add_u32 s14, s14, (.LBB2_25349-.Lpost_getpc27010)&4294967295
	s_addc_u32 s15, s15, (.LBB2_25349-.Lpost_getpc27010)>>32
	s_setpc_b64 s[14:15]
.LBB2_11013:
	s_or_saveexec_b64 s[6:7], s[6:7]
	v_mov_b32_e32 v13, s10
	s_xor_b64 exec, exec, s[6:7]
	s_cbranch_execz .LBB2_11014
; %bb.46855:
	s_getpc_b64 s[14:15]
.Lpost_getpc27011:
	s_add_u32 s14, s14, (.LBB2_25352-.Lpost_getpc27011)&4294967295
	s_addc_u32 s15, s15, (.LBB2_25352-.Lpost_getpc27011)>>32
	s_setpc_b64 s[14:15]
.LBB2_11014:
	s_or_b64 exec, exec, s[6:7]
	s_and_saveexec_b64 s[6:7], s[4:5]
	s_cbranch_execz .LBB2_11016
.LBB2_11015:
	v_and_b32_e32 v13, 7, v2
	v_ffbh_u32_e32 v15, v13
	v_min_u32_e32 v15, 32, v15
	v_lshrrev_b16_e32 v14, 3, v2
	v_subrev_u32_e32 v16, 28, v15
	v_and_b32_e32 v14, 15, v14
	v_lshlrev_b32_e32 v16, v16, v2
	v_sub_u32_e32 v15, 29, v15
	v_and_b32_e32 v16, 7, v16
	v_cmp_eq_u16_e32 vcc, 0, v14
	v_cndmask_b32_e32 v13, v13, v16, vcc
	v_cndmask_b32_e32 v14, v14, v15, vcc
	v_lshlrev_b32_e32 v15, 24, v2
	v_mov_b32_e32 v16, 0x3b800000
	v_lshlrev_b32_e32 v13, 20, v13
	v_and_b32_e32 v15, 0x80000000, v15
	v_lshl_add_u32 v14, v14, 23, v16
	v_or3_b32 v13, v15, v14, v13
.LBB2_11016:
	s_or_b64 exec, exec, s[6:7]
	flat_load_dwordx4 a[0:3], v[10:11] offset:480
	s_movk_i32 s4, 0x7f
                                        ; implicit-def: $sgpr10
	s_waitcnt vmcnt(0) lgkmcnt(0)
	v_mfma_f32_16x16x4f32 a[0:3], v12, v13, a[0:3]
	v_lshrrev_b32_e32 v13, 8, v6
	v_cmp_gt_i16_sdwa s[6:7], v13, s4 src0_sel:BYTE_0 src1_sel:DWORD
	s_mov_b64 s[4:5], 0
	s_and_saveexec_b64 s[8:9], s[6:7]
	s_xor_b64 s[6:7], exec, s[8:9]
	s_cbranch_execz .LBB2_11017
; %bb.46857:
	s_getpc_b64 s[14:15]
.Lpost_getpc27012:
	s_add_u32 s14, s14, (.LBB2_25353-.Lpost_getpc27012)&4294967295
	s_addc_u32 s15, s15, (.LBB2_25353-.Lpost_getpc27012)>>32
	s_setpc_b64 s[14:15]
.LBB2_11017:
	s_or_saveexec_b64 s[6:7], s[6:7]
	v_mov_b32_e32 v12, s10
	s_xor_b64 exec, exec, s[6:7]
	s_cbranch_execz .LBB2_11018
; %bb.46859:
	s_getpc_b64 s[14:15]
.Lpost_getpc27013:
	s_add_u32 s14, s14, (.LBB2_25356-.Lpost_getpc27013)&4294967295
	s_addc_u32 s15, s15, (.LBB2_25356-.Lpost_getpc27013)>>32
	s_setpc_b64 s[14:15]
.LBB2_11018:
	s_or_b64 exec, exec, s[6:7]
	s_and_saveexec_b64 s[6:7], s[4:5]
	s_cbranch_execz .LBB2_11020
.LBB2_11019:
	v_bfe_u32 v12, v6, 8, 3
	v_ffbh_u32_e32 v15, v12
	v_min_u32_e32 v15, 32, v15
	v_lshrrev_b16_e32 v14, 3, v13
	v_subrev_u32_e32 v16, 28, v15
	v_and_b32_e32 v14, 15, v14
	v_lshlrev_b32_e32 v13, v16, v13
	v_sub_u32_e32 v15, 29, v15
	v_and_b32_e32 v13, 7, v13
	v_cmp_eq_u16_e32 vcc, 0, v14
	v_cndmask_b32_e32 v12, v12, v13, vcc
	v_cndmask_b32_e32 v13, v14, v15, vcc
	v_lshlrev_b32_e32 v14, 16, v6
	v_mov_b32_e32 v15, 0x3b800000
	v_lshlrev_b32_e32 v12, 20, v12
	v_and_b32_e32 v14, 0x80000000, v14
	v_lshl_add_u32 v13, v13, 23, v15
	v_or3_b32 v12, v14, v13, v12
.LBB2_11020:
	s_or_b64 exec, exec, s[6:7]
	v_lshrrev_b32_e32 v13, 8, v2
	s_movk_i32 s4, 0x7f
	v_cmp_gt_i16_sdwa s[6:7], v13, s4 src0_sel:BYTE_0 src1_sel:DWORD
	s_mov_b64 s[4:5], 0
                                        ; implicit-def: $sgpr10
	s_and_saveexec_b64 s[8:9], s[6:7]
	s_xor_b64 s[6:7], exec, s[8:9]
	s_cbranch_execz .LBB2_11021
; %bb.46861:
	s_getpc_b64 s[14:15]
.Lpost_getpc27014:
	s_add_u32 s14, s14, (.LBB2_25357-.Lpost_getpc27014)&4294967295
	s_addc_u32 s15, s15, (.LBB2_25357-.Lpost_getpc27014)>>32
	s_setpc_b64 s[14:15]
.LBB2_11021:
	s_or_saveexec_b64 s[6:7], s[6:7]
	v_mov_b32_e32 v14, s10
	s_xor_b64 exec, exec, s[6:7]
	s_cbranch_execz .LBB2_11022
; %bb.46863:
	s_getpc_b64 s[14:15]
.Lpost_getpc27015:
	s_add_u32 s14, s14, (.LBB2_25360-.Lpost_getpc27015)&4294967295
	s_addc_u32 s15, s15, (.LBB2_25360-.Lpost_getpc27015)>>32
	s_setpc_b64 s[14:15]
.LBB2_11022:
	s_or_b64 exec, exec, s[6:7]
	s_and_saveexec_b64 s[6:7], s[4:5]
	s_cbranch_execz .LBB2_11024
.LBB2_11023:
	v_bfe_u32 v14, v2, 8, 3
	v_ffbh_u32_e32 v16, v14
	v_min_u32_e32 v16, 32, v16
	v_lshrrev_b16_e32 v15, 3, v13
	v_subrev_u32_e32 v17, 28, v16
	v_and_b32_e32 v15, 15, v15
	v_lshlrev_b32_e32 v13, v17, v13
	v_sub_u32_e32 v16, 29, v16
	v_and_b32_e32 v13, 7, v13
	v_cmp_eq_u16_e32 vcc, 0, v15
	v_cndmask_b32_e32 v13, v14, v13, vcc
	v_cndmask_b32_e32 v14, v15, v16, vcc
	v_lshlrev_b32_e32 v15, 16, v2
	v_mov_b32_e32 v16, 0x3b800000
	v_lshlrev_b32_e32 v13, 20, v13
	v_and_b32_e32 v15, 0x80000000, v15
	v_lshl_add_u32 v14, v14, 23, v16
	v_or3_b32 v14, v15, v14, v13
.LBB2_11024:
	s_or_b64 exec, exec, s[6:7]
	s_nop 0
	v_mfma_f32_16x16x4f32 a[0:3], v12, v14, a[0:3]
	s_movk_i32 s4, 0xff
	v_and_b32_sdwa v13, v6, s4 dst_sel:DWORD dst_unused:UNUSED_PAD src0_sel:WORD_1 src1_sel:DWORD
	s_movk_i32 s4, 0x7f
	v_cmp_lt_i16_e32 vcc, s4, v13
	s_mov_b64 s[4:5], 0
                                        ; implicit-def: $sgpr10
	s_and_saveexec_b64 s[6:7], vcc
	s_xor_b64 s[6:7], exec, s[6:7]
	s_cbranch_execz .LBB2_11025
; %bb.46865:
	s_getpc_b64 s[14:15]
.Lpost_getpc27016:
	s_add_u32 s14, s14, (.LBB2_25361-.Lpost_getpc27016)&4294967295
	s_addc_u32 s15, s15, (.LBB2_25361-.Lpost_getpc27016)>>32
	s_setpc_b64 s[14:15]
.LBB2_11025:
	s_or_saveexec_b64 s[6:7], s[6:7]
	v_mov_b32_e32 v12, s10
	s_xor_b64 exec, exec, s[6:7]
	s_cbranch_execz .LBB2_11026
; %bb.46867:
	s_getpc_b64 s[14:15]
.Lpost_getpc27017:
	s_add_u32 s14, s14, (.LBB2_25364-.Lpost_getpc27017)&4294967295
	s_addc_u32 s15, s15, (.LBB2_25364-.Lpost_getpc27017)>>32
	s_setpc_b64 s[14:15]
.LBB2_11026:
	s_or_b64 exec, exec, s[6:7]
	s_and_saveexec_b64 s[6:7], s[4:5]
	s_cbranch_execz .LBB2_11028
.LBB2_11027:
	v_bfe_u32 v12, v6, 16, 3
	v_ffbh_u32_e32 v15, v12
	v_min_u32_e32 v15, 32, v15
	v_lshrrev_b32_e32 v13, 19, v6
	v_subrev_u32_e32 v16, 28, v15
	v_and_b32_e32 v13, 15, v13
	v_lshlrev_b32_sdwa v16, v16, v6 dst_sel:DWORD dst_unused:UNUSED_PAD src0_sel:DWORD src1_sel:WORD_1
	v_bfe_u32 v14, v6, 19, 4
	v_sub_u32_e32 v15, 29, v15
	v_and_b32_e32 v16, 7, v16
	v_cmp_eq_u16_e32 vcc, 0, v13
	v_cndmask_b32_e32 v12, v12, v16, vcc
	v_cndmask_b32_e32 v13, v14, v15, vcc
	v_lshlrev_b32_e32 v14, 8, v6
	v_mov_b32_e32 v15, 0x3b800000
	v_lshlrev_b32_e32 v12, 20, v12
	v_and_b32_e32 v14, 0x80000000, v14
	v_lshl_add_u32 v13, v13, 23, v15
	v_or3_b32 v12, v14, v13, v12
.LBB2_11028:
	s_or_b64 exec, exec, s[6:7]
	s_movk_i32 s4, 0xff
	v_and_b32_sdwa v13, v2, s4 dst_sel:DWORD dst_unused:UNUSED_PAD src0_sel:WORD_1 src1_sel:DWORD
	s_movk_i32 s4, 0x7f
	v_cmp_lt_i16_e32 vcc, s4, v13
	s_mov_b64 s[4:5], 0
                                        ; implicit-def: $sgpr10
	s_and_saveexec_b64 s[6:7], vcc
	s_xor_b64 s[6:7], exec, s[6:7]
	s_cbranch_execz .LBB2_11029
; %bb.46869:
	s_getpc_b64 s[14:15]
.Lpost_getpc27018:
	s_add_u32 s14, s14, (.LBB2_25365-.Lpost_getpc27018)&4294967295
	s_addc_u32 s15, s15, (.LBB2_25365-.Lpost_getpc27018)>>32
	s_setpc_b64 s[14:15]
.LBB2_11029:
	s_or_saveexec_b64 s[6:7], s[6:7]
	v_mov_b32_e32 v14, s10
	s_xor_b64 exec, exec, s[6:7]
	s_cbranch_execz .LBB2_11030
; %bb.46871:
	s_getpc_b64 s[14:15]
.Lpost_getpc27019:
	s_add_u32 s14, s14, (.LBB2_25368-.Lpost_getpc27019)&4294967295
	s_addc_u32 s15, s15, (.LBB2_25368-.Lpost_getpc27019)>>32
	s_setpc_b64 s[14:15]
.LBB2_11030:
	s_or_b64 exec, exec, s[6:7]
	s_and_saveexec_b64 s[6:7], s[4:5]
	s_cbranch_execz .LBB2_11032
.LBB2_11031:
	v_bfe_u32 v13, v2, 16, 3
	v_ffbh_u32_e32 v16, v13
	v_min_u32_e32 v16, 32, v16
	v_lshrrev_b32_e32 v14, 19, v2
	v_subrev_u32_e32 v17, 28, v16
	v_and_b32_e32 v14, 15, v14
	v_lshlrev_b32_sdwa v17, v17, v2 dst_sel:DWORD dst_unused:UNUSED_PAD src0_sel:DWORD src1_sel:WORD_1
	v_bfe_u32 v15, v2, 19, 4
	v_sub_u32_e32 v16, 29, v16
	v_and_b32_e32 v17, 7, v17
	v_cmp_eq_u16_e32 vcc, 0, v14
	v_cndmask_b32_e32 v13, v13, v17, vcc
	v_cndmask_b32_e32 v14, v15, v16, vcc
	v_lshlrev_b32_e32 v15, 8, v2
	v_mov_b32_e32 v16, 0x3b800000
	v_lshlrev_b32_e32 v13, 20, v13
	v_and_b32_e32 v15, 0x80000000, v15
	v_lshl_add_u32 v14, v14, 23, v16
	v_or3_b32 v14, v15, v14, v13
.LBB2_11032:
	s_or_b64 exec, exec, s[6:7]
	s_nop 0
	v_mfma_f32_16x16x4f32 a[0:3], v12, v14, a[0:3]
	s_movk_i32 s4, 0x7f
	v_cmp_gt_i16_sdwa s[6:7], v6, s4 src0_sel:BYTE_3 src1_sel:DWORD
	s_mov_b64 s[4:5], 0
                                        ; implicit-def: $sgpr10
	s_and_saveexec_b64 s[8:9], s[6:7]
	s_xor_b64 s[6:7], exec, s[8:9]
	s_cbranch_execz .LBB2_11033
; %bb.46873:
	s_getpc_b64 s[14:15]
.Lpost_getpc27020:
	s_add_u32 s14, s14, (.LBB2_25369-.Lpost_getpc27020)&4294967295
	s_addc_u32 s15, s15, (.LBB2_25369-.Lpost_getpc27020)>>32
	s_setpc_b64 s[14:15]
.LBB2_11033:
	s_or_saveexec_b64 s[6:7], s[6:7]
	v_mov_b32_e32 v12, s10
	s_xor_b64 exec, exec, s[6:7]
	s_cbranch_execz .LBB2_11034
; %bb.46875:
	s_getpc_b64 s[14:15]
.Lpost_getpc27021:
	s_add_u32 s14, s14, (.LBB2_25372-.Lpost_getpc27021)&4294967295
	s_addc_u32 s15, s15, (.LBB2_25372-.Lpost_getpc27021)>>32
	s_setpc_b64 s[14:15]
.LBB2_11034:
	s_or_b64 exec, exec, s[6:7]
	s_and_saveexec_b64 s[6:7], s[4:5]
	s_cbranch_execz .LBB2_11036
.LBB2_11035:
	v_bfe_u32 v12, v6, 24, 3
	v_ffbh_u32_e32 v16, v12
	v_min_u32_e32 v16, 32, v16
	v_lshrrev_b32_e32 v14, 27, v6
	v_subrev_u32_e32 v17, 28, v16
	v_and_b32_e32 v13, 0x80000000, v6
	v_and_b32_e32 v14, 15, v14
	v_bfe_u32 v15, v6, 27, 4
	v_lshlrev_b32_sdwa v6, v17, v6 dst_sel:DWORD dst_unused:UNUSED_PAD src0_sel:DWORD src1_sel:BYTE_3
	v_sub_u32_e32 v16, 29, v16
	v_and_b32_e32 v6, 7, v6
	v_cmp_eq_u16_e32 vcc, 0, v14
	v_cndmask_b32_e32 v6, v12, v6, vcc
	v_cndmask_b32_e32 v12, v15, v16, vcc
	v_mov_b32_e32 v14, 0x3b800000
	v_lshlrev_b32_e32 v6, 20, v6
	v_lshl_add_u32 v12, v12, 23, v14
	v_or3_b32 v12, v13, v12, v6
.LBB2_11036:
	s_or_b64 exec, exec, s[6:7]
	s_movk_i32 s4, 0x7f
	v_cmp_gt_i16_sdwa s[6:7], v2, s4 src0_sel:BYTE_3 src1_sel:DWORD
	s_mov_b64 s[4:5], 0
                                        ; implicit-def: $sgpr10
	s_and_saveexec_b64 s[8:9], s[6:7]
	s_xor_b64 s[6:7], exec, s[8:9]
	s_cbranch_execz .LBB2_11037
; %bb.46877:
	s_getpc_b64 s[14:15]
.Lpost_getpc27022:
	s_add_u32 s14, s14, (.LBB2_25373-.Lpost_getpc27022)&4294967295
	s_addc_u32 s15, s15, (.LBB2_25373-.Lpost_getpc27022)>>32
	s_setpc_b64 s[14:15]
.LBB2_11037:
	s_or_saveexec_b64 s[6:7], s[6:7]
	v_mov_b32_e32 v6, s10
	s_xor_b64 exec, exec, s[6:7]
	s_cbranch_execz .LBB2_11038
; %bb.46879:
	s_getpc_b64 s[14:15]
.Lpost_getpc27023:
	s_add_u32 s14, s14, (.LBB2_25376-.Lpost_getpc27023)&4294967295
	s_addc_u32 s15, s15, (.LBB2_25376-.Lpost_getpc27023)>>32
	s_setpc_b64 s[14:15]
.LBB2_11038:
	s_or_b64 exec, exec, s[6:7]
	s_and_saveexec_b64 s[6:7], s[4:5]
	s_cbranch_execz .LBB2_11040
.LBB2_11039:
	v_bfe_u32 v6, v2, 24, 3
	v_ffbh_u32_e32 v16, v6
	v_min_u32_e32 v16, 32, v16
	v_lshrrev_b32_e32 v14, 27, v2
	v_subrev_u32_e32 v17, 28, v16
	v_and_b32_e32 v13, 0x80000000, v2
	v_and_b32_e32 v14, 15, v14
	v_bfe_u32 v15, v2, 27, 4
	v_lshlrev_b32_sdwa v2, v17, v2 dst_sel:DWORD dst_unused:UNUSED_PAD src0_sel:DWORD src1_sel:BYTE_3
	v_sub_u32_e32 v16, 29, v16
	v_and_b32_e32 v2, 7, v2
	v_cmp_eq_u16_e32 vcc, 0, v14
	v_cndmask_b32_e32 v2, v6, v2, vcc
	v_cndmask_b32_e32 v6, v15, v16, vcc
	v_mov_b32_e32 v14, 0x3b800000
	v_lshlrev_b32_e32 v2, 20, v2
	v_lshl_add_u32 v6, v6, 23, v14
	v_or3_b32 v6, v13, v6, v2
.LBB2_11040:
	s_or_b64 exec, exec, s[6:7]
	s_nop 0
	v_mfma_f32_16x16x4f32 a[0:3], v12, v6, a[0:3]
	s_movk_i32 s4, 0x7f
	v_cmp_gt_i16_sdwa s[6:7], v7, s4 src0_sel:BYTE_0 src1_sel:DWORD
	s_mov_b64 s[4:5], 0
                                        ; implicit-def: $sgpr10
	s_and_saveexec_b64 s[8:9], s[6:7]
	s_xor_b64 s[6:7], exec, s[8:9]
	s_cbranch_execz .LBB2_11041
; %bb.46881:
	s_getpc_b64 s[14:15]
.Lpost_getpc27024:
	s_add_u32 s14, s14, (.LBB2_25377-.Lpost_getpc27024)&4294967295
	s_addc_u32 s15, s15, (.LBB2_25377-.Lpost_getpc27024)>>32
	s_setpc_b64 s[14:15]
.LBB2_11041:
	s_or_saveexec_b64 s[6:7], s[6:7]
	v_mov_b32_e32 v2, s10
	s_xor_b64 exec, exec, s[6:7]
	s_cbranch_execz .LBB2_11042
; %bb.46883:
	s_getpc_b64 s[14:15]
.Lpost_getpc27025:
	s_add_u32 s14, s14, (.LBB2_25380-.Lpost_getpc27025)&4294967295
	s_addc_u32 s15, s15, (.LBB2_25380-.Lpost_getpc27025)>>32
	s_setpc_b64 s[14:15]
.LBB2_11042:
	s_or_b64 exec, exec, s[6:7]
	s_and_saveexec_b64 s[6:7], s[4:5]
	s_cbranch_execz .LBB2_11044
.LBB2_11043:
	v_and_b32_e32 v2, 7, v7
	v_ffbh_u32_e32 v12, v2
	v_min_u32_e32 v12, 32, v12
	v_lshrrev_b16_e32 v6, 3, v7
	v_subrev_u32_e32 v13, 28, v12
	v_and_b32_e32 v6, 15, v6
	v_lshlrev_b32_e32 v13, v13, v7
	v_sub_u32_e32 v12, 29, v12
	v_and_b32_e32 v13, 7, v13
	v_cmp_eq_u16_e32 vcc, 0, v6
	v_cndmask_b32_e32 v2, v2, v13, vcc
	v_cndmask_b32_e32 v6, v6, v12, vcc
	v_lshlrev_b32_e32 v12, 24, v7
	v_mov_b32_e32 v13, 0x3b800000
	v_lshlrev_b32_e32 v2, 20, v2
	v_and_b32_e32 v12, 0x80000000, v12
	v_lshl_add_u32 v6, v6, 23, v13
	v_or3_b32 v2, v12, v6, v2
.LBB2_11044:
	s_or_b64 exec, exec, s[6:7]
	s_movk_i32 s4, 0x7f
	v_cmp_gt_i16_sdwa s[6:7], v3, s4 src0_sel:BYTE_0 src1_sel:DWORD
	s_mov_b64 s[4:5], 0
                                        ; implicit-def: $sgpr10
	s_and_saveexec_b64 s[8:9], s[6:7]
	s_xor_b64 s[6:7], exec, s[8:9]
	s_cbranch_execz .LBB2_11045
; %bb.46885:
	s_getpc_b64 s[14:15]
.Lpost_getpc27026:
	s_add_u32 s14, s14, (.LBB2_25381-.Lpost_getpc27026)&4294967295
	s_addc_u32 s15, s15, (.LBB2_25381-.Lpost_getpc27026)>>32
	s_setpc_b64 s[14:15]
.LBB2_11045:
	s_or_saveexec_b64 s[6:7], s[6:7]
	v_mov_b32_e32 v6, s10
	s_xor_b64 exec, exec, s[6:7]
	s_cbranch_execz .LBB2_11046
; %bb.46887:
	s_getpc_b64 s[14:15]
.Lpost_getpc27027:
	s_add_u32 s14, s14, (.LBB2_25384-.Lpost_getpc27027)&4294967295
	s_addc_u32 s15, s15, (.LBB2_25384-.Lpost_getpc27027)>>32
	s_setpc_b64 s[14:15]
.LBB2_11046:
	s_or_b64 exec, exec, s[6:7]
	s_and_saveexec_b64 s[6:7], s[4:5]
	s_cbranch_execz .LBB2_11048
.LBB2_11047:
	v_and_b32_e32 v6, 7, v3
	v_ffbh_u32_e32 v13, v6
	v_min_u32_e32 v13, 32, v13
	v_lshrrev_b16_e32 v12, 3, v3
	v_subrev_u32_e32 v14, 28, v13
	v_and_b32_e32 v12, 15, v12
	v_lshlrev_b32_e32 v14, v14, v3
	v_sub_u32_e32 v13, 29, v13
	v_and_b32_e32 v14, 7, v14
	v_cmp_eq_u16_e32 vcc, 0, v12
	v_cndmask_b32_e32 v6, v6, v14, vcc
	v_cndmask_b32_e32 v12, v12, v13, vcc
	v_lshlrev_b32_e32 v13, 24, v3
	v_mov_b32_e32 v14, 0x3b800000
	v_lshlrev_b32_e32 v6, 20, v6
	v_and_b32_e32 v13, 0x80000000, v13
	v_lshl_add_u32 v12, v12, 23, v14
	v_or3_b32 v6, v13, v12, v6
.LBB2_11048:
	s_or_b64 exec, exec, s[6:7]
	s_nop 0
	v_mfma_f32_16x16x4f32 a[0:3], v2, v6, a[0:3]
	v_lshrrev_b32_e32 v6, 8, v7
	s_movk_i32 s4, 0x7f
	v_cmp_gt_i16_sdwa s[6:7], v6, s4 src0_sel:BYTE_0 src1_sel:DWORD
	s_mov_b64 s[4:5], 0
                                        ; implicit-def: $sgpr10
	s_and_saveexec_b64 s[8:9], s[6:7]
	s_xor_b64 s[6:7], exec, s[8:9]
	s_cbranch_execz .LBB2_11049
; %bb.46889:
	s_getpc_b64 s[14:15]
.Lpost_getpc27028:
	s_add_u32 s14, s14, (.LBB2_25385-.Lpost_getpc27028)&4294967295
	s_addc_u32 s15, s15, (.LBB2_25385-.Lpost_getpc27028)>>32
	s_setpc_b64 s[14:15]
.LBB2_11049:
	s_or_saveexec_b64 s[6:7], s[6:7]
	v_mov_b32_e32 v2, s10
	s_xor_b64 exec, exec, s[6:7]
	s_cbranch_execz .LBB2_11050
; %bb.46891:
	s_getpc_b64 s[14:15]
.Lpost_getpc27029:
	s_add_u32 s14, s14, (.LBB2_25388-.Lpost_getpc27029)&4294967295
	s_addc_u32 s15, s15, (.LBB2_25388-.Lpost_getpc27029)>>32
	s_setpc_b64 s[14:15]
.LBB2_11050:
	s_or_b64 exec, exec, s[6:7]
	s_and_saveexec_b64 s[6:7], s[4:5]
	s_cbranch_execz .LBB2_11052
.LBB2_11051:
	v_bfe_u32 v2, v7, 8, 3
	v_ffbh_u32_e32 v13, v2
	v_min_u32_e32 v13, 32, v13
	v_lshrrev_b16_e32 v12, 3, v6
	v_subrev_u32_e32 v14, 28, v13
	v_and_b32_e32 v12, 15, v12
	v_lshlrev_b32_e32 v6, v14, v6
	v_sub_u32_e32 v13, 29, v13
	v_and_b32_e32 v6, 7, v6
	v_cmp_eq_u16_e32 vcc, 0, v12
	v_cndmask_b32_e32 v2, v2, v6, vcc
	v_cndmask_b32_e32 v6, v12, v13, vcc
	v_lshlrev_b32_e32 v12, 16, v7
	v_mov_b32_e32 v13, 0x3b800000
	v_lshlrev_b32_e32 v2, 20, v2
	v_and_b32_e32 v12, 0x80000000, v12
	v_lshl_add_u32 v6, v6, 23, v13
	v_or3_b32 v2, v12, v6, v2
.LBB2_11052:
	s_or_b64 exec, exec, s[6:7]
	v_lshrrev_b32_e32 v6, 8, v3
	s_movk_i32 s4, 0x7f
	v_cmp_gt_i16_sdwa s[6:7], v6, s4 src0_sel:BYTE_0 src1_sel:DWORD
	s_mov_b64 s[4:5], 0
                                        ; implicit-def: $sgpr10
	s_and_saveexec_b64 s[8:9], s[6:7]
	s_xor_b64 s[6:7], exec, s[8:9]
	s_cbranch_execz .LBB2_11053
; %bb.46893:
	s_getpc_b64 s[14:15]
.Lpost_getpc27030:
	s_add_u32 s14, s14, (.LBB2_25389-.Lpost_getpc27030)&4294967295
	s_addc_u32 s15, s15, (.LBB2_25389-.Lpost_getpc27030)>>32
	s_setpc_b64 s[14:15]
.LBB2_11053:
	s_or_saveexec_b64 s[6:7], s[6:7]
	v_mov_b32_e32 v12, s10
	s_xor_b64 exec, exec, s[6:7]
	s_cbranch_execz .LBB2_11054
; %bb.46895:
	s_getpc_b64 s[14:15]
.Lpost_getpc27031:
	s_add_u32 s14, s14, (.LBB2_25392-.Lpost_getpc27031)&4294967295
	s_addc_u32 s15, s15, (.LBB2_25392-.Lpost_getpc27031)>>32
	s_setpc_b64 s[14:15]
.LBB2_11054:
	s_or_b64 exec, exec, s[6:7]
	s_and_saveexec_b64 s[6:7], s[4:5]
	s_cbranch_execz .LBB2_11056
.LBB2_11055:
	v_bfe_u32 v12, v3, 8, 3
	v_ffbh_u32_e32 v14, v12
	v_min_u32_e32 v14, 32, v14
	v_lshrrev_b16_e32 v13, 3, v6
	v_subrev_u32_e32 v15, 28, v14
	v_and_b32_e32 v13, 15, v13
	v_lshlrev_b32_e32 v6, v15, v6
	v_sub_u32_e32 v14, 29, v14
	v_and_b32_e32 v6, 7, v6
	v_cmp_eq_u16_e32 vcc, 0, v13
	v_cndmask_b32_e32 v6, v12, v6, vcc
	v_cndmask_b32_e32 v12, v13, v14, vcc
	v_lshlrev_b32_e32 v13, 16, v3
	v_mov_b32_e32 v14, 0x3b800000
	v_lshlrev_b32_e32 v6, 20, v6
	v_and_b32_e32 v13, 0x80000000, v13
	v_lshl_add_u32 v12, v12, 23, v14
	v_or3_b32 v12, v13, v12, v6
.LBB2_11056:
	s_or_b64 exec, exec, s[6:7]
	s_nop 0
	v_mfma_f32_16x16x4f32 a[0:3], v2, v12, a[0:3]
	s_movk_i32 s4, 0xff
	v_and_b32_sdwa v6, v7, s4 dst_sel:DWORD dst_unused:UNUSED_PAD src0_sel:WORD_1 src1_sel:DWORD
	s_movk_i32 s4, 0x7f
	v_cmp_lt_i16_e32 vcc, s4, v6
	s_mov_b64 s[4:5], 0
                                        ; implicit-def: $sgpr10
	s_and_saveexec_b64 s[6:7], vcc
	s_xor_b64 s[6:7], exec, s[6:7]
	s_cbranch_execz .LBB2_11057
; %bb.46897:
	s_getpc_b64 s[14:15]
.Lpost_getpc27032:
	s_add_u32 s14, s14, (.LBB2_25393-.Lpost_getpc27032)&4294967295
	s_addc_u32 s15, s15, (.LBB2_25393-.Lpost_getpc27032)>>32
	s_setpc_b64 s[14:15]
.LBB2_11057:
	s_or_saveexec_b64 s[6:7], s[6:7]
	v_mov_b32_e32 v2, s10
	s_xor_b64 exec, exec, s[6:7]
	s_cbranch_execz .LBB2_11058
; %bb.46899:
	s_getpc_b64 s[14:15]
.Lpost_getpc27033:
	s_add_u32 s14, s14, (.LBB2_25396-.Lpost_getpc27033)&4294967295
	s_addc_u32 s15, s15, (.LBB2_25396-.Lpost_getpc27033)>>32
	s_setpc_b64 s[14:15]
.LBB2_11058:
	s_or_b64 exec, exec, s[6:7]
	s_and_saveexec_b64 s[6:7], s[4:5]
	s_cbranch_execz .LBB2_11060
.LBB2_11059:
	v_bfe_u32 v2, v7, 16, 3
	v_ffbh_u32_e32 v13, v2
	v_min_u32_e32 v13, 32, v13
	v_lshrrev_b32_e32 v6, 19, v7
	v_subrev_u32_e32 v14, 28, v13
	v_and_b32_e32 v6, 15, v6
	v_lshlrev_b32_sdwa v14, v14, v7 dst_sel:DWORD dst_unused:UNUSED_PAD src0_sel:DWORD src1_sel:WORD_1
	v_bfe_u32 v12, v7, 19, 4
	v_sub_u32_e32 v13, 29, v13
	v_and_b32_e32 v14, 7, v14
	v_cmp_eq_u16_e32 vcc, 0, v6
	v_cndmask_b32_e32 v2, v2, v14, vcc
	v_cndmask_b32_e32 v6, v12, v13, vcc
	v_lshlrev_b32_e32 v12, 8, v7
	v_mov_b32_e32 v13, 0x3b800000
	v_lshlrev_b32_e32 v2, 20, v2
	v_and_b32_e32 v12, 0x80000000, v12
	v_lshl_add_u32 v6, v6, 23, v13
	v_or3_b32 v2, v12, v6, v2
.LBB2_11060:
	s_or_b64 exec, exec, s[6:7]
	s_movk_i32 s4, 0xff
	v_and_b32_sdwa v6, v3, s4 dst_sel:DWORD dst_unused:UNUSED_PAD src0_sel:WORD_1 src1_sel:DWORD
	s_movk_i32 s4, 0x7f
	v_cmp_lt_i16_e32 vcc, s4, v6
	s_mov_b64 s[4:5], 0
                                        ; implicit-def: $sgpr10
	s_and_saveexec_b64 s[6:7], vcc
	s_xor_b64 s[6:7], exec, s[6:7]
	s_cbranch_execz .LBB2_11061
; %bb.46901:
	s_getpc_b64 s[14:15]
.Lpost_getpc27034:
	s_add_u32 s14, s14, (.LBB2_25397-.Lpost_getpc27034)&4294967295
	s_addc_u32 s15, s15, (.LBB2_25397-.Lpost_getpc27034)>>32
	s_setpc_b64 s[14:15]
.LBB2_11061:
	s_or_saveexec_b64 s[6:7], s[6:7]
	v_mov_b32_e32 v12, s10
	s_xor_b64 exec, exec, s[6:7]
	s_cbranch_execz .LBB2_11062
; %bb.46903:
	s_getpc_b64 s[14:15]
.Lpost_getpc27035:
	s_add_u32 s14, s14, (.LBB2_25400-.Lpost_getpc27035)&4294967295
	s_addc_u32 s15, s15, (.LBB2_25400-.Lpost_getpc27035)>>32
	s_setpc_b64 s[14:15]
.LBB2_11062:
	s_or_b64 exec, exec, s[6:7]
	s_and_saveexec_b64 s[6:7], s[4:5]
	s_cbranch_execz .LBB2_11064
.LBB2_11063:
	v_bfe_u32 v6, v3, 16, 3
	v_ffbh_u32_e32 v14, v6
	v_min_u32_e32 v14, 32, v14
	v_lshrrev_b32_e32 v12, 19, v3
	v_subrev_u32_e32 v15, 28, v14
	v_and_b32_e32 v12, 15, v12
	v_lshlrev_b32_sdwa v15, v15, v3 dst_sel:DWORD dst_unused:UNUSED_PAD src0_sel:DWORD src1_sel:WORD_1
	v_bfe_u32 v13, v3, 19, 4
	v_sub_u32_e32 v14, 29, v14
	v_and_b32_e32 v15, 7, v15
	v_cmp_eq_u16_e32 vcc, 0, v12
	v_cndmask_b32_e32 v6, v6, v15, vcc
	v_cndmask_b32_e32 v12, v13, v14, vcc
	v_lshlrev_b32_e32 v13, 8, v3
	v_mov_b32_e32 v14, 0x3b800000
	v_lshlrev_b32_e32 v6, 20, v6
	v_and_b32_e32 v13, 0x80000000, v13
	v_lshl_add_u32 v12, v12, 23, v14
	v_or3_b32 v12, v13, v12, v6
.LBB2_11064:
	s_or_b64 exec, exec, s[6:7]
	s_nop 0
	v_mfma_f32_16x16x4f32 a[0:3], v2, v12, a[0:3]
	s_movk_i32 s4, 0x7f
	v_cmp_gt_i16_sdwa s[6:7], v7, s4 src0_sel:BYTE_3 src1_sel:DWORD
	s_mov_b64 s[4:5], 0
                                        ; implicit-def: $sgpr10
	s_and_saveexec_b64 s[8:9], s[6:7]
	s_xor_b64 s[6:7], exec, s[8:9]
	s_cbranch_execz .LBB2_11065
; %bb.46905:
	s_getpc_b64 s[14:15]
.Lpost_getpc27036:
	s_add_u32 s14, s14, (.LBB2_25401-.Lpost_getpc27036)&4294967295
	s_addc_u32 s15, s15, (.LBB2_25401-.Lpost_getpc27036)>>32
	s_setpc_b64 s[14:15]
.LBB2_11065:
	s_or_saveexec_b64 s[6:7], s[6:7]
	v_mov_b32_e32 v2, s10
	s_xor_b64 exec, exec, s[6:7]
	s_cbranch_execz .LBB2_11066
; %bb.46907:
	s_getpc_b64 s[14:15]
.Lpost_getpc27037:
	s_add_u32 s14, s14, (.LBB2_25404-.Lpost_getpc27037)&4294967295
	s_addc_u32 s15, s15, (.LBB2_25404-.Lpost_getpc27037)>>32
	s_setpc_b64 s[14:15]
.LBB2_11066:
	s_or_b64 exec, exec, s[6:7]
	s_and_saveexec_b64 s[6:7], s[4:5]
	s_cbranch_execz .LBB2_11068
.LBB2_11067:
	v_bfe_u32 v2, v7, 24, 3
	v_ffbh_u32_e32 v14, v2
	v_min_u32_e32 v14, 32, v14
	v_lshrrev_b32_e32 v12, 27, v7
	v_subrev_u32_e32 v15, 28, v14
	v_and_b32_e32 v6, 0x80000000, v7
	v_and_b32_e32 v12, 15, v12
	v_bfe_u32 v13, v7, 27, 4
	v_lshlrev_b32_sdwa v7, v15, v7 dst_sel:DWORD dst_unused:UNUSED_PAD src0_sel:DWORD src1_sel:BYTE_3
	v_sub_u32_e32 v14, 29, v14
	v_and_b32_e32 v7, 7, v7
	v_cmp_eq_u16_e32 vcc, 0, v12
	v_cndmask_b32_e32 v2, v2, v7, vcc
	v_cndmask_b32_e32 v7, v13, v14, vcc
	v_mov_b32_e32 v12, 0x3b800000
	v_lshlrev_b32_e32 v2, 20, v2
	v_lshl_add_u32 v7, v7, 23, v12
	v_or3_b32 v2, v6, v7, v2
.LBB2_11068:
	s_or_b64 exec, exec, s[6:7]
	s_movk_i32 s4, 0x7f
	v_cmp_gt_i16_sdwa s[6:7], v3, s4 src0_sel:BYTE_3 src1_sel:DWORD
	s_mov_b64 s[4:5], 0
                                        ; implicit-def: $sgpr10
	s_and_saveexec_b64 s[8:9], s[6:7]
	s_xor_b64 s[6:7], exec, s[8:9]
	s_cbranch_execz .LBB2_11069
; %bb.46909:
	s_getpc_b64 s[14:15]
.Lpost_getpc27038:
	s_add_u32 s14, s14, (.LBB2_25405-.Lpost_getpc27038)&4294967295
	s_addc_u32 s15, s15, (.LBB2_25405-.Lpost_getpc27038)>>32
	s_setpc_b64 s[14:15]
.LBB2_11069:
	s_or_saveexec_b64 s[6:7], s[6:7]
	v_mov_b32_e32 v6, s10
	s_xor_b64 exec, exec, s[6:7]
	s_cbranch_execz .LBB2_11070
; %bb.46911:
	s_getpc_b64 s[14:15]
.Lpost_getpc27039:
	s_add_u32 s14, s14, (.LBB2_25408-.Lpost_getpc27039)&4294967295
	s_addc_u32 s15, s15, (.LBB2_25408-.Lpost_getpc27039)>>32
	s_setpc_b64 s[14:15]
.LBB2_11070:
	s_or_b64 exec, exec, s[6:7]
	s_and_saveexec_b64 s[6:7], s[4:5]
	s_cbranch_execz .LBB2_11072
.LBB2_11071:
	v_bfe_u32 v6, v3, 24, 3
	v_ffbh_u32_e32 v14, v6
	v_min_u32_e32 v14, 32, v14
	v_lshrrev_b32_e32 v12, 27, v3
	v_subrev_u32_e32 v15, 28, v14
	v_and_b32_e32 v7, 0x80000000, v3
	v_and_b32_e32 v12, 15, v12
	v_bfe_u32 v13, v3, 27, 4
	v_lshlrev_b32_sdwa v3, v15, v3 dst_sel:DWORD dst_unused:UNUSED_PAD src0_sel:DWORD src1_sel:BYTE_3
	v_sub_u32_e32 v14, 29, v14
	v_and_b32_e32 v3, 7, v3
	v_cmp_eq_u16_e32 vcc, 0, v12
	v_cndmask_b32_e32 v3, v6, v3, vcc
	v_cndmask_b32_e32 v6, v13, v14, vcc
	v_mov_b32_e32 v12, 0x3b800000
	v_lshlrev_b32_e32 v3, 20, v3
	v_lshl_add_u32 v6, v6, 23, v12
	v_or3_b32 v6, v7, v6, v3
.LBB2_11072:
	s_or_b64 exec, exec, s[6:7]
	s_nop 0
	v_mfma_f32_16x16x4f32 a[0:3], v2, v6, a[0:3]
	s_movk_i32 s4, 0x7f
	v_cmp_gt_i16_sdwa s[6:7], v8, s4 src0_sel:BYTE_0 src1_sel:DWORD
	s_mov_b64 s[4:5], 0
                                        ; implicit-def: $sgpr10
	s_and_saveexec_b64 s[8:9], s[6:7]
	s_xor_b64 s[6:7], exec, s[8:9]
	s_cbranch_execz .LBB2_11073
; %bb.46913:
	s_getpc_b64 s[14:15]
.Lpost_getpc27040:
	s_add_u32 s14, s14, (.LBB2_25409-.Lpost_getpc27040)&4294967295
	s_addc_u32 s15, s15, (.LBB2_25409-.Lpost_getpc27040)>>32
	s_setpc_b64 s[14:15]
.LBB2_11073:
	s_or_saveexec_b64 s[6:7], s[6:7]
	v_mov_b32_e32 v2, s10
	s_xor_b64 exec, exec, s[6:7]
	s_cbranch_execz .LBB2_11074
; %bb.46915:
	s_getpc_b64 s[14:15]
.Lpost_getpc27041:
	s_add_u32 s14, s14, (.LBB2_25412-.Lpost_getpc27041)&4294967295
	s_addc_u32 s15, s15, (.LBB2_25412-.Lpost_getpc27041)>>32
	s_setpc_b64 s[14:15]
.LBB2_11074:
	s_or_b64 exec, exec, s[6:7]
	s_and_saveexec_b64 s[6:7], s[4:5]
	s_cbranch_execz .LBB2_11076
.LBB2_11075:
	v_and_b32_e32 v2, 7, v8
	v_ffbh_u32_e32 v6, v2
	v_min_u32_e32 v6, 32, v6
	v_lshrrev_b16_e32 v3, 3, v8
	v_subrev_u32_e32 v7, 28, v6
	v_and_b32_e32 v3, 15, v3
	v_lshlrev_b32_e32 v7, v7, v8
	v_sub_u32_e32 v6, 29, v6
	v_and_b32_e32 v7, 7, v7
	v_cmp_eq_u16_e32 vcc, 0, v3
	v_cndmask_b32_e32 v2, v2, v7, vcc
	v_cndmask_b32_e32 v3, v3, v6, vcc
	v_lshlrev_b32_e32 v6, 24, v8
	v_mov_b32_e32 v7, 0x3b800000
	v_lshlrev_b32_e32 v2, 20, v2
	v_and_b32_e32 v6, 0x80000000, v6
	v_lshl_add_u32 v3, v3, 23, v7
	v_or3_b32 v2, v6, v3, v2
.LBB2_11076:
	s_or_b64 exec, exec, s[6:7]
	s_movk_i32 s4, 0x7f
	v_cmp_gt_i16_sdwa s[6:7], v4, s4 src0_sel:BYTE_0 src1_sel:DWORD
	s_mov_b64 s[4:5], 0
                                        ; implicit-def: $sgpr10
	s_and_saveexec_b64 s[8:9], s[6:7]
	s_xor_b64 s[6:7], exec, s[8:9]
	s_cbranch_execz .LBB2_11077
; %bb.46917:
	s_getpc_b64 s[14:15]
.Lpost_getpc27042:
	s_add_u32 s14, s14, (.LBB2_25413-.Lpost_getpc27042)&4294967295
	s_addc_u32 s15, s15, (.LBB2_25413-.Lpost_getpc27042)>>32
	s_setpc_b64 s[14:15]
.LBB2_11077:
	s_or_saveexec_b64 s[6:7], s[6:7]
	v_mov_b32_e32 v3, s10
	s_xor_b64 exec, exec, s[6:7]
	s_cbranch_execz .LBB2_11078
; %bb.46919:
	s_getpc_b64 s[14:15]
.Lpost_getpc27043:
	s_add_u32 s14, s14, (.LBB2_25416-.Lpost_getpc27043)&4294967295
	s_addc_u32 s15, s15, (.LBB2_25416-.Lpost_getpc27043)>>32
	s_setpc_b64 s[14:15]
.LBB2_11078:
	s_or_b64 exec, exec, s[6:7]
	s_and_saveexec_b64 s[6:7], s[4:5]
	s_cbranch_execz .LBB2_11080
.LBB2_11079:
	v_and_b32_e32 v3, 7, v4
	v_ffbh_u32_e32 v7, v3
	v_min_u32_e32 v7, 32, v7
	v_lshrrev_b16_e32 v6, 3, v4
	v_subrev_u32_e32 v12, 28, v7
	v_and_b32_e32 v6, 15, v6
	v_lshlrev_b32_e32 v12, v12, v4
	v_sub_u32_e32 v7, 29, v7
	v_and_b32_e32 v12, 7, v12
	v_cmp_eq_u16_e32 vcc, 0, v6
	v_cndmask_b32_e32 v3, v3, v12, vcc
	v_cndmask_b32_e32 v6, v6, v7, vcc
	v_lshlrev_b32_e32 v7, 24, v4
	v_mov_b32_e32 v12, 0x3b800000
	v_lshlrev_b32_e32 v3, 20, v3
	v_and_b32_e32 v7, 0x80000000, v7
	v_lshl_add_u32 v6, v6, 23, v12
	v_or3_b32 v3, v7, v6, v3
.LBB2_11080:
	s_or_b64 exec, exec, s[6:7]
	s_nop 0
	v_mfma_f32_16x16x4f32 a[0:3], v2, v3, a[0:3]
	v_lshrrev_b32_e32 v3, 8, v8
	s_movk_i32 s4, 0x7f
	v_cmp_gt_i16_sdwa s[6:7], v3, s4 src0_sel:BYTE_0 src1_sel:DWORD
	s_mov_b64 s[4:5], 0
                                        ; implicit-def: $sgpr10
	s_and_saveexec_b64 s[8:9], s[6:7]
	s_xor_b64 s[6:7], exec, s[8:9]
	s_cbranch_execz .LBB2_11081
; %bb.46921:
	s_getpc_b64 s[14:15]
.Lpost_getpc27044:
	s_add_u32 s14, s14, (.LBB2_25417-.Lpost_getpc27044)&4294967295
	s_addc_u32 s15, s15, (.LBB2_25417-.Lpost_getpc27044)>>32
	s_setpc_b64 s[14:15]
.LBB2_11081:
	s_or_saveexec_b64 s[6:7], s[6:7]
	v_mov_b32_e32 v2, s10
	s_xor_b64 exec, exec, s[6:7]
	s_cbranch_execz .LBB2_11082
; %bb.46923:
	s_getpc_b64 s[14:15]
.Lpost_getpc27045:
	s_add_u32 s14, s14, (.LBB2_25420-.Lpost_getpc27045)&4294967295
	s_addc_u32 s15, s15, (.LBB2_25420-.Lpost_getpc27045)>>32
	s_setpc_b64 s[14:15]
.LBB2_11082:
	s_or_b64 exec, exec, s[6:7]
	s_and_saveexec_b64 s[6:7], s[4:5]
	s_cbranch_execz .LBB2_11084
.LBB2_11083:
	v_bfe_u32 v2, v8, 8, 3
	v_ffbh_u32_e32 v7, v2
	v_min_u32_e32 v7, 32, v7
	v_lshrrev_b16_e32 v6, 3, v3
	v_subrev_u32_e32 v12, 28, v7
	v_and_b32_e32 v6, 15, v6
	v_lshlrev_b32_e32 v3, v12, v3
	v_sub_u32_e32 v7, 29, v7
	v_and_b32_e32 v3, 7, v3
	v_cmp_eq_u16_e32 vcc, 0, v6
	v_cndmask_b32_e32 v2, v2, v3, vcc
	v_cndmask_b32_e32 v3, v6, v7, vcc
	v_lshlrev_b32_e32 v6, 16, v8
	v_mov_b32_e32 v7, 0x3b800000
	v_lshlrev_b32_e32 v2, 20, v2
	v_and_b32_e32 v6, 0x80000000, v6
	v_lshl_add_u32 v3, v3, 23, v7
	v_or3_b32 v2, v6, v3, v2
.LBB2_11084:
	s_or_b64 exec, exec, s[6:7]
	v_lshrrev_b32_e32 v3, 8, v4
	s_movk_i32 s4, 0x7f
	v_cmp_gt_i16_sdwa s[6:7], v3, s4 src0_sel:BYTE_0 src1_sel:DWORD
	s_mov_b64 s[4:5], 0
                                        ; implicit-def: $sgpr10
	s_and_saveexec_b64 s[8:9], s[6:7]
	s_xor_b64 s[6:7], exec, s[8:9]
	s_cbranch_execz .LBB2_11085
; %bb.46925:
	s_getpc_b64 s[14:15]
.Lpost_getpc27046:
	s_add_u32 s14, s14, (.LBB2_25421-.Lpost_getpc27046)&4294967295
	s_addc_u32 s15, s15, (.LBB2_25421-.Lpost_getpc27046)>>32
	s_setpc_b64 s[14:15]
.LBB2_11085:
	s_or_saveexec_b64 s[6:7], s[6:7]
	v_mov_b32_e32 v6, s10
	s_xor_b64 exec, exec, s[6:7]
	s_cbranch_execz .LBB2_11086
; %bb.46927:
	s_getpc_b64 s[14:15]
.Lpost_getpc27047:
	s_add_u32 s14, s14, (.LBB2_25424-.Lpost_getpc27047)&4294967295
	s_addc_u32 s15, s15, (.LBB2_25424-.Lpost_getpc27047)>>32
	s_setpc_b64 s[14:15]
.LBB2_11086:
	s_or_b64 exec, exec, s[6:7]
	s_and_saveexec_b64 s[6:7], s[4:5]
	s_cbranch_execz .LBB2_11088
.LBB2_11087:
	v_bfe_u32 v6, v4, 8, 3
	v_ffbh_u32_e32 v12, v6
	v_min_u32_e32 v12, 32, v12
	v_lshrrev_b16_e32 v7, 3, v3
	v_subrev_u32_e32 v13, 28, v12
	v_and_b32_e32 v7, 15, v7
	v_lshlrev_b32_e32 v3, v13, v3
	v_sub_u32_e32 v12, 29, v12
	v_and_b32_e32 v3, 7, v3
	v_cmp_eq_u16_e32 vcc, 0, v7
	v_cndmask_b32_e32 v3, v6, v3, vcc
	v_cndmask_b32_e32 v6, v7, v12, vcc
	v_lshlrev_b32_e32 v7, 16, v4
	v_mov_b32_e32 v12, 0x3b800000
	v_lshlrev_b32_e32 v3, 20, v3
	v_and_b32_e32 v7, 0x80000000, v7
	v_lshl_add_u32 v6, v6, 23, v12
	v_or3_b32 v6, v7, v6, v3
.LBB2_11088:
	s_or_b64 exec, exec, s[6:7]
	s_nop 0
	v_mfma_f32_16x16x4f32 a[0:3], v2, v6, a[0:3]
	s_movk_i32 s4, 0xff
	v_and_b32_sdwa v3, v8, s4 dst_sel:DWORD dst_unused:UNUSED_PAD src0_sel:WORD_1 src1_sel:DWORD
	s_movk_i32 s4, 0x7f
	v_cmp_lt_i16_e32 vcc, s4, v3
	s_mov_b64 s[4:5], 0
                                        ; implicit-def: $sgpr10
	s_and_saveexec_b64 s[6:7], vcc
	s_xor_b64 s[6:7], exec, s[6:7]
	s_cbranch_execz .LBB2_11089
; %bb.46929:
	s_getpc_b64 s[14:15]
.Lpost_getpc27048:
	s_add_u32 s14, s14, (.LBB2_25425-.Lpost_getpc27048)&4294967295
	s_addc_u32 s15, s15, (.LBB2_25425-.Lpost_getpc27048)>>32
	s_setpc_b64 s[14:15]
.LBB2_11089:
	s_or_saveexec_b64 s[6:7], s[6:7]
	v_mov_b32_e32 v2, s10
	s_xor_b64 exec, exec, s[6:7]
	s_cbranch_execz .LBB2_11090
; %bb.46931:
	s_getpc_b64 s[14:15]
.Lpost_getpc27049:
	s_add_u32 s14, s14, (.LBB2_25428-.Lpost_getpc27049)&4294967295
	s_addc_u32 s15, s15, (.LBB2_25428-.Lpost_getpc27049)>>32
	s_setpc_b64 s[14:15]
.LBB2_11090:
	s_or_b64 exec, exec, s[6:7]
	s_and_saveexec_b64 s[6:7], s[4:5]
	s_cbranch_execz .LBB2_11092
.LBB2_11091:
	v_bfe_u32 v2, v8, 16, 3
	v_ffbh_u32_e32 v7, v2
	v_min_u32_e32 v7, 32, v7
	v_lshrrev_b32_e32 v3, 19, v8
	v_subrev_u32_e32 v12, 28, v7
	v_and_b32_e32 v3, 15, v3
	v_lshlrev_b32_sdwa v12, v12, v8 dst_sel:DWORD dst_unused:UNUSED_PAD src0_sel:DWORD src1_sel:WORD_1
	v_bfe_u32 v6, v8, 19, 4
	v_sub_u32_e32 v7, 29, v7
	v_and_b32_e32 v12, 7, v12
	v_cmp_eq_u16_e32 vcc, 0, v3
	v_cndmask_b32_e32 v2, v2, v12, vcc
	v_cndmask_b32_e32 v3, v6, v7, vcc
	v_lshlrev_b32_e32 v6, 8, v8
	v_mov_b32_e32 v7, 0x3b800000
	v_lshlrev_b32_e32 v2, 20, v2
	v_and_b32_e32 v6, 0x80000000, v6
	v_lshl_add_u32 v3, v3, 23, v7
	v_or3_b32 v2, v6, v3, v2
.LBB2_11092:
	s_or_b64 exec, exec, s[6:7]
	s_movk_i32 s4, 0xff
	v_and_b32_sdwa v3, v4, s4 dst_sel:DWORD dst_unused:UNUSED_PAD src0_sel:WORD_1 src1_sel:DWORD
	s_movk_i32 s4, 0x7f
	v_cmp_lt_i16_e32 vcc, s4, v3
	s_mov_b64 s[4:5], 0
                                        ; implicit-def: $sgpr10
	s_and_saveexec_b64 s[6:7], vcc
	s_xor_b64 s[6:7], exec, s[6:7]
	s_cbranch_execz .LBB2_11093
; %bb.46933:
	s_getpc_b64 s[14:15]
.Lpost_getpc27050:
	s_add_u32 s14, s14, (.LBB2_25429-.Lpost_getpc27050)&4294967295
	s_addc_u32 s15, s15, (.LBB2_25429-.Lpost_getpc27050)>>32
	s_setpc_b64 s[14:15]
.LBB2_11093:
	s_or_saveexec_b64 s[6:7], s[6:7]
	v_mov_b32_e32 v6, s10
	s_xor_b64 exec, exec, s[6:7]
	s_cbranch_execz .LBB2_11094
; %bb.46935:
	s_getpc_b64 s[14:15]
.Lpost_getpc27051:
	s_add_u32 s14, s14, (.LBB2_25432-.Lpost_getpc27051)&4294967295
	s_addc_u32 s15, s15, (.LBB2_25432-.Lpost_getpc27051)>>32
	s_setpc_b64 s[14:15]
.LBB2_11094:
	s_or_b64 exec, exec, s[6:7]
	s_and_saveexec_b64 s[6:7], s[4:5]
	s_cbranch_execz .LBB2_11096
.LBB2_11095:
	v_bfe_u32 v3, v4, 16, 3
	v_ffbh_u32_e32 v12, v3
	v_min_u32_e32 v12, 32, v12
	v_lshrrev_b32_e32 v6, 19, v4
	v_subrev_u32_e32 v13, 28, v12
	v_and_b32_e32 v6, 15, v6
	v_lshlrev_b32_sdwa v13, v13, v4 dst_sel:DWORD dst_unused:UNUSED_PAD src0_sel:DWORD src1_sel:WORD_1
	v_bfe_u32 v7, v4, 19, 4
	v_sub_u32_e32 v12, 29, v12
	v_and_b32_e32 v13, 7, v13
	v_cmp_eq_u16_e32 vcc, 0, v6
	v_cndmask_b32_e32 v3, v3, v13, vcc
	v_cndmask_b32_e32 v6, v7, v12, vcc
	v_lshlrev_b32_e32 v7, 8, v4
	v_mov_b32_e32 v12, 0x3b800000
	v_lshlrev_b32_e32 v3, 20, v3
	v_and_b32_e32 v7, 0x80000000, v7
	v_lshl_add_u32 v6, v6, 23, v12
	v_or3_b32 v6, v7, v6, v3
.LBB2_11096:
	s_or_b64 exec, exec, s[6:7]
	s_nop 0
	v_mfma_f32_16x16x4f32 a[0:3], v2, v6, a[0:3]
	s_movk_i32 s4, 0x7f
	v_cmp_gt_i16_sdwa s[6:7], v8, s4 src0_sel:BYTE_3 src1_sel:DWORD
	s_mov_b64 s[4:5], 0
                                        ; implicit-def: $sgpr10
	s_and_saveexec_b64 s[8:9], s[6:7]
	s_xor_b64 s[6:7], exec, s[8:9]
	s_cbranch_execz .LBB2_11097
; %bb.46937:
	s_getpc_b64 s[14:15]
.Lpost_getpc27052:
	s_add_u32 s14, s14, (.LBB2_25433-.Lpost_getpc27052)&4294967295
	s_addc_u32 s15, s15, (.LBB2_25433-.Lpost_getpc27052)>>32
	s_setpc_b64 s[14:15]
.LBB2_11097:
	s_or_saveexec_b64 s[6:7], s[6:7]
	v_mov_b32_e32 v2, s10
	s_xor_b64 exec, exec, s[6:7]
	s_cbranch_execz .LBB2_11098
; %bb.46939:
	s_getpc_b64 s[14:15]
.Lpost_getpc27053:
	s_add_u32 s14, s14, (.LBB2_25436-.Lpost_getpc27053)&4294967295
	s_addc_u32 s15, s15, (.LBB2_25436-.Lpost_getpc27053)>>32
	s_setpc_b64 s[14:15]
.LBB2_11098:
	s_or_b64 exec, exec, s[6:7]
	s_and_saveexec_b64 s[6:7], s[4:5]
	s_cbranch_execz .LBB2_11100
.LBB2_11099:
	v_bfe_u32 v2, v8, 24, 3
	v_ffbh_u32_e32 v12, v2
	v_min_u32_e32 v12, 32, v12
	v_lshrrev_b32_e32 v6, 27, v8
	v_subrev_u32_e32 v13, 28, v12
	v_and_b32_e32 v3, 0x80000000, v8
	v_and_b32_e32 v6, 15, v6
	v_bfe_u32 v7, v8, 27, 4
	v_lshlrev_b32_sdwa v8, v13, v8 dst_sel:DWORD dst_unused:UNUSED_PAD src0_sel:DWORD src1_sel:BYTE_3
	v_sub_u32_e32 v12, 29, v12
	v_and_b32_e32 v8, 7, v8
	v_cmp_eq_u16_e32 vcc, 0, v6
	v_cndmask_b32_e32 v2, v2, v8, vcc
	v_cndmask_b32_e32 v6, v7, v12, vcc
	v_mov_b32_e32 v7, 0x3b800000
	v_lshlrev_b32_e32 v2, 20, v2
	v_lshl_add_u32 v6, v6, 23, v7
	v_or3_b32 v2, v3, v6, v2
.LBB2_11100:
	s_or_b64 exec, exec, s[6:7]
	s_movk_i32 s4, 0x7f
	v_cmp_gt_i16_sdwa s[6:7], v4, s4 src0_sel:BYTE_3 src1_sel:DWORD
	s_mov_b64 s[4:5], 0
                                        ; implicit-def: $sgpr10
	s_and_saveexec_b64 s[8:9], s[6:7]
	s_xor_b64 s[6:7], exec, s[8:9]
	s_cbranch_execz .LBB2_11101
; %bb.46941:
	s_getpc_b64 s[14:15]
.Lpost_getpc27054:
	s_add_u32 s14, s14, (.LBB2_25437-.Lpost_getpc27054)&4294967295
	s_addc_u32 s15, s15, (.LBB2_25437-.Lpost_getpc27054)>>32
	s_setpc_b64 s[14:15]
.LBB2_11101:
	s_or_saveexec_b64 s[6:7], s[6:7]
	v_mov_b32_e32 v3, s10
	s_xor_b64 exec, exec, s[6:7]
	s_cbranch_execz .LBB2_11102
; %bb.46943:
	s_getpc_b64 s[14:15]
.Lpost_getpc27055:
	s_add_u32 s14, s14, (.LBB2_25440-.Lpost_getpc27055)&4294967295
	s_addc_u32 s15, s15, (.LBB2_25440-.Lpost_getpc27055)>>32
	s_setpc_b64 s[14:15]
.LBB2_11102:
	s_or_b64 exec, exec, s[6:7]
	s_and_saveexec_b64 s[6:7], s[4:5]
	s_cbranch_execz .LBB2_11104
.LBB2_11103:
	v_bfe_u32 v3, v4, 24, 3
	v_ffbh_u32_e32 v12, v3
	v_min_u32_e32 v12, 32, v12
	v_lshrrev_b32_e32 v7, 27, v4
	v_subrev_u32_e32 v13, 28, v12
	v_and_b32_e32 v6, 0x80000000, v4
	v_and_b32_e32 v7, 15, v7
	v_bfe_u32 v8, v4, 27, 4
	v_lshlrev_b32_sdwa v4, v13, v4 dst_sel:DWORD dst_unused:UNUSED_PAD src0_sel:DWORD src1_sel:BYTE_3
	v_sub_u32_e32 v12, 29, v12
	v_and_b32_e32 v4, 7, v4
	v_cmp_eq_u16_e32 vcc, 0, v7
	v_cndmask_b32_e32 v3, v3, v4, vcc
	v_cndmask_b32_e32 v4, v8, v12, vcc
	v_mov_b32_e32 v7, 0x3b800000
	v_lshlrev_b32_e32 v3, 20, v3
	v_lshl_add_u32 v4, v4, 23, v7
	v_or3_b32 v3, v6, v4, v3
.LBB2_11104:
	s_or_b64 exec, exec, s[6:7]
	s_nop 0
	v_mfma_f32_16x16x4f32 a[0:3], v2, v3, a[0:3]
	s_movk_i32 s4, 0x7f
	v_cmp_gt_i16_sdwa s[6:7], v9, s4 src0_sel:BYTE_0 src1_sel:DWORD
	s_mov_b64 s[4:5], 0
                                        ; implicit-def: $sgpr10
	s_and_saveexec_b64 s[8:9], s[6:7]
	s_xor_b64 s[6:7], exec, s[8:9]
	s_cbranch_execz .LBB2_11105
; %bb.46945:
	s_getpc_b64 s[14:15]
.Lpost_getpc27056:
	s_add_u32 s14, s14, (.LBB2_25441-.Lpost_getpc27056)&4294967295
	s_addc_u32 s15, s15, (.LBB2_25441-.Lpost_getpc27056)>>32
	s_setpc_b64 s[14:15]
.LBB2_11105:
	s_or_saveexec_b64 s[6:7], s[6:7]
	v_mov_b32_e32 v2, s10
	s_xor_b64 exec, exec, s[6:7]
	s_cbranch_execz .LBB2_11106
; %bb.46947:
	s_getpc_b64 s[14:15]
.Lpost_getpc27057:
	s_add_u32 s14, s14, (.LBB2_25444-.Lpost_getpc27057)&4294967295
	s_addc_u32 s15, s15, (.LBB2_25444-.Lpost_getpc27057)>>32
	s_setpc_b64 s[14:15]
.LBB2_11106:
	s_or_b64 exec, exec, s[6:7]
	s_and_saveexec_b64 s[6:7], s[4:5]
	s_cbranch_execz .LBB2_11108
.LBB2_11107:
	v_mov_b32_e32 v2, 8
	v_and_b32_e32 v3, 7, v9
	v_lshrrev_b32_sdwa v2, v2, v9 dst_sel:BYTE_1 dst_unused:UNUSED_PAD src0_sel:DWORD src1_sel:DWORD
	v_ffbh_u32_e32 v4, v3
	v_or_b32_sdwa v2, v9, v2 dst_sel:DWORD dst_unused:UNUSED_PAD src0_sel:BYTE_0 src1_sel:DWORD
	v_min_u32_e32 v4, 32, v4
	v_lshrrev_b16_e32 v2, 3, v2
	v_subrev_u32_e32 v6, 28, v4
	v_and_b32_e32 v2, 15, v2
	v_lshlrev_b32_e32 v6, v6, v9
	v_sub_u32_e32 v4, 29, v4
	v_and_b32_e32 v6, 7, v6
	v_cmp_eq_u16_e32 vcc, 0, v2
	v_cndmask_b32_e32 v3, v3, v6, vcc
	v_cndmask_b32_e32 v2, v2, v4, vcc
	v_lshlrev_b32_e32 v4, 24, v9
	v_mov_b32_e32 v6, 0x3b800000
	v_lshlrev_b32_e32 v3, 20, v3
	v_and_b32_e32 v4, 0x80000000, v4
	v_lshl_add_u32 v2, v2, 23, v6
	v_or3_b32 v2, v4, v2, v3
.LBB2_11108:
	s_or_b64 exec, exec, s[6:7]
	s_movk_i32 s4, 0x7f
	v_cmp_gt_i16_sdwa s[6:7], v5, s4 src0_sel:BYTE_0 src1_sel:DWORD
	s_mov_b64 s[4:5], 0
                                        ; implicit-def: $sgpr10
	s_and_saveexec_b64 s[8:9], s[6:7]
	s_xor_b64 s[6:7], exec, s[8:9]
	s_cbranch_execz .LBB2_11109
; %bb.46949:
	s_getpc_b64 s[14:15]
.Lpost_getpc27058:
	s_add_u32 s14, s14, (.LBB2_25445-.Lpost_getpc27058)&4294967295
	s_addc_u32 s15, s15, (.LBB2_25445-.Lpost_getpc27058)>>32
	s_setpc_b64 s[14:15]
.LBB2_11109:
	s_or_saveexec_b64 s[6:7], s[6:7]
	v_mov_b32_e32 v3, s10
	s_xor_b64 exec, exec, s[6:7]
	s_cbranch_execz .LBB2_11110
; %bb.46951:
	s_getpc_b64 s[14:15]
.Lpost_getpc27059:
	s_add_u32 s14, s14, (.LBB2_25448-.Lpost_getpc27059)&4294967295
	s_addc_u32 s15, s15, (.LBB2_25448-.Lpost_getpc27059)>>32
	s_setpc_b64 s[14:15]
.LBB2_11110:
	s_or_b64 exec, exec, s[6:7]
	s_and_saveexec_b64 s[6:7], s[4:5]
	s_cbranch_execz .LBB2_11112
.LBB2_11111:
	v_mov_b32_e32 v3, 8
	v_and_b32_e32 v4, 7, v5
	v_lshrrev_b32_sdwa v3, v3, v5 dst_sel:BYTE_1 dst_unused:UNUSED_PAD src0_sel:DWORD src1_sel:DWORD
	v_ffbh_u32_e32 v6, v4
	v_or_b32_sdwa v3, v5, v3 dst_sel:DWORD dst_unused:UNUSED_PAD src0_sel:BYTE_0 src1_sel:DWORD
	v_min_u32_e32 v6, 32, v6
	v_lshrrev_b16_e32 v3, 3, v3
	v_subrev_u32_e32 v7, 28, v6
	v_and_b32_e32 v3, 15, v3
	v_lshlrev_b32_e32 v7, v7, v5
	v_sub_u32_e32 v6, 29, v6
	v_and_b32_e32 v7, 7, v7
	v_cmp_eq_u16_e32 vcc, 0, v3
	v_cndmask_b32_e32 v4, v4, v7, vcc
	v_cndmask_b32_e32 v3, v3, v6, vcc
	v_lshlrev_b32_e32 v6, 24, v5
	v_mov_b32_e32 v7, 0x3b800000
	v_lshlrev_b32_e32 v4, 20, v4
	v_and_b32_e32 v6, 0x80000000, v6
	v_lshl_add_u32 v3, v3, 23, v7
	v_or3_b32 v3, v6, v3, v4
.LBB2_11112:
	s_or_b64 exec, exec, s[6:7]
	s_nop 0
	v_mfma_f32_16x16x4f32 a[0:3], v2, v3, a[0:3]
	v_lshrrev_b32_e32 v3, 8, v9
	s_movk_i32 s4, 0x7f
	v_cmp_gt_i16_sdwa s[6:7], v3, s4 src0_sel:BYTE_0 src1_sel:DWORD
	s_mov_b64 s[4:5], 0
                                        ; implicit-def: $sgpr10
	s_and_saveexec_b64 s[8:9], s[6:7]
	s_xor_b64 s[6:7], exec, s[8:9]
	s_cbranch_execz .LBB2_11113
; %bb.46953:
	s_getpc_b64 s[14:15]
.Lpost_getpc27060:
	s_add_u32 s14, s14, (.LBB2_25449-.Lpost_getpc27060)&4294967295
	s_addc_u32 s15, s15, (.LBB2_25449-.Lpost_getpc27060)>>32
	s_setpc_b64 s[14:15]
.LBB2_11113:
	s_or_saveexec_b64 s[6:7], s[6:7]
	v_mov_b32_e32 v2, s10
	s_xor_b64 exec, exec, s[6:7]
	s_cbranch_execz .LBB2_11114
; %bb.46955:
	s_getpc_b64 s[14:15]
.Lpost_getpc27061:
	s_add_u32 s14, s14, (.LBB2_25452-.Lpost_getpc27061)&4294967295
	s_addc_u32 s15, s15, (.LBB2_25452-.Lpost_getpc27061)>>32
	s_setpc_b64 s[14:15]
.LBB2_11114:
	s_or_b64 exec, exec, s[6:7]
	s_and_saveexec_b64 s[6:7], s[4:5]
	s_cbranch_execz .LBB2_11116
.LBB2_11115:
	v_bfe_u32 v2, v9, 8, 3
	v_ffbh_u32_e32 v6, v2
	v_min_u32_e32 v6, 32, v6
	v_lshrrev_b16_e32 v4, 3, v3
	v_subrev_u32_e32 v7, 28, v6
	v_and_b32_e32 v4, 15, v4
	v_lshlrev_b32_e32 v3, v7, v3
	v_sub_u32_e32 v6, 29, v6
	v_and_b32_e32 v3, 7, v3
	v_cmp_eq_u16_e32 vcc, 0, v4
	v_cndmask_b32_e32 v2, v2, v3, vcc
	v_cndmask_b32_e32 v3, v4, v6, vcc
	v_lshlrev_b32_e32 v4, 16, v9
	v_mov_b32_e32 v6, 0x3b800000
	v_lshlrev_b32_e32 v2, 20, v2
	v_and_b32_e32 v4, 0x80000000, v4
	v_lshl_add_u32 v3, v3, 23, v6
	v_or3_b32 v2, v4, v3, v2
.LBB2_11116:
	s_or_b64 exec, exec, s[6:7]
	v_lshrrev_b32_e32 v3, 8, v5
	s_movk_i32 s4, 0x7f
	v_cmp_gt_i16_sdwa s[6:7], v3, s4 src0_sel:BYTE_0 src1_sel:DWORD
	s_mov_b64 s[4:5], 0
                                        ; implicit-def: $sgpr10
	s_and_saveexec_b64 s[8:9], s[6:7]
	s_xor_b64 s[6:7], exec, s[8:9]
	s_cbranch_execz .LBB2_11117
; %bb.46957:
	s_getpc_b64 s[14:15]
.Lpost_getpc27062:
	s_add_u32 s14, s14, (.LBB2_25453-.Lpost_getpc27062)&4294967295
	s_addc_u32 s15, s15, (.LBB2_25453-.Lpost_getpc27062)>>32
	s_setpc_b64 s[14:15]
.LBB2_11117:
	s_or_saveexec_b64 s[6:7], s[6:7]
	v_mov_b32_e32 v4, s10
	s_xor_b64 exec, exec, s[6:7]
	s_cbranch_execz .LBB2_11118
; %bb.46959:
	s_getpc_b64 s[14:15]
.Lpost_getpc27063:
	s_add_u32 s14, s14, (.LBB2_25456-.Lpost_getpc27063)&4294967295
	s_addc_u32 s15, s15, (.LBB2_25456-.Lpost_getpc27063)>>32
	s_setpc_b64 s[14:15]
.LBB2_11118:
	s_or_b64 exec, exec, s[6:7]
	s_and_saveexec_b64 s[6:7], s[4:5]
	s_cbranch_execz .LBB2_11120
.LBB2_11119:
	v_bfe_u32 v4, v5, 8, 3
	v_ffbh_u32_e32 v7, v4
	v_min_u32_e32 v7, 32, v7
	v_lshrrev_b16_e32 v6, 3, v3
	v_subrev_u32_e32 v8, 28, v7
	v_and_b32_e32 v6, 15, v6
	v_lshlrev_b32_e32 v3, v8, v3
	v_sub_u32_e32 v7, 29, v7
	v_and_b32_e32 v3, 7, v3
	v_cmp_eq_u16_e32 vcc, 0, v6
	v_cndmask_b32_e32 v3, v4, v3, vcc
	v_cndmask_b32_e32 v4, v6, v7, vcc
	v_lshlrev_b32_e32 v6, 16, v5
	v_mov_b32_e32 v7, 0x3b800000
	v_lshlrev_b32_e32 v3, 20, v3
	v_and_b32_e32 v6, 0x80000000, v6
	v_lshl_add_u32 v4, v4, 23, v7
	v_or3_b32 v4, v6, v4, v3
.LBB2_11120:
	s_or_b64 exec, exec, s[6:7]
	s_nop 0
	v_mfma_f32_16x16x4f32 a[0:3], v2, v4, a[0:3]
	s_movk_i32 s4, 0xff
	v_and_b32_sdwa v3, v9, s4 dst_sel:DWORD dst_unused:UNUSED_PAD src0_sel:WORD_1 src1_sel:DWORD
	s_movk_i32 s4, 0x7f
	v_cmp_lt_i16_e32 vcc, s4, v3
	s_mov_b64 s[4:5], 0
                                        ; implicit-def: $sgpr10
	s_and_saveexec_b64 s[6:7], vcc
	s_xor_b64 s[6:7], exec, s[6:7]
	s_cbranch_execz .LBB2_11121
; %bb.46961:
	s_getpc_b64 s[14:15]
.Lpost_getpc27064:
	s_add_u32 s14, s14, (.LBB2_25457-.Lpost_getpc27064)&4294967295
	s_addc_u32 s15, s15, (.LBB2_25457-.Lpost_getpc27064)>>32
	s_setpc_b64 s[14:15]
.LBB2_11121:
	s_or_saveexec_b64 s[6:7], s[6:7]
	v_mov_b32_e32 v2, s10
	s_xor_b64 exec, exec, s[6:7]
	s_cbranch_execz .LBB2_11122
; %bb.46963:
	s_getpc_b64 s[14:15]
.Lpost_getpc27065:
	s_add_u32 s14, s14, (.LBB2_25460-.Lpost_getpc27065)&4294967295
	s_addc_u32 s15, s15, (.LBB2_25460-.Lpost_getpc27065)>>32
	s_setpc_b64 s[14:15]
.LBB2_11122:
	s_or_b64 exec, exec, s[6:7]
	s_and_saveexec_b64 s[6:7], s[4:5]
	s_cbranch_execz .LBB2_11124
.LBB2_11123:
	v_bfe_u32 v2, v9, 16, 3
	v_ffbh_u32_e32 v6, v2
	v_min_u32_e32 v6, 32, v6
	v_lshrrev_b32_e32 v3, 19, v9
	v_subrev_u32_e32 v7, 28, v6
	v_and_b32_e32 v3, 15, v3
	v_lshlrev_b32_sdwa v7, v7, v9 dst_sel:DWORD dst_unused:UNUSED_PAD src0_sel:DWORD src1_sel:WORD_1
	v_bfe_u32 v4, v9, 19, 4
	v_sub_u32_e32 v6, 29, v6
	v_and_b32_e32 v7, 7, v7
	v_cmp_eq_u16_e32 vcc, 0, v3
	v_cndmask_b32_e32 v2, v2, v7, vcc
	v_cndmask_b32_e32 v3, v4, v6, vcc
	v_lshlrev_b32_e32 v4, 8, v9
	v_mov_b32_e32 v6, 0x3b800000
	v_lshlrev_b32_e32 v2, 20, v2
	v_and_b32_e32 v4, 0x80000000, v4
	v_lshl_add_u32 v3, v3, 23, v6
	v_or3_b32 v2, v4, v3, v2
.LBB2_11124:
	s_or_b64 exec, exec, s[6:7]
	s_movk_i32 s4, 0xff
	v_and_b32_sdwa v3, v5, s4 dst_sel:DWORD dst_unused:UNUSED_PAD src0_sel:WORD_1 src1_sel:DWORD
	s_movk_i32 s4, 0x7f
	v_cmp_lt_i16_e32 vcc, s4, v3
	s_mov_b64 s[4:5], 0
                                        ; implicit-def: $sgpr10
	s_and_saveexec_b64 s[6:7], vcc
	s_xor_b64 s[6:7], exec, s[6:7]
	s_cbranch_execz .LBB2_11125
; %bb.46965:
	s_getpc_b64 s[14:15]
.Lpost_getpc27066:
	s_add_u32 s14, s14, (.LBB2_25461-.Lpost_getpc27066)&4294967295
	s_addc_u32 s15, s15, (.LBB2_25461-.Lpost_getpc27066)>>32
	s_setpc_b64 s[14:15]
.LBB2_11125:
	s_or_saveexec_b64 s[6:7], s[6:7]
	v_mov_b32_e32 v4, s10
	s_xor_b64 exec, exec, s[6:7]
	s_cbranch_execz .LBB2_11126
; %bb.46967:
	s_getpc_b64 s[14:15]
.Lpost_getpc27067:
	s_add_u32 s14, s14, (.LBB2_25464-.Lpost_getpc27067)&4294967295
	s_addc_u32 s15, s15, (.LBB2_25464-.Lpost_getpc27067)>>32
	s_setpc_b64 s[14:15]
.LBB2_11126:
	s_or_b64 exec, exec, s[6:7]
	s_and_saveexec_b64 s[6:7], s[4:5]
	s_cbranch_execz .LBB2_11128
.LBB2_11127:
	v_bfe_u32 v3, v5, 16, 3
	v_ffbh_u32_e32 v7, v3
	v_min_u32_e32 v7, 32, v7
	v_lshrrev_b32_e32 v4, 19, v5
	v_subrev_u32_e32 v8, 28, v7
	v_and_b32_e32 v4, 15, v4
	v_lshlrev_b32_sdwa v8, v8, v5 dst_sel:DWORD dst_unused:UNUSED_PAD src0_sel:DWORD src1_sel:WORD_1
	v_bfe_u32 v6, v5, 19, 4
	v_sub_u32_e32 v7, 29, v7
	v_and_b32_e32 v8, 7, v8
	v_cmp_eq_u16_e32 vcc, 0, v4
	v_cndmask_b32_e32 v3, v3, v8, vcc
	v_cndmask_b32_e32 v4, v6, v7, vcc
	v_lshlrev_b32_e32 v6, 8, v5
	v_mov_b32_e32 v7, 0x3b800000
	v_lshlrev_b32_e32 v3, 20, v3
	v_and_b32_e32 v6, 0x80000000, v6
	v_lshl_add_u32 v4, v4, 23, v7
	v_or3_b32 v4, v6, v4, v3
.LBB2_11128:
	s_or_b64 exec, exec, s[6:7]
	s_nop 0
	v_mfma_f32_16x16x4f32 a[0:3], v2, v4, a[0:3]
	s_movk_i32 s4, 0x7f
	v_cmp_gt_i16_sdwa s[6:7], v9, s4 src0_sel:BYTE_3 src1_sel:DWORD
	s_mov_b64 s[4:5], 0
                                        ; implicit-def: $sgpr10
	s_and_saveexec_b64 s[8:9], s[6:7]
	s_xor_b64 s[6:7], exec, s[8:9]
	s_cbranch_execz .LBB2_11129
; %bb.46969:
	s_getpc_b64 s[14:15]
.Lpost_getpc27068:
	s_add_u32 s14, s14, (.LBB2_25465-.Lpost_getpc27068)&4294967295
	s_addc_u32 s15, s15, (.LBB2_25465-.Lpost_getpc27068)>>32
	s_setpc_b64 s[14:15]
.LBB2_11129:
	s_or_saveexec_b64 s[6:7], s[6:7]
	v_mov_b32_e32 v2, s10
	s_xor_b64 exec, exec, s[6:7]
	s_cbranch_execz .LBB2_11130
; %bb.46971:
	s_getpc_b64 s[14:15]
.Lpost_getpc27069:
	s_add_u32 s14, s14, (.LBB2_25468-.Lpost_getpc27069)&4294967295
	s_addc_u32 s15, s15, (.LBB2_25468-.Lpost_getpc27069)>>32
	s_setpc_b64 s[14:15]
.LBB2_11130:
	s_or_b64 exec, exec, s[6:7]
	s_and_saveexec_b64 s[6:7], s[4:5]
	s_cbranch_execz .LBB2_11132
.LBB2_11131:
	v_bfe_u32 v2, v9, 24, 3
	v_ffbh_u32_e32 v7, v2
	v_min_u32_e32 v7, 32, v7
	v_lshrrev_b32_e32 v4, 27, v9
	v_subrev_u32_e32 v8, 28, v7
	v_and_b32_e32 v4, 15, v4
	v_lshlrev_b32_sdwa v8, v8, v9 dst_sel:DWORD dst_unused:UNUSED_PAD src0_sel:DWORD src1_sel:BYTE_3
	v_bfe_u32 v6, v9, 27, 4
	v_sub_u32_e32 v7, 29, v7
	v_and_b32_e32 v8, 7, v8
	v_cmp_eq_u16_e32 vcc, 0, v4
	v_cndmask_b32_e32 v2, v2, v8, vcc
	v_cndmask_b32_e32 v4, v6, v7, vcc
	v_mov_b32_e32 v6, 0x3b800000
	v_and_b32_e32 v3, 0x80000000, v9
	v_lshlrev_b32_e32 v2, 20, v2
	v_lshl_add_u32 v4, v4, 23, v6
	v_or3_b32 v2, v3, v4, v2
.LBB2_11132:
	s_or_b64 exec, exec, s[6:7]
	s_movk_i32 s4, 0x7f
	v_cmp_gt_i16_sdwa s[6:7], v5, s4 src0_sel:BYTE_3 src1_sel:DWORD
	s_mov_b64 s[4:5], 0
                                        ; implicit-def: $sgpr10
	s_and_saveexec_b64 s[8:9], s[6:7]
	s_xor_b64 s[6:7], exec, s[8:9]
	s_cbranch_execz .LBB2_11133
; %bb.46973:
	s_getpc_b64 s[14:15]
.Lpost_getpc27070:
	s_add_u32 s14, s14, (.LBB2_25469-.Lpost_getpc27070)&4294967295
	s_addc_u32 s15, s15, (.LBB2_25469-.Lpost_getpc27070)>>32
	s_setpc_b64 s[14:15]
.LBB2_11133:
	s_or_saveexec_b64 s[6:7], s[6:7]
	v_mov_b32_e32 v3, s10
	s_xor_b64 exec, exec, s[6:7]
	s_cbranch_execz .LBB2_11134
; %bb.46975:
	s_getpc_b64 s[14:15]
.Lpost_getpc27071:
	s_add_u32 s14, s14, (.LBB2_25472-.Lpost_getpc27071)&4294967295
	s_addc_u32 s15, s15, (.LBB2_25472-.Lpost_getpc27071)>>32
	s_setpc_b64 s[14:15]
.LBB2_11134:
	s_or_b64 exec, exec, s[6:7]
	s_and_saveexec_b64 s[6:7], s[4:5]
	s_cbranch_execz .LBB2_11136
.LBB2_11135:
	v_bfe_u32 v3, v5, 24, 3
	v_ffbh_u32_e32 v8, v3
	v_min_u32_e32 v8, 32, v8
	v_lshrrev_b32_e32 v6, 27, v5
	v_subrev_u32_e32 v9, 28, v8
	v_and_b32_e32 v4, 0x80000000, v5
	v_and_b32_e32 v6, 15, v6
	v_bfe_u32 v7, v5, 27, 4
	v_lshlrev_b32_sdwa v5, v9, v5 dst_sel:DWORD dst_unused:UNUSED_PAD src0_sel:DWORD src1_sel:BYTE_3
	v_sub_u32_e32 v8, 29, v8
	v_and_b32_e32 v5, 7, v5
	v_cmp_eq_u16_e32 vcc, 0, v6
	v_cndmask_b32_e32 v3, v3, v5, vcc
	v_cndmask_b32_e32 v5, v7, v8, vcc
	v_mov_b32_e32 v6, 0x3b800000
	v_lshlrev_b32_e32 v3, 20, v3
	v_lshl_add_u32 v5, v5, 23, v6
	v_or3_b32 v3, v4, v5, v3
.LBB2_11136:
	s_or_b64 exec, exec, s[6:7]
	s_nop 0
	v_mfma_f32_16x16x4f32 a[0:3], v2, v3, a[0:3]
	s_movk_i32 s4, 0x7f
                                        ; implicit-def: $sgpr10
	s_nop 7
	s_nop 1
	flat_store_dwordx4 v[10:11], a[0:3] offset:480
	flat_load_dwordx4 v[12:15], v[0:1]
	s_nop 0
	flat_load_dwordx2 v[10:11], v[0:1] offset:16
	s_waitcnt vmcnt(0) lgkmcnt(0)
	flat_load_dwordx4 v[6:9], v[12:13] offset:160
	flat_load_dwordx4 v[2:5], v[14:15] offset:240
	s_waitcnt vmcnt(0) lgkmcnt(0)
	v_cmp_gt_i16_sdwa s[6:7], v6, s4 src0_sel:BYTE_0 src1_sel:DWORD
	s_mov_b64 s[4:5], 0
	s_and_saveexec_b64 s[8:9], s[6:7]
	s_xor_b64 s[6:7], exec, s[8:9]
	s_cbranch_execz .LBB2_11137
; %bb.46977:
	s_getpc_b64 s[14:15]
.Lpost_getpc27072:
	s_add_u32 s14, s14, (.LBB2_25473-.Lpost_getpc27072)&4294967295
	s_addc_u32 s15, s15, (.LBB2_25473-.Lpost_getpc27072)>>32
	s_setpc_b64 s[14:15]
.LBB2_11137:
	s_or_saveexec_b64 s[6:7], s[6:7]
	v_mov_b32_e32 v12, s10
	s_xor_b64 exec, exec, s[6:7]
	s_cbranch_execz .LBB2_11138
; %bb.46979:
	s_getpc_b64 s[14:15]
.Lpost_getpc27073:
	s_add_u32 s14, s14, (.LBB2_25476-.Lpost_getpc27073)&4294967295
	s_addc_u32 s15, s15, (.LBB2_25476-.Lpost_getpc27073)>>32
	s_setpc_b64 s[14:15]
.LBB2_11138:
	s_or_b64 exec, exec, s[6:7]
	s_and_saveexec_b64 s[6:7], s[4:5]
	s_cbranch_execz .LBB2_11140
.LBB2_11139:
	v_and_b32_e32 v12, 7, v6
	v_ffbh_u32_e32 v14, v12
	v_min_u32_e32 v14, 32, v14
	v_lshrrev_b16_e32 v13, 3, v6
	v_subrev_u32_e32 v15, 28, v14
	v_and_b32_e32 v13, 15, v13
	v_lshlrev_b32_e32 v15, v15, v6
	v_sub_u32_e32 v14, 29, v14
	v_and_b32_e32 v15, 7, v15
	v_cmp_eq_u16_e32 vcc, 0, v13
	v_cndmask_b32_e32 v12, v12, v15, vcc
	v_cndmask_b32_e32 v13, v13, v14, vcc
	v_lshlrev_b32_e32 v14, 24, v6
	v_mov_b32_e32 v15, 0x3b800000
	v_lshlrev_b32_e32 v12, 20, v12
	v_and_b32_e32 v14, 0x80000000, v14
	v_lshl_add_u32 v13, v13, 23, v15
	v_or3_b32 v12, v14, v13, v12
.LBB2_11140:
	s_or_b64 exec, exec, s[6:7]
	s_movk_i32 s4, 0x7f
	v_cmp_gt_i16_sdwa s[6:7], v2, s4 src0_sel:BYTE_0 src1_sel:DWORD
	s_mov_b64 s[4:5], 0
                                        ; implicit-def: $sgpr10
	s_and_saveexec_b64 s[8:9], s[6:7]
	s_xor_b64 s[6:7], exec, s[8:9]
	s_cbranch_execz .LBB2_11141
; %bb.46981:
	s_getpc_b64 s[14:15]
.Lpost_getpc27074:
	s_add_u32 s14, s14, (.LBB2_25477-.Lpost_getpc27074)&4294967295
	s_addc_u32 s15, s15, (.LBB2_25477-.Lpost_getpc27074)>>32
	s_setpc_b64 s[14:15]
.LBB2_11141:
	s_or_saveexec_b64 s[6:7], s[6:7]
	v_mov_b32_e32 v13, s10
	s_xor_b64 exec, exec, s[6:7]
	s_cbranch_execz .LBB2_11142
; %bb.46983:
	s_getpc_b64 s[14:15]
.Lpost_getpc27075:
	s_add_u32 s14, s14, (.LBB2_25480-.Lpost_getpc27075)&4294967295
	s_addc_u32 s15, s15, (.LBB2_25480-.Lpost_getpc27075)>>32
	s_setpc_b64 s[14:15]
.LBB2_11142:
	s_or_b64 exec, exec, s[6:7]
	s_and_saveexec_b64 s[6:7], s[4:5]
	s_cbranch_execz .LBB2_11144
.LBB2_11143:
	v_and_b32_e32 v13, 7, v2
	v_ffbh_u32_e32 v15, v13
	v_min_u32_e32 v15, 32, v15
	v_lshrrev_b16_e32 v14, 3, v2
	v_subrev_u32_e32 v16, 28, v15
	v_and_b32_e32 v14, 15, v14
	v_lshlrev_b32_e32 v16, v16, v2
	v_sub_u32_e32 v15, 29, v15
	v_and_b32_e32 v16, 7, v16
	v_cmp_eq_u16_e32 vcc, 0, v14
	v_cndmask_b32_e32 v13, v13, v16, vcc
	v_cndmask_b32_e32 v14, v14, v15, vcc
	v_lshlrev_b32_e32 v15, 24, v2
	v_mov_b32_e32 v16, 0x3b800000
	v_lshlrev_b32_e32 v13, 20, v13
	v_and_b32_e32 v15, 0x80000000, v15
	v_lshl_add_u32 v14, v14, 23, v16
	v_or3_b32 v13, v15, v14, v13
.LBB2_11144:
	s_or_b64 exec, exec, s[6:7]
	flat_load_dwordx4 a[0:3], v[10:11] offset:496
	s_movk_i32 s4, 0x7f
                                        ; implicit-def: $sgpr10
	s_waitcnt vmcnt(0) lgkmcnt(0)
	v_mfma_f32_16x16x4f32 a[0:3], v12, v13, a[0:3]
	v_lshrrev_b32_e32 v13, 8, v6
	v_cmp_gt_i16_sdwa s[6:7], v13, s4 src0_sel:BYTE_0 src1_sel:DWORD
	s_mov_b64 s[4:5], 0
	s_and_saveexec_b64 s[8:9], s[6:7]
	s_xor_b64 s[6:7], exec, s[8:9]
	s_cbranch_execz .LBB2_11145
; %bb.46985:
	s_getpc_b64 s[14:15]
.Lpost_getpc27076:
	s_add_u32 s14, s14, (.LBB2_25481-.Lpost_getpc27076)&4294967295
	s_addc_u32 s15, s15, (.LBB2_25481-.Lpost_getpc27076)>>32
	s_setpc_b64 s[14:15]
.LBB2_11145:
	s_or_saveexec_b64 s[6:7], s[6:7]
	v_mov_b32_e32 v12, s10
	s_xor_b64 exec, exec, s[6:7]
	s_cbranch_execz .LBB2_11146
; %bb.46987:
	s_getpc_b64 s[14:15]
.Lpost_getpc27077:
	s_add_u32 s14, s14, (.LBB2_25484-.Lpost_getpc27077)&4294967295
	s_addc_u32 s15, s15, (.LBB2_25484-.Lpost_getpc27077)>>32
	s_setpc_b64 s[14:15]
.LBB2_11146:
	s_or_b64 exec, exec, s[6:7]
	s_and_saveexec_b64 s[6:7], s[4:5]
	s_cbranch_execz .LBB2_11148
.LBB2_11147:
	v_bfe_u32 v12, v6, 8, 3
	v_ffbh_u32_e32 v15, v12
	v_min_u32_e32 v15, 32, v15
	v_lshrrev_b16_e32 v14, 3, v13
	v_subrev_u32_e32 v16, 28, v15
	v_and_b32_e32 v14, 15, v14
	v_lshlrev_b32_e32 v13, v16, v13
	v_sub_u32_e32 v15, 29, v15
	v_and_b32_e32 v13, 7, v13
	v_cmp_eq_u16_e32 vcc, 0, v14
	v_cndmask_b32_e32 v12, v12, v13, vcc
	v_cndmask_b32_e32 v13, v14, v15, vcc
	v_lshlrev_b32_e32 v14, 16, v6
	v_mov_b32_e32 v15, 0x3b800000
	v_lshlrev_b32_e32 v12, 20, v12
	v_and_b32_e32 v14, 0x80000000, v14
	v_lshl_add_u32 v13, v13, 23, v15
	v_or3_b32 v12, v14, v13, v12
.LBB2_11148:
	s_or_b64 exec, exec, s[6:7]
	v_lshrrev_b32_e32 v13, 8, v2
	s_movk_i32 s4, 0x7f
	v_cmp_gt_i16_sdwa s[6:7], v13, s4 src0_sel:BYTE_0 src1_sel:DWORD
	s_mov_b64 s[4:5], 0
                                        ; implicit-def: $sgpr10
	s_and_saveexec_b64 s[8:9], s[6:7]
	s_xor_b64 s[6:7], exec, s[8:9]
	s_cbranch_execz .LBB2_11149
; %bb.46989:
	s_getpc_b64 s[14:15]
.Lpost_getpc27078:
	s_add_u32 s14, s14, (.LBB2_25485-.Lpost_getpc27078)&4294967295
	s_addc_u32 s15, s15, (.LBB2_25485-.Lpost_getpc27078)>>32
	s_setpc_b64 s[14:15]
.LBB2_11149:
	s_or_saveexec_b64 s[6:7], s[6:7]
	v_mov_b32_e32 v14, s10
	s_xor_b64 exec, exec, s[6:7]
	s_cbranch_execz .LBB2_11150
; %bb.46991:
	s_getpc_b64 s[14:15]
.Lpost_getpc27079:
	s_add_u32 s14, s14, (.LBB2_25488-.Lpost_getpc27079)&4294967295
	s_addc_u32 s15, s15, (.LBB2_25488-.Lpost_getpc27079)>>32
	s_setpc_b64 s[14:15]
.LBB2_11150:
	s_or_b64 exec, exec, s[6:7]
	s_and_saveexec_b64 s[6:7], s[4:5]
	s_cbranch_execz .LBB2_11152
.LBB2_11151:
	v_bfe_u32 v14, v2, 8, 3
	v_ffbh_u32_e32 v16, v14
	v_min_u32_e32 v16, 32, v16
	v_lshrrev_b16_e32 v15, 3, v13
	v_subrev_u32_e32 v17, 28, v16
	v_and_b32_e32 v15, 15, v15
	v_lshlrev_b32_e32 v13, v17, v13
	v_sub_u32_e32 v16, 29, v16
	v_and_b32_e32 v13, 7, v13
	v_cmp_eq_u16_e32 vcc, 0, v15
	v_cndmask_b32_e32 v13, v14, v13, vcc
	v_cndmask_b32_e32 v14, v15, v16, vcc
	v_lshlrev_b32_e32 v15, 16, v2
	v_mov_b32_e32 v16, 0x3b800000
	v_lshlrev_b32_e32 v13, 20, v13
	v_and_b32_e32 v15, 0x80000000, v15
	v_lshl_add_u32 v14, v14, 23, v16
	v_or3_b32 v14, v15, v14, v13
.LBB2_11152:
	s_or_b64 exec, exec, s[6:7]
	s_nop 0
	v_mfma_f32_16x16x4f32 a[0:3], v12, v14, a[0:3]
	s_movk_i32 s4, 0xff
	v_and_b32_sdwa v13, v6, s4 dst_sel:DWORD dst_unused:UNUSED_PAD src0_sel:WORD_1 src1_sel:DWORD
	s_movk_i32 s4, 0x7f
	v_cmp_lt_i16_e32 vcc, s4, v13
	s_mov_b64 s[4:5], 0
                                        ; implicit-def: $sgpr10
	s_and_saveexec_b64 s[6:7], vcc
	s_xor_b64 s[6:7], exec, s[6:7]
	s_cbranch_execz .LBB2_11153
; %bb.46993:
	s_getpc_b64 s[14:15]
.Lpost_getpc27080:
	s_add_u32 s14, s14, (.LBB2_25489-.Lpost_getpc27080)&4294967295
	s_addc_u32 s15, s15, (.LBB2_25489-.Lpost_getpc27080)>>32
	s_setpc_b64 s[14:15]
.LBB2_11153:
	s_or_saveexec_b64 s[6:7], s[6:7]
	v_mov_b32_e32 v12, s10
	s_xor_b64 exec, exec, s[6:7]
	s_cbranch_execz .LBB2_11154
; %bb.46995:
	s_getpc_b64 s[14:15]
.Lpost_getpc27081:
	s_add_u32 s14, s14, (.LBB2_25492-.Lpost_getpc27081)&4294967295
	s_addc_u32 s15, s15, (.LBB2_25492-.Lpost_getpc27081)>>32
	s_setpc_b64 s[14:15]
.LBB2_11154:
	s_or_b64 exec, exec, s[6:7]
	s_and_saveexec_b64 s[6:7], s[4:5]
	s_cbranch_execz .LBB2_11156
.LBB2_11155:
	v_bfe_u32 v12, v6, 16, 3
	v_ffbh_u32_e32 v15, v12
	v_min_u32_e32 v15, 32, v15
	v_lshrrev_b32_e32 v13, 19, v6
	v_subrev_u32_e32 v16, 28, v15
	v_and_b32_e32 v13, 15, v13
	v_lshlrev_b32_sdwa v16, v16, v6 dst_sel:DWORD dst_unused:UNUSED_PAD src0_sel:DWORD src1_sel:WORD_1
	v_bfe_u32 v14, v6, 19, 4
	v_sub_u32_e32 v15, 29, v15
	v_and_b32_e32 v16, 7, v16
	v_cmp_eq_u16_e32 vcc, 0, v13
	v_cndmask_b32_e32 v12, v12, v16, vcc
	v_cndmask_b32_e32 v13, v14, v15, vcc
	v_lshlrev_b32_e32 v14, 8, v6
	v_mov_b32_e32 v15, 0x3b800000
	v_lshlrev_b32_e32 v12, 20, v12
	v_and_b32_e32 v14, 0x80000000, v14
	v_lshl_add_u32 v13, v13, 23, v15
	v_or3_b32 v12, v14, v13, v12
.LBB2_11156:
	s_or_b64 exec, exec, s[6:7]
	s_movk_i32 s4, 0xff
	v_and_b32_sdwa v13, v2, s4 dst_sel:DWORD dst_unused:UNUSED_PAD src0_sel:WORD_1 src1_sel:DWORD
	s_movk_i32 s4, 0x7f
	v_cmp_lt_i16_e32 vcc, s4, v13
	s_mov_b64 s[4:5], 0
                                        ; implicit-def: $sgpr10
	s_and_saveexec_b64 s[6:7], vcc
	s_xor_b64 s[6:7], exec, s[6:7]
	s_cbranch_execz .LBB2_11157
; %bb.46997:
	s_getpc_b64 s[14:15]
.Lpost_getpc27082:
	s_add_u32 s14, s14, (.LBB2_25493-.Lpost_getpc27082)&4294967295
	s_addc_u32 s15, s15, (.LBB2_25493-.Lpost_getpc27082)>>32
	s_setpc_b64 s[14:15]
.LBB2_11157:
	s_or_saveexec_b64 s[6:7], s[6:7]
	v_mov_b32_e32 v14, s10
	s_xor_b64 exec, exec, s[6:7]
	s_cbranch_execz .LBB2_11158
; %bb.46999:
	s_getpc_b64 s[14:15]
.Lpost_getpc27083:
	s_add_u32 s14, s14, (.LBB2_25496-.Lpost_getpc27083)&4294967295
	s_addc_u32 s15, s15, (.LBB2_25496-.Lpost_getpc27083)>>32
	s_setpc_b64 s[14:15]
.LBB2_11158:
	s_or_b64 exec, exec, s[6:7]
	s_and_saveexec_b64 s[6:7], s[4:5]
	s_cbranch_execz .LBB2_11160
.LBB2_11159:
	v_bfe_u32 v13, v2, 16, 3
	v_ffbh_u32_e32 v16, v13
	v_min_u32_e32 v16, 32, v16
	v_lshrrev_b32_e32 v14, 19, v2
	v_subrev_u32_e32 v17, 28, v16
	v_and_b32_e32 v14, 15, v14
	v_lshlrev_b32_sdwa v17, v17, v2 dst_sel:DWORD dst_unused:UNUSED_PAD src0_sel:DWORD src1_sel:WORD_1
	v_bfe_u32 v15, v2, 19, 4
	v_sub_u32_e32 v16, 29, v16
	v_and_b32_e32 v17, 7, v17
	v_cmp_eq_u16_e32 vcc, 0, v14
	v_cndmask_b32_e32 v13, v13, v17, vcc
	v_cndmask_b32_e32 v14, v15, v16, vcc
	v_lshlrev_b32_e32 v15, 8, v2
	v_mov_b32_e32 v16, 0x3b800000
	v_lshlrev_b32_e32 v13, 20, v13
	v_and_b32_e32 v15, 0x80000000, v15
	v_lshl_add_u32 v14, v14, 23, v16
	v_or3_b32 v14, v15, v14, v13
.LBB2_11160:
	s_or_b64 exec, exec, s[6:7]
	s_nop 0
	v_mfma_f32_16x16x4f32 a[0:3], v12, v14, a[0:3]
	s_movk_i32 s4, 0x7f
	v_cmp_gt_i16_sdwa s[6:7], v6, s4 src0_sel:BYTE_3 src1_sel:DWORD
	s_mov_b64 s[4:5], 0
                                        ; implicit-def: $sgpr10
	s_and_saveexec_b64 s[8:9], s[6:7]
	s_xor_b64 s[6:7], exec, s[8:9]
	s_cbranch_execz .LBB2_11161
; %bb.47001:
	s_getpc_b64 s[14:15]
.Lpost_getpc27084:
	s_add_u32 s14, s14, (.LBB2_25497-.Lpost_getpc27084)&4294967295
	s_addc_u32 s15, s15, (.LBB2_25497-.Lpost_getpc27084)>>32
	s_setpc_b64 s[14:15]
.LBB2_11161:
	s_or_saveexec_b64 s[6:7], s[6:7]
	v_mov_b32_e32 v12, s10
	s_xor_b64 exec, exec, s[6:7]
	s_cbranch_execz .LBB2_11162
; %bb.47003:
	s_getpc_b64 s[14:15]
.Lpost_getpc27085:
	s_add_u32 s14, s14, (.LBB2_25500-.Lpost_getpc27085)&4294967295
	s_addc_u32 s15, s15, (.LBB2_25500-.Lpost_getpc27085)>>32
	s_setpc_b64 s[14:15]
.LBB2_11162:
	s_or_b64 exec, exec, s[6:7]
	s_and_saveexec_b64 s[6:7], s[4:5]
	s_cbranch_execz .LBB2_11164
.LBB2_11163:
	v_bfe_u32 v12, v6, 24, 3
	v_ffbh_u32_e32 v16, v12
	v_min_u32_e32 v16, 32, v16
	v_lshrrev_b32_e32 v14, 27, v6
	v_subrev_u32_e32 v17, 28, v16
	v_and_b32_e32 v13, 0x80000000, v6
	v_and_b32_e32 v14, 15, v14
	v_bfe_u32 v15, v6, 27, 4
	v_lshlrev_b32_sdwa v6, v17, v6 dst_sel:DWORD dst_unused:UNUSED_PAD src0_sel:DWORD src1_sel:BYTE_3
	v_sub_u32_e32 v16, 29, v16
	v_and_b32_e32 v6, 7, v6
	v_cmp_eq_u16_e32 vcc, 0, v14
	v_cndmask_b32_e32 v6, v12, v6, vcc
	v_cndmask_b32_e32 v12, v15, v16, vcc
	v_mov_b32_e32 v14, 0x3b800000
	v_lshlrev_b32_e32 v6, 20, v6
	v_lshl_add_u32 v12, v12, 23, v14
	v_or3_b32 v12, v13, v12, v6
.LBB2_11164:
	s_or_b64 exec, exec, s[6:7]
	s_movk_i32 s4, 0x7f
	v_cmp_gt_i16_sdwa s[6:7], v2, s4 src0_sel:BYTE_3 src1_sel:DWORD
	s_mov_b64 s[4:5], 0
                                        ; implicit-def: $sgpr10
	s_and_saveexec_b64 s[8:9], s[6:7]
	s_xor_b64 s[6:7], exec, s[8:9]
	s_cbranch_execz .LBB2_11165
; %bb.47005:
	s_getpc_b64 s[14:15]
.Lpost_getpc27086:
	s_add_u32 s14, s14, (.LBB2_25501-.Lpost_getpc27086)&4294967295
	s_addc_u32 s15, s15, (.LBB2_25501-.Lpost_getpc27086)>>32
	s_setpc_b64 s[14:15]
.LBB2_11165:
	s_or_saveexec_b64 s[6:7], s[6:7]
	v_mov_b32_e32 v6, s10
	s_xor_b64 exec, exec, s[6:7]
	s_cbranch_execz .LBB2_11166
; %bb.47007:
	s_getpc_b64 s[14:15]
.Lpost_getpc27087:
	s_add_u32 s14, s14, (.LBB2_25504-.Lpost_getpc27087)&4294967295
	s_addc_u32 s15, s15, (.LBB2_25504-.Lpost_getpc27087)>>32
	s_setpc_b64 s[14:15]
.LBB2_11166:
	s_or_b64 exec, exec, s[6:7]
	s_and_saveexec_b64 s[6:7], s[4:5]
	s_cbranch_execz .LBB2_11168
.LBB2_11167:
	v_bfe_u32 v6, v2, 24, 3
	v_ffbh_u32_e32 v16, v6
	v_min_u32_e32 v16, 32, v16
	v_lshrrev_b32_e32 v14, 27, v2
	v_subrev_u32_e32 v17, 28, v16
	v_and_b32_e32 v13, 0x80000000, v2
	v_and_b32_e32 v14, 15, v14
	v_bfe_u32 v15, v2, 27, 4
	v_lshlrev_b32_sdwa v2, v17, v2 dst_sel:DWORD dst_unused:UNUSED_PAD src0_sel:DWORD src1_sel:BYTE_3
	v_sub_u32_e32 v16, 29, v16
	v_and_b32_e32 v2, 7, v2
	v_cmp_eq_u16_e32 vcc, 0, v14
	v_cndmask_b32_e32 v2, v6, v2, vcc
	v_cndmask_b32_e32 v6, v15, v16, vcc
	v_mov_b32_e32 v14, 0x3b800000
	v_lshlrev_b32_e32 v2, 20, v2
	v_lshl_add_u32 v6, v6, 23, v14
	v_or3_b32 v6, v13, v6, v2
.LBB2_11168:
	s_or_b64 exec, exec, s[6:7]
	s_nop 0
	v_mfma_f32_16x16x4f32 a[0:3], v12, v6, a[0:3]
	s_movk_i32 s4, 0x7f
	v_cmp_gt_i16_sdwa s[6:7], v7, s4 src0_sel:BYTE_0 src1_sel:DWORD
	s_mov_b64 s[4:5], 0
                                        ; implicit-def: $sgpr10
	s_and_saveexec_b64 s[8:9], s[6:7]
	s_xor_b64 s[6:7], exec, s[8:9]
	s_cbranch_execz .LBB2_11169
; %bb.47009:
	s_getpc_b64 s[14:15]
.Lpost_getpc27088:
	s_add_u32 s14, s14, (.LBB2_25505-.Lpost_getpc27088)&4294967295
	s_addc_u32 s15, s15, (.LBB2_25505-.Lpost_getpc27088)>>32
	s_setpc_b64 s[14:15]
.LBB2_11169:
	s_or_saveexec_b64 s[6:7], s[6:7]
	v_mov_b32_e32 v2, s10
	s_xor_b64 exec, exec, s[6:7]
	s_cbranch_execz .LBB2_11170
; %bb.47011:
	s_getpc_b64 s[14:15]
.Lpost_getpc27089:
	s_add_u32 s14, s14, (.LBB2_25508-.Lpost_getpc27089)&4294967295
	s_addc_u32 s15, s15, (.LBB2_25508-.Lpost_getpc27089)>>32
	s_setpc_b64 s[14:15]
.LBB2_11170:
	s_or_b64 exec, exec, s[6:7]
	s_and_saveexec_b64 s[6:7], s[4:5]
	s_cbranch_execz .LBB2_11172
.LBB2_11171:
	v_and_b32_e32 v2, 7, v7
	v_ffbh_u32_e32 v12, v2
	v_min_u32_e32 v12, 32, v12
	v_lshrrev_b16_e32 v6, 3, v7
	v_subrev_u32_e32 v13, 28, v12
	v_and_b32_e32 v6, 15, v6
	v_lshlrev_b32_e32 v13, v13, v7
	v_sub_u32_e32 v12, 29, v12
	v_and_b32_e32 v13, 7, v13
	v_cmp_eq_u16_e32 vcc, 0, v6
	v_cndmask_b32_e32 v2, v2, v13, vcc
	v_cndmask_b32_e32 v6, v6, v12, vcc
	v_lshlrev_b32_e32 v12, 24, v7
	v_mov_b32_e32 v13, 0x3b800000
	v_lshlrev_b32_e32 v2, 20, v2
	v_and_b32_e32 v12, 0x80000000, v12
	v_lshl_add_u32 v6, v6, 23, v13
	v_or3_b32 v2, v12, v6, v2
.LBB2_11172:
	s_or_b64 exec, exec, s[6:7]
	s_movk_i32 s4, 0x7f
	v_cmp_gt_i16_sdwa s[6:7], v3, s4 src0_sel:BYTE_0 src1_sel:DWORD
	s_mov_b64 s[4:5], 0
                                        ; implicit-def: $sgpr10
	s_and_saveexec_b64 s[8:9], s[6:7]
	s_xor_b64 s[6:7], exec, s[8:9]
	s_cbranch_execz .LBB2_11173
; %bb.47013:
	s_getpc_b64 s[14:15]
.Lpost_getpc27090:
	s_add_u32 s14, s14, (.LBB2_25509-.Lpost_getpc27090)&4294967295
	s_addc_u32 s15, s15, (.LBB2_25509-.Lpost_getpc27090)>>32
	s_setpc_b64 s[14:15]
.LBB2_11173:
	s_or_saveexec_b64 s[6:7], s[6:7]
	v_mov_b32_e32 v6, s10
	s_xor_b64 exec, exec, s[6:7]
	s_cbranch_execz .LBB2_11174
; %bb.47015:
	s_getpc_b64 s[14:15]
.Lpost_getpc27091:
	s_add_u32 s14, s14, (.LBB2_25512-.Lpost_getpc27091)&4294967295
	s_addc_u32 s15, s15, (.LBB2_25512-.Lpost_getpc27091)>>32
	s_setpc_b64 s[14:15]
.LBB2_11174:
	s_or_b64 exec, exec, s[6:7]
	s_and_saveexec_b64 s[6:7], s[4:5]
	s_cbranch_execz .LBB2_11176
.LBB2_11175:
	v_and_b32_e32 v6, 7, v3
	v_ffbh_u32_e32 v13, v6
	v_min_u32_e32 v13, 32, v13
	v_lshrrev_b16_e32 v12, 3, v3
	v_subrev_u32_e32 v14, 28, v13
	v_and_b32_e32 v12, 15, v12
	v_lshlrev_b32_e32 v14, v14, v3
	v_sub_u32_e32 v13, 29, v13
	v_and_b32_e32 v14, 7, v14
	v_cmp_eq_u16_e32 vcc, 0, v12
	v_cndmask_b32_e32 v6, v6, v14, vcc
	v_cndmask_b32_e32 v12, v12, v13, vcc
	v_lshlrev_b32_e32 v13, 24, v3
	v_mov_b32_e32 v14, 0x3b800000
	v_lshlrev_b32_e32 v6, 20, v6
	v_and_b32_e32 v13, 0x80000000, v13
	v_lshl_add_u32 v12, v12, 23, v14
	v_or3_b32 v6, v13, v12, v6
.LBB2_11176:
	s_or_b64 exec, exec, s[6:7]
	s_nop 0
	v_mfma_f32_16x16x4f32 a[0:3], v2, v6, a[0:3]
	v_lshrrev_b32_e32 v6, 8, v7
	s_movk_i32 s4, 0x7f
	v_cmp_gt_i16_sdwa s[6:7], v6, s4 src0_sel:BYTE_0 src1_sel:DWORD
	s_mov_b64 s[4:5], 0
                                        ; implicit-def: $sgpr10
	s_and_saveexec_b64 s[8:9], s[6:7]
	s_xor_b64 s[6:7], exec, s[8:9]
	s_cbranch_execz .LBB2_11177
; %bb.47017:
	s_getpc_b64 s[14:15]
.Lpost_getpc27092:
	s_add_u32 s14, s14, (.LBB2_25513-.Lpost_getpc27092)&4294967295
	s_addc_u32 s15, s15, (.LBB2_25513-.Lpost_getpc27092)>>32
	s_setpc_b64 s[14:15]
.LBB2_11177:
	s_or_saveexec_b64 s[6:7], s[6:7]
	v_mov_b32_e32 v2, s10
	s_xor_b64 exec, exec, s[6:7]
	s_cbranch_execz .LBB2_11178
; %bb.47019:
	s_getpc_b64 s[14:15]
.Lpost_getpc27093:
	s_add_u32 s14, s14, (.LBB2_25516-.Lpost_getpc27093)&4294967295
	s_addc_u32 s15, s15, (.LBB2_25516-.Lpost_getpc27093)>>32
	s_setpc_b64 s[14:15]
.LBB2_11178:
	s_or_b64 exec, exec, s[6:7]
	s_and_saveexec_b64 s[6:7], s[4:5]
	s_cbranch_execz .LBB2_11180
.LBB2_11179:
	v_bfe_u32 v2, v7, 8, 3
	v_ffbh_u32_e32 v13, v2
	v_min_u32_e32 v13, 32, v13
	v_lshrrev_b16_e32 v12, 3, v6
	v_subrev_u32_e32 v14, 28, v13
	v_and_b32_e32 v12, 15, v12
	v_lshlrev_b32_e32 v6, v14, v6
	v_sub_u32_e32 v13, 29, v13
	v_and_b32_e32 v6, 7, v6
	v_cmp_eq_u16_e32 vcc, 0, v12
	v_cndmask_b32_e32 v2, v2, v6, vcc
	v_cndmask_b32_e32 v6, v12, v13, vcc
	v_lshlrev_b32_e32 v12, 16, v7
	v_mov_b32_e32 v13, 0x3b800000
	v_lshlrev_b32_e32 v2, 20, v2
	v_and_b32_e32 v12, 0x80000000, v12
	v_lshl_add_u32 v6, v6, 23, v13
	v_or3_b32 v2, v12, v6, v2
.LBB2_11180:
	s_or_b64 exec, exec, s[6:7]
	v_lshrrev_b32_e32 v6, 8, v3
	s_movk_i32 s4, 0x7f
	v_cmp_gt_i16_sdwa s[6:7], v6, s4 src0_sel:BYTE_0 src1_sel:DWORD
	s_mov_b64 s[4:5], 0
                                        ; implicit-def: $sgpr10
	s_and_saveexec_b64 s[8:9], s[6:7]
	s_xor_b64 s[6:7], exec, s[8:9]
	s_cbranch_execz .LBB2_11181
; %bb.47021:
	s_getpc_b64 s[14:15]
.Lpost_getpc27094:
	s_add_u32 s14, s14, (.LBB2_25517-.Lpost_getpc27094)&4294967295
	s_addc_u32 s15, s15, (.LBB2_25517-.Lpost_getpc27094)>>32
	s_setpc_b64 s[14:15]
.LBB2_11181:
	s_or_saveexec_b64 s[6:7], s[6:7]
	v_mov_b32_e32 v12, s10
	s_xor_b64 exec, exec, s[6:7]
	s_cbranch_execz .LBB2_11182
; %bb.47023:
	s_getpc_b64 s[14:15]
.Lpost_getpc27095:
	s_add_u32 s14, s14, (.LBB2_25520-.Lpost_getpc27095)&4294967295
	s_addc_u32 s15, s15, (.LBB2_25520-.Lpost_getpc27095)>>32
	s_setpc_b64 s[14:15]
.LBB2_11182:
	s_or_b64 exec, exec, s[6:7]
	s_and_saveexec_b64 s[6:7], s[4:5]
	s_cbranch_execz .LBB2_11184
.LBB2_11183:
	v_bfe_u32 v12, v3, 8, 3
	v_ffbh_u32_e32 v14, v12
	v_min_u32_e32 v14, 32, v14
	v_lshrrev_b16_e32 v13, 3, v6
	v_subrev_u32_e32 v15, 28, v14
	v_and_b32_e32 v13, 15, v13
	v_lshlrev_b32_e32 v6, v15, v6
	v_sub_u32_e32 v14, 29, v14
	v_and_b32_e32 v6, 7, v6
	v_cmp_eq_u16_e32 vcc, 0, v13
	v_cndmask_b32_e32 v6, v12, v6, vcc
	v_cndmask_b32_e32 v12, v13, v14, vcc
	v_lshlrev_b32_e32 v13, 16, v3
	v_mov_b32_e32 v14, 0x3b800000
	v_lshlrev_b32_e32 v6, 20, v6
	v_and_b32_e32 v13, 0x80000000, v13
	v_lshl_add_u32 v12, v12, 23, v14
	v_or3_b32 v12, v13, v12, v6
.LBB2_11184:
	s_or_b64 exec, exec, s[6:7]
	s_nop 0
	v_mfma_f32_16x16x4f32 a[0:3], v2, v12, a[0:3]
	s_movk_i32 s4, 0xff
	v_and_b32_sdwa v6, v7, s4 dst_sel:DWORD dst_unused:UNUSED_PAD src0_sel:WORD_1 src1_sel:DWORD
	s_movk_i32 s4, 0x7f
	v_cmp_lt_i16_e32 vcc, s4, v6
	s_mov_b64 s[4:5], 0
                                        ; implicit-def: $sgpr10
	s_and_saveexec_b64 s[6:7], vcc
	s_xor_b64 s[6:7], exec, s[6:7]
	s_cbranch_execz .LBB2_11185
; %bb.47025:
	s_getpc_b64 s[14:15]
.Lpost_getpc27096:
	s_add_u32 s14, s14, (.LBB2_25521-.Lpost_getpc27096)&4294967295
	s_addc_u32 s15, s15, (.LBB2_25521-.Lpost_getpc27096)>>32
	s_setpc_b64 s[14:15]
.LBB2_11185:
	s_or_saveexec_b64 s[6:7], s[6:7]
	v_mov_b32_e32 v2, s10
	s_xor_b64 exec, exec, s[6:7]
	s_cbranch_execz .LBB2_11186
; %bb.47027:
	s_getpc_b64 s[14:15]
.Lpost_getpc27097:
	s_add_u32 s14, s14, (.LBB2_25524-.Lpost_getpc27097)&4294967295
	s_addc_u32 s15, s15, (.LBB2_25524-.Lpost_getpc27097)>>32
	s_setpc_b64 s[14:15]
.LBB2_11186:
	s_or_b64 exec, exec, s[6:7]
	s_and_saveexec_b64 s[6:7], s[4:5]
	s_cbranch_execz .LBB2_11188
.LBB2_11187:
	v_bfe_u32 v2, v7, 16, 3
	v_ffbh_u32_e32 v13, v2
	v_min_u32_e32 v13, 32, v13
	v_lshrrev_b32_e32 v6, 19, v7
	v_subrev_u32_e32 v14, 28, v13
	v_and_b32_e32 v6, 15, v6
	v_lshlrev_b32_sdwa v14, v14, v7 dst_sel:DWORD dst_unused:UNUSED_PAD src0_sel:DWORD src1_sel:WORD_1
	v_bfe_u32 v12, v7, 19, 4
	v_sub_u32_e32 v13, 29, v13
	v_and_b32_e32 v14, 7, v14
	v_cmp_eq_u16_e32 vcc, 0, v6
	v_cndmask_b32_e32 v2, v2, v14, vcc
	v_cndmask_b32_e32 v6, v12, v13, vcc
	v_lshlrev_b32_e32 v12, 8, v7
	v_mov_b32_e32 v13, 0x3b800000
	v_lshlrev_b32_e32 v2, 20, v2
	v_and_b32_e32 v12, 0x80000000, v12
	v_lshl_add_u32 v6, v6, 23, v13
	v_or3_b32 v2, v12, v6, v2
.LBB2_11188:
	s_or_b64 exec, exec, s[6:7]
	s_movk_i32 s4, 0xff
	v_and_b32_sdwa v6, v3, s4 dst_sel:DWORD dst_unused:UNUSED_PAD src0_sel:WORD_1 src1_sel:DWORD
	s_movk_i32 s4, 0x7f
	v_cmp_lt_i16_e32 vcc, s4, v6
	s_mov_b64 s[4:5], 0
                                        ; implicit-def: $sgpr10
	s_and_saveexec_b64 s[6:7], vcc
	s_xor_b64 s[6:7], exec, s[6:7]
	s_cbranch_execz .LBB2_11189
; %bb.47029:
	s_getpc_b64 s[14:15]
.Lpost_getpc27098:
	s_add_u32 s14, s14, (.LBB2_25525-.Lpost_getpc27098)&4294967295
	s_addc_u32 s15, s15, (.LBB2_25525-.Lpost_getpc27098)>>32
	s_setpc_b64 s[14:15]
.LBB2_11189:
	s_or_saveexec_b64 s[6:7], s[6:7]
	v_mov_b32_e32 v12, s10
	s_xor_b64 exec, exec, s[6:7]
	s_cbranch_execz .LBB2_11190
; %bb.47031:
	s_getpc_b64 s[14:15]
.Lpost_getpc27099:
	s_add_u32 s14, s14, (.LBB2_25528-.Lpost_getpc27099)&4294967295
	s_addc_u32 s15, s15, (.LBB2_25528-.Lpost_getpc27099)>>32
	s_setpc_b64 s[14:15]
.LBB2_11190:
	s_or_b64 exec, exec, s[6:7]
	s_and_saveexec_b64 s[6:7], s[4:5]
	s_cbranch_execz .LBB2_11192
.LBB2_11191:
	v_bfe_u32 v6, v3, 16, 3
	v_ffbh_u32_e32 v14, v6
	v_min_u32_e32 v14, 32, v14
	v_lshrrev_b32_e32 v12, 19, v3
	v_subrev_u32_e32 v15, 28, v14
	v_and_b32_e32 v12, 15, v12
	v_lshlrev_b32_sdwa v15, v15, v3 dst_sel:DWORD dst_unused:UNUSED_PAD src0_sel:DWORD src1_sel:WORD_1
	v_bfe_u32 v13, v3, 19, 4
	v_sub_u32_e32 v14, 29, v14
	v_and_b32_e32 v15, 7, v15
	v_cmp_eq_u16_e32 vcc, 0, v12
	v_cndmask_b32_e32 v6, v6, v15, vcc
	v_cndmask_b32_e32 v12, v13, v14, vcc
	v_lshlrev_b32_e32 v13, 8, v3
	v_mov_b32_e32 v14, 0x3b800000
	v_lshlrev_b32_e32 v6, 20, v6
	v_and_b32_e32 v13, 0x80000000, v13
	v_lshl_add_u32 v12, v12, 23, v14
	v_or3_b32 v12, v13, v12, v6
.LBB2_11192:
	s_or_b64 exec, exec, s[6:7]
	s_nop 0
	v_mfma_f32_16x16x4f32 a[0:3], v2, v12, a[0:3]
	s_movk_i32 s4, 0x7f
	v_cmp_gt_i16_sdwa s[6:7], v7, s4 src0_sel:BYTE_3 src1_sel:DWORD
	s_mov_b64 s[4:5], 0
                                        ; implicit-def: $sgpr10
	s_and_saveexec_b64 s[8:9], s[6:7]
	s_xor_b64 s[6:7], exec, s[8:9]
	s_cbranch_execz .LBB2_11193
; %bb.47033:
	s_getpc_b64 s[14:15]
.Lpost_getpc27100:
	s_add_u32 s14, s14, (.LBB2_25529-.Lpost_getpc27100)&4294967295
	s_addc_u32 s15, s15, (.LBB2_25529-.Lpost_getpc27100)>>32
	s_setpc_b64 s[14:15]
.LBB2_11193:
	s_or_saveexec_b64 s[6:7], s[6:7]
	v_mov_b32_e32 v2, s10
	s_xor_b64 exec, exec, s[6:7]
	s_cbranch_execz .LBB2_11194
; %bb.47035:
	s_getpc_b64 s[14:15]
.Lpost_getpc27101:
	s_add_u32 s14, s14, (.LBB2_25532-.Lpost_getpc27101)&4294967295
	s_addc_u32 s15, s15, (.LBB2_25532-.Lpost_getpc27101)>>32
	s_setpc_b64 s[14:15]
.LBB2_11194:
	s_or_b64 exec, exec, s[6:7]
	s_and_saveexec_b64 s[6:7], s[4:5]
	s_cbranch_execz .LBB2_11196
.LBB2_11195:
	v_bfe_u32 v2, v7, 24, 3
	v_ffbh_u32_e32 v14, v2
	v_min_u32_e32 v14, 32, v14
	v_lshrrev_b32_e32 v12, 27, v7
	v_subrev_u32_e32 v15, 28, v14
	v_and_b32_e32 v6, 0x80000000, v7
	v_and_b32_e32 v12, 15, v12
	v_bfe_u32 v13, v7, 27, 4
	v_lshlrev_b32_sdwa v7, v15, v7 dst_sel:DWORD dst_unused:UNUSED_PAD src0_sel:DWORD src1_sel:BYTE_3
	v_sub_u32_e32 v14, 29, v14
	v_and_b32_e32 v7, 7, v7
	v_cmp_eq_u16_e32 vcc, 0, v12
	v_cndmask_b32_e32 v2, v2, v7, vcc
	v_cndmask_b32_e32 v7, v13, v14, vcc
	v_mov_b32_e32 v12, 0x3b800000
	v_lshlrev_b32_e32 v2, 20, v2
	v_lshl_add_u32 v7, v7, 23, v12
	v_or3_b32 v2, v6, v7, v2
.LBB2_11196:
	s_or_b64 exec, exec, s[6:7]
	s_movk_i32 s4, 0x7f
	v_cmp_gt_i16_sdwa s[6:7], v3, s4 src0_sel:BYTE_3 src1_sel:DWORD
	s_mov_b64 s[4:5], 0
                                        ; implicit-def: $sgpr10
	s_and_saveexec_b64 s[8:9], s[6:7]
	s_xor_b64 s[6:7], exec, s[8:9]
	s_cbranch_execz .LBB2_11197
; %bb.47037:
	s_getpc_b64 s[14:15]
.Lpost_getpc27102:
	s_add_u32 s14, s14, (.LBB2_25533-.Lpost_getpc27102)&4294967295
	s_addc_u32 s15, s15, (.LBB2_25533-.Lpost_getpc27102)>>32
	s_setpc_b64 s[14:15]
.LBB2_11197:
	s_or_saveexec_b64 s[6:7], s[6:7]
	v_mov_b32_e32 v6, s10
	s_xor_b64 exec, exec, s[6:7]
	s_cbranch_execz .LBB2_11198
; %bb.47039:
	s_getpc_b64 s[14:15]
.Lpost_getpc27103:
	s_add_u32 s14, s14, (.LBB2_25536-.Lpost_getpc27103)&4294967295
	s_addc_u32 s15, s15, (.LBB2_25536-.Lpost_getpc27103)>>32
	s_setpc_b64 s[14:15]
.LBB2_11198:
	s_or_b64 exec, exec, s[6:7]
	s_and_saveexec_b64 s[6:7], s[4:5]
	s_cbranch_execz .LBB2_11200
.LBB2_11199:
	v_bfe_u32 v6, v3, 24, 3
	v_ffbh_u32_e32 v14, v6
	v_min_u32_e32 v14, 32, v14
	v_lshrrev_b32_e32 v12, 27, v3
	v_subrev_u32_e32 v15, 28, v14
	v_and_b32_e32 v7, 0x80000000, v3
	v_and_b32_e32 v12, 15, v12
	v_bfe_u32 v13, v3, 27, 4
	v_lshlrev_b32_sdwa v3, v15, v3 dst_sel:DWORD dst_unused:UNUSED_PAD src0_sel:DWORD src1_sel:BYTE_3
	v_sub_u32_e32 v14, 29, v14
	v_and_b32_e32 v3, 7, v3
	v_cmp_eq_u16_e32 vcc, 0, v12
	v_cndmask_b32_e32 v3, v6, v3, vcc
	v_cndmask_b32_e32 v6, v13, v14, vcc
	v_mov_b32_e32 v12, 0x3b800000
	v_lshlrev_b32_e32 v3, 20, v3
	v_lshl_add_u32 v6, v6, 23, v12
	v_or3_b32 v6, v7, v6, v3
.LBB2_11200:
	s_or_b64 exec, exec, s[6:7]
	s_nop 0
	v_mfma_f32_16x16x4f32 a[0:3], v2, v6, a[0:3]
	s_movk_i32 s4, 0x7f
	v_cmp_gt_i16_sdwa s[6:7], v8, s4 src0_sel:BYTE_0 src1_sel:DWORD
	s_mov_b64 s[4:5], 0
                                        ; implicit-def: $sgpr10
	s_and_saveexec_b64 s[8:9], s[6:7]
	s_xor_b64 s[6:7], exec, s[8:9]
	s_cbranch_execz .LBB2_11201
; %bb.47041:
	s_getpc_b64 s[14:15]
.Lpost_getpc27104:
	s_add_u32 s14, s14, (.LBB2_25537-.Lpost_getpc27104)&4294967295
	s_addc_u32 s15, s15, (.LBB2_25537-.Lpost_getpc27104)>>32
	s_setpc_b64 s[14:15]
.LBB2_11201:
	s_or_saveexec_b64 s[6:7], s[6:7]
	v_mov_b32_e32 v2, s10
	s_xor_b64 exec, exec, s[6:7]
	s_cbranch_execz .LBB2_11202
; %bb.47043:
	s_getpc_b64 s[14:15]
.Lpost_getpc27105:
	s_add_u32 s14, s14, (.LBB2_25540-.Lpost_getpc27105)&4294967295
	s_addc_u32 s15, s15, (.LBB2_25540-.Lpost_getpc27105)>>32
	s_setpc_b64 s[14:15]
.LBB2_11202:
	s_or_b64 exec, exec, s[6:7]
	s_and_saveexec_b64 s[6:7], s[4:5]
	s_cbranch_execz .LBB2_11204
.LBB2_11203:
	v_and_b32_e32 v2, 7, v8
	v_ffbh_u32_e32 v6, v2
	v_min_u32_e32 v6, 32, v6
	v_lshrrev_b16_e32 v3, 3, v8
	v_subrev_u32_e32 v7, 28, v6
	v_and_b32_e32 v3, 15, v3
	v_lshlrev_b32_e32 v7, v7, v8
	v_sub_u32_e32 v6, 29, v6
	v_and_b32_e32 v7, 7, v7
	v_cmp_eq_u16_e32 vcc, 0, v3
	v_cndmask_b32_e32 v2, v2, v7, vcc
	v_cndmask_b32_e32 v3, v3, v6, vcc
	v_lshlrev_b32_e32 v6, 24, v8
	v_mov_b32_e32 v7, 0x3b800000
	v_lshlrev_b32_e32 v2, 20, v2
	v_and_b32_e32 v6, 0x80000000, v6
	v_lshl_add_u32 v3, v3, 23, v7
	v_or3_b32 v2, v6, v3, v2
.LBB2_11204:
	s_or_b64 exec, exec, s[6:7]
	s_movk_i32 s4, 0x7f
	v_cmp_gt_i16_sdwa s[6:7], v4, s4 src0_sel:BYTE_0 src1_sel:DWORD
	s_mov_b64 s[4:5], 0
                                        ; implicit-def: $sgpr10
	s_and_saveexec_b64 s[8:9], s[6:7]
	s_xor_b64 s[6:7], exec, s[8:9]
	s_cbranch_execz .LBB2_11205
; %bb.47045:
	s_getpc_b64 s[14:15]
.Lpost_getpc27106:
	s_add_u32 s14, s14, (.LBB2_25541-.Lpost_getpc27106)&4294967295
	s_addc_u32 s15, s15, (.LBB2_25541-.Lpost_getpc27106)>>32
	s_setpc_b64 s[14:15]
.LBB2_11205:
	s_or_saveexec_b64 s[6:7], s[6:7]
	v_mov_b32_e32 v3, s10
	s_xor_b64 exec, exec, s[6:7]
	s_cbranch_execz .LBB2_11206
; %bb.47047:
	s_getpc_b64 s[14:15]
.Lpost_getpc27107:
	s_add_u32 s14, s14, (.LBB2_25544-.Lpost_getpc27107)&4294967295
	s_addc_u32 s15, s15, (.LBB2_25544-.Lpost_getpc27107)>>32
	s_setpc_b64 s[14:15]
.LBB2_11206:
	s_or_b64 exec, exec, s[6:7]
	s_and_saveexec_b64 s[6:7], s[4:5]
	s_cbranch_execz .LBB2_11208
.LBB2_11207:
	v_and_b32_e32 v3, 7, v4
	v_ffbh_u32_e32 v7, v3
	v_min_u32_e32 v7, 32, v7
	v_lshrrev_b16_e32 v6, 3, v4
	v_subrev_u32_e32 v12, 28, v7
	v_and_b32_e32 v6, 15, v6
	v_lshlrev_b32_e32 v12, v12, v4
	v_sub_u32_e32 v7, 29, v7
	v_and_b32_e32 v12, 7, v12
	v_cmp_eq_u16_e32 vcc, 0, v6
	v_cndmask_b32_e32 v3, v3, v12, vcc
	v_cndmask_b32_e32 v6, v6, v7, vcc
	v_lshlrev_b32_e32 v7, 24, v4
	v_mov_b32_e32 v12, 0x3b800000
	v_lshlrev_b32_e32 v3, 20, v3
	v_and_b32_e32 v7, 0x80000000, v7
	v_lshl_add_u32 v6, v6, 23, v12
	v_or3_b32 v3, v7, v6, v3
.LBB2_11208:
	s_or_b64 exec, exec, s[6:7]
	s_nop 0
	v_mfma_f32_16x16x4f32 a[0:3], v2, v3, a[0:3]
	v_lshrrev_b32_e32 v3, 8, v8
	s_movk_i32 s4, 0x7f
	v_cmp_gt_i16_sdwa s[6:7], v3, s4 src0_sel:BYTE_0 src1_sel:DWORD
	s_mov_b64 s[4:5], 0
                                        ; implicit-def: $sgpr10
	s_and_saveexec_b64 s[8:9], s[6:7]
	s_xor_b64 s[6:7], exec, s[8:9]
	s_cbranch_execz .LBB2_11209
; %bb.47049:
	s_getpc_b64 s[14:15]
.Lpost_getpc27108:
	s_add_u32 s14, s14, (.LBB2_25545-.Lpost_getpc27108)&4294967295
	s_addc_u32 s15, s15, (.LBB2_25545-.Lpost_getpc27108)>>32
	s_setpc_b64 s[14:15]
.LBB2_11209:
	s_or_saveexec_b64 s[6:7], s[6:7]
	v_mov_b32_e32 v2, s10
	s_xor_b64 exec, exec, s[6:7]
	s_cbranch_execz .LBB2_11210
; %bb.47051:
	s_getpc_b64 s[14:15]
.Lpost_getpc27109:
	s_add_u32 s14, s14, (.LBB2_25548-.Lpost_getpc27109)&4294967295
	s_addc_u32 s15, s15, (.LBB2_25548-.Lpost_getpc27109)>>32
	s_setpc_b64 s[14:15]
.LBB2_11210:
	s_or_b64 exec, exec, s[6:7]
	s_and_saveexec_b64 s[6:7], s[4:5]
	s_cbranch_execz .LBB2_11212
.LBB2_11211:
	v_bfe_u32 v2, v8, 8, 3
	v_ffbh_u32_e32 v7, v2
	v_min_u32_e32 v7, 32, v7
	v_lshrrev_b16_e32 v6, 3, v3
	v_subrev_u32_e32 v12, 28, v7
	v_and_b32_e32 v6, 15, v6
	v_lshlrev_b32_e32 v3, v12, v3
	v_sub_u32_e32 v7, 29, v7
	v_and_b32_e32 v3, 7, v3
	v_cmp_eq_u16_e32 vcc, 0, v6
	v_cndmask_b32_e32 v2, v2, v3, vcc
	v_cndmask_b32_e32 v3, v6, v7, vcc
	v_lshlrev_b32_e32 v6, 16, v8
	v_mov_b32_e32 v7, 0x3b800000
	v_lshlrev_b32_e32 v2, 20, v2
	v_and_b32_e32 v6, 0x80000000, v6
	v_lshl_add_u32 v3, v3, 23, v7
	v_or3_b32 v2, v6, v3, v2
.LBB2_11212:
	s_or_b64 exec, exec, s[6:7]
	v_lshrrev_b32_e32 v3, 8, v4
	s_movk_i32 s4, 0x7f
	v_cmp_gt_i16_sdwa s[6:7], v3, s4 src0_sel:BYTE_0 src1_sel:DWORD
	s_mov_b64 s[4:5], 0
                                        ; implicit-def: $sgpr10
	s_and_saveexec_b64 s[8:9], s[6:7]
	s_xor_b64 s[6:7], exec, s[8:9]
	s_cbranch_execz .LBB2_11213
; %bb.47053:
	s_getpc_b64 s[14:15]
.Lpost_getpc27110:
	s_add_u32 s14, s14, (.LBB2_25549-.Lpost_getpc27110)&4294967295
	s_addc_u32 s15, s15, (.LBB2_25549-.Lpost_getpc27110)>>32
	s_setpc_b64 s[14:15]
.LBB2_11213:
	s_or_saveexec_b64 s[6:7], s[6:7]
	v_mov_b32_e32 v6, s10
	s_xor_b64 exec, exec, s[6:7]
	s_cbranch_execz .LBB2_11214
; %bb.47055:
	s_getpc_b64 s[14:15]
.Lpost_getpc27111:
	s_add_u32 s14, s14, (.LBB2_25552-.Lpost_getpc27111)&4294967295
	s_addc_u32 s15, s15, (.LBB2_25552-.Lpost_getpc27111)>>32
	s_setpc_b64 s[14:15]
.LBB2_11214:
	s_or_b64 exec, exec, s[6:7]
	s_and_saveexec_b64 s[6:7], s[4:5]
	s_cbranch_execz .LBB2_11216
.LBB2_11215:
	v_bfe_u32 v6, v4, 8, 3
	v_ffbh_u32_e32 v12, v6
	v_min_u32_e32 v12, 32, v12
	v_lshrrev_b16_e32 v7, 3, v3
	v_subrev_u32_e32 v13, 28, v12
	v_and_b32_e32 v7, 15, v7
	v_lshlrev_b32_e32 v3, v13, v3
	v_sub_u32_e32 v12, 29, v12
	v_and_b32_e32 v3, 7, v3
	v_cmp_eq_u16_e32 vcc, 0, v7
	v_cndmask_b32_e32 v3, v6, v3, vcc
	v_cndmask_b32_e32 v6, v7, v12, vcc
	v_lshlrev_b32_e32 v7, 16, v4
	v_mov_b32_e32 v12, 0x3b800000
	v_lshlrev_b32_e32 v3, 20, v3
	v_and_b32_e32 v7, 0x80000000, v7
	v_lshl_add_u32 v6, v6, 23, v12
	v_or3_b32 v6, v7, v6, v3
.LBB2_11216:
	s_or_b64 exec, exec, s[6:7]
	s_nop 0
	v_mfma_f32_16x16x4f32 a[0:3], v2, v6, a[0:3]
	s_movk_i32 s4, 0xff
	v_and_b32_sdwa v3, v8, s4 dst_sel:DWORD dst_unused:UNUSED_PAD src0_sel:WORD_1 src1_sel:DWORD
	s_movk_i32 s4, 0x7f
	v_cmp_lt_i16_e32 vcc, s4, v3
	s_mov_b64 s[4:5], 0
                                        ; implicit-def: $sgpr10
	s_and_saveexec_b64 s[6:7], vcc
	s_xor_b64 s[6:7], exec, s[6:7]
	s_cbranch_execz .LBB2_11217
; %bb.47057:
	s_getpc_b64 s[14:15]
.Lpost_getpc27112:
	s_add_u32 s14, s14, (.LBB2_25553-.Lpost_getpc27112)&4294967295
	s_addc_u32 s15, s15, (.LBB2_25553-.Lpost_getpc27112)>>32
	s_setpc_b64 s[14:15]
.LBB2_11217:
	s_or_saveexec_b64 s[6:7], s[6:7]
	v_mov_b32_e32 v2, s10
	s_xor_b64 exec, exec, s[6:7]
	s_cbranch_execz .LBB2_11218
; %bb.47059:
	s_getpc_b64 s[14:15]
.Lpost_getpc27113:
	s_add_u32 s14, s14, (.LBB2_25556-.Lpost_getpc27113)&4294967295
	s_addc_u32 s15, s15, (.LBB2_25556-.Lpost_getpc27113)>>32
	s_setpc_b64 s[14:15]
.LBB2_11218:
	s_or_b64 exec, exec, s[6:7]
	s_and_saveexec_b64 s[6:7], s[4:5]
	s_cbranch_execz .LBB2_11220
.LBB2_11219:
	v_bfe_u32 v2, v8, 16, 3
	v_ffbh_u32_e32 v7, v2
	v_min_u32_e32 v7, 32, v7
	v_lshrrev_b32_e32 v3, 19, v8
	v_subrev_u32_e32 v12, 28, v7
	v_and_b32_e32 v3, 15, v3
	v_lshlrev_b32_sdwa v12, v12, v8 dst_sel:DWORD dst_unused:UNUSED_PAD src0_sel:DWORD src1_sel:WORD_1
	v_bfe_u32 v6, v8, 19, 4
	v_sub_u32_e32 v7, 29, v7
	v_and_b32_e32 v12, 7, v12
	v_cmp_eq_u16_e32 vcc, 0, v3
	v_cndmask_b32_e32 v2, v2, v12, vcc
	v_cndmask_b32_e32 v3, v6, v7, vcc
	v_lshlrev_b32_e32 v6, 8, v8
	v_mov_b32_e32 v7, 0x3b800000
	v_lshlrev_b32_e32 v2, 20, v2
	v_and_b32_e32 v6, 0x80000000, v6
	v_lshl_add_u32 v3, v3, 23, v7
	v_or3_b32 v2, v6, v3, v2
.LBB2_11220:
	s_or_b64 exec, exec, s[6:7]
	s_movk_i32 s4, 0xff
	v_and_b32_sdwa v3, v4, s4 dst_sel:DWORD dst_unused:UNUSED_PAD src0_sel:WORD_1 src1_sel:DWORD
	s_movk_i32 s4, 0x7f
	v_cmp_lt_i16_e32 vcc, s4, v3
	s_mov_b64 s[4:5], 0
                                        ; implicit-def: $sgpr10
	s_and_saveexec_b64 s[6:7], vcc
	s_xor_b64 s[6:7], exec, s[6:7]
	s_cbranch_execz .LBB2_11221
; %bb.47061:
	s_getpc_b64 s[14:15]
.Lpost_getpc27114:
	s_add_u32 s14, s14, (.LBB2_25557-.Lpost_getpc27114)&4294967295
	s_addc_u32 s15, s15, (.LBB2_25557-.Lpost_getpc27114)>>32
	s_setpc_b64 s[14:15]
.LBB2_11221:
	s_or_saveexec_b64 s[6:7], s[6:7]
	v_mov_b32_e32 v6, s10
	s_xor_b64 exec, exec, s[6:7]
	s_cbranch_execz .LBB2_11222
; %bb.47063:
	s_getpc_b64 s[14:15]
.Lpost_getpc27115:
	s_add_u32 s14, s14, (.LBB2_25560-.Lpost_getpc27115)&4294967295
	s_addc_u32 s15, s15, (.LBB2_25560-.Lpost_getpc27115)>>32
	s_setpc_b64 s[14:15]
.LBB2_11222:
	s_or_b64 exec, exec, s[6:7]
	s_and_saveexec_b64 s[6:7], s[4:5]
	s_cbranch_execz .LBB2_11224
.LBB2_11223:
	v_bfe_u32 v3, v4, 16, 3
	v_ffbh_u32_e32 v12, v3
	v_min_u32_e32 v12, 32, v12
	v_lshrrev_b32_e32 v6, 19, v4
	v_subrev_u32_e32 v13, 28, v12
	v_and_b32_e32 v6, 15, v6
	v_lshlrev_b32_sdwa v13, v13, v4 dst_sel:DWORD dst_unused:UNUSED_PAD src0_sel:DWORD src1_sel:WORD_1
	v_bfe_u32 v7, v4, 19, 4
	v_sub_u32_e32 v12, 29, v12
	v_and_b32_e32 v13, 7, v13
	v_cmp_eq_u16_e32 vcc, 0, v6
	v_cndmask_b32_e32 v3, v3, v13, vcc
	v_cndmask_b32_e32 v6, v7, v12, vcc
	v_lshlrev_b32_e32 v7, 8, v4
	v_mov_b32_e32 v12, 0x3b800000
	v_lshlrev_b32_e32 v3, 20, v3
	v_and_b32_e32 v7, 0x80000000, v7
	v_lshl_add_u32 v6, v6, 23, v12
	v_or3_b32 v6, v7, v6, v3
.LBB2_11224:
	s_or_b64 exec, exec, s[6:7]
	s_nop 0
	v_mfma_f32_16x16x4f32 a[0:3], v2, v6, a[0:3]
	s_movk_i32 s4, 0x7f
	v_cmp_gt_i16_sdwa s[6:7], v8, s4 src0_sel:BYTE_3 src1_sel:DWORD
	s_mov_b64 s[4:5], 0
                                        ; implicit-def: $sgpr10
	s_and_saveexec_b64 s[8:9], s[6:7]
	s_xor_b64 s[6:7], exec, s[8:9]
	s_cbranch_execz .LBB2_11225
; %bb.47065:
	s_getpc_b64 s[14:15]
.Lpost_getpc27116:
	s_add_u32 s14, s14, (.LBB2_25561-.Lpost_getpc27116)&4294967295
	s_addc_u32 s15, s15, (.LBB2_25561-.Lpost_getpc27116)>>32
	s_setpc_b64 s[14:15]
.LBB2_11225:
	s_or_saveexec_b64 s[6:7], s[6:7]
	v_mov_b32_e32 v2, s10
	s_xor_b64 exec, exec, s[6:7]
	s_cbranch_execz .LBB2_11226
; %bb.47067:
	s_getpc_b64 s[14:15]
.Lpost_getpc27117:
	s_add_u32 s14, s14, (.LBB2_25564-.Lpost_getpc27117)&4294967295
	s_addc_u32 s15, s15, (.LBB2_25564-.Lpost_getpc27117)>>32
	s_setpc_b64 s[14:15]
.LBB2_11226:
	s_or_b64 exec, exec, s[6:7]
	s_and_saveexec_b64 s[6:7], s[4:5]
	s_cbranch_execz .LBB2_11228
.LBB2_11227:
	v_bfe_u32 v2, v8, 24, 3
	v_ffbh_u32_e32 v12, v2
	v_min_u32_e32 v12, 32, v12
	v_lshrrev_b32_e32 v6, 27, v8
	v_subrev_u32_e32 v13, 28, v12
	v_and_b32_e32 v3, 0x80000000, v8
	v_and_b32_e32 v6, 15, v6
	v_bfe_u32 v7, v8, 27, 4
	v_lshlrev_b32_sdwa v8, v13, v8 dst_sel:DWORD dst_unused:UNUSED_PAD src0_sel:DWORD src1_sel:BYTE_3
	v_sub_u32_e32 v12, 29, v12
	v_and_b32_e32 v8, 7, v8
	v_cmp_eq_u16_e32 vcc, 0, v6
	v_cndmask_b32_e32 v2, v2, v8, vcc
	v_cndmask_b32_e32 v6, v7, v12, vcc
	v_mov_b32_e32 v7, 0x3b800000
	v_lshlrev_b32_e32 v2, 20, v2
	v_lshl_add_u32 v6, v6, 23, v7
	v_or3_b32 v2, v3, v6, v2
.LBB2_11228:
	s_or_b64 exec, exec, s[6:7]
	s_movk_i32 s4, 0x7f
	v_cmp_gt_i16_sdwa s[6:7], v4, s4 src0_sel:BYTE_3 src1_sel:DWORD
	s_mov_b64 s[4:5], 0
                                        ; implicit-def: $sgpr10
	s_and_saveexec_b64 s[8:9], s[6:7]
	s_xor_b64 s[6:7], exec, s[8:9]
	s_cbranch_execz .LBB2_11229
; %bb.47069:
	s_getpc_b64 s[14:15]
.Lpost_getpc27118:
	s_add_u32 s14, s14, (.LBB2_25565-.Lpost_getpc27118)&4294967295
	s_addc_u32 s15, s15, (.LBB2_25565-.Lpost_getpc27118)>>32
	s_setpc_b64 s[14:15]
.LBB2_11229:
	s_or_saveexec_b64 s[6:7], s[6:7]
	v_mov_b32_e32 v3, s10
	s_xor_b64 exec, exec, s[6:7]
	s_cbranch_execz .LBB2_11230
; %bb.47071:
	s_getpc_b64 s[14:15]
.Lpost_getpc27119:
	s_add_u32 s14, s14, (.LBB2_25568-.Lpost_getpc27119)&4294967295
	s_addc_u32 s15, s15, (.LBB2_25568-.Lpost_getpc27119)>>32
	s_setpc_b64 s[14:15]
.LBB2_11230:
	s_or_b64 exec, exec, s[6:7]
	s_and_saveexec_b64 s[6:7], s[4:5]
	s_cbranch_execz .LBB2_11232
.LBB2_11231:
	v_bfe_u32 v3, v4, 24, 3
	v_ffbh_u32_e32 v12, v3
	v_min_u32_e32 v12, 32, v12
	v_lshrrev_b32_e32 v7, 27, v4
	v_subrev_u32_e32 v13, 28, v12
	v_and_b32_e32 v6, 0x80000000, v4
	v_and_b32_e32 v7, 15, v7
	v_bfe_u32 v8, v4, 27, 4
	v_lshlrev_b32_sdwa v4, v13, v4 dst_sel:DWORD dst_unused:UNUSED_PAD src0_sel:DWORD src1_sel:BYTE_3
	v_sub_u32_e32 v12, 29, v12
	v_and_b32_e32 v4, 7, v4
	v_cmp_eq_u16_e32 vcc, 0, v7
	v_cndmask_b32_e32 v3, v3, v4, vcc
	v_cndmask_b32_e32 v4, v8, v12, vcc
	v_mov_b32_e32 v7, 0x3b800000
	v_lshlrev_b32_e32 v3, 20, v3
	v_lshl_add_u32 v4, v4, 23, v7
	v_or3_b32 v3, v6, v4, v3
.LBB2_11232:
	s_or_b64 exec, exec, s[6:7]
	s_nop 0
	v_mfma_f32_16x16x4f32 a[0:3], v2, v3, a[0:3]
	s_movk_i32 s4, 0x7f
	v_cmp_gt_i16_sdwa s[6:7], v9, s4 src0_sel:BYTE_0 src1_sel:DWORD
	s_mov_b64 s[4:5], 0
                                        ; implicit-def: $sgpr10
	s_and_saveexec_b64 s[8:9], s[6:7]
	s_xor_b64 s[6:7], exec, s[8:9]
	s_cbranch_execz .LBB2_11233
; %bb.47073:
	s_getpc_b64 s[14:15]
.Lpost_getpc27120:
	s_add_u32 s14, s14, (.LBB2_25569-.Lpost_getpc27120)&4294967295
	s_addc_u32 s15, s15, (.LBB2_25569-.Lpost_getpc27120)>>32
	s_setpc_b64 s[14:15]
.LBB2_11233:
	s_or_saveexec_b64 s[6:7], s[6:7]
	v_mov_b32_e32 v2, s10
	s_xor_b64 exec, exec, s[6:7]
	s_cbranch_execz .LBB2_11234
; %bb.47075:
	s_getpc_b64 s[14:15]
.Lpost_getpc27121:
	s_add_u32 s14, s14, (.LBB2_25572-.Lpost_getpc27121)&4294967295
	s_addc_u32 s15, s15, (.LBB2_25572-.Lpost_getpc27121)>>32
	s_setpc_b64 s[14:15]
.LBB2_11234:
	s_or_b64 exec, exec, s[6:7]
	s_and_saveexec_b64 s[6:7], s[4:5]
	s_cbranch_execz .LBB2_11236
.LBB2_11235:
	v_mov_b32_e32 v2, 8
	v_and_b32_e32 v3, 7, v9
	v_lshrrev_b32_sdwa v2, v2, v9 dst_sel:BYTE_1 dst_unused:UNUSED_PAD src0_sel:DWORD src1_sel:DWORD
	v_ffbh_u32_e32 v4, v3
	v_or_b32_sdwa v2, v9, v2 dst_sel:DWORD dst_unused:UNUSED_PAD src0_sel:BYTE_0 src1_sel:DWORD
	v_min_u32_e32 v4, 32, v4
	v_lshrrev_b16_e32 v2, 3, v2
	v_subrev_u32_e32 v6, 28, v4
	v_and_b32_e32 v2, 15, v2
	v_lshlrev_b32_e32 v6, v6, v9
	v_sub_u32_e32 v4, 29, v4
	v_and_b32_e32 v6, 7, v6
	v_cmp_eq_u16_e32 vcc, 0, v2
	v_cndmask_b32_e32 v3, v3, v6, vcc
	v_cndmask_b32_e32 v2, v2, v4, vcc
	v_lshlrev_b32_e32 v4, 24, v9
	v_mov_b32_e32 v6, 0x3b800000
	v_lshlrev_b32_e32 v3, 20, v3
	v_and_b32_e32 v4, 0x80000000, v4
	v_lshl_add_u32 v2, v2, 23, v6
	v_or3_b32 v2, v4, v2, v3
.LBB2_11236:
	s_or_b64 exec, exec, s[6:7]
	s_movk_i32 s4, 0x7f
	v_cmp_gt_i16_sdwa s[6:7], v5, s4 src0_sel:BYTE_0 src1_sel:DWORD
	s_mov_b64 s[4:5], 0
                                        ; implicit-def: $sgpr10
	s_and_saveexec_b64 s[8:9], s[6:7]
	s_xor_b64 s[6:7], exec, s[8:9]
	s_cbranch_execz .LBB2_11237
; %bb.47077:
	s_getpc_b64 s[14:15]
.Lpost_getpc27122:
	s_add_u32 s14, s14, (.LBB2_25573-.Lpost_getpc27122)&4294967295
	s_addc_u32 s15, s15, (.LBB2_25573-.Lpost_getpc27122)>>32
	s_setpc_b64 s[14:15]
.LBB2_11237:
	s_or_saveexec_b64 s[6:7], s[6:7]
	v_mov_b32_e32 v3, s10
	s_xor_b64 exec, exec, s[6:7]
	s_cbranch_execz .LBB2_11238
; %bb.47079:
	s_getpc_b64 s[14:15]
.Lpost_getpc27123:
	s_add_u32 s14, s14, (.LBB2_25576-.Lpost_getpc27123)&4294967295
	s_addc_u32 s15, s15, (.LBB2_25576-.Lpost_getpc27123)>>32
	s_setpc_b64 s[14:15]
.LBB2_11238:
	s_or_b64 exec, exec, s[6:7]
	s_and_saveexec_b64 s[6:7], s[4:5]
	s_cbranch_execz .LBB2_11240
.LBB2_11239:
	v_mov_b32_e32 v3, 8
	v_and_b32_e32 v4, 7, v5
	v_lshrrev_b32_sdwa v3, v3, v5 dst_sel:BYTE_1 dst_unused:UNUSED_PAD src0_sel:DWORD src1_sel:DWORD
	v_ffbh_u32_e32 v6, v4
	v_or_b32_sdwa v3, v5, v3 dst_sel:DWORD dst_unused:UNUSED_PAD src0_sel:BYTE_0 src1_sel:DWORD
	v_min_u32_e32 v6, 32, v6
	v_lshrrev_b16_e32 v3, 3, v3
	v_subrev_u32_e32 v7, 28, v6
	v_and_b32_e32 v3, 15, v3
	v_lshlrev_b32_e32 v7, v7, v5
	v_sub_u32_e32 v6, 29, v6
	v_and_b32_e32 v7, 7, v7
	v_cmp_eq_u16_e32 vcc, 0, v3
	v_cndmask_b32_e32 v4, v4, v7, vcc
	v_cndmask_b32_e32 v3, v3, v6, vcc
	v_lshlrev_b32_e32 v6, 24, v5
	v_mov_b32_e32 v7, 0x3b800000
	v_lshlrev_b32_e32 v4, 20, v4
	v_and_b32_e32 v6, 0x80000000, v6
	v_lshl_add_u32 v3, v3, 23, v7
	v_or3_b32 v3, v6, v3, v4
.LBB2_11240:
	s_or_b64 exec, exec, s[6:7]
	s_nop 0
	v_mfma_f32_16x16x4f32 a[0:3], v2, v3, a[0:3]
	v_lshrrev_b32_e32 v3, 8, v9
	s_movk_i32 s4, 0x7f
	v_cmp_gt_i16_sdwa s[6:7], v3, s4 src0_sel:BYTE_0 src1_sel:DWORD
	s_mov_b64 s[4:5], 0
                                        ; implicit-def: $sgpr10
	s_and_saveexec_b64 s[8:9], s[6:7]
	s_xor_b64 s[6:7], exec, s[8:9]
	s_cbranch_execz .LBB2_11241
; %bb.47081:
	s_getpc_b64 s[14:15]
.Lpost_getpc27124:
	s_add_u32 s14, s14, (.LBB2_25577-.Lpost_getpc27124)&4294967295
	s_addc_u32 s15, s15, (.LBB2_25577-.Lpost_getpc27124)>>32
	s_setpc_b64 s[14:15]
.LBB2_11241:
	s_or_saveexec_b64 s[6:7], s[6:7]
	v_mov_b32_e32 v2, s10
	s_xor_b64 exec, exec, s[6:7]
	s_cbranch_execz .LBB2_11242
; %bb.47083:
	s_getpc_b64 s[14:15]
.Lpost_getpc27125:
	s_add_u32 s14, s14, (.LBB2_25580-.Lpost_getpc27125)&4294967295
	s_addc_u32 s15, s15, (.LBB2_25580-.Lpost_getpc27125)>>32
	s_setpc_b64 s[14:15]
.LBB2_11242:
	s_or_b64 exec, exec, s[6:7]
	s_and_saveexec_b64 s[6:7], s[4:5]
	s_cbranch_execz .LBB2_11244
.LBB2_11243:
	v_bfe_u32 v2, v9, 8, 3
	v_ffbh_u32_e32 v6, v2
	v_min_u32_e32 v6, 32, v6
	v_lshrrev_b16_e32 v4, 3, v3
	v_subrev_u32_e32 v7, 28, v6
	v_and_b32_e32 v4, 15, v4
	v_lshlrev_b32_e32 v3, v7, v3
	v_sub_u32_e32 v6, 29, v6
	v_and_b32_e32 v3, 7, v3
	v_cmp_eq_u16_e32 vcc, 0, v4
	v_cndmask_b32_e32 v2, v2, v3, vcc
	v_cndmask_b32_e32 v3, v4, v6, vcc
	v_lshlrev_b32_e32 v4, 16, v9
	v_mov_b32_e32 v6, 0x3b800000
	v_lshlrev_b32_e32 v2, 20, v2
	v_and_b32_e32 v4, 0x80000000, v4
	v_lshl_add_u32 v3, v3, 23, v6
	v_or3_b32 v2, v4, v3, v2
.LBB2_11244:
	s_or_b64 exec, exec, s[6:7]
	v_lshrrev_b32_e32 v3, 8, v5
	s_movk_i32 s4, 0x7f
	v_cmp_gt_i16_sdwa s[6:7], v3, s4 src0_sel:BYTE_0 src1_sel:DWORD
	s_mov_b64 s[4:5], 0
                                        ; implicit-def: $sgpr10
	s_and_saveexec_b64 s[8:9], s[6:7]
	s_xor_b64 s[6:7], exec, s[8:9]
	s_cbranch_execz .LBB2_11245
; %bb.47085:
	s_getpc_b64 s[14:15]
.Lpost_getpc27126:
	s_add_u32 s14, s14, (.LBB2_25581-.Lpost_getpc27126)&4294967295
	s_addc_u32 s15, s15, (.LBB2_25581-.Lpost_getpc27126)>>32
	s_setpc_b64 s[14:15]
.LBB2_11245:
	s_or_saveexec_b64 s[6:7], s[6:7]
	v_mov_b32_e32 v4, s10
	s_xor_b64 exec, exec, s[6:7]
	s_cbranch_execz .LBB2_11246
; %bb.47087:
	s_getpc_b64 s[14:15]
.Lpost_getpc27127:
	s_add_u32 s14, s14, (.LBB2_25584-.Lpost_getpc27127)&4294967295
	s_addc_u32 s15, s15, (.LBB2_25584-.Lpost_getpc27127)>>32
	s_setpc_b64 s[14:15]
.LBB2_11246:
	s_or_b64 exec, exec, s[6:7]
	s_and_saveexec_b64 s[6:7], s[4:5]
	s_cbranch_execz .LBB2_11248
.LBB2_11247:
	v_bfe_u32 v4, v5, 8, 3
	v_ffbh_u32_e32 v7, v4
	v_min_u32_e32 v7, 32, v7
	v_lshrrev_b16_e32 v6, 3, v3
	v_subrev_u32_e32 v8, 28, v7
	v_and_b32_e32 v6, 15, v6
	v_lshlrev_b32_e32 v3, v8, v3
	v_sub_u32_e32 v7, 29, v7
	v_and_b32_e32 v3, 7, v3
	v_cmp_eq_u16_e32 vcc, 0, v6
	v_cndmask_b32_e32 v3, v4, v3, vcc
	v_cndmask_b32_e32 v4, v6, v7, vcc
	v_lshlrev_b32_e32 v6, 16, v5
	v_mov_b32_e32 v7, 0x3b800000
	v_lshlrev_b32_e32 v3, 20, v3
	v_and_b32_e32 v6, 0x80000000, v6
	v_lshl_add_u32 v4, v4, 23, v7
	v_or3_b32 v4, v6, v4, v3
.LBB2_11248:
	s_or_b64 exec, exec, s[6:7]
	s_nop 0
	v_mfma_f32_16x16x4f32 a[0:3], v2, v4, a[0:3]
	s_movk_i32 s4, 0xff
	v_and_b32_sdwa v3, v9, s4 dst_sel:DWORD dst_unused:UNUSED_PAD src0_sel:WORD_1 src1_sel:DWORD
	s_movk_i32 s4, 0x7f
	v_cmp_lt_i16_e32 vcc, s4, v3
	s_mov_b64 s[4:5], 0
                                        ; implicit-def: $sgpr10
	s_and_saveexec_b64 s[6:7], vcc
	s_xor_b64 s[6:7], exec, s[6:7]
	s_cbranch_execz .LBB2_11249
; %bb.47089:
	s_getpc_b64 s[14:15]
.Lpost_getpc27128:
	s_add_u32 s14, s14, (.LBB2_25585-.Lpost_getpc27128)&4294967295
	s_addc_u32 s15, s15, (.LBB2_25585-.Lpost_getpc27128)>>32
	s_setpc_b64 s[14:15]
.LBB2_11249:
	s_or_saveexec_b64 s[6:7], s[6:7]
	v_mov_b32_e32 v2, s10
	s_xor_b64 exec, exec, s[6:7]
	s_cbranch_execz .LBB2_11250
; %bb.47091:
	s_getpc_b64 s[14:15]
.Lpost_getpc27129:
	s_add_u32 s14, s14, (.LBB2_25588-.Lpost_getpc27129)&4294967295
	s_addc_u32 s15, s15, (.LBB2_25588-.Lpost_getpc27129)>>32
	s_setpc_b64 s[14:15]
.LBB2_11250:
	s_or_b64 exec, exec, s[6:7]
	s_and_saveexec_b64 s[6:7], s[4:5]
	s_cbranch_execz .LBB2_11252
.LBB2_11251:
	v_bfe_u32 v2, v9, 16, 3
	v_ffbh_u32_e32 v6, v2
	v_min_u32_e32 v6, 32, v6
	v_lshrrev_b32_e32 v3, 19, v9
	v_subrev_u32_e32 v7, 28, v6
	v_and_b32_e32 v3, 15, v3
	v_lshlrev_b32_sdwa v7, v7, v9 dst_sel:DWORD dst_unused:UNUSED_PAD src0_sel:DWORD src1_sel:WORD_1
	v_bfe_u32 v4, v9, 19, 4
	v_sub_u32_e32 v6, 29, v6
	v_and_b32_e32 v7, 7, v7
	v_cmp_eq_u16_e32 vcc, 0, v3
	v_cndmask_b32_e32 v2, v2, v7, vcc
	v_cndmask_b32_e32 v3, v4, v6, vcc
	v_lshlrev_b32_e32 v4, 8, v9
	v_mov_b32_e32 v6, 0x3b800000
	v_lshlrev_b32_e32 v2, 20, v2
	v_and_b32_e32 v4, 0x80000000, v4
	v_lshl_add_u32 v3, v3, 23, v6
	v_or3_b32 v2, v4, v3, v2
.LBB2_11252:
	s_or_b64 exec, exec, s[6:7]
	s_movk_i32 s4, 0xff
	v_and_b32_sdwa v3, v5, s4 dst_sel:DWORD dst_unused:UNUSED_PAD src0_sel:WORD_1 src1_sel:DWORD
	s_movk_i32 s4, 0x7f
	v_cmp_lt_i16_e32 vcc, s4, v3
	s_mov_b64 s[4:5], 0
                                        ; implicit-def: $sgpr10
	s_and_saveexec_b64 s[6:7], vcc
	s_xor_b64 s[6:7], exec, s[6:7]
	s_cbranch_execz .LBB2_11253
; %bb.47093:
	s_getpc_b64 s[14:15]
.Lpost_getpc27130:
	s_add_u32 s14, s14, (.LBB2_25589-.Lpost_getpc27130)&4294967295
	s_addc_u32 s15, s15, (.LBB2_25589-.Lpost_getpc27130)>>32
	s_setpc_b64 s[14:15]
.LBB2_11253:
	s_or_saveexec_b64 s[6:7], s[6:7]
	v_mov_b32_e32 v4, s10
	s_xor_b64 exec, exec, s[6:7]
	s_cbranch_execz .LBB2_11254
; %bb.47095:
	s_getpc_b64 s[14:15]
.Lpost_getpc27131:
	s_add_u32 s14, s14, (.LBB2_25592-.Lpost_getpc27131)&4294967295
	s_addc_u32 s15, s15, (.LBB2_25592-.Lpost_getpc27131)>>32
	s_setpc_b64 s[14:15]
.LBB2_11254:
	s_or_b64 exec, exec, s[6:7]
	s_and_saveexec_b64 s[6:7], s[4:5]
	s_cbranch_execz .LBB2_11256
.LBB2_11255:
	v_bfe_u32 v3, v5, 16, 3
	v_ffbh_u32_e32 v7, v3
	v_min_u32_e32 v7, 32, v7
	v_lshrrev_b32_e32 v4, 19, v5
	v_subrev_u32_e32 v8, 28, v7
	v_and_b32_e32 v4, 15, v4
	v_lshlrev_b32_sdwa v8, v8, v5 dst_sel:DWORD dst_unused:UNUSED_PAD src0_sel:DWORD src1_sel:WORD_1
	v_bfe_u32 v6, v5, 19, 4
	v_sub_u32_e32 v7, 29, v7
	v_and_b32_e32 v8, 7, v8
	v_cmp_eq_u16_e32 vcc, 0, v4
	v_cndmask_b32_e32 v3, v3, v8, vcc
	v_cndmask_b32_e32 v4, v6, v7, vcc
	v_lshlrev_b32_e32 v6, 8, v5
	v_mov_b32_e32 v7, 0x3b800000
	v_lshlrev_b32_e32 v3, 20, v3
	v_and_b32_e32 v6, 0x80000000, v6
	v_lshl_add_u32 v4, v4, 23, v7
	v_or3_b32 v4, v6, v4, v3
.LBB2_11256:
	s_or_b64 exec, exec, s[6:7]
	s_nop 0
	v_mfma_f32_16x16x4f32 a[0:3], v2, v4, a[0:3]
	s_movk_i32 s4, 0x7f
	v_cmp_gt_i16_sdwa s[6:7], v9, s4 src0_sel:BYTE_3 src1_sel:DWORD
	s_mov_b64 s[4:5], 0
                                        ; implicit-def: $sgpr10
	s_and_saveexec_b64 s[8:9], s[6:7]
	s_xor_b64 s[6:7], exec, s[8:9]
	s_cbranch_execz .LBB2_11257
; %bb.47097:
	s_getpc_b64 s[14:15]
.Lpost_getpc27132:
	s_add_u32 s14, s14, (.LBB2_25593-.Lpost_getpc27132)&4294967295
	s_addc_u32 s15, s15, (.LBB2_25593-.Lpost_getpc27132)>>32
	s_setpc_b64 s[14:15]
.LBB2_11257:
	s_or_saveexec_b64 s[6:7], s[6:7]
	v_mov_b32_e32 v2, s10
	s_xor_b64 exec, exec, s[6:7]
	s_cbranch_execz .LBB2_11258
; %bb.47099:
	s_getpc_b64 s[14:15]
.Lpost_getpc27133:
	s_add_u32 s14, s14, (.LBB2_25596-.Lpost_getpc27133)&4294967295
	s_addc_u32 s15, s15, (.LBB2_25596-.Lpost_getpc27133)>>32
	s_setpc_b64 s[14:15]
.LBB2_11258:
	s_or_b64 exec, exec, s[6:7]
	s_and_saveexec_b64 s[6:7], s[4:5]
	s_cbranch_execz .LBB2_11260
.LBB2_11259:
	v_bfe_u32 v2, v9, 24, 3
	v_ffbh_u32_e32 v7, v2
	v_min_u32_e32 v7, 32, v7
	v_lshrrev_b32_e32 v4, 27, v9
	v_subrev_u32_e32 v8, 28, v7
	v_and_b32_e32 v4, 15, v4
	v_lshlrev_b32_sdwa v8, v8, v9 dst_sel:DWORD dst_unused:UNUSED_PAD src0_sel:DWORD src1_sel:BYTE_3
	v_bfe_u32 v6, v9, 27, 4
	v_sub_u32_e32 v7, 29, v7
	v_and_b32_e32 v8, 7, v8
	v_cmp_eq_u16_e32 vcc, 0, v4
	v_cndmask_b32_e32 v2, v2, v8, vcc
	v_cndmask_b32_e32 v4, v6, v7, vcc
	v_mov_b32_e32 v6, 0x3b800000
	v_and_b32_e32 v3, 0x80000000, v9
	v_lshlrev_b32_e32 v2, 20, v2
	v_lshl_add_u32 v4, v4, 23, v6
	v_or3_b32 v2, v3, v4, v2
.LBB2_11260:
	s_or_b64 exec, exec, s[6:7]
	s_movk_i32 s4, 0x7f
	v_cmp_gt_i16_sdwa s[6:7], v5, s4 src0_sel:BYTE_3 src1_sel:DWORD
	s_mov_b64 s[4:5], 0
                                        ; implicit-def: $sgpr10
	s_and_saveexec_b64 s[8:9], s[6:7]
	s_xor_b64 s[6:7], exec, s[8:9]
	s_cbranch_execz .LBB2_11261
; %bb.47101:
	s_getpc_b64 s[14:15]
.Lpost_getpc27134:
	s_add_u32 s14, s14, (.LBB2_25597-.Lpost_getpc27134)&4294967295
	s_addc_u32 s15, s15, (.LBB2_25597-.Lpost_getpc27134)>>32
	s_setpc_b64 s[14:15]
.LBB2_11261:
	s_or_saveexec_b64 s[6:7], s[6:7]
	v_mov_b32_e32 v3, s10
	s_xor_b64 exec, exec, s[6:7]
	s_cbranch_execz .LBB2_11262
; %bb.47103:
	s_getpc_b64 s[14:15]
.Lpost_getpc27135:
	s_add_u32 s14, s14, (.LBB2_25600-.Lpost_getpc27135)&4294967295
	s_addc_u32 s15, s15, (.LBB2_25600-.Lpost_getpc27135)>>32
	s_setpc_b64 s[14:15]
.LBB2_11262:
	s_or_b64 exec, exec, s[6:7]
	s_and_saveexec_b64 s[6:7], s[4:5]
	s_cbranch_execz .LBB2_11264
.LBB2_11263:
	v_bfe_u32 v3, v5, 24, 3
	v_ffbh_u32_e32 v8, v3
	v_min_u32_e32 v8, 32, v8
	v_lshrrev_b32_e32 v6, 27, v5
	v_subrev_u32_e32 v9, 28, v8
	v_and_b32_e32 v4, 0x80000000, v5
	v_and_b32_e32 v6, 15, v6
	v_bfe_u32 v7, v5, 27, 4
	v_lshlrev_b32_sdwa v5, v9, v5 dst_sel:DWORD dst_unused:UNUSED_PAD src0_sel:DWORD src1_sel:BYTE_3
	v_sub_u32_e32 v8, 29, v8
	v_and_b32_e32 v5, 7, v5
	v_cmp_eq_u16_e32 vcc, 0, v6
	v_cndmask_b32_e32 v3, v3, v5, vcc
	v_cndmask_b32_e32 v5, v7, v8, vcc
	v_mov_b32_e32 v6, 0x3b800000
	v_lshlrev_b32_e32 v3, 20, v3
	v_lshl_add_u32 v5, v5, 23, v6
	v_or3_b32 v3, v4, v5, v3
.LBB2_11264:
	s_or_b64 exec, exec, s[6:7]
	s_nop 0
	v_mfma_f32_16x16x4f32 a[0:3], v2, v3, a[0:3]
	s_movk_i32 s4, 0x7f
                                        ; implicit-def: $sgpr10
	s_nop 7
	s_nop 1
	flat_store_dwordx4 v[10:11], a[0:3] offset:496
	flat_load_dwordx4 v[12:15], v[0:1]
	s_nop 0
	flat_load_dwordx2 v[10:11], v[0:1] offset:16
	s_waitcnt vmcnt(0) lgkmcnt(0)
	flat_load_dwordx4 v[6:9], v[12:13] offset:176
	flat_load_dwordx4 v[2:5], v[14:15] offset:128
	s_waitcnt vmcnt(0) lgkmcnt(0)
	v_cmp_gt_i16_sdwa s[6:7], v6, s4 src0_sel:BYTE_0 src1_sel:DWORD
	s_mov_b64 s[4:5], 0
	s_and_saveexec_b64 s[8:9], s[6:7]
	s_xor_b64 s[6:7], exec, s[8:9]
	s_cbranch_execz .LBB2_11265
; %bb.47105:
	s_getpc_b64 s[14:15]
.Lpost_getpc27136:
	s_add_u32 s14, s14, (.LBB2_25601-.Lpost_getpc27136)&4294967295
	s_addc_u32 s15, s15, (.LBB2_25601-.Lpost_getpc27136)>>32
	s_setpc_b64 s[14:15]
.LBB2_11265:
	s_or_saveexec_b64 s[6:7], s[6:7]
	v_mov_b32_e32 v12, s10
	s_xor_b64 exec, exec, s[6:7]
	s_cbranch_execz .LBB2_11266
; %bb.47107:
	s_getpc_b64 s[14:15]
.Lpost_getpc27137:
	s_add_u32 s14, s14, (.LBB2_25604-.Lpost_getpc27137)&4294967295
	s_addc_u32 s15, s15, (.LBB2_25604-.Lpost_getpc27137)>>32
	s_setpc_b64 s[14:15]
.LBB2_11266:
	s_or_b64 exec, exec, s[6:7]
	s_and_saveexec_b64 s[6:7], s[4:5]
	s_cbranch_execz .LBB2_11268
.LBB2_11267:
	v_and_b32_e32 v12, 7, v6
	v_ffbh_u32_e32 v14, v12
	v_min_u32_e32 v14, 32, v14
	v_lshrrev_b16_e32 v13, 3, v6
	v_subrev_u32_e32 v15, 28, v14
	v_and_b32_e32 v13, 15, v13
	v_lshlrev_b32_e32 v15, v15, v6
	v_sub_u32_e32 v14, 29, v14
	v_and_b32_e32 v15, 7, v15
	v_cmp_eq_u16_e32 vcc, 0, v13
	v_cndmask_b32_e32 v12, v12, v15, vcc
	v_cndmask_b32_e32 v13, v13, v14, vcc
	v_lshlrev_b32_e32 v14, 24, v6
	v_mov_b32_e32 v15, 0x3b800000
	v_lshlrev_b32_e32 v12, 20, v12
	v_and_b32_e32 v14, 0x80000000, v14
	v_lshl_add_u32 v13, v13, 23, v15
	v_or3_b32 v12, v14, v13, v12
.LBB2_11268:
	s_or_b64 exec, exec, s[6:7]
	s_movk_i32 s4, 0x7f
	v_cmp_gt_i16_sdwa s[6:7], v2, s4 src0_sel:BYTE_0 src1_sel:DWORD
	s_mov_b64 s[4:5], 0
                                        ; implicit-def: $sgpr10
	s_and_saveexec_b64 s[8:9], s[6:7]
	s_xor_b64 s[6:7], exec, s[8:9]
	s_cbranch_execz .LBB2_11269
; %bb.47109:
	s_getpc_b64 s[14:15]
.Lpost_getpc27138:
	s_add_u32 s14, s14, (.LBB2_25605-.Lpost_getpc27138)&4294967295
	s_addc_u32 s15, s15, (.LBB2_25605-.Lpost_getpc27138)>>32
	s_setpc_b64 s[14:15]
.LBB2_11269:
	s_or_saveexec_b64 s[6:7], s[6:7]
	v_mov_b32_e32 v13, s10
	s_xor_b64 exec, exec, s[6:7]
	s_cbranch_execz .LBB2_11270
; %bb.47111:
	s_getpc_b64 s[14:15]
.Lpost_getpc27139:
	s_add_u32 s14, s14, (.LBB2_25608-.Lpost_getpc27139)&4294967295
	s_addc_u32 s15, s15, (.LBB2_25608-.Lpost_getpc27139)>>32
	s_setpc_b64 s[14:15]
.LBB2_11270:
	s_or_b64 exec, exec, s[6:7]
	s_and_saveexec_b64 s[6:7], s[4:5]
	s_cbranch_execz .LBB2_11272
.LBB2_11271:
	v_and_b32_e32 v13, 7, v2
	v_ffbh_u32_e32 v15, v13
	v_min_u32_e32 v15, 32, v15
	v_lshrrev_b16_e32 v14, 3, v2
	v_subrev_u32_e32 v16, 28, v15
	v_and_b32_e32 v14, 15, v14
	v_lshlrev_b32_e32 v16, v16, v2
	v_sub_u32_e32 v15, 29, v15
	v_and_b32_e32 v16, 7, v16
	v_cmp_eq_u16_e32 vcc, 0, v14
	v_cndmask_b32_e32 v13, v13, v16, vcc
	v_cndmask_b32_e32 v14, v14, v15, vcc
	v_lshlrev_b32_e32 v15, 24, v2
	v_mov_b32_e32 v16, 0x3b800000
	v_lshlrev_b32_e32 v13, 20, v13
	v_and_b32_e32 v15, 0x80000000, v15
	v_lshl_add_u32 v14, v14, 23, v16
	v_or3_b32 v13, v15, v14, v13
.LBB2_11272:
	s_or_b64 exec, exec, s[6:7]
	flat_load_dwordx4 a[0:3], v[10:11] offset:512
	s_movk_i32 s4, 0x7f
                                        ; implicit-def: $sgpr10
	s_waitcnt vmcnt(0) lgkmcnt(0)
	v_mfma_f32_16x16x4f32 a[0:3], v12, v13, a[0:3]
	v_lshrrev_b32_e32 v13, 8, v6
	v_cmp_gt_i16_sdwa s[6:7], v13, s4 src0_sel:BYTE_0 src1_sel:DWORD
	s_mov_b64 s[4:5], 0
	s_and_saveexec_b64 s[8:9], s[6:7]
	s_xor_b64 s[6:7], exec, s[8:9]
	s_cbranch_execz .LBB2_11273
; %bb.47113:
	s_getpc_b64 s[14:15]
.Lpost_getpc27140:
	s_add_u32 s14, s14, (.LBB2_25609-.Lpost_getpc27140)&4294967295
	s_addc_u32 s15, s15, (.LBB2_25609-.Lpost_getpc27140)>>32
	s_setpc_b64 s[14:15]
.LBB2_11273:
	s_or_saveexec_b64 s[6:7], s[6:7]
	v_mov_b32_e32 v12, s10
	s_xor_b64 exec, exec, s[6:7]
	s_cbranch_execz .LBB2_11274
; %bb.47115:
	s_getpc_b64 s[14:15]
.Lpost_getpc27141:
	s_add_u32 s14, s14, (.LBB2_25612-.Lpost_getpc27141)&4294967295
	s_addc_u32 s15, s15, (.LBB2_25612-.Lpost_getpc27141)>>32
	s_setpc_b64 s[14:15]
.LBB2_11274:
	s_or_b64 exec, exec, s[6:7]
	s_and_saveexec_b64 s[6:7], s[4:5]
	s_cbranch_execz .LBB2_11276
.LBB2_11275:
	v_bfe_u32 v12, v6, 8, 3
	v_ffbh_u32_e32 v15, v12
	v_min_u32_e32 v15, 32, v15
	v_lshrrev_b16_e32 v14, 3, v13
	v_subrev_u32_e32 v16, 28, v15
	v_and_b32_e32 v14, 15, v14
	v_lshlrev_b32_e32 v13, v16, v13
	v_sub_u32_e32 v15, 29, v15
	v_and_b32_e32 v13, 7, v13
	v_cmp_eq_u16_e32 vcc, 0, v14
	v_cndmask_b32_e32 v12, v12, v13, vcc
	v_cndmask_b32_e32 v13, v14, v15, vcc
	v_lshlrev_b32_e32 v14, 16, v6
	v_mov_b32_e32 v15, 0x3b800000
	v_lshlrev_b32_e32 v12, 20, v12
	v_and_b32_e32 v14, 0x80000000, v14
	v_lshl_add_u32 v13, v13, 23, v15
	v_or3_b32 v12, v14, v13, v12
.LBB2_11276:
	s_or_b64 exec, exec, s[6:7]
	v_lshrrev_b32_e32 v13, 8, v2
	s_movk_i32 s4, 0x7f
	v_cmp_gt_i16_sdwa s[6:7], v13, s4 src0_sel:BYTE_0 src1_sel:DWORD
	s_mov_b64 s[4:5], 0
                                        ; implicit-def: $sgpr10
	s_and_saveexec_b64 s[8:9], s[6:7]
	s_xor_b64 s[6:7], exec, s[8:9]
	s_cbranch_execz .LBB2_11277
; %bb.47117:
	s_getpc_b64 s[14:15]
.Lpost_getpc27142:
	s_add_u32 s14, s14, (.LBB2_25613-.Lpost_getpc27142)&4294967295
	s_addc_u32 s15, s15, (.LBB2_25613-.Lpost_getpc27142)>>32
	s_setpc_b64 s[14:15]
.LBB2_11277:
	s_or_saveexec_b64 s[6:7], s[6:7]
	v_mov_b32_e32 v14, s10
	s_xor_b64 exec, exec, s[6:7]
	s_cbranch_execz .LBB2_11278
; %bb.47119:
	s_getpc_b64 s[14:15]
.Lpost_getpc27143:
	s_add_u32 s14, s14, (.LBB2_25616-.Lpost_getpc27143)&4294967295
	s_addc_u32 s15, s15, (.LBB2_25616-.Lpost_getpc27143)>>32
	s_setpc_b64 s[14:15]
.LBB2_11278:
	s_or_b64 exec, exec, s[6:7]
	s_and_saveexec_b64 s[6:7], s[4:5]
	s_cbranch_execz .LBB2_11280
.LBB2_11279:
	v_bfe_u32 v14, v2, 8, 3
	v_ffbh_u32_e32 v16, v14
	v_min_u32_e32 v16, 32, v16
	v_lshrrev_b16_e32 v15, 3, v13
	v_subrev_u32_e32 v17, 28, v16
	v_and_b32_e32 v15, 15, v15
	v_lshlrev_b32_e32 v13, v17, v13
	v_sub_u32_e32 v16, 29, v16
	v_and_b32_e32 v13, 7, v13
	v_cmp_eq_u16_e32 vcc, 0, v15
	v_cndmask_b32_e32 v13, v14, v13, vcc
	v_cndmask_b32_e32 v14, v15, v16, vcc
	v_lshlrev_b32_e32 v15, 16, v2
	v_mov_b32_e32 v16, 0x3b800000
	v_lshlrev_b32_e32 v13, 20, v13
	v_and_b32_e32 v15, 0x80000000, v15
	v_lshl_add_u32 v14, v14, 23, v16
	v_or3_b32 v14, v15, v14, v13
.LBB2_11280:
	s_or_b64 exec, exec, s[6:7]
	s_nop 0
	v_mfma_f32_16x16x4f32 a[0:3], v12, v14, a[0:3]
	s_movk_i32 s4, 0xff
	v_and_b32_sdwa v13, v6, s4 dst_sel:DWORD dst_unused:UNUSED_PAD src0_sel:WORD_1 src1_sel:DWORD
	s_movk_i32 s4, 0x7f
	v_cmp_lt_i16_e32 vcc, s4, v13
	s_mov_b64 s[4:5], 0
                                        ; implicit-def: $sgpr10
	s_and_saveexec_b64 s[6:7], vcc
	s_xor_b64 s[6:7], exec, s[6:7]
	s_cbranch_execz .LBB2_11281
; %bb.47121:
	s_getpc_b64 s[14:15]
.Lpost_getpc27144:
	s_add_u32 s14, s14, (.LBB2_25617-.Lpost_getpc27144)&4294967295
	s_addc_u32 s15, s15, (.LBB2_25617-.Lpost_getpc27144)>>32
	s_setpc_b64 s[14:15]
.LBB2_11281:
	s_or_saveexec_b64 s[6:7], s[6:7]
	v_mov_b32_e32 v12, s10
	s_xor_b64 exec, exec, s[6:7]
	s_cbranch_execz .LBB2_11282
; %bb.47123:
	s_getpc_b64 s[14:15]
.Lpost_getpc27145:
	s_add_u32 s14, s14, (.LBB2_25620-.Lpost_getpc27145)&4294967295
	s_addc_u32 s15, s15, (.LBB2_25620-.Lpost_getpc27145)>>32
	s_setpc_b64 s[14:15]
.LBB2_11282:
	s_or_b64 exec, exec, s[6:7]
	s_and_saveexec_b64 s[6:7], s[4:5]
	s_cbranch_execz .LBB2_11284
.LBB2_11283:
	v_bfe_u32 v12, v6, 16, 3
	v_ffbh_u32_e32 v15, v12
	v_min_u32_e32 v15, 32, v15
	v_lshrrev_b32_e32 v13, 19, v6
	v_subrev_u32_e32 v16, 28, v15
	v_and_b32_e32 v13, 15, v13
	v_lshlrev_b32_sdwa v16, v16, v6 dst_sel:DWORD dst_unused:UNUSED_PAD src0_sel:DWORD src1_sel:WORD_1
	v_bfe_u32 v14, v6, 19, 4
	v_sub_u32_e32 v15, 29, v15
	v_and_b32_e32 v16, 7, v16
	v_cmp_eq_u16_e32 vcc, 0, v13
	v_cndmask_b32_e32 v12, v12, v16, vcc
	v_cndmask_b32_e32 v13, v14, v15, vcc
	v_lshlrev_b32_e32 v14, 8, v6
	v_mov_b32_e32 v15, 0x3b800000
	v_lshlrev_b32_e32 v12, 20, v12
	v_and_b32_e32 v14, 0x80000000, v14
	v_lshl_add_u32 v13, v13, 23, v15
	v_or3_b32 v12, v14, v13, v12
.LBB2_11284:
	s_or_b64 exec, exec, s[6:7]
	s_movk_i32 s4, 0xff
	v_and_b32_sdwa v13, v2, s4 dst_sel:DWORD dst_unused:UNUSED_PAD src0_sel:WORD_1 src1_sel:DWORD
	s_movk_i32 s4, 0x7f
	v_cmp_lt_i16_e32 vcc, s4, v13
	s_mov_b64 s[4:5], 0
                                        ; implicit-def: $sgpr10
	s_and_saveexec_b64 s[6:7], vcc
	s_xor_b64 s[6:7], exec, s[6:7]
	s_cbranch_execz .LBB2_11285
; %bb.47125:
	s_getpc_b64 s[14:15]
.Lpost_getpc27146:
	s_add_u32 s14, s14, (.LBB2_25621-.Lpost_getpc27146)&4294967295
	s_addc_u32 s15, s15, (.LBB2_25621-.Lpost_getpc27146)>>32
	s_setpc_b64 s[14:15]
.LBB2_11285:
	s_or_saveexec_b64 s[6:7], s[6:7]
	v_mov_b32_e32 v14, s10
	s_xor_b64 exec, exec, s[6:7]
	s_cbranch_execz .LBB2_11286
; %bb.47127:
	s_getpc_b64 s[14:15]
.Lpost_getpc27147:
	s_add_u32 s14, s14, (.LBB2_25624-.Lpost_getpc27147)&4294967295
	s_addc_u32 s15, s15, (.LBB2_25624-.Lpost_getpc27147)>>32
	s_setpc_b64 s[14:15]
.LBB2_11286:
	s_or_b64 exec, exec, s[6:7]
	s_and_saveexec_b64 s[6:7], s[4:5]
	s_cbranch_execz .LBB2_11288
.LBB2_11287:
	v_bfe_u32 v13, v2, 16, 3
	v_ffbh_u32_e32 v16, v13
	v_min_u32_e32 v16, 32, v16
	v_lshrrev_b32_e32 v14, 19, v2
	v_subrev_u32_e32 v17, 28, v16
	v_and_b32_e32 v14, 15, v14
	v_lshlrev_b32_sdwa v17, v17, v2 dst_sel:DWORD dst_unused:UNUSED_PAD src0_sel:DWORD src1_sel:WORD_1
	v_bfe_u32 v15, v2, 19, 4
	v_sub_u32_e32 v16, 29, v16
	v_and_b32_e32 v17, 7, v17
	v_cmp_eq_u16_e32 vcc, 0, v14
	v_cndmask_b32_e32 v13, v13, v17, vcc
	v_cndmask_b32_e32 v14, v15, v16, vcc
	v_lshlrev_b32_e32 v15, 8, v2
	v_mov_b32_e32 v16, 0x3b800000
	v_lshlrev_b32_e32 v13, 20, v13
	v_and_b32_e32 v15, 0x80000000, v15
	v_lshl_add_u32 v14, v14, 23, v16
	v_or3_b32 v14, v15, v14, v13
.LBB2_11288:
	s_or_b64 exec, exec, s[6:7]
	s_nop 0
	v_mfma_f32_16x16x4f32 a[0:3], v12, v14, a[0:3]
	s_movk_i32 s4, 0x7f
	v_cmp_gt_i16_sdwa s[6:7], v6, s4 src0_sel:BYTE_3 src1_sel:DWORD
	s_mov_b64 s[4:5], 0
                                        ; implicit-def: $sgpr10
	s_and_saveexec_b64 s[8:9], s[6:7]
	s_xor_b64 s[6:7], exec, s[8:9]
	s_cbranch_execz .LBB2_11289
; %bb.47129:
	s_getpc_b64 s[14:15]
.Lpost_getpc27148:
	s_add_u32 s14, s14, (.LBB2_25625-.Lpost_getpc27148)&4294967295
	s_addc_u32 s15, s15, (.LBB2_25625-.Lpost_getpc27148)>>32
	s_setpc_b64 s[14:15]
.LBB2_11289:
	s_or_saveexec_b64 s[6:7], s[6:7]
	v_mov_b32_e32 v12, s10
	s_xor_b64 exec, exec, s[6:7]
	s_cbranch_execz .LBB2_11290
; %bb.47131:
	s_getpc_b64 s[14:15]
.Lpost_getpc27149:
	s_add_u32 s14, s14, (.LBB2_25628-.Lpost_getpc27149)&4294967295
	s_addc_u32 s15, s15, (.LBB2_25628-.Lpost_getpc27149)>>32
	s_setpc_b64 s[14:15]
.LBB2_11290:
	s_or_b64 exec, exec, s[6:7]
	s_and_saveexec_b64 s[6:7], s[4:5]
	s_cbranch_execz .LBB2_11292
.LBB2_11291:
	v_bfe_u32 v12, v6, 24, 3
	v_ffbh_u32_e32 v16, v12
	v_min_u32_e32 v16, 32, v16
	v_lshrrev_b32_e32 v14, 27, v6
	v_subrev_u32_e32 v17, 28, v16
	v_and_b32_e32 v13, 0x80000000, v6
	v_and_b32_e32 v14, 15, v14
	v_bfe_u32 v15, v6, 27, 4
	v_lshlrev_b32_sdwa v6, v17, v6 dst_sel:DWORD dst_unused:UNUSED_PAD src0_sel:DWORD src1_sel:BYTE_3
	v_sub_u32_e32 v16, 29, v16
	v_and_b32_e32 v6, 7, v6
	v_cmp_eq_u16_e32 vcc, 0, v14
	v_cndmask_b32_e32 v6, v12, v6, vcc
	v_cndmask_b32_e32 v12, v15, v16, vcc
	v_mov_b32_e32 v14, 0x3b800000
	v_lshlrev_b32_e32 v6, 20, v6
	v_lshl_add_u32 v12, v12, 23, v14
	v_or3_b32 v12, v13, v12, v6
.LBB2_11292:
	s_or_b64 exec, exec, s[6:7]
	s_movk_i32 s4, 0x7f
	v_cmp_gt_i16_sdwa s[6:7], v2, s4 src0_sel:BYTE_3 src1_sel:DWORD
	s_mov_b64 s[4:5], 0
                                        ; implicit-def: $sgpr10
	s_and_saveexec_b64 s[8:9], s[6:7]
	s_xor_b64 s[6:7], exec, s[8:9]
	s_cbranch_execz .LBB2_11293
; %bb.47133:
	s_getpc_b64 s[14:15]
.Lpost_getpc27150:
	s_add_u32 s14, s14, (.LBB2_25629-.Lpost_getpc27150)&4294967295
	s_addc_u32 s15, s15, (.LBB2_25629-.Lpost_getpc27150)>>32
	s_setpc_b64 s[14:15]
.LBB2_11293:
	s_or_saveexec_b64 s[6:7], s[6:7]
	v_mov_b32_e32 v6, s10
	s_xor_b64 exec, exec, s[6:7]
	s_cbranch_execz .LBB2_11294
; %bb.47135:
	s_getpc_b64 s[14:15]
.Lpost_getpc27151:
	s_add_u32 s14, s14, (.LBB2_25632-.Lpost_getpc27151)&4294967295
	s_addc_u32 s15, s15, (.LBB2_25632-.Lpost_getpc27151)>>32
	s_setpc_b64 s[14:15]
.LBB2_11294:
	s_or_b64 exec, exec, s[6:7]
	s_and_saveexec_b64 s[6:7], s[4:5]
	s_cbranch_execz .LBB2_11296
.LBB2_11295:
	v_bfe_u32 v6, v2, 24, 3
	v_ffbh_u32_e32 v16, v6
	v_min_u32_e32 v16, 32, v16
	v_lshrrev_b32_e32 v14, 27, v2
	v_subrev_u32_e32 v17, 28, v16
	v_and_b32_e32 v13, 0x80000000, v2
	v_and_b32_e32 v14, 15, v14
	v_bfe_u32 v15, v2, 27, 4
	v_lshlrev_b32_sdwa v2, v17, v2 dst_sel:DWORD dst_unused:UNUSED_PAD src0_sel:DWORD src1_sel:BYTE_3
	v_sub_u32_e32 v16, 29, v16
	v_and_b32_e32 v2, 7, v2
	v_cmp_eq_u16_e32 vcc, 0, v14
	v_cndmask_b32_e32 v2, v6, v2, vcc
	v_cndmask_b32_e32 v6, v15, v16, vcc
	v_mov_b32_e32 v14, 0x3b800000
	v_lshlrev_b32_e32 v2, 20, v2
	v_lshl_add_u32 v6, v6, 23, v14
	v_or3_b32 v6, v13, v6, v2
.LBB2_11296:
	s_or_b64 exec, exec, s[6:7]
	s_nop 0
	v_mfma_f32_16x16x4f32 a[0:3], v12, v6, a[0:3]
	s_movk_i32 s4, 0x7f
	v_cmp_gt_i16_sdwa s[6:7], v7, s4 src0_sel:BYTE_0 src1_sel:DWORD
	s_mov_b64 s[4:5], 0
                                        ; implicit-def: $sgpr10
	s_and_saveexec_b64 s[8:9], s[6:7]
	s_xor_b64 s[6:7], exec, s[8:9]
	s_cbranch_execz .LBB2_11297
; %bb.47137:
	s_getpc_b64 s[14:15]
.Lpost_getpc27152:
	s_add_u32 s14, s14, (.LBB2_25633-.Lpost_getpc27152)&4294967295
	s_addc_u32 s15, s15, (.LBB2_25633-.Lpost_getpc27152)>>32
	s_setpc_b64 s[14:15]
.LBB2_11297:
	s_or_saveexec_b64 s[6:7], s[6:7]
	v_mov_b32_e32 v2, s10
	s_xor_b64 exec, exec, s[6:7]
	s_cbranch_execz .LBB2_11298
; %bb.47139:
	s_getpc_b64 s[14:15]
.Lpost_getpc27153:
	s_add_u32 s14, s14, (.LBB2_25636-.Lpost_getpc27153)&4294967295
	s_addc_u32 s15, s15, (.LBB2_25636-.Lpost_getpc27153)>>32
	s_setpc_b64 s[14:15]
.LBB2_11298:
	s_or_b64 exec, exec, s[6:7]
	s_and_saveexec_b64 s[6:7], s[4:5]
	s_cbranch_execz .LBB2_11300
.LBB2_11299:
	v_and_b32_e32 v2, 7, v7
	v_ffbh_u32_e32 v12, v2
	v_min_u32_e32 v12, 32, v12
	v_lshrrev_b16_e32 v6, 3, v7
	v_subrev_u32_e32 v13, 28, v12
	v_and_b32_e32 v6, 15, v6
	v_lshlrev_b32_e32 v13, v13, v7
	v_sub_u32_e32 v12, 29, v12
	v_and_b32_e32 v13, 7, v13
	v_cmp_eq_u16_e32 vcc, 0, v6
	v_cndmask_b32_e32 v2, v2, v13, vcc
	v_cndmask_b32_e32 v6, v6, v12, vcc
	v_lshlrev_b32_e32 v12, 24, v7
	v_mov_b32_e32 v13, 0x3b800000
	v_lshlrev_b32_e32 v2, 20, v2
	v_and_b32_e32 v12, 0x80000000, v12
	v_lshl_add_u32 v6, v6, 23, v13
	v_or3_b32 v2, v12, v6, v2
.LBB2_11300:
	s_or_b64 exec, exec, s[6:7]
	s_movk_i32 s4, 0x7f
	v_cmp_gt_i16_sdwa s[6:7], v3, s4 src0_sel:BYTE_0 src1_sel:DWORD
	s_mov_b64 s[4:5], 0
                                        ; implicit-def: $sgpr10
	s_and_saveexec_b64 s[8:9], s[6:7]
	s_xor_b64 s[6:7], exec, s[8:9]
	s_cbranch_execz .LBB2_11301
; %bb.47141:
	s_getpc_b64 s[14:15]
.Lpost_getpc27154:
	s_add_u32 s14, s14, (.LBB2_25637-.Lpost_getpc27154)&4294967295
	s_addc_u32 s15, s15, (.LBB2_25637-.Lpost_getpc27154)>>32
	s_setpc_b64 s[14:15]
.LBB2_11301:
	s_or_saveexec_b64 s[6:7], s[6:7]
	v_mov_b32_e32 v6, s10
	s_xor_b64 exec, exec, s[6:7]
	s_cbranch_execz .LBB2_11302
; %bb.47143:
	s_getpc_b64 s[14:15]
.Lpost_getpc27155:
	s_add_u32 s14, s14, (.LBB2_25640-.Lpost_getpc27155)&4294967295
	s_addc_u32 s15, s15, (.LBB2_25640-.Lpost_getpc27155)>>32
	s_setpc_b64 s[14:15]
.LBB2_11302:
	s_or_b64 exec, exec, s[6:7]
	s_and_saveexec_b64 s[6:7], s[4:5]
	s_cbranch_execz .LBB2_11304
.LBB2_11303:
	v_and_b32_e32 v6, 7, v3
	v_ffbh_u32_e32 v13, v6
	v_min_u32_e32 v13, 32, v13
	v_lshrrev_b16_e32 v12, 3, v3
	v_subrev_u32_e32 v14, 28, v13
	v_and_b32_e32 v12, 15, v12
	v_lshlrev_b32_e32 v14, v14, v3
	v_sub_u32_e32 v13, 29, v13
	v_and_b32_e32 v14, 7, v14
	v_cmp_eq_u16_e32 vcc, 0, v12
	v_cndmask_b32_e32 v6, v6, v14, vcc
	v_cndmask_b32_e32 v12, v12, v13, vcc
	v_lshlrev_b32_e32 v13, 24, v3
	v_mov_b32_e32 v14, 0x3b800000
	v_lshlrev_b32_e32 v6, 20, v6
	v_and_b32_e32 v13, 0x80000000, v13
	v_lshl_add_u32 v12, v12, 23, v14
	v_or3_b32 v6, v13, v12, v6
.LBB2_11304:
	s_or_b64 exec, exec, s[6:7]
	s_nop 0
	v_mfma_f32_16x16x4f32 a[0:3], v2, v6, a[0:3]
	v_lshrrev_b32_e32 v6, 8, v7
	s_movk_i32 s4, 0x7f
	v_cmp_gt_i16_sdwa s[6:7], v6, s4 src0_sel:BYTE_0 src1_sel:DWORD
	s_mov_b64 s[4:5], 0
                                        ; implicit-def: $sgpr10
	s_and_saveexec_b64 s[8:9], s[6:7]
	s_xor_b64 s[6:7], exec, s[8:9]
	s_cbranch_execz .LBB2_11305
; %bb.47145:
	s_getpc_b64 s[14:15]
.Lpost_getpc27156:
	s_add_u32 s14, s14, (.LBB2_25641-.Lpost_getpc27156)&4294967295
	s_addc_u32 s15, s15, (.LBB2_25641-.Lpost_getpc27156)>>32
	s_setpc_b64 s[14:15]
.LBB2_11305:
	s_or_saveexec_b64 s[6:7], s[6:7]
	v_mov_b32_e32 v2, s10
	s_xor_b64 exec, exec, s[6:7]
	s_cbranch_execz .LBB2_11306
; %bb.47147:
	s_getpc_b64 s[14:15]
.Lpost_getpc27157:
	s_add_u32 s14, s14, (.LBB2_25644-.Lpost_getpc27157)&4294967295
	s_addc_u32 s15, s15, (.LBB2_25644-.Lpost_getpc27157)>>32
	s_setpc_b64 s[14:15]
.LBB2_11306:
	s_or_b64 exec, exec, s[6:7]
	s_and_saveexec_b64 s[6:7], s[4:5]
	s_cbranch_execz .LBB2_11308
.LBB2_11307:
	v_bfe_u32 v2, v7, 8, 3
	v_ffbh_u32_e32 v13, v2
	v_min_u32_e32 v13, 32, v13
	v_lshrrev_b16_e32 v12, 3, v6
	v_subrev_u32_e32 v14, 28, v13
	v_and_b32_e32 v12, 15, v12
	v_lshlrev_b32_e32 v6, v14, v6
	v_sub_u32_e32 v13, 29, v13
	v_and_b32_e32 v6, 7, v6
	v_cmp_eq_u16_e32 vcc, 0, v12
	v_cndmask_b32_e32 v2, v2, v6, vcc
	v_cndmask_b32_e32 v6, v12, v13, vcc
	v_lshlrev_b32_e32 v12, 16, v7
	v_mov_b32_e32 v13, 0x3b800000
	v_lshlrev_b32_e32 v2, 20, v2
	v_and_b32_e32 v12, 0x80000000, v12
	v_lshl_add_u32 v6, v6, 23, v13
	v_or3_b32 v2, v12, v6, v2
.LBB2_11308:
	s_or_b64 exec, exec, s[6:7]
	v_lshrrev_b32_e32 v6, 8, v3
	s_movk_i32 s4, 0x7f
	v_cmp_gt_i16_sdwa s[6:7], v6, s4 src0_sel:BYTE_0 src1_sel:DWORD
	s_mov_b64 s[4:5], 0
                                        ; implicit-def: $sgpr10
	s_and_saveexec_b64 s[8:9], s[6:7]
	s_xor_b64 s[6:7], exec, s[8:9]
	s_cbranch_execz .LBB2_11309
; %bb.47149:
	s_getpc_b64 s[14:15]
.Lpost_getpc27158:
	s_add_u32 s14, s14, (.LBB2_25645-.Lpost_getpc27158)&4294967295
	s_addc_u32 s15, s15, (.LBB2_25645-.Lpost_getpc27158)>>32
	s_setpc_b64 s[14:15]
.LBB2_11309:
	s_or_saveexec_b64 s[6:7], s[6:7]
	v_mov_b32_e32 v12, s10
	s_xor_b64 exec, exec, s[6:7]
	s_cbranch_execz .LBB2_11310
; %bb.47151:
	s_getpc_b64 s[14:15]
.Lpost_getpc27159:
	s_add_u32 s14, s14, (.LBB2_25648-.Lpost_getpc27159)&4294967295
	s_addc_u32 s15, s15, (.LBB2_25648-.Lpost_getpc27159)>>32
	s_setpc_b64 s[14:15]
.LBB2_11310:
	s_or_b64 exec, exec, s[6:7]
	s_and_saveexec_b64 s[6:7], s[4:5]
	s_cbranch_execz .LBB2_11312
.LBB2_11311:
	v_bfe_u32 v12, v3, 8, 3
	v_ffbh_u32_e32 v14, v12
	v_min_u32_e32 v14, 32, v14
	v_lshrrev_b16_e32 v13, 3, v6
	v_subrev_u32_e32 v15, 28, v14
	v_and_b32_e32 v13, 15, v13
	v_lshlrev_b32_e32 v6, v15, v6
	v_sub_u32_e32 v14, 29, v14
	v_and_b32_e32 v6, 7, v6
	v_cmp_eq_u16_e32 vcc, 0, v13
	v_cndmask_b32_e32 v6, v12, v6, vcc
	v_cndmask_b32_e32 v12, v13, v14, vcc
	v_lshlrev_b32_e32 v13, 16, v3
	v_mov_b32_e32 v14, 0x3b800000
	v_lshlrev_b32_e32 v6, 20, v6
	v_and_b32_e32 v13, 0x80000000, v13
	v_lshl_add_u32 v12, v12, 23, v14
	v_or3_b32 v12, v13, v12, v6
.LBB2_11312:
	s_or_b64 exec, exec, s[6:7]
	s_nop 0
	v_mfma_f32_16x16x4f32 a[0:3], v2, v12, a[0:3]
	s_movk_i32 s4, 0xff
	v_and_b32_sdwa v6, v7, s4 dst_sel:DWORD dst_unused:UNUSED_PAD src0_sel:WORD_1 src1_sel:DWORD
	s_movk_i32 s4, 0x7f
	v_cmp_lt_i16_e32 vcc, s4, v6
	s_mov_b64 s[4:5], 0
                                        ; implicit-def: $sgpr10
	s_and_saveexec_b64 s[6:7], vcc
	s_xor_b64 s[6:7], exec, s[6:7]
	s_cbranch_execz .LBB2_11313
; %bb.47153:
	s_getpc_b64 s[14:15]
.Lpost_getpc27160:
	s_add_u32 s14, s14, (.LBB2_25649-.Lpost_getpc27160)&4294967295
	s_addc_u32 s15, s15, (.LBB2_25649-.Lpost_getpc27160)>>32
	s_setpc_b64 s[14:15]
.LBB2_11313:
	s_or_saveexec_b64 s[6:7], s[6:7]
	v_mov_b32_e32 v2, s10
	s_xor_b64 exec, exec, s[6:7]
	s_cbranch_execz .LBB2_11314
; %bb.47155:
	s_getpc_b64 s[14:15]
.Lpost_getpc27161:
	s_add_u32 s14, s14, (.LBB2_25652-.Lpost_getpc27161)&4294967295
	s_addc_u32 s15, s15, (.LBB2_25652-.Lpost_getpc27161)>>32
	s_setpc_b64 s[14:15]
.LBB2_11314:
	s_or_b64 exec, exec, s[6:7]
	s_and_saveexec_b64 s[6:7], s[4:5]
	s_cbranch_execz .LBB2_11316
.LBB2_11315:
	v_bfe_u32 v2, v7, 16, 3
	v_ffbh_u32_e32 v13, v2
	v_min_u32_e32 v13, 32, v13
	v_lshrrev_b32_e32 v6, 19, v7
	v_subrev_u32_e32 v14, 28, v13
	v_and_b32_e32 v6, 15, v6
	v_lshlrev_b32_sdwa v14, v14, v7 dst_sel:DWORD dst_unused:UNUSED_PAD src0_sel:DWORD src1_sel:WORD_1
	v_bfe_u32 v12, v7, 19, 4
	v_sub_u32_e32 v13, 29, v13
	v_and_b32_e32 v14, 7, v14
	v_cmp_eq_u16_e32 vcc, 0, v6
	v_cndmask_b32_e32 v2, v2, v14, vcc
	v_cndmask_b32_e32 v6, v12, v13, vcc
	v_lshlrev_b32_e32 v12, 8, v7
	v_mov_b32_e32 v13, 0x3b800000
	v_lshlrev_b32_e32 v2, 20, v2
	v_and_b32_e32 v12, 0x80000000, v12
	v_lshl_add_u32 v6, v6, 23, v13
	v_or3_b32 v2, v12, v6, v2
.LBB2_11316:
	s_or_b64 exec, exec, s[6:7]
	s_movk_i32 s4, 0xff
	v_and_b32_sdwa v6, v3, s4 dst_sel:DWORD dst_unused:UNUSED_PAD src0_sel:WORD_1 src1_sel:DWORD
	s_movk_i32 s4, 0x7f
	v_cmp_lt_i16_e32 vcc, s4, v6
	s_mov_b64 s[4:5], 0
                                        ; implicit-def: $sgpr10
	s_and_saveexec_b64 s[6:7], vcc
	s_xor_b64 s[6:7], exec, s[6:7]
	s_cbranch_execz .LBB2_11317
; %bb.47157:
	s_getpc_b64 s[14:15]
.Lpost_getpc27162:
	s_add_u32 s14, s14, (.LBB2_25653-.Lpost_getpc27162)&4294967295
	s_addc_u32 s15, s15, (.LBB2_25653-.Lpost_getpc27162)>>32
	s_setpc_b64 s[14:15]
.LBB2_11317:
	s_or_saveexec_b64 s[6:7], s[6:7]
	v_mov_b32_e32 v12, s10
	s_xor_b64 exec, exec, s[6:7]
	s_cbranch_execz .LBB2_11318
; %bb.47159:
	s_getpc_b64 s[14:15]
.Lpost_getpc27163:
	s_add_u32 s14, s14, (.LBB2_25656-.Lpost_getpc27163)&4294967295
	s_addc_u32 s15, s15, (.LBB2_25656-.Lpost_getpc27163)>>32
	s_setpc_b64 s[14:15]
.LBB2_11318:
	s_or_b64 exec, exec, s[6:7]
	s_and_saveexec_b64 s[6:7], s[4:5]
	s_cbranch_execz .LBB2_11320
.LBB2_11319:
	v_bfe_u32 v6, v3, 16, 3
	v_ffbh_u32_e32 v14, v6
	v_min_u32_e32 v14, 32, v14
	v_lshrrev_b32_e32 v12, 19, v3
	v_subrev_u32_e32 v15, 28, v14
	v_and_b32_e32 v12, 15, v12
	v_lshlrev_b32_sdwa v15, v15, v3 dst_sel:DWORD dst_unused:UNUSED_PAD src0_sel:DWORD src1_sel:WORD_1
	v_bfe_u32 v13, v3, 19, 4
	v_sub_u32_e32 v14, 29, v14
	v_and_b32_e32 v15, 7, v15
	v_cmp_eq_u16_e32 vcc, 0, v12
	v_cndmask_b32_e32 v6, v6, v15, vcc
	v_cndmask_b32_e32 v12, v13, v14, vcc
	v_lshlrev_b32_e32 v13, 8, v3
	v_mov_b32_e32 v14, 0x3b800000
	v_lshlrev_b32_e32 v6, 20, v6
	v_and_b32_e32 v13, 0x80000000, v13
	v_lshl_add_u32 v12, v12, 23, v14
	v_or3_b32 v12, v13, v12, v6
.LBB2_11320:
	s_or_b64 exec, exec, s[6:7]
	s_nop 0
	v_mfma_f32_16x16x4f32 a[0:3], v2, v12, a[0:3]
	s_movk_i32 s4, 0x7f
	v_cmp_gt_i16_sdwa s[6:7], v7, s4 src0_sel:BYTE_3 src1_sel:DWORD
	s_mov_b64 s[4:5], 0
                                        ; implicit-def: $sgpr10
	s_and_saveexec_b64 s[8:9], s[6:7]
	s_xor_b64 s[6:7], exec, s[8:9]
	s_cbranch_execz .LBB2_11321
; %bb.47161:
	s_getpc_b64 s[14:15]
.Lpost_getpc27164:
	s_add_u32 s14, s14, (.LBB2_25657-.Lpost_getpc27164)&4294967295
	s_addc_u32 s15, s15, (.LBB2_25657-.Lpost_getpc27164)>>32
	s_setpc_b64 s[14:15]
.LBB2_11321:
	s_or_saveexec_b64 s[6:7], s[6:7]
	v_mov_b32_e32 v2, s10
	s_xor_b64 exec, exec, s[6:7]
	s_cbranch_execz .LBB2_11322
; %bb.47163:
	s_getpc_b64 s[14:15]
.Lpost_getpc27165:
	s_add_u32 s14, s14, (.LBB2_25660-.Lpost_getpc27165)&4294967295
	s_addc_u32 s15, s15, (.LBB2_25660-.Lpost_getpc27165)>>32
	s_setpc_b64 s[14:15]
.LBB2_11322:
	s_or_b64 exec, exec, s[6:7]
	s_and_saveexec_b64 s[6:7], s[4:5]
	s_cbranch_execz .LBB2_11324
.LBB2_11323:
	v_bfe_u32 v2, v7, 24, 3
	v_ffbh_u32_e32 v14, v2
	v_min_u32_e32 v14, 32, v14
	v_lshrrev_b32_e32 v12, 27, v7
	v_subrev_u32_e32 v15, 28, v14
	v_and_b32_e32 v6, 0x80000000, v7
	v_and_b32_e32 v12, 15, v12
	v_bfe_u32 v13, v7, 27, 4
	v_lshlrev_b32_sdwa v7, v15, v7 dst_sel:DWORD dst_unused:UNUSED_PAD src0_sel:DWORD src1_sel:BYTE_3
	v_sub_u32_e32 v14, 29, v14
	v_and_b32_e32 v7, 7, v7
	v_cmp_eq_u16_e32 vcc, 0, v12
	v_cndmask_b32_e32 v2, v2, v7, vcc
	v_cndmask_b32_e32 v7, v13, v14, vcc
	v_mov_b32_e32 v12, 0x3b800000
	v_lshlrev_b32_e32 v2, 20, v2
	v_lshl_add_u32 v7, v7, 23, v12
	v_or3_b32 v2, v6, v7, v2
.LBB2_11324:
	s_or_b64 exec, exec, s[6:7]
	s_movk_i32 s4, 0x7f
	v_cmp_gt_i16_sdwa s[6:7], v3, s4 src0_sel:BYTE_3 src1_sel:DWORD
	s_mov_b64 s[4:5], 0
                                        ; implicit-def: $sgpr10
	s_and_saveexec_b64 s[8:9], s[6:7]
	s_xor_b64 s[6:7], exec, s[8:9]
	s_cbranch_execz .LBB2_11325
; %bb.47165:
	s_getpc_b64 s[14:15]
.Lpost_getpc27166:
	s_add_u32 s14, s14, (.LBB2_25661-.Lpost_getpc27166)&4294967295
	s_addc_u32 s15, s15, (.LBB2_25661-.Lpost_getpc27166)>>32
	s_setpc_b64 s[14:15]
.LBB2_11325:
	s_or_saveexec_b64 s[6:7], s[6:7]
	v_mov_b32_e32 v6, s10
	s_xor_b64 exec, exec, s[6:7]
	s_cbranch_execz .LBB2_11326
; %bb.47167:
	s_getpc_b64 s[14:15]
.Lpost_getpc27167:
	s_add_u32 s14, s14, (.LBB2_25664-.Lpost_getpc27167)&4294967295
	s_addc_u32 s15, s15, (.LBB2_25664-.Lpost_getpc27167)>>32
	s_setpc_b64 s[14:15]
.LBB2_11326:
	s_or_b64 exec, exec, s[6:7]
	s_and_saveexec_b64 s[6:7], s[4:5]
	s_cbranch_execz .LBB2_11328
.LBB2_11327:
	v_bfe_u32 v6, v3, 24, 3
	v_ffbh_u32_e32 v14, v6
	v_min_u32_e32 v14, 32, v14
	v_lshrrev_b32_e32 v12, 27, v3
	v_subrev_u32_e32 v15, 28, v14
	v_and_b32_e32 v7, 0x80000000, v3
	v_and_b32_e32 v12, 15, v12
	v_bfe_u32 v13, v3, 27, 4
	v_lshlrev_b32_sdwa v3, v15, v3 dst_sel:DWORD dst_unused:UNUSED_PAD src0_sel:DWORD src1_sel:BYTE_3
	v_sub_u32_e32 v14, 29, v14
	v_and_b32_e32 v3, 7, v3
	v_cmp_eq_u16_e32 vcc, 0, v12
	v_cndmask_b32_e32 v3, v6, v3, vcc
	v_cndmask_b32_e32 v6, v13, v14, vcc
	v_mov_b32_e32 v12, 0x3b800000
	v_lshlrev_b32_e32 v3, 20, v3
	v_lshl_add_u32 v6, v6, 23, v12
	v_or3_b32 v6, v7, v6, v3
.LBB2_11328:
	s_or_b64 exec, exec, s[6:7]
	s_nop 0
	v_mfma_f32_16x16x4f32 a[0:3], v2, v6, a[0:3]
	s_movk_i32 s4, 0x7f
	v_cmp_gt_i16_sdwa s[6:7], v8, s4 src0_sel:BYTE_0 src1_sel:DWORD
	s_mov_b64 s[4:5], 0
                                        ; implicit-def: $sgpr10
	s_and_saveexec_b64 s[8:9], s[6:7]
	s_xor_b64 s[6:7], exec, s[8:9]
	s_cbranch_execz .LBB2_11329
; %bb.47169:
	s_getpc_b64 s[14:15]
.Lpost_getpc27168:
	s_add_u32 s14, s14, (.LBB2_25665-.Lpost_getpc27168)&4294967295
	s_addc_u32 s15, s15, (.LBB2_25665-.Lpost_getpc27168)>>32
	s_setpc_b64 s[14:15]
.LBB2_11329:
	s_or_saveexec_b64 s[6:7], s[6:7]
	v_mov_b32_e32 v2, s10
	s_xor_b64 exec, exec, s[6:7]
	s_cbranch_execz .LBB2_11330
; %bb.47171:
	s_getpc_b64 s[14:15]
.Lpost_getpc27169:
	s_add_u32 s14, s14, (.LBB2_25668-.Lpost_getpc27169)&4294967295
	s_addc_u32 s15, s15, (.LBB2_25668-.Lpost_getpc27169)>>32
	s_setpc_b64 s[14:15]
.LBB2_11330:
	s_or_b64 exec, exec, s[6:7]
	s_and_saveexec_b64 s[6:7], s[4:5]
	s_cbranch_execz .LBB2_11332
.LBB2_11331:
	v_and_b32_e32 v2, 7, v8
	v_ffbh_u32_e32 v6, v2
	v_min_u32_e32 v6, 32, v6
	v_lshrrev_b16_e32 v3, 3, v8
	v_subrev_u32_e32 v7, 28, v6
	v_and_b32_e32 v3, 15, v3
	v_lshlrev_b32_e32 v7, v7, v8
	v_sub_u32_e32 v6, 29, v6
	v_and_b32_e32 v7, 7, v7
	v_cmp_eq_u16_e32 vcc, 0, v3
	v_cndmask_b32_e32 v2, v2, v7, vcc
	v_cndmask_b32_e32 v3, v3, v6, vcc
	v_lshlrev_b32_e32 v6, 24, v8
	v_mov_b32_e32 v7, 0x3b800000
	v_lshlrev_b32_e32 v2, 20, v2
	v_and_b32_e32 v6, 0x80000000, v6
	v_lshl_add_u32 v3, v3, 23, v7
	v_or3_b32 v2, v6, v3, v2
.LBB2_11332:
	s_or_b64 exec, exec, s[6:7]
	s_movk_i32 s4, 0x7f
	v_cmp_gt_i16_sdwa s[6:7], v4, s4 src0_sel:BYTE_0 src1_sel:DWORD
	s_mov_b64 s[4:5], 0
                                        ; implicit-def: $sgpr10
	s_and_saveexec_b64 s[8:9], s[6:7]
	s_xor_b64 s[6:7], exec, s[8:9]
	s_cbranch_execz .LBB2_11333
; %bb.47173:
	s_getpc_b64 s[14:15]
.Lpost_getpc27170:
	s_add_u32 s14, s14, (.LBB2_25669-.Lpost_getpc27170)&4294967295
	s_addc_u32 s15, s15, (.LBB2_25669-.Lpost_getpc27170)>>32
	s_setpc_b64 s[14:15]
.LBB2_11333:
	s_or_saveexec_b64 s[6:7], s[6:7]
	v_mov_b32_e32 v3, s10
	s_xor_b64 exec, exec, s[6:7]
	s_cbranch_execz .LBB2_11334
; %bb.47175:
	s_getpc_b64 s[14:15]
.Lpost_getpc27171:
	s_add_u32 s14, s14, (.LBB2_25672-.Lpost_getpc27171)&4294967295
	s_addc_u32 s15, s15, (.LBB2_25672-.Lpost_getpc27171)>>32
	s_setpc_b64 s[14:15]
.LBB2_11334:
	s_or_b64 exec, exec, s[6:7]
	s_and_saveexec_b64 s[6:7], s[4:5]
	s_cbranch_execz .LBB2_11336
.LBB2_11335:
	v_and_b32_e32 v3, 7, v4
	v_ffbh_u32_e32 v7, v3
	v_min_u32_e32 v7, 32, v7
	v_lshrrev_b16_e32 v6, 3, v4
	v_subrev_u32_e32 v12, 28, v7
	v_and_b32_e32 v6, 15, v6
	v_lshlrev_b32_e32 v12, v12, v4
	v_sub_u32_e32 v7, 29, v7
	v_and_b32_e32 v12, 7, v12
	v_cmp_eq_u16_e32 vcc, 0, v6
	v_cndmask_b32_e32 v3, v3, v12, vcc
	v_cndmask_b32_e32 v6, v6, v7, vcc
	v_lshlrev_b32_e32 v7, 24, v4
	v_mov_b32_e32 v12, 0x3b800000
	v_lshlrev_b32_e32 v3, 20, v3
	v_and_b32_e32 v7, 0x80000000, v7
	v_lshl_add_u32 v6, v6, 23, v12
	v_or3_b32 v3, v7, v6, v3
.LBB2_11336:
	s_or_b64 exec, exec, s[6:7]
	s_nop 0
	v_mfma_f32_16x16x4f32 a[0:3], v2, v3, a[0:3]
	v_lshrrev_b32_e32 v3, 8, v8
	s_movk_i32 s4, 0x7f
	v_cmp_gt_i16_sdwa s[6:7], v3, s4 src0_sel:BYTE_0 src1_sel:DWORD
	s_mov_b64 s[4:5], 0
                                        ; implicit-def: $sgpr10
	s_and_saveexec_b64 s[8:9], s[6:7]
	s_xor_b64 s[6:7], exec, s[8:9]
	s_cbranch_execz .LBB2_11337
; %bb.47177:
	s_getpc_b64 s[14:15]
.Lpost_getpc27172:
	s_add_u32 s14, s14, (.LBB2_25673-.Lpost_getpc27172)&4294967295
	s_addc_u32 s15, s15, (.LBB2_25673-.Lpost_getpc27172)>>32
	s_setpc_b64 s[14:15]
.LBB2_11337:
	s_or_saveexec_b64 s[6:7], s[6:7]
	v_mov_b32_e32 v2, s10
	s_xor_b64 exec, exec, s[6:7]
	s_cbranch_execz .LBB2_11338
; %bb.47179:
	s_getpc_b64 s[14:15]
.Lpost_getpc27173:
	s_add_u32 s14, s14, (.LBB2_25676-.Lpost_getpc27173)&4294967295
	s_addc_u32 s15, s15, (.LBB2_25676-.Lpost_getpc27173)>>32
	s_setpc_b64 s[14:15]
.LBB2_11338:
	s_or_b64 exec, exec, s[6:7]
	s_and_saveexec_b64 s[6:7], s[4:5]
	s_cbranch_execz .LBB2_11340
.LBB2_11339:
	v_bfe_u32 v2, v8, 8, 3
	v_ffbh_u32_e32 v7, v2
	v_min_u32_e32 v7, 32, v7
	v_lshrrev_b16_e32 v6, 3, v3
	v_subrev_u32_e32 v12, 28, v7
	v_and_b32_e32 v6, 15, v6
	v_lshlrev_b32_e32 v3, v12, v3
	v_sub_u32_e32 v7, 29, v7
	v_and_b32_e32 v3, 7, v3
	v_cmp_eq_u16_e32 vcc, 0, v6
	v_cndmask_b32_e32 v2, v2, v3, vcc
	v_cndmask_b32_e32 v3, v6, v7, vcc
	v_lshlrev_b32_e32 v6, 16, v8
	v_mov_b32_e32 v7, 0x3b800000
	v_lshlrev_b32_e32 v2, 20, v2
	v_and_b32_e32 v6, 0x80000000, v6
	v_lshl_add_u32 v3, v3, 23, v7
	v_or3_b32 v2, v6, v3, v2
.LBB2_11340:
	s_or_b64 exec, exec, s[6:7]
	v_lshrrev_b32_e32 v3, 8, v4
	s_movk_i32 s4, 0x7f
	v_cmp_gt_i16_sdwa s[6:7], v3, s4 src0_sel:BYTE_0 src1_sel:DWORD
	s_mov_b64 s[4:5], 0
                                        ; implicit-def: $sgpr10
	s_and_saveexec_b64 s[8:9], s[6:7]
	s_xor_b64 s[6:7], exec, s[8:9]
	s_cbranch_execz .LBB2_11341
; %bb.47181:
	s_getpc_b64 s[14:15]
.Lpost_getpc27174:
	s_add_u32 s14, s14, (.LBB2_25677-.Lpost_getpc27174)&4294967295
	s_addc_u32 s15, s15, (.LBB2_25677-.Lpost_getpc27174)>>32
	s_setpc_b64 s[14:15]
.LBB2_11341:
	s_or_saveexec_b64 s[6:7], s[6:7]
	v_mov_b32_e32 v6, s10
	s_xor_b64 exec, exec, s[6:7]
	s_cbranch_execz .LBB2_11342
; %bb.47183:
	s_getpc_b64 s[14:15]
.Lpost_getpc27175:
	s_add_u32 s14, s14, (.LBB2_25680-.Lpost_getpc27175)&4294967295
	s_addc_u32 s15, s15, (.LBB2_25680-.Lpost_getpc27175)>>32
	s_setpc_b64 s[14:15]
.LBB2_11342:
	s_or_b64 exec, exec, s[6:7]
	s_and_saveexec_b64 s[6:7], s[4:5]
	s_cbranch_execz .LBB2_11344
.LBB2_11343:
	v_bfe_u32 v6, v4, 8, 3
	v_ffbh_u32_e32 v12, v6
	v_min_u32_e32 v12, 32, v12
	v_lshrrev_b16_e32 v7, 3, v3
	v_subrev_u32_e32 v13, 28, v12
	v_and_b32_e32 v7, 15, v7
	v_lshlrev_b32_e32 v3, v13, v3
	v_sub_u32_e32 v12, 29, v12
	v_and_b32_e32 v3, 7, v3
	v_cmp_eq_u16_e32 vcc, 0, v7
	v_cndmask_b32_e32 v3, v6, v3, vcc
	v_cndmask_b32_e32 v6, v7, v12, vcc
	v_lshlrev_b32_e32 v7, 16, v4
	v_mov_b32_e32 v12, 0x3b800000
	v_lshlrev_b32_e32 v3, 20, v3
	v_and_b32_e32 v7, 0x80000000, v7
	v_lshl_add_u32 v6, v6, 23, v12
	v_or3_b32 v6, v7, v6, v3
.LBB2_11344:
	s_or_b64 exec, exec, s[6:7]
	s_nop 0
	v_mfma_f32_16x16x4f32 a[0:3], v2, v6, a[0:3]
	s_movk_i32 s4, 0xff
	v_and_b32_sdwa v3, v8, s4 dst_sel:DWORD dst_unused:UNUSED_PAD src0_sel:WORD_1 src1_sel:DWORD
	s_movk_i32 s4, 0x7f
	v_cmp_lt_i16_e32 vcc, s4, v3
	s_mov_b64 s[4:5], 0
                                        ; implicit-def: $sgpr10
	s_and_saveexec_b64 s[6:7], vcc
	s_xor_b64 s[6:7], exec, s[6:7]
	s_cbranch_execz .LBB2_11345
; %bb.47185:
	s_getpc_b64 s[14:15]
.Lpost_getpc27176:
	s_add_u32 s14, s14, (.LBB2_25681-.Lpost_getpc27176)&4294967295
	s_addc_u32 s15, s15, (.LBB2_25681-.Lpost_getpc27176)>>32
	s_setpc_b64 s[14:15]
.LBB2_11345:
	s_or_saveexec_b64 s[6:7], s[6:7]
	v_mov_b32_e32 v2, s10
	s_xor_b64 exec, exec, s[6:7]
	s_cbranch_execz .LBB2_11346
; %bb.47187:
	s_getpc_b64 s[14:15]
.Lpost_getpc27177:
	s_add_u32 s14, s14, (.LBB2_25684-.Lpost_getpc27177)&4294967295
	s_addc_u32 s15, s15, (.LBB2_25684-.Lpost_getpc27177)>>32
	s_setpc_b64 s[14:15]
.LBB2_11346:
	s_or_b64 exec, exec, s[6:7]
	s_and_saveexec_b64 s[6:7], s[4:5]
	s_cbranch_execz .LBB2_11348
.LBB2_11347:
	v_bfe_u32 v2, v8, 16, 3
	v_ffbh_u32_e32 v7, v2
	v_min_u32_e32 v7, 32, v7
	v_lshrrev_b32_e32 v3, 19, v8
	v_subrev_u32_e32 v12, 28, v7
	v_and_b32_e32 v3, 15, v3
	v_lshlrev_b32_sdwa v12, v12, v8 dst_sel:DWORD dst_unused:UNUSED_PAD src0_sel:DWORD src1_sel:WORD_1
	v_bfe_u32 v6, v8, 19, 4
	v_sub_u32_e32 v7, 29, v7
	v_and_b32_e32 v12, 7, v12
	v_cmp_eq_u16_e32 vcc, 0, v3
	v_cndmask_b32_e32 v2, v2, v12, vcc
	v_cndmask_b32_e32 v3, v6, v7, vcc
	v_lshlrev_b32_e32 v6, 8, v8
	v_mov_b32_e32 v7, 0x3b800000
	v_lshlrev_b32_e32 v2, 20, v2
	v_and_b32_e32 v6, 0x80000000, v6
	v_lshl_add_u32 v3, v3, 23, v7
	v_or3_b32 v2, v6, v3, v2
.LBB2_11348:
	s_or_b64 exec, exec, s[6:7]
	s_movk_i32 s4, 0xff
	v_and_b32_sdwa v3, v4, s4 dst_sel:DWORD dst_unused:UNUSED_PAD src0_sel:WORD_1 src1_sel:DWORD
	s_movk_i32 s4, 0x7f
	v_cmp_lt_i16_e32 vcc, s4, v3
	s_mov_b64 s[4:5], 0
                                        ; implicit-def: $sgpr10
	s_and_saveexec_b64 s[6:7], vcc
	s_xor_b64 s[6:7], exec, s[6:7]
	s_cbranch_execz .LBB2_11349
; %bb.47189:
	s_getpc_b64 s[14:15]
.Lpost_getpc27178:
	s_add_u32 s14, s14, (.LBB2_25685-.Lpost_getpc27178)&4294967295
	s_addc_u32 s15, s15, (.LBB2_25685-.Lpost_getpc27178)>>32
	s_setpc_b64 s[14:15]
.LBB2_11349:
	s_or_saveexec_b64 s[6:7], s[6:7]
	v_mov_b32_e32 v6, s10
	s_xor_b64 exec, exec, s[6:7]
	s_cbranch_execz .LBB2_11350
; %bb.47191:
	s_getpc_b64 s[14:15]
.Lpost_getpc27179:
	s_add_u32 s14, s14, (.LBB2_25688-.Lpost_getpc27179)&4294967295
	s_addc_u32 s15, s15, (.LBB2_25688-.Lpost_getpc27179)>>32
	s_setpc_b64 s[14:15]
.LBB2_11350:
	s_or_b64 exec, exec, s[6:7]
	s_and_saveexec_b64 s[6:7], s[4:5]
	s_cbranch_execz .LBB2_11352
.LBB2_11351:
	v_bfe_u32 v3, v4, 16, 3
	v_ffbh_u32_e32 v12, v3
	v_min_u32_e32 v12, 32, v12
	v_lshrrev_b32_e32 v6, 19, v4
	v_subrev_u32_e32 v13, 28, v12
	v_and_b32_e32 v6, 15, v6
	v_lshlrev_b32_sdwa v13, v13, v4 dst_sel:DWORD dst_unused:UNUSED_PAD src0_sel:DWORD src1_sel:WORD_1
	v_bfe_u32 v7, v4, 19, 4
	v_sub_u32_e32 v12, 29, v12
	v_and_b32_e32 v13, 7, v13
	v_cmp_eq_u16_e32 vcc, 0, v6
	v_cndmask_b32_e32 v3, v3, v13, vcc
	v_cndmask_b32_e32 v6, v7, v12, vcc
	v_lshlrev_b32_e32 v7, 8, v4
	v_mov_b32_e32 v12, 0x3b800000
	v_lshlrev_b32_e32 v3, 20, v3
	v_and_b32_e32 v7, 0x80000000, v7
	v_lshl_add_u32 v6, v6, 23, v12
	v_or3_b32 v6, v7, v6, v3
.LBB2_11352:
	s_or_b64 exec, exec, s[6:7]
	s_nop 0
	v_mfma_f32_16x16x4f32 a[0:3], v2, v6, a[0:3]
	s_movk_i32 s4, 0x7f
	v_cmp_gt_i16_sdwa s[6:7], v8, s4 src0_sel:BYTE_3 src1_sel:DWORD
	s_mov_b64 s[4:5], 0
                                        ; implicit-def: $sgpr10
	s_and_saveexec_b64 s[8:9], s[6:7]
	s_xor_b64 s[6:7], exec, s[8:9]
	s_cbranch_execz .LBB2_11353
; %bb.47193:
	s_getpc_b64 s[14:15]
.Lpost_getpc27180:
	s_add_u32 s14, s14, (.LBB2_25689-.Lpost_getpc27180)&4294967295
	s_addc_u32 s15, s15, (.LBB2_25689-.Lpost_getpc27180)>>32
	s_setpc_b64 s[14:15]
.LBB2_11353:
	s_or_saveexec_b64 s[6:7], s[6:7]
	v_mov_b32_e32 v2, s10
	s_xor_b64 exec, exec, s[6:7]
	s_cbranch_execz .LBB2_11354
; %bb.47195:
	s_getpc_b64 s[14:15]
.Lpost_getpc27181:
	s_add_u32 s14, s14, (.LBB2_25692-.Lpost_getpc27181)&4294967295
	s_addc_u32 s15, s15, (.LBB2_25692-.Lpost_getpc27181)>>32
	s_setpc_b64 s[14:15]
.LBB2_11354:
	s_or_b64 exec, exec, s[6:7]
	s_and_saveexec_b64 s[6:7], s[4:5]
	s_cbranch_execz .LBB2_11356
.LBB2_11355:
	v_bfe_u32 v2, v8, 24, 3
	v_ffbh_u32_e32 v12, v2
	v_min_u32_e32 v12, 32, v12
	v_lshrrev_b32_e32 v6, 27, v8
	v_subrev_u32_e32 v13, 28, v12
	v_and_b32_e32 v3, 0x80000000, v8
	v_and_b32_e32 v6, 15, v6
	v_bfe_u32 v7, v8, 27, 4
	v_lshlrev_b32_sdwa v8, v13, v8 dst_sel:DWORD dst_unused:UNUSED_PAD src0_sel:DWORD src1_sel:BYTE_3
	v_sub_u32_e32 v12, 29, v12
	v_and_b32_e32 v8, 7, v8
	v_cmp_eq_u16_e32 vcc, 0, v6
	v_cndmask_b32_e32 v2, v2, v8, vcc
	v_cndmask_b32_e32 v6, v7, v12, vcc
	v_mov_b32_e32 v7, 0x3b800000
	v_lshlrev_b32_e32 v2, 20, v2
	v_lshl_add_u32 v6, v6, 23, v7
	v_or3_b32 v2, v3, v6, v2
.LBB2_11356:
	s_or_b64 exec, exec, s[6:7]
	s_movk_i32 s4, 0x7f
	v_cmp_gt_i16_sdwa s[6:7], v4, s4 src0_sel:BYTE_3 src1_sel:DWORD
	s_mov_b64 s[4:5], 0
                                        ; implicit-def: $sgpr10
	s_and_saveexec_b64 s[8:9], s[6:7]
	s_xor_b64 s[6:7], exec, s[8:9]
	s_cbranch_execz .LBB2_11357
; %bb.47197:
	s_getpc_b64 s[14:15]
.Lpost_getpc27182:
	s_add_u32 s14, s14, (.LBB2_25693-.Lpost_getpc27182)&4294967295
	s_addc_u32 s15, s15, (.LBB2_25693-.Lpost_getpc27182)>>32
	s_setpc_b64 s[14:15]
.LBB2_11357:
	s_or_saveexec_b64 s[6:7], s[6:7]
	v_mov_b32_e32 v3, s10
	s_xor_b64 exec, exec, s[6:7]
	s_cbranch_execz .LBB2_11358
; %bb.47199:
	s_getpc_b64 s[14:15]
.Lpost_getpc27183:
	s_add_u32 s14, s14, (.LBB2_25696-.Lpost_getpc27183)&4294967295
	s_addc_u32 s15, s15, (.LBB2_25696-.Lpost_getpc27183)>>32
	s_setpc_b64 s[14:15]
.LBB2_11358:
	s_or_b64 exec, exec, s[6:7]
	s_and_saveexec_b64 s[6:7], s[4:5]
	s_cbranch_execz .LBB2_11360
.LBB2_11359:
	v_bfe_u32 v3, v4, 24, 3
	v_ffbh_u32_e32 v12, v3
	v_min_u32_e32 v12, 32, v12
	v_lshrrev_b32_e32 v7, 27, v4
	v_subrev_u32_e32 v13, 28, v12
	v_and_b32_e32 v6, 0x80000000, v4
	v_and_b32_e32 v7, 15, v7
	v_bfe_u32 v8, v4, 27, 4
	v_lshlrev_b32_sdwa v4, v13, v4 dst_sel:DWORD dst_unused:UNUSED_PAD src0_sel:DWORD src1_sel:BYTE_3
	v_sub_u32_e32 v12, 29, v12
	v_and_b32_e32 v4, 7, v4
	v_cmp_eq_u16_e32 vcc, 0, v7
	v_cndmask_b32_e32 v3, v3, v4, vcc
	v_cndmask_b32_e32 v4, v8, v12, vcc
	v_mov_b32_e32 v7, 0x3b800000
	v_lshlrev_b32_e32 v3, 20, v3
	v_lshl_add_u32 v4, v4, 23, v7
	v_or3_b32 v3, v6, v4, v3
.LBB2_11360:
	s_or_b64 exec, exec, s[6:7]
	s_nop 0
	v_mfma_f32_16x16x4f32 a[0:3], v2, v3, a[0:3]
	s_movk_i32 s4, 0x7f
	v_cmp_gt_i16_sdwa s[6:7], v9, s4 src0_sel:BYTE_0 src1_sel:DWORD
	s_mov_b64 s[4:5], 0
                                        ; implicit-def: $sgpr10
	s_and_saveexec_b64 s[8:9], s[6:7]
	s_xor_b64 s[6:7], exec, s[8:9]
	s_cbranch_execz .LBB2_11361
; %bb.47201:
	s_getpc_b64 s[14:15]
.Lpost_getpc27184:
	s_add_u32 s14, s14, (.LBB2_25697-.Lpost_getpc27184)&4294967295
	s_addc_u32 s15, s15, (.LBB2_25697-.Lpost_getpc27184)>>32
	s_setpc_b64 s[14:15]
.LBB2_11361:
	s_or_saveexec_b64 s[6:7], s[6:7]
	v_mov_b32_e32 v2, s10
	s_xor_b64 exec, exec, s[6:7]
	s_cbranch_execz .LBB2_11362
; %bb.47203:
	s_getpc_b64 s[14:15]
.Lpost_getpc27185:
	s_add_u32 s14, s14, (.LBB2_25700-.Lpost_getpc27185)&4294967295
	s_addc_u32 s15, s15, (.LBB2_25700-.Lpost_getpc27185)>>32
	s_setpc_b64 s[14:15]
.LBB2_11362:
	s_or_b64 exec, exec, s[6:7]
	s_and_saveexec_b64 s[6:7], s[4:5]
	s_cbranch_execz .LBB2_11364
.LBB2_11363:
	v_mov_b32_e32 v2, 8
	v_and_b32_e32 v3, 7, v9
	v_lshrrev_b32_sdwa v2, v2, v9 dst_sel:BYTE_1 dst_unused:UNUSED_PAD src0_sel:DWORD src1_sel:DWORD
	v_ffbh_u32_e32 v4, v3
	v_or_b32_sdwa v2, v9, v2 dst_sel:DWORD dst_unused:UNUSED_PAD src0_sel:BYTE_0 src1_sel:DWORD
	v_min_u32_e32 v4, 32, v4
	v_lshrrev_b16_e32 v2, 3, v2
	v_subrev_u32_e32 v6, 28, v4
	v_and_b32_e32 v2, 15, v2
	v_lshlrev_b32_e32 v6, v6, v9
	v_sub_u32_e32 v4, 29, v4
	v_and_b32_e32 v6, 7, v6
	v_cmp_eq_u16_e32 vcc, 0, v2
	v_cndmask_b32_e32 v3, v3, v6, vcc
	v_cndmask_b32_e32 v2, v2, v4, vcc
	v_lshlrev_b32_e32 v4, 24, v9
	v_mov_b32_e32 v6, 0x3b800000
	v_lshlrev_b32_e32 v3, 20, v3
	v_and_b32_e32 v4, 0x80000000, v4
	v_lshl_add_u32 v2, v2, 23, v6
	v_or3_b32 v2, v4, v2, v3
.LBB2_11364:
	s_or_b64 exec, exec, s[6:7]
	s_movk_i32 s4, 0x7f
	v_cmp_gt_i16_sdwa s[6:7], v5, s4 src0_sel:BYTE_0 src1_sel:DWORD
	s_mov_b64 s[4:5], 0
                                        ; implicit-def: $sgpr10
	s_and_saveexec_b64 s[8:9], s[6:7]
	s_xor_b64 s[6:7], exec, s[8:9]
	s_cbranch_execz .LBB2_11365
; %bb.47205:
	s_getpc_b64 s[14:15]
.Lpost_getpc27186:
	s_add_u32 s14, s14, (.LBB2_25701-.Lpost_getpc27186)&4294967295
	s_addc_u32 s15, s15, (.LBB2_25701-.Lpost_getpc27186)>>32
	s_setpc_b64 s[14:15]
.LBB2_11365:
	s_or_saveexec_b64 s[6:7], s[6:7]
	v_mov_b32_e32 v3, s10
	s_xor_b64 exec, exec, s[6:7]
	s_cbranch_execz .LBB2_11366
; %bb.47207:
	s_getpc_b64 s[14:15]
.Lpost_getpc27187:
	s_add_u32 s14, s14, (.LBB2_25704-.Lpost_getpc27187)&4294967295
	s_addc_u32 s15, s15, (.LBB2_25704-.Lpost_getpc27187)>>32
	s_setpc_b64 s[14:15]
.LBB2_11366:
	s_or_b64 exec, exec, s[6:7]
	s_and_saveexec_b64 s[6:7], s[4:5]
	s_cbranch_execz .LBB2_11368
.LBB2_11367:
	v_mov_b32_e32 v3, 8
	v_and_b32_e32 v4, 7, v5
	v_lshrrev_b32_sdwa v3, v3, v5 dst_sel:BYTE_1 dst_unused:UNUSED_PAD src0_sel:DWORD src1_sel:DWORD
	v_ffbh_u32_e32 v6, v4
	v_or_b32_sdwa v3, v5, v3 dst_sel:DWORD dst_unused:UNUSED_PAD src0_sel:BYTE_0 src1_sel:DWORD
	v_min_u32_e32 v6, 32, v6
	v_lshrrev_b16_e32 v3, 3, v3
	v_subrev_u32_e32 v7, 28, v6
	v_and_b32_e32 v3, 15, v3
	v_lshlrev_b32_e32 v7, v7, v5
	v_sub_u32_e32 v6, 29, v6
	v_and_b32_e32 v7, 7, v7
	v_cmp_eq_u16_e32 vcc, 0, v3
	v_cndmask_b32_e32 v4, v4, v7, vcc
	v_cndmask_b32_e32 v3, v3, v6, vcc
	v_lshlrev_b32_e32 v6, 24, v5
	v_mov_b32_e32 v7, 0x3b800000
	v_lshlrev_b32_e32 v4, 20, v4
	v_and_b32_e32 v6, 0x80000000, v6
	v_lshl_add_u32 v3, v3, 23, v7
	v_or3_b32 v3, v6, v3, v4
.LBB2_11368:
	s_or_b64 exec, exec, s[6:7]
	s_nop 0
	v_mfma_f32_16x16x4f32 a[0:3], v2, v3, a[0:3]
	v_lshrrev_b32_e32 v3, 8, v9
	s_movk_i32 s4, 0x7f
	v_cmp_gt_i16_sdwa s[6:7], v3, s4 src0_sel:BYTE_0 src1_sel:DWORD
	s_mov_b64 s[4:5], 0
                                        ; implicit-def: $sgpr10
	s_and_saveexec_b64 s[8:9], s[6:7]
	s_xor_b64 s[6:7], exec, s[8:9]
	s_cbranch_execz .LBB2_11369
; %bb.47209:
	s_getpc_b64 s[14:15]
.Lpost_getpc27188:
	s_add_u32 s14, s14, (.LBB2_25705-.Lpost_getpc27188)&4294967295
	s_addc_u32 s15, s15, (.LBB2_25705-.Lpost_getpc27188)>>32
	s_setpc_b64 s[14:15]
.LBB2_11369:
	s_or_saveexec_b64 s[6:7], s[6:7]
	v_mov_b32_e32 v2, s10
	s_xor_b64 exec, exec, s[6:7]
	s_cbranch_execz .LBB2_11370
; %bb.47211:
	s_getpc_b64 s[14:15]
.Lpost_getpc27189:
	s_add_u32 s14, s14, (.LBB2_25708-.Lpost_getpc27189)&4294967295
	s_addc_u32 s15, s15, (.LBB2_25708-.Lpost_getpc27189)>>32
	s_setpc_b64 s[14:15]
.LBB2_11370:
	s_or_b64 exec, exec, s[6:7]
	s_and_saveexec_b64 s[6:7], s[4:5]
	s_cbranch_execz .LBB2_11372
.LBB2_11371:
	v_bfe_u32 v2, v9, 8, 3
	v_ffbh_u32_e32 v6, v2
	v_min_u32_e32 v6, 32, v6
	v_lshrrev_b16_e32 v4, 3, v3
	v_subrev_u32_e32 v7, 28, v6
	v_and_b32_e32 v4, 15, v4
	v_lshlrev_b32_e32 v3, v7, v3
	v_sub_u32_e32 v6, 29, v6
	v_and_b32_e32 v3, 7, v3
	v_cmp_eq_u16_e32 vcc, 0, v4
	v_cndmask_b32_e32 v2, v2, v3, vcc
	v_cndmask_b32_e32 v3, v4, v6, vcc
	v_lshlrev_b32_e32 v4, 16, v9
	v_mov_b32_e32 v6, 0x3b800000
	v_lshlrev_b32_e32 v2, 20, v2
	v_and_b32_e32 v4, 0x80000000, v4
	v_lshl_add_u32 v3, v3, 23, v6
	v_or3_b32 v2, v4, v3, v2
.LBB2_11372:
	s_or_b64 exec, exec, s[6:7]
	v_lshrrev_b32_e32 v3, 8, v5
	s_movk_i32 s4, 0x7f
	v_cmp_gt_i16_sdwa s[6:7], v3, s4 src0_sel:BYTE_0 src1_sel:DWORD
	s_mov_b64 s[4:5], 0
                                        ; implicit-def: $sgpr10
	s_and_saveexec_b64 s[8:9], s[6:7]
	s_xor_b64 s[6:7], exec, s[8:9]
	s_cbranch_execz .LBB2_11373
; %bb.47213:
	s_getpc_b64 s[14:15]
.Lpost_getpc27190:
	s_add_u32 s14, s14, (.LBB2_25709-.Lpost_getpc27190)&4294967295
	s_addc_u32 s15, s15, (.LBB2_25709-.Lpost_getpc27190)>>32
	s_setpc_b64 s[14:15]
.LBB2_11373:
	s_or_saveexec_b64 s[6:7], s[6:7]
	v_mov_b32_e32 v4, s10
	s_xor_b64 exec, exec, s[6:7]
	s_cbranch_execz .LBB2_11374
; %bb.47215:
	s_getpc_b64 s[14:15]
.Lpost_getpc27191:
	s_add_u32 s14, s14, (.LBB2_25712-.Lpost_getpc27191)&4294967295
	s_addc_u32 s15, s15, (.LBB2_25712-.Lpost_getpc27191)>>32
	s_setpc_b64 s[14:15]
.LBB2_11374:
	s_or_b64 exec, exec, s[6:7]
	s_and_saveexec_b64 s[6:7], s[4:5]
	s_cbranch_execz .LBB2_11376
.LBB2_11375:
	v_bfe_u32 v4, v5, 8, 3
	v_ffbh_u32_e32 v7, v4
	v_min_u32_e32 v7, 32, v7
	v_lshrrev_b16_e32 v6, 3, v3
	v_subrev_u32_e32 v8, 28, v7
	v_and_b32_e32 v6, 15, v6
	v_lshlrev_b32_e32 v3, v8, v3
	v_sub_u32_e32 v7, 29, v7
	v_and_b32_e32 v3, 7, v3
	v_cmp_eq_u16_e32 vcc, 0, v6
	v_cndmask_b32_e32 v3, v4, v3, vcc
	v_cndmask_b32_e32 v4, v6, v7, vcc
	v_lshlrev_b32_e32 v6, 16, v5
	v_mov_b32_e32 v7, 0x3b800000
	v_lshlrev_b32_e32 v3, 20, v3
	v_and_b32_e32 v6, 0x80000000, v6
	v_lshl_add_u32 v4, v4, 23, v7
	v_or3_b32 v4, v6, v4, v3
.LBB2_11376:
	s_or_b64 exec, exec, s[6:7]
	s_nop 0
	v_mfma_f32_16x16x4f32 a[0:3], v2, v4, a[0:3]
	s_movk_i32 s4, 0xff
	v_and_b32_sdwa v3, v9, s4 dst_sel:DWORD dst_unused:UNUSED_PAD src0_sel:WORD_1 src1_sel:DWORD
	s_movk_i32 s4, 0x7f
	v_cmp_lt_i16_e32 vcc, s4, v3
	s_mov_b64 s[4:5], 0
                                        ; implicit-def: $sgpr10
	s_and_saveexec_b64 s[6:7], vcc
	s_xor_b64 s[6:7], exec, s[6:7]
	s_cbranch_execz .LBB2_11377
; %bb.47217:
	s_getpc_b64 s[14:15]
.Lpost_getpc27192:
	s_add_u32 s14, s14, (.LBB2_25713-.Lpost_getpc27192)&4294967295
	s_addc_u32 s15, s15, (.LBB2_25713-.Lpost_getpc27192)>>32
	s_setpc_b64 s[14:15]
.LBB2_11377:
	s_or_saveexec_b64 s[6:7], s[6:7]
	v_mov_b32_e32 v2, s10
	s_xor_b64 exec, exec, s[6:7]
	s_cbranch_execz .LBB2_11378
; %bb.47219:
	s_getpc_b64 s[14:15]
.Lpost_getpc27193:
	s_add_u32 s14, s14, (.LBB2_25716-.Lpost_getpc27193)&4294967295
	s_addc_u32 s15, s15, (.LBB2_25716-.Lpost_getpc27193)>>32
	s_setpc_b64 s[14:15]
.LBB2_11378:
	s_or_b64 exec, exec, s[6:7]
	s_and_saveexec_b64 s[6:7], s[4:5]
	s_cbranch_execz .LBB2_11380
.LBB2_11379:
	v_bfe_u32 v2, v9, 16, 3
	v_ffbh_u32_e32 v6, v2
	v_min_u32_e32 v6, 32, v6
	v_lshrrev_b32_e32 v3, 19, v9
	v_subrev_u32_e32 v7, 28, v6
	v_and_b32_e32 v3, 15, v3
	v_lshlrev_b32_sdwa v7, v7, v9 dst_sel:DWORD dst_unused:UNUSED_PAD src0_sel:DWORD src1_sel:WORD_1
	v_bfe_u32 v4, v9, 19, 4
	v_sub_u32_e32 v6, 29, v6
	v_and_b32_e32 v7, 7, v7
	v_cmp_eq_u16_e32 vcc, 0, v3
	v_cndmask_b32_e32 v2, v2, v7, vcc
	v_cndmask_b32_e32 v3, v4, v6, vcc
	v_lshlrev_b32_e32 v4, 8, v9
	v_mov_b32_e32 v6, 0x3b800000
	v_lshlrev_b32_e32 v2, 20, v2
	v_and_b32_e32 v4, 0x80000000, v4
	v_lshl_add_u32 v3, v3, 23, v6
	v_or3_b32 v2, v4, v3, v2
.LBB2_11380:
	s_or_b64 exec, exec, s[6:7]
	s_movk_i32 s4, 0xff
	v_and_b32_sdwa v3, v5, s4 dst_sel:DWORD dst_unused:UNUSED_PAD src0_sel:WORD_1 src1_sel:DWORD
	s_movk_i32 s4, 0x7f
	v_cmp_lt_i16_e32 vcc, s4, v3
	s_mov_b64 s[4:5], 0
                                        ; implicit-def: $sgpr10
	s_and_saveexec_b64 s[6:7], vcc
	s_xor_b64 s[6:7], exec, s[6:7]
	s_cbranch_execz .LBB2_11381
; %bb.47221:
	s_getpc_b64 s[14:15]
.Lpost_getpc27194:
	s_add_u32 s14, s14, (.LBB2_25717-.Lpost_getpc27194)&4294967295
	s_addc_u32 s15, s15, (.LBB2_25717-.Lpost_getpc27194)>>32
	s_setpc_b64 s[14:15]
.LBB2_11381:
	s_or_saveexec_b64 s[6:7], s[6:7]
	v_mov_b32_e32 v4, s10
	s_xor_b64 exec, exec, s[6:7]
	s_cbranch_execz .LBB2_11382
; %bb.47223:
	s_getpc_b64 s[14:15]
.Lpost_getpc27195:
	s_add_u32 s14, s14, (.LBB2_25720-.Lpost_getpc27195)&4294967295
	s_addc_u32 s15, s15, (.LBB2_25720-.Lpost_getpc27195)>>32
	s_setpc_b64 s[14:15]
.LBB2_11382:
	s_or_b64 exec, exec, s[6:7]
	s_and_saveexec_b64 s[6:7], s[4:5]
	s_cbranch_execz .LBB2_11384
.LBB2_11383:
	v_bfe_u32 v3, v5, 16, 3
	v_ffbh_u32_e32 v7, v3
	v_min_u32_e32 v7, 32, v7
	v_lshrrev_b32_e32 v4, 19, v5
	v_subrev_u32_e32 v8, 28, v7
	v_and_b32_e32 v4, 15, v4
	v_lshlrev_b32_sdwa v8, v8, v5 dst_sel:DWORD dst_unused:UNUSED_PAD src0_sel:DWORD src1_sel:WORD_1
	v_bfe_u32 v6, v5, 19, 4
	v_sub_u32_e32 v7, 29, v7
	v_and_b32_e32 v8, 7, v8
	v_cmp_eq_u16_e32 vcc, 0, v4
	v_cndmask_b32_e32 v3, v3, v8, vcc
	v_cndmask_b32_e32 v4, v6, v7, vcc
	v_lshlrev_b32_e32 v6, 8, v5
	v_mov_b32_e32 v7, 0x3b800000
	v_lshlrev_b32_e32 v3, 20, v3
	v_and_b32_e32 v6, 0x80000000, v6
	v_lshl_add_u32 v4, v4, 23, v7
	v_or3_b32 v4, v6, v4, v3
.LBB2_11384:
	s_or_b64 exec, exec, s[6:7]
	s_nop 0
	v_mfma_f32_16x16x4f32 a[0:3], v2, v4, a[0:3]
	s_movk_i32 s4, 0x7f
	v_cmp_gt_i16_sdwa s[6:7], v9, s4 src0_sel:BYTE_3 src1_sel:DWORD
	s_mov_b64 s[4:5], 0
                                        ; implicit-def: $sgpr10
	s_and_saveexec_b64 s[8:9], s[6:7]
	s_xor_b64 s[6:7], exec, s[8:9]
	s_cbranch_execz .LBB2_11385
; %bb.47225:
	s_getpc_b64 s[14:15]
.Lpost_getpc27196:
	s_add_u32 s14, s14, (.LBB2_25721-.Lpost_getpc27196)&4294967295
	s_addc_u32 s15, s15, (.LBB2_25721-.Lpost_getpc27196)>>32
	s_setpc_b64 s[14:15]
.LBB2_11385:
	s_or_saveexec_b64 s[6:7], s[6:7]
	v_mov_b32_e32 v2, s10
	s_xor_b64 exec, exec, s[6:7]
	s_cbranch_execz .LBB2_11386
; %bb.47227:
	s_getpc_b64 s[14:15]
.Lpost_getpc27197:
	s_add_u32 s14, s14, (.LBB2_25724-.Lpost_getpc27197)&4294967295
	s_addc_u32 s15, s15, (.LBB2_25724-.Lpost_getpc27197)>>32
	s_setpc_b64 s[14:15]
.LBB2_11386:
	s_or_b64 exec, exec, s[6:7]
	s_and_saveexec_b64 s[6:7], s[4:5]
	s_cbranch_execz .LBB2_11388
.LBB2_11387:
	v_bfe_u32 v2, v9, 24, 3
	v_ffbh_u32_e32 v7, v2
	v_min_u32_e32 v7, 32, v7
	v_lshrrev_b32_e32 v4, 27, v9
	v_subrev_u32_e32 v8, 28, v7
	v_and_b32_e32 v4, 15, v4
	v_lshlrev_b32_sdwa v8, v8, v9 dst_sel:DWORD dst_unused:UNUSED_PAD src0_sel:DWORD src1_sel:BYTE_3
	v_bfe_u32 v6, v9, 27, 4
	v_sub_u32_e32 v7, 29, v7
	v_and_b32_e32 v8, 7, v8
	v_cmp_eq_u16_e32 vcc, 0, v4
	v_cndmask_b32_e32 v2, v2, v8, vcc
	v_cndmask_b32_e32 v4, v6, v7, vcc
	v_mov_b32_e32 v6, 0x3b800000
	v_and_b32_e32 v3, 0x80000000, v9
	v_lshlrev_b32_e32 v2, 20, v2
	v_lshl_add_u32 v4, v4, 23, v6
	v_or3_b32 v2, v3, v4, v2
.LBB2_11388:
	s_or_b64 exec, exec, s[6:7]
	s_movk_i32 s4, 0x7f
	v_cmp_gt_i16_sdwa s[6:7], v5, s4 src0_sel:BYTE_3 src1_sel:DWORD
	s_mov_b64 s[4:5], 0
                                        ; implicit-def: $sgpr10
	s_and_saveexec_b64 s[8:9], s[6:7]
	s_xor_b64 s[6:7], exec, s[8:9]
	s_cbranch_execz .LBB2_11389
; %bb.47229:
	s_getpc_b64 s[14:15]
.Lpost_getpc27198:
	s_add_u32 s14, s14, (.LBB2_25725-.Lpost_getpc27198)&4294967295
	s_addc_u32 s15, s15, (.LBB2_25725-.Lpost_getpc27198)>>32
	s_setpc_b64 s[14:15]
.LBB2_11389:
	s_or_saveexec_b64 s[6:7], s[6:7]
	v_mov_b32_e32 v3, s10
	s_xor_b64 exec, exec, s[6:7]
	s_cbranch_execz .LBB2_11390
; %bb.47231:
	s_getpc_b64 s[14:15]
.Lpost_getpc27199:
	s_add_u32 s14, s14, (.LBB2_25728-.Lpost_getpc27199)&4294967295
	s_addc_u32 s15, s15, (.LBB2_25728-.Lpost_getpc27199)>>32
	s_setpc_b64 s[14:15]
.LBB2_11390:
	s_or_b64 exec, exec, s[6:7]
	s_and_saveexec_b64 s[6:7], s[4:5]
	s_cbranch_execz .LBB2_11392
.LBB2_11391:
	v_bfe_u32 v3, v5, 24, 3
	v_ffbh_u32_e32 v8, v3
	v_min_u32_e32 v8, 32, v8
	v_lshrrev_b32_e32 v6, 27, v5
	v_subrev_u32_e32 v9, 28, v8
	v_and_b32_e32 v4, 0x80000000, v5
	v_and_b32_e32 v6, 15, v6
	v_bfe_u32 v7, v5, 27, 4
	v_lshlrev_b32_sdwa v5, v9, v5 dst_sel:DWORD dst_unused:UNUSED_PAD src0_sel:DWORD src1_sel:BYTE_3
	v_sub_u32_e32 v8, 29, v8
	v_and_b32_e32 v5, 7, v5
	v_cmp_eq_u16_e32 vcc, 0, v6
	v_cndmask_b32_e32 v3, v3, v5, vcc
	v_cndmask_b32_e32 v5, v7, v8, vcc
	v_mov_b32_e32 v6, 0x3b800000
	v_lshlrev_b32_e32 v3, 20, v3
	v_lshl_add_u32 v5, v5, 23, v6
	v_or3_b32 v3, v4, v5, v3
.LBB2_11392:
	s_or_b64 exec, exec, s[6:7]
	s_nop 0
	v_mfma_f32_16x16x4f32 a[0:3], v2, v3, a[0:3]
	s_movk_i32 s4, 0x7f
                                        ; implicit-def: $sgpr10
	s_nop 7
	s_nop 1
	flat_store_dwordx4 v[10:11], a[0:3] offset:512
	flat_load_dwordx4 v[12:15], v[0:1]
	s_nop 0
	flat_load_dwordx2 v[10:11], v[0:1] offset:16
	s_waitcnt vmcnt(0) lgkmcnt(0)
	flat_load_dwordx4 v[6:9], v[12:13] offset:176
	flat_load_dwordx4 v[2:5], v[14:15] offset:144
	s_waitcnt vmcnt(0) lgkmcnt(0)
	v_cmp_gt_i16_sdwa s[6:7], v6, s4 src0_sel:BYTE_0 src1_sel:DWORD
	s_mov_b64 s[4:5], 0
	s_and_saveexec_b64 s[8:9], s[6:7]
	s_xor_b64 s[6:7], exec, s[8:9]
	s_cbranch_execz .LBB2_11393
; %bb.47233:
	s_getpc_b64 s[14:15]
.Lpost_getpc27200:
	s_add_u32 s14, s14, (.LBB2_25729-.Lpost_getpc27200)&4294967295
	s_addc_u32 s15, s15, (.LBB2_25729-.Lpost_getpc27200)>>32
	s_setpc_b64 s[14:15]
.LBB2_11393:
	s_or_saveexec_b64 s[6:7], s[6:7]
	v_mov_b32_e32 v12, s10
	s_xor_b64 exec, exec, s[6:7]
	s_cbranch_execz .LBB2_11394
; %bb.47235:
	s_getpc_b64 s[14:15]
.Lpost_getpc27201:
	s_add_u32 s14, s14, (.LBB2_25732-.Lpost_getpc27201)&4294967295
	s_addc_u32 s15, s15, (.LBB2_25732-.Lpost_getpc27201)>>32
	s_setpc_b64 s[14:15]
.LBB2_11394:
	s_or_b64 exec, exec, s[6:7]
	s_and_saveexec_b64 s[6:7], s[4:5]
	s_cbranch_execz .LBB2_11396
.LBB2_11395:
	v_and_b32_e32 v12, 7, v6
	v_ffbh_u32_e32 v14, v12
	v_min_u32_e32 v14, 32, v14
	v_lshrrev_b16_e32 v13, 3, v6
	v_subrev_u32_e32 v15, 28, v14
	v_and_b32_e32 v13, 15, v13
	v_lshlrev_b32_e32 v15, v15, v6
	v_sub_u32_e32 v14, 29, v14
	v_and_b32_e32 v15, 7, v15
	v_cmp_eq_u16_e32 vcc, 0, v13
	v_cndmask_b32_e32 v12, v12, v15, vcc
	v_cndmask_b32_e32 v13, v13, v14, vcc
	v_lshlrev_b32_e32 v14, 24, v6
	v_mov_b32_e32 v15, 0x3b800000
	v_lshlrev_b32_e32 v12, 20, v12
	v_and_b32_e32 v14, 0x80000000, v14
	v_lshl_add_u32 v13, v13, 23, v15
	v_or3_b32 v12, v14, v13, v12
.LBB2_11396:
	s_or_b64 exec, exec, s[6:7]
	s_movk_i32 s4, 0x7f
	v_cmp_gt_i16_sdwa s[6:7], v2, s4 src0_sel:BYTE_0 src1_sel:DWORD
	s_mov_b64 s[4:5], 0
                                        ; implicit-def: $sgpr10
	s_and_saveexec_b64 s[8:9], s[6:7]
	s_xor_b64 s[6:7], exec, s[8:9]
	s_cbranch_execz .LBB2_11397
; %bb.47237:
	s_getpc_b64 s[14:15]
.Lpost_getpc27202:
	s_add_u32 s14, s14, (.LBB2_25733-.Lpost_getpc27202)&4294967295
	s_addc_u32 s15, s15, (.LBB2_25733-.Lpost_getpc27202)>>32
	s_setpc_b64 s[14:15]
.LBB2_11397:
	s_or_saveexec_b64 s[6:7], s[6:7]
	v_mov_b32_e32 v13, s10
	s_xor_b64 exec, exec, s[6:7]
	s_cbranch_execz .LBB2_11398
; %bb.47239:
	s_getpc_b64 s[14:15]
.Lpost_getpc27203:
	s_add_u32 s14, s14, (.LBB2_25736-.Lpost_getpc27203)&4294967295
	s_addc_u32 s15, s15, (.LBB2_25736-.Lpost_getpc27203)>>32
	s_setpc_b64 s[14:15]
.LBB2_11398:
	s_or_b64 exec, exec, s[6:7]
	s_and_saveexec_b64 s[6:7], s[4:5]
	s_cbranch_execz .LBB2_11400
.LBB2_11399:
	v_and_b32_e32 v13, 7, v2
	v_ffbh_u32_e32 v15, v13
	v_min_u32_e32 v15, 32, v15
	v_lshrrev_b16_e32 v14, 3, v2
	v_subrev_u32_e32 v16, 28, v15
	v_and_b32_e32 v14, 15, v14
	v_lshlrev_b32_e32 v16, v16, v2
	v_sub_u32_e32 v15, 29, v15
	v_and_b32_e32 v16, 7, v16
	v_cmp_eq_u16_e32 vcc, 0, v14
	v_cndmask_b32_e32 v13, v13, v16, vcc
	v_cndmask_b32_e32 v14, v14, v15, vcc
	v_lshlrev_b32_e32 v15, 24, v2
	v_mov_b32_e32 v16, 0x3b800000
	v_lshlrev_b32_e32 v13, 20, v13
	v_and_b32_e32 v15, 0x80000000, v15
	v_lshl_add_u32 v14, v14, 23, v16
	v_or3_b32 v13, v15, v14, v13
.LBB2_11400:
	s_or_b64 exec, exec, s[6:7]
	flat_load_dwordx4 a[0:3], v[10:11] offset:528
	s_movk_i32 s4, 0x7f
                                        ; implicit-def: $sgpr10
	s_waitcnt vmcnt(0) lgkmcnt(0)
	v_mfma_f32_16x16x4f32 a[0:3], v12, v13, a[0:3]
	v_lshrrev_b32_e32 v13, 8, v6
	v_cmp_gt_i16_sdwa s[6:7], v13, s4 src0_sel:BYTE_0 src1_sel:DWORD
	s_mov_b64 s[4:5], 0
	s_and_saveexec_b64 s[8:9], s[6:7]
	s_xor_b64 s[6:7], exec, s[8:9]
	s_cbranch_execz .LBB2_11401
; %bb.47241:
	s_getpc_b64 s[14:15]
.Lpost_getpc27204:
	s_add_u32 s14, s14, (.LBB2_25737-.Lpost_getpc27204)&4294967295
	s_addc_u32 s15, s15, (.LBB2_25737-.Lpost_getpc27204)>>32
	s_setpc_b64 s[14:15]
.LBB2_11401:
	s_or_saveexec_b64 s[6:7], s[6:7]
	v_mov_b32_e32 v12, s10
	s_xor_b64 exec, exec, s[6:7]
	s_cbranch_execz .LBB2_11402
; %bb.47243:
	s_getpc_b64 s[14:15]
.Lpost_getpc27205:
	s_add_u32 s14, s14, (.LBB2_25740-.Lpost_getpc27205)&4294967295
	s_addc_u32 s15, s15, (.LBB2_25740-.Lpost_getpc27205)>>32
	s_setpc_b64 s[14:15]
.LBB2_11402:
	s_or_b64 exec, exec, s[6:7]
	s_and_saveexec_b64 s[6:7], s[4:5]
	s_cbranch_execz .LBB2_11404
.LBB2_11403:
	v_bfe_u32 v12, v6, 8, 3
	v_ffbh_u32_e32 v15, v12
	v_min_u32_e32 v15, 32, v15
	v_lshrrev_b16_e32 v14, 3, v13
	v_subrev_u32_e32 v16, 28, v15
	v_and_b32_e32 v14, 15, v14
	v_lshlrev_b32_e32 v13, v16, v13
	v_sub_u32_e32 v15, 29, v15
	v_and_b32_e32 v13, 7, v13
	v_cmp_eq_u16_e32 vcc, 0, v14
	v_cndmask_b32_e32 v12, v12, v13, vcc
	v_cndmask_b32_e32 v13, v14, v15, vcc
	v_lshlrev_b32_e32 v14, 16, v6
	v_mov_b32_e32 v15, 0x3b800000
	v_lshlrev_b32_e32 v12, 20, v12
	v_and_b32_e32 v14, 0x80000000, v14
	v_lshl_add_u32 v13, v13, 23, v15
	v_or3_b32 v12, v14, v13, v12
.LBB2_11404:
	s_or_b64 exec, exec, s[6:7]
	v_lshrrev_b32_e32 v13, 8, v2
	s_movk_i32 s4, 0x7f
	v_cmp_gt_i16_sdwa s[6:7], v13, s4 src0_sel:BYTE_0 src1_sel:DWORD
	s_mov_b64 s[4:5], 0
                                        ; implicit-def: $sgpr10
	s_and_saveexec_b64 s[8:9], s[6:7]
	s_xor_b64 s[6:7], exec, s[8:9]
	s_cbranch_execz .LBB2_11405
; %bb.47245:
	s_getpc_b64 s[14:15]
.Lpost_getpc27206:
	s_add_u32 s14, s14, (.LBB2_25741-.Lpost_getpc27206)&4294967295
	s_addc_u32 s15, s15, (.LBB2_25741-.Lpost_getpc27206)>>32
	s_setpc_b64 s[14:15]
.LBB2_11405:
	s_or_saveexec_b64 s[6:7], s[6:7]
	v_mov_b32_e32 v14, s10
	s_xor_b64 exec, exec, s[6:7]
	s_cbranch_execz .LBB2_11406
; %bb.47247:
	s_getpc_b64 s[14:15]
.Lpost_getpc27207:
	s_add_u32 s14, s14, (.LBB2_25744-.Lpost_getpc27207)&4294967295
	s_addc_u32 s15, s15, (.LBB2_25744-.Lpost_getpc27207)>>32
	s_setpc_b64 s[14:15]
.LBB2_11406:
	s_or_b64 exec, exec, s[6:7]
	s_and_saveexec_b64 s[6:7], s[4:5]
	s_cbranch_execz .LBB2_11408
.LBB2_11407:
	v_bfe_u32 v14, v2, 8, 3
	v_ffbh_u32_e32 v16, v14
	v_min_u32_e32 v16, 32, v16
	v_lshrrev_b16_e32 v15, 3, v13
	v_subrev_u32_e32 v17, 28, v16
	v_and_b32_e32 v15, 15, v15
	v_lshlrev_b32_e32 v13, v17, v13
	v_sub_u32_e32 v16, 29, v16
	v_and_b32_e32 v13, 7, v13
	v_cmp_eq_u16_e32 vcc, 0, v15
	v_cndmask_b32_e32 v13, v14, v13, vcc
	v_cndmask_b32_e32 v14, v15, v16, vcc
	v_lshlrev_b32_e32 v15, 16, v2
	v_mov_b32_e32 v16, 0x3b800000
	v_lshlrev_b32_e32 v13, 20, v13
	v_and_b32_e32 v15, 0x80000000, v15
	v_lshl_add_u32 v14, v14, 23, v16
	v_or3_b32 v14, v15, v14, v13
.LBB2_11408:
	s_or_b64 exec, exec, s[6:7]
	s_nop 0
	v_mfma_f32_16x16x4f32 a[0:3], v12, v14, a[0:3]
	s_movk_i32 s4, 0xff
	v_and_b32_sdwa v13, v6, s4 dst_sel:DWORD dst_unused:UNUSED_PAD src0_sel:WORD_1 src1_sel:DWORD
	s_movk_i32 s4, 0x7f
	v_cmp_lt_i16_e32 vcc, s4, v13
	s_mov_b64 s[4:5], 0
                                        ; implicit-def: $sgpr10
	s_and_saveexec_b64 s[6:7], vcc
	s_xor_b64 s[6:7], exec, s[6:7]
	s_cbranch_execz .LBB2_11409
; %bb.47249:
	s_getpc_b64 s[14:15]
.Lpost_getpc27208:
	s_add_u32 s14, s14, (.LBB2_25745-.Lpost_getpc27208)&4294967295
	s_addc_u32 s15, s15, (.LBB2_25745-.Lpost_getpc27208)>>32
	s_setpc_b64 s[14:15]
.LBB2_11409:
	s_or_saveexec_b64 s[6:7], s[6:7]
	v_mov_b32_e32 v12, s10
	s_xor_b64 exec, exec, s[6:7]
	s_cbranch_execz .LBB2_11410
; %bb.47251:
	s_getpc_b64 s[14:15]
.Lpost_getpc27209:
	s_add_u32 s14, s14, (.LBB2_25748-.Lpost_getpc27209)&4294967295
	s_addc_u32 s15, s15, (.LBB2_25748-.Lpost_getpc27209)>>32
	s_setpc_b64 s[14:15]
.LBB2_11410:
	s_or_b64 exec, exec, s[6:7]
	s_and_saveexec_b64 s[6:7], s[4:5]
	s_cbranch_execz .LBB2_11412
.LBB2_11411:
	v_bfe_u32 v12, v6, 16, 3
	v_ffbh_u32_e32 v15, v12
	v_min_u32_e32 v15, 32, v15
	v_lshrrev_b32_e32 v13, 19, v6
	v_subrev_u32_e32 v16, 28, v15
	v_and_b32_e32 v13, 15, v13
	v_lshlrev_b32_sdwa v16, v16, v6 dst_sel:DWORD dst_unused:UNUSED_PAD src0_sel:DWORD src1_sel:WORD_1
	v_bfe_u32 v14, v6, 19, 4
	v_sub_u32_e32 v15, 29, v15
	v_and_b32_e32 v16, 7, v16
	v_cmp_eq_u16_e32 vcc, 0, v13
	v_cndmask_b32_e32 v12, v12, v16, vcc
	v_cndmask_b32_e32 v13, v14, v15, vcc
	v_lshlrev_b32_e32 v14, 8, v6
	v_mov_b32_e32 v15, 0x3b800000
	v_lshlrev_b32_e32 v12, 20, v12
	v_and_b32_e32 v14, 0x80000000, v14
	v_lshl_add_u32 v13, v13, 23, v15
	v_or3_b32 v12, v14, v13, v12
.LBB2_11412:
	s_or_b64 exec, exec, s[6:7]
	s_movk_i32 s4, 0xff
	v_and_b32_sdwa v13, v2, s4 dst_sel:DWORD dst_unused:UNUSED_PAD src0_sel:WORD_1 src1_sel:DWORD
	s_movk_i32 s4, 0x7f
	v_cmp_lt_i16_e32 vcc, s4, v13
	s_mov_b64 s[4:5], 0
                                        ; implicit-def: $sgpr10
	s_and_saveexec_b64 s[6:7], vcc
	s_xor_b64 s[6:7], exec, s[6:7]
	s_cbranch_execz .LBB2_11413
; %bb.47253:
	s_getpc_b64 s[14:15]
.Lpost_getpc27210:
	s_add_u32 s14, s14, (.LBB2_25749-.Lpost_getpc27210)&4294967295
	s_addc_u32 s15, s15, (.LBB2_25749-.Lpost_getpc27210)>>32
	s_setpc_b64 s[14:15]
.LBB2_11413:
	s_or_saveexec_b64 s[6:7], s[6:7]
	v_mov_b32_e32 v14, s10
	s_xor_b64 exec, exec, s[6:7]
	s_cbranch_execz .LBB2_11414
; %bb.47255:
	s_getpc_b64 s[14:15]
.Lpost_getpc27211:
	s_add_u32 s14, s14, (.LBB2_25752-.Lpost_getpc27211)&4294967295
	s_addc_u32 s15, s15, (.LBB2_25752-.Lpost_getpc27211)>>32
	s_setpc_b64 s[14:15]
.LBB2_11414:
	s_or_b64 exec, exec, s[6:7]
	s_and_saveexec_b64 s[6:7], s[4:5]
	s_cbranch_execz .LBB2_11416
.LBB2_11415:
	v_bfe_u32 v13, v2, 16, 3
	v_ffbh_u32_e32 v16, v13
	v_min_u32_e32 v16, 32, v16
	v_lshrrev_b32_e32 v14, 19, v2
	v_subrev_u32_e32 v17, 28, v16
	v_and_b32_e32 v14, 15, v14
	v_lshlrev_b32_sdwa v17, v17, v2 dst_sel:DWORD dst_unused:UNUSED_PAD src0_sel:DWORD src1_sel:WORD_1
	v_bfe_u32 v15, v2, 19, 4
	v_sub_u32_e32 v16, 29, v16
	v_and_b32_e32 v17, 7, v17
	v_cmp_eq_u16_e32 vcc, 0, v14
	v_cndmask_b32_e32 v13, v13, v17, vcc
	v_cndmask_b32_e32 v14, v15, v16, vcc
	v_lshlrev_b32_e32 v15, 8, v2
	v_mov_b32_e32 v16, 0x3b800000
	v_lshlrev_b32_e32 v13, 20, v13
	v_and_b32_e32 v15, 0x80000000, v15
	v_lshl_add_u32 v14, v14, 23, v16
	v_or3_b32 v14, v15, v14, v13
.LBB2_11416:
	s_or_b64 exec, exec, s[6:7]
	s_nop 0
	v_mfma_f32_16x16x4f32 a[0:3], v12, v14, a[0:3]
	s_movk_i32 s4, 0x7f
	v_cmp_gt_i16_sdwa s[6:7], v6, s4 src0_sel:BYTE_3 src1_sel:DWORD
	s_mov_b64 s[4:5], 0
                                        ; implicit-def: $sgpr10
	s_and_saveexec_b64 s[8:9], s[6:7]
	s_xor_b64 s[6:7], exec, s[8:9]
	s_cbranch_execz .LBB2_11417
; %bb.47257:
	s_getpc_b64 s[14:15]
.Lpost_getpc27212:
	s_add_u32 s14, s14, (.LBB2_25753-.Lpost_getpc27212)&4294967295
	s_addc_u32 s15, s15, (.LBB2_25753-.Lpost_getpc27212)>>32
	s_setpc_b64 s[14:15]
.LBB2_11417:
	s_or_saveexec_b64 s[6:7], s[6:7]
	v_mov_b32_e32 v12, s10
	s_xor_b64 exec, exec, s[6:7]
	s_cbranch_execz .LBB2_11418
; %bb.47259:
	s_getpc_b64 s[14:15]
.Lpost_getpc27213:
	s_add_u32 s14, s14, (.LBB2_25756-.Lpost_getpc27213)&4294967295
	s_addc_u32 s15, s15, (.LBB2_25756-.Lpost_getpc27213)>>32
	s_setpc_b64 s[14:15]
.LBB2_11418:
	s_or_b64 exec, exec, s[6:7]
	s_and_saveexec_b64 s[6:7], s[4:5]
	s_cbranch_execz .LBB2_11420
.LBB2_11419:
	v_bfe_u32 v12, v6, 24, 3
	v_ffbh_u32_e32 v16, v12
	v_min_u32_e32 v16, 32, v16
	v_lshrrev_b32_e32 v14, 27, v6
	v_subrev_u32_e32 v17, 28, v16
	v_and_b32_e32 v13, 0x80000000, v6
	v_and_b32_e32 v14, 15, v14
	v_bfe_u32 v15, v6, 27, 4
	v_lshlrev_b32_sdwa v6, v17, v6 dst_sel:DWORD dst_unused:UNUSED_PAD src0_sel:DWORD src1_sel:BYTE_3
	v_sub_u32_e32 v16, 29, v16
	v_and_b32_e32 v6, 7, v6
	v_cmp_eq_u16_e32 vcc, 0, v14
	v_cndmask_b32_e32 v6, v12, v6, vcc
	v_cndmask_b32_e32 v12, v15, v16, vcc
	v_mov_b32_e32 v14, 0x3b800000
	v_lshlrev_b32_e32 v6, 20, v6
	v_lshl_add_u32 v12, v12, 23, v14
	v_or3_b32 v12, v13, v12, v6
.LBB2_11420:
	s_or_b64 exec, exec, s[6:7]
	s_movk_i32 s4, 0x7f
	v_cmp_gt_i16_sdwa s[6:7], v2, s4 src0_sel:BYTE_3 src1_sel:DWORD
	s_mov_b64 s[4:5], 0
                                        ; implicit-def: $sgpr10
	s_and_saveexec_b64 s[8:9], s[6:7]
	s_xor_b64 s[6:7], exec, s[8:9]
	s_cbranch_execz .LBB2_11421
; %bb.47261:
	s_getpc_b64 s[14:15]
.Lpost_getpc27214:
	s_add_u32 s14, s14, (.LBB2_25757-.Lpost_getpc27214)&4294967295
	s_addc_u32 s15, s15, (.LBB2_25757-.Lpost_getpc27214)>>32
	s_setpc_b64 s[14:15]
.LBB2_11421:
	s_or_saveexec_b64 s[6:7], s[6:7]
	v_mov_b32_e32 v6, s10
	s_xor_b64 exec, exec, s[6:7]
	s_cbranch_execz .LBB2_11422
; %bb.47263:
	s_getpc_b64 s[14:15]
.Lpost_getpc27215:
	s_add_u32 s14, s14, (.LBB2_25760-.Lpost_getpc27215)&4294967295
	s_addc_u32 s15, s15, (.LBB2_25760-.Lpost_getpc27215)>>32
	s_setpc_b64 s[14:15]
.LBB2_11422:
	s_or_b64 exec, exec, s[6:7]
	s_and_saveexec_b64 s[6:7], s[4:5]
	s_cbranch_execz .LBB2_11424
.LBB2_11423:
	v_bfe_u32 v6, v2, 24, 3
	v_ffbh_u32_e32 v16, v6
	v_min_u32_e32 v16, 32, v16
	v_lshrrev_b32_e32 v14, 27, v2
	v_subrev_u32_e32 v17, 28, v16
	v_and_b32_e32 v13, 0x80000000, v2
	v_and_b32_e32 v14, 15, v14
	v_bfe_u32 v15, v2, 27, 4
	v_lshlrev_b32_sdwa v2, v17, v2 dst_sel:DWORD dst_unused:UNUSED_PAD src0_sel:DWORD src1_sel:BYTE_3
	v_sub_u32_e32 v16, 29, v16
	v_and_b32_e32 v2, 7, v2
	v_cmp_eq_u16_e32 vcc, 0, v14
	v_cndmask_b32_e32 v2, v6, v2, vcc
	v_cndmask_b32_e32 v6, v15, v16, vcc
	v_mov_b32_e32 v14, 0x3b800000
	v_lshlrev_b32_e32 v2, 20, v2
	v_lshl_add_u32 v6, v6, 23, v14
	v_or3_b32 v6, v13, v6, v2
.LBB2_11424:
	s_or_b64 exec, exec, s[6:7]
	s_nop 0
	v_mfma_f32_16x16x4f32 a[0:3], v12, v6, a[0:3]
	s_movk_i32 s4, 0x7f
	v_cmp_gt_i16_sdwa s[6:7], v7, s4 src0_sel:BYTE_0 src1_sel:DWORD
	s_mov_b64 s[4:5], 0
                                        ; implicit-def: $sgpr10
	s_and_saveexec_b64 s[8:9], s[6:7]
	s_xor_b64 s[6:7], exec, s[8:9]
	s_cbranch_execz .LBB2_11425
; %bb.47265:
	s_getpc_b64 s[14:15]
.Lpost_getpc27216:
	s_add_u32 s14, s14, (.LBB2_25761-.Lpost_getpc27216)&4294967295
	s_addc_u32 s15, s15, (.LBB2_25761-.Lpost_getpc27216)>>32
	s_setpc_b64 s[14:15]
.LBB2_11425:
	s_or_saveexec_b64 s[6:7], s[6:7]
	v_mov_b32_e32 v2, s10
	s_xor_b64 exec, exec, s[6:7]
	s_cbranch_execz .LBB2_11426
; %bb.47267:
	s_getpc_b64 s[14:15]
.Lpost_getpc27217:
	s_add_u32 s14, s14, (.LBB2_25764-.Lpost_getpc27217)&4294967295
	s_addc_u32 s15, s15, (.LBB2_25764-.Lpost_getpc27217)>>32
	s_setpc_b64 s[14:15]
.LBB2_11426:
	s_or_b64 exec, exec, s[6:7]
	s_and_saveexec_b64 s[6:7], s[4:5]
	s_cbranch_execz .LBB2_11428
.LBB2_11427:
	v_and_b32_e32 v2, 7, v7
	v_ffbh_u32_e32 v12, v2
	v_min_u32_e32 v12, 32, v12
	v_lshrrev_b16_e32 v6, 3, v7
	v_subrev_u32_e32 v13, 28, v12
	v_and_b32_e32 v6, 15, v6
	v_lshlrev_b32_e32 v13, v13, v7
	v_sub_u32_e32 v12, 29, v12
	v_and_b32_e32 v13, 7, v13
	v_cmp_eq_u16_e32 vcc, 0, v6
	v_cndmask_b32_e32 v2, v2, v13, vcc
	v_cndmask_b32_e32 v6, v6, v12, vcc
	v_lshlrev_b32_e32 v12, 24, v7
	v_mov_b32_e32 v13, 0x3b800000
	v_lshlrev_b32_e32 v2, 20, v2
	v_and_b32_e32 v12, 0x80000000, v12
	v_lshl_add_u32 v6, v6, 23, v13
	v_or3_b32 v2, v12, v6, v2
.LBB2_11428:
	s_or_b64 exec, exec, s[6:7]
	s_movk_i32 s4, 0x7f
	v_cmp_gt_i16_sdwa s[6:7], v3, s4 src0_sel:BYTE_0 src1_sel:DWORD
	s_mov_b64 s[4:5], 0
                                        ; implicit-def: $sgpr10
	s_and_saveexec_b64 s[8:9], s[6:7]
	s_xor_b64 s[6:7], exec, s[8:9]
	s_cbranch_execz .LBB2_11429
; %bb.47269:
	s_getpc_b64 s[14:15]
.Lpost_getpc27218:
	s_add_u32 s14, s14, (.LBB2_25765-.Lpost_getpc27218)&4294967295
	s_addc_u32 s15, s15, (.LBB2_25765-.Lpost_getpc27218)>>32
	s_setpc_b64 s[14:15]
.LBB2_11429:
	s_or_saveexec_b64 s[6:7], s[6:7]
	v_mov_b32_e32 v6, s10
	s_xor_b64 exec, exec, s[6:7]
	s_cbranch_execz .LBB2_11430
; %bb.47271:
	s_getpc_b64 s[14:15]
.Lpost_getpc27219:
	s_add_u32 s14, s14, (.LBB2_25768-.Lpost_getpc27219)&4294967295
	s_addc_u32 s15, s15, (.LBB2_25768-.Lpost_getpc27219)>>32
	s_setpc_b64 s[14:15]
.LBB2_11430:
	s_or_b64 exec, exec, s[6:7]
	s_and_saveexec_b64 s[6:7], s[4:5]
	s_cbranch_execz .LBB2_11432
.LBB2_11431:
	v_and_b32_e32 v6, 7, v3
	v_ffbh_u32_e32 v13, v6
	v_min_u32_e32 v13, 32, v13
	v_lshrrev_b16_e32 v12, 3, v3
	v_subrev_u32_e32 v14, 28, v13
	v_and_b32_e32 v12, 15, v12
	v_lshlrev_b32_e32 v14, v14, v3
	v_sub_u32_e32 v13, 29, v13
	v_and_b32_e32 v14, 7, v14
	v_cmp_eq_u16_e32 vcc, 0, v12
	v_cndmask_b32_e32 v6, v6, v14, vcc
	v_cndmask_b32_e32 v12, v12, v13, vcc
	v_lshlrev_b32_e32 v13, 24, v3
	v_mov_b32_e32 v14, 0x3b800000
	v_lshlrev_b32_e32 v6, 20, v6
	v_and_b32_e32 v13, 0x80000000, v13
	v_lshl_add_u32 v12, v12, 23, v14
	v_or3_b32 v6, v13, v12, v6
.LBB2_11432:
	s_or_b64 exec, exec, s[6:7]
	s_nop 0
	v_mfma_f32_16x16x4f32 a[0:3], v2, v6, a[0:3]
	v_lshrrev_b32_e32 v6, 8, v7
	s_movk_i32 s4, 0x7f
	v_cmp_gt_i16_sdwa s[6:7], v6, s4 src0_sel:BYTE_0 src1_sel:DWORD
	s_mov_b64 s[4:5], 0
                                        ; implicit-def: $sgpr10
	s_and_saveexec_b64 s[8:9], s[6:7]
	s_xor_b64 s[6:7], exec, s[8:9]
	s_cbranch_execz .LBB2_11433
; %bb.47273:
	s_getpc_b64 s[14:15]
.Lpost_getpc27220:
	s_add_u32 s14, s14, (.LBB2_25769-.Lpost_getpc27220)&4294967295
	s_addc_u32 s15, s15, (.LBB2_25769-.Lpost_getpc27220)>>32
	s_setpc_b64 s[14:15]
.LBB2_11433:
	s_or_saveexec_b64 s[6:7], s[6:7]
	v_mov_b32_e32 v2, s10
	s_xor_b64 exec, exec, s[6:7]
	s_cbranch_execz .LBB2_11434
; %bb.47275:
	s_getpc_b64 s[14:15]
.Lpost_getpc27221:
	s_add_u32 s14, s14, (.LBB2_25772-.Lpost_getpc27221)&4294967295
	s_addc_u32 s15, s15, (.LBB2_25772-.Lpost_getpc27221)>>32
	s_setpc_b64 s[14:15]
.LBB2_11434:
	s_or_b64 exec, exec, s[6:7]
	s_and_saveexec_b64 s[6:7], s[4:5]
	s_cbranch_execz .LBB2_11436
.LBB2_11435:
	v_bfe_u32 v2, v7, 8, 3
	v_ffbh_u32_e32 v13, v2
	v_min_u32_e32 v13, 32, v13
	v_lshrrev_b16_e32 v12, 3, v6
	v_subrev_u32_e32 v14, 28, v13
	v_and_b32_e32 v12, 15, v12
	v_lshlrev_b32_e32 v6, v14, v6
	v_sub_u32_e32 v13, 29, v13
	v_and_b32_e32 v6, 7, v6
	v_cmp_eq_u16_e32 vcc, 0, v12
	v_cndmask_b32_e32 v2, v2, v6, vcc
	v_cndmask_b32_e32 v6, v12, v13, vcc
	v_lshlrev_b32_e32 v12, 16, v7
	v_mov_b32_e32 v13, 0x3b800000
	v_lshlrev_b32_e32 v2, 20, v2
	v_and_b32_e32 v12, 0x80000000, v12
	v_lshl_add_u32 v6, v6, 23, v13
	v_or3_b32 v2, v12, v6, v2
.LBB2_11436:
	s_or_b64 exec, exec, s[6:7]
	v_lshrrev_b32_e32 v6, 8, v3
	s_movk_i32 s4, 0x7f
	v_cmp_gt_i16_sdwa s[6:7], v6, s4 src0_sel:BYTE_0 src1_sel:DWORD
	s_mov_b64 s[4:5], 0
                                        ; implicit-def: $sgpr10
	s_and_saveexec_b64 s[8:9], s[6:7]
	s_xor_b64 s[6:7], exec, s[8:9]
	s_cbranch_execz .LBB2_11437
; %bb.47277:
	s_getpc_b64 s[14:15]
.Lpost_getpc27222:
	s_add_u32 s14, s14, (.LBB2_25773-.Lpost_getpc27222)&4294967295
	s_addc_u32 s15, s15, (.LBB2_25773-.Lpost_getpc27222)>>32
	s_setpc_b64 s[14:15]
.LBB2_11437:
	s_or_saveexec_b64 s[6:7], s[6:7]
	v_mov_b32_e32 v12, s10
	s_xor_b64 exec, exec, s[6:7]
	s_cbranch_execz .LBB2_11438
; %bb.47279:
	s_getpc_b64 s[14:15]
.Lpost_getpc27223:
	s_add_u32 s14, s14, (.LBB2_25776-.Lpost_getpc27223)&4294967295
	s_addc_u32 s15, s15, (.LBB2_25776-.Lpost_getpc27223)>>32
	s_setpc_b64 s[14:15]
.LBB2_11438:
	s_or_b64 exec, exec, s[6:7]
	s_and_saveexec_b64 s[6:7], s[4:5]
	s_cbranch_execz .LBB2_11440
.LBB2_11439:
	v_bfe_u32 v12, v3, 8, 3
	v_ffbh_u32_e32 v14, v12
	v_min_u32_e32 v14, 32, v14
	v_lshrrev_b16_e32 v13, 3, v6
	v_subrev_u32_e32 v15, 28, v14
	v_and_b32_e32 v13, 15, v13
	v_lshlrev_b32_e32 v6, v15, v6
	v_sub_u32_e32 v14, 29, v14
	v_and_b32_e32 v6, 7, v6
	v_cmp_eq_u16_e32 vcc, 0, v13
	v_cndmask_b32_e32 v6, v12, v6, vcc
	v_cndmask_b32_e32 v12, v13, v14, vcc
	v_lshlrev_b32_e32 v13, 16, v3
	v_mov_b32_e32 v14, 0x3b800000
	v_lshlrev_b32_e32 v6, 20, v6
	v_and_b32_e32 v13, 0x80000000, v13
	v_lshl_add_u32 v12, v12, 23, v14
	v_or3_b32 v12, v13, v12, v6
.LBB2_11440:
	s_or_b64 exec, exec, s[6:7]
	s_nop 0
	v_mfma_f32_16x16x4f32 a[0:3], v2, v12, a[0:3]
	s_movk_i32 s4, 0xff
	v_and_b32_sdwa v6, v7, s4 dst_sel:DWORD dst_unused:UNUSED_PAD src0_sel:WORD_1 src1_sel:DWORD
	s_movk_i32 s4, 0x7f
	v_cmp_lt_i16_e32 vcc, s4, v6
	s_mov_b64 s[4:5], 0
                                        ; implicit-def: $sgpr10
	s_and_saveexec_b64 s[6:7], vcc
	s_xor_b64 s[6:7], exec, s[6:7]
	s_cbranch_execz .LBB2_11441
; %bb.47281:
	s_getpc_b64 s[14:15]
.Lpost_getpc27224:
	s_add_u32 s14, s14, (.LBB2_25777-.Lpost_getpc27224)&4294967295
	s_addc_u32 s15, s15, (.LBB2_25777-.Lpost_getpc27224)>>32
	s_setpc_b64 s[14:15]
.LBB2_11441:
	s_or_saveexec_b64 s[6:7], s[6:7]
	v_mov_b32_e32 v2, s10
	s_xor_b64 exec, exec, s[6:7]
	s_cbranch_execz .LBB2_11442
; %bb.47283:
	s_getpc_b64 s[14:15]
.Lpost_getpc27225:
	s_add_u32 s14, s14, (.LBB2_25780-.Lpost_getpc27225)&4294967295
	s_addc_u32 s15, s15, (.LBB2_25780-.Lpost_getpc27225)>>32
	s_setpc_b64 s[14:15]
.LBB2_11442:
	s_or_b64 exec, exec, s[6:7]
	s_and_saveexec_b64 s[6:7], s[4:5]
	s_cbranch_execz .LBB2_11444
.LBB2_11443:
	v_bfe_u32 v2, v7, 16, 3
	v_ffbh_u32_e32 v13, v2
	v_min_u32_e32 v13, 32, v13
	v_lshrrev_b32_e32 v6, 19, v7
	v_subrev_u32_e32 v14, 28, v13
	v_and_b32_e32 v6, 15, v6
	v_lshlrev_b32_sdwa v14, v14, v7 dst_sel:DWORD dst_unused:UNUSED_PAD src0_sel:DWORD src1_sel:WORD_1
	v_bfe_u32 v12, v7, 19, 4
	v_sub_u32_e32 v13, 29, v13
	v_and_b32_e32 v14, 7, v14
	v_cmp_eq_u16_e32 vcc, 0, v6
	v_cndmask_b32_e32 v2, v2, v14, vcc
	v_cndmask_b32_e32 v6, v12, v13, vcc
	v_lshlrev_b32_e32 v12, 8, v7
	v_mov_b32_e32 v13, 0x3b800000
	v_lshlrev_b32_e32 v2, 20, v2
	v_and_b32_e32 v12, 0x80000000, v12
	v_lshl_add_u32 v6, v6, 23, v13
	v_or3_b32 v2, v12, v6, v2
.LBB2_11444:
	s_or_b64 exec, exec, s[6:7]
	s_movk_i32 s4, 0xff
	v_and_b32_sdwa v6, v3, s4 dst_sel:DWORD dst_unused:UNUSED_PAD src0_sel:WORD_1 src1_sel:DWORD
	s_movk_i32 s4, 0x7f
	v_cmp_lt_i16_e32 vcc, s4, v6
	s_mov_b64 s[4:5], 0
                                        ; implicit-def: $sgpr10
	s_and_saveexec_b64 s[6:7], vcc
	s_xor_b64 s[6:7], exec, s[6:7]
	s_cbranch_execz .LBB2_11445
; %bb.47285:
	s_getpc_b64 s[14:15]
.Lpost_getpc27226:
	s_add_u32 s14, s14, (.LBB2_25781-.Lpost_getpc27226)&4294967295
	s_addc_u32 s15, s15, (.LBB2_25781-.Lpost_getpc27226)>>32
	s_setpc_b64 s[14:15]
.LBB2_11445:
	s_or_saveexec_b64 s[6:7], s[6:7]
	v_mov_b32_e32 v12, s10
	s_xor_b64 exec, exec, s[6:7]
	s_cbranch_execz .LBB2_11446
; %bb.47287:
	s_getpc_b64 s[14:15]
.Lpost_getpc27227:
	s_add_u32 s14, s14, (.LBB2_25784-.Lpost_getpc27227)&4294967295
	s_addc_u32 s15, s15, (.LBB2_25784-.Lpost_getpc27227)>>32
	s_setpc_b64 s[14:15]
.LBB2_11446:
	s_or_b64 exec, exec, s[6:7]
	s_and_saveexec_b64 s[6:7], s[4:5]
	s_cbranch_execz .LBB2_11448
.LBB2_11447:
	v_bfe_u32 v6, v3, 16, 3
	v_ffbh_u32_e32 v14, v6
	v_min_u32_e32 v14, 32, v14
	v_lshrrev_b32_e32 v12, 19, v3
	v_subrev_u32_e32 v15, 28, v14
	v_and_b32_e32 v12, 15, v12
	v_lshlrev_b32_sdwa v15, v15, v3 dst_sel:DWORD dst_unused:UNUSED_PAD src0_sel:DWORD src1_sel:WORD_1
	v_bfe_u32 v13, v3, 19, 4
	v_sub_u32_e32 v14, 29, v14
	v_and_b32_e32 v15, 7, v15
	v_cmp_eq_u16_e32 vcc, 0, v12
	v_cndmask_b32_e32 v6, v6, v15, vcc
	v_cndmask_b32_e32 v12, v13, v14, vcc
	v_lshlrev_b32_e32 v13, 8, v3
	v_mov_b32_e32 v14, 0x3b800000
	v_lshlrev_b32_e32 v6, 20, v6
	v_and_b32_e32 v13, 0x80000000, v13
	v_lshl_add_u32 v12, v12, 23, v14
	v_or3_b32 v12, v13, v12, v6
.LBB2_11448:
	s_or_b64 exec, exec, s[6:7]
	s_nop 0
	v_mfma_f32_16x16x4f32 a[0:3], v2, v12, a[0:3]
	s_movk_i32 s4, 0x7f
	v_cmp_gt_i16_sdwa s[6:7], v7, s4 src0_sel:BYTE_3 src1_sel:DWORD
	s_mov_b64 s[4:5], 0
                                        ; implicit-def: $sgpr10
	s_and_saveexec_b64 s[8:9], s[6:7]
	s_xor_b64 s[6:7], exec, s[8:9]
	s_cbranch_execz .LBB2_11449
; %bb.47289:
	s_getpc_b64 s[14:15]
.Lpost_getpc27228:
	s_add_u32 s14, s14, (.LBB2_25785-.Lpost_getpc27228)&4294967295
	s_addc_u32 s15, s15, (.LBB2_25785-.Lpost_getpc27228)>>32
	s_setpc_b64 s[14:15]
.LBB2_11449:
	s_or_saveexec_b64 s[6:7], s[6:7]
	v_mov_b32_e32 v2, s10
	s_xor_b64 exec, exec, s[6:7]
	s_cbranch_execz .LBB2_11450
; %bb.47291:
	s_getpc_b64 s[14:15]
.Lpost_getpc27229:
	s_add_u32 s14, s14, (.LBB2_25788-.Lpost_getpc27229)&4294967295
	s_addc_u32 s15, s15, (.LBB2_25788-.Lpost_getpc27229)>>32
	s_setpc_b64 s[14:15]
.LBB2_11450:
	s_or_b64 exec, exec, s[6:7]
	s_and_saveexec_b64 s[6:7], s[4:5]
	s_cbranch_execz .LBB2_11452
.LBB2_11451:
	v_bfe_u32 v2, v7, 24, 3
	v_ffbh_u32_e32 v14, v2
	v_min_u32_e32 v14, 32, v14
	v_lshrrev_b32_e32 v12, 27, v7
	v_subrev_u32_e32 v15, 28, v14
	v_and_b32_e32 v6, 0x80000000, v7
	v_and_b32_e32 v12, 15, v12
	v_bfe_u32 v13, v7, 27, 4
	v_lshlrev_b32_sdwa v7, v15, v7 dst_sel:DWORD dst_unused:UNUSED_PAD src0_sel:DWORD src1_sel:BYTE_3
	v_sub_u32_e32 v14, 29, v14
	v_and_b32_e32 v7, 7, v7
	v_cmp_eq_u16_e32 vcc, 0, v12
	v_cndmask_b32_e32 v2, v2, v7, vcc
	v_cndmask_b32_e32 v7, v13, v14, vcc
	v_mov_b32_e32 v12, 0x3b800000
	v_lshlrev_b32_e32 v2, 20, v2
	v_lshl_add_u32 v7, v7, 23, v12
	v_or3_b32 v2, v6, v7, v2
.LBB2_11452:
	s_or_b64 exec, exec, s[6:7]
	s_movk_i32 s4, 0x7f
	v_cmp_gt_i16_sdwa s[6:7], v3, s4 src0_sel:BYTE_3 src1_sel:DWORD
	s_mov_b64 s[4:5], 0
                                        ; implicit-def: $sgpr10
	s_and_saveexec_b64 s[8:9], s[6:7]
	s_xor_b64 s[6:7], exec, s[8:9]
	s_cbranch_execz .LBB2_11453
; %bb.47293:
	s_getpc_b64 s[14:15]
.Lpost_getpc27230:
	s_add_u32 s14, s14, (.LBB2_25789-.Lpost_getpc27230)&4294967295
	s_addc_u32 s15, s15, (.LBB2_25789-.Lpost_getpc27230)>>32
	s_setpc_b64 s[14:15]
.LBB2_11453:
	s_or_saveexec_b64 s[6:7], s[6:7]
	v_mov_b32_e32 v6, s10
	s_xor_b64 exec, exec, s[6:7]
	s_cbranch_execz .LBB2_11454
; %bb.47295:
	s_getpc_b64 s[14:15]
.Lpost_getpc27231:
	s_add_u32 s14, s14, (.LBB2_25792-.Lpost_getpc27231)&4294967295
	s_addc_u32 s15, s15, (.LBB2_25792-.Lpost_getpc27231)>>32
	s_setpc_b64 s[14:15]
.LBB2_11454:
	s_or_b64 exec, exec, s[6:7]
	s_and_saveexec_b64 s[6:7], s[4:5]
	s_cbranch_execz .LBB2_11456
.LBB2_11455:
	v_bfe_u32 v6, v3, 24, 3
	v_ffbh_u32_e32 v14, v6
	v_min_u32_e32 v14, 32, v14
	v_lshrrev_b32_e32 v12, 27, v3
	v_subrev_u32_e32 v15, 28, v14
	v_and_b32_e32 v7, 0x80000000, v3
	v_and_b32_e32 v12, 15, v12
	v_bfe_u32 v13, v3, 27, 4
	v_lshlrev_b32_sdwa v3, v15, v3 dst_sel:DWORD dst_unused:UNUSED_PAD src0_sel:DWORD src1_sel:BYTE_3
	v_sub_u32_e32 v14, 29, v14
	v_and_b32_e32 v3, 7, v3
	v_cmp_eq_u16_e32 vcc, 0, v12
	v_cndmask_b32_e32 v3, v6, v3, vcc
	v_cndmask_b32_e32 v6, v13, v14, vcc
	v_mov_b32_e32 v12, 0x3b800000
	v_lshlrev_b32_e32 v3, 20, v3
	v_lshl_add_u32 v6, v6, 23, v12
	v_or3_b32 v6, v7, v6, v3
.LBB2_11456:
	s_or_b64 exec, exec, s[6:7]
	s_nop 0
	v_mfma_f32_16x16x4f32 a[0:3], v2, v6, a[0:3]
	s_movk_i32 s4, 0x7f
	v_cmp_gt_i16_sdwa s[6:7], v8, s4 src0_sel:BYTE_0 src1_sel:DWORD
	s_mov_b64 s[4:5], 0
                                        ; implicit-def: $sgpr10
	s_and_saveexec_b64 s[8:9], s[6:7]
	s_xor_b64 s[6:7], exec, s[8:9]
	s_cbranch_execz .LBB2_11457
; %bb.47297:
	s_getpc_b64 s[14:15]
.Lpost_getpc27232:
	s_add_u32 s14, s14, (.LBB2_25793-.Lpost_getpc27232)&4294967295
	s_addc_u32 s15, s15, (.LBB2_25793-.Lpost_getpc27232)>>32
	s_setpc_b64 s[14:15]
.LBB2_11457:
	s_or_saveexec_b64 s[6:7], s[6:7]
	v_mov_b32_e32 v2, s10
	s_xor_b64 exec, exec, s[6:7]
	s_cbranch_execz .LBB2_11458
; %bb.47299:
	s_getpc_b64 s[14:15]
.Lpost_getpc27233:
	s_add_u32 s14, s14, (.LBB2_25796-.Lpost_getpc27233)&4294967295
	s_addc_u32 s15, s15, (.LBB2_25796-.Lpost_getpc27233)>>32
	s_setpc_b64 s[14:15]
.LBB2_11458:
	s_or_b64 exec, exec, s[6:7]
	s_and_saveexec_b64 s[6:7], s[4:5]
	s_cbranch_execz .LBB2_11460
.LBB2_11459:
	v_and_b32_e32 v2, 7, v8
	v_ffbh_u32_e32 v6, v2
	v_min_u32_e32 v6, 32, v6
	v_lshrrev_b16_e32 v3, 3, v8
	v_subrev_u32_e32 v7, 28, v6
	v_and_b32_e32 v3, 15, v3
	v_lshlrev_b32_e32 v7, v7, v8
	v_sub_u32_e32 v6, 29, v6
	v_and_b32_e32 v7, 7, v7
	v_cmp_eq_u16_e32 vcc, 0, v3
	v_cndmask_b32_e32 v2, v2, v7, vcc
	v_cndmask_b32_e32 v3, v3, v6, vcc
	v_lshlrev_b32_e32 v6, 24, v8
	v_mov_b32_e32 v7, 0x3b800000
	v_lshlrev_b32_e32 v2, 20, v2
	v_and_b32_e32 v6, 0x80000000, v6
	v_lshl_add_u32 v3, v3, 23, v7
	v_or3_b32 v2, v6, v3, v2
.LBB2_11460:
	s_or_b64 exec, exec, s[6:7]
	s_movk_i32 s4, 0x7f
	v_cmp_gt_i16_sdwa s[6:7], v4, s4 src0_sel:BYTE_0 src1_sel:DWORD
	s_mov_b64 s[4:5], 0
                                        ; implicit-def: $sgpr10
	s_and_saveexec_b64 s[8:9], s[6:7]
	s_xor_b64 s[6:7], exec, s[8:9]
	s_cbranch_execz .LBB2_11461
; %bb.47301:
	s_getpc_b64 s[14:15]
.Lpost_getpc27234:
	s_add_u32 s14, s14, (.LBB2_25797-.Lpost_getpc27234)&4294967295
	s_addc_u32 s15, s15, (.LBB2_25797-.Lpost_getpc27234)>>32
	s_setpc_b64 s[14:15]
.LBB2_11461:
	s_or_saveexec_b64 s[6:7], s[6:7]
	v_mov_b32_e32 v3, s10
	s_xor_b64 exec, exec, s[6:7]
	s_cbranch_execz .LBB2_11462
; %bb.47303:
	s_getpc_b64 s[14:15]
.Lpost_getpc27235:
	s_add_u32 s14, s14, (.LBB2_25800-.Lpost_getpc27235)&4294967295
	s_addc_u32 s15, s15, (.LBB2_25800-.Lpost_getpc27235)>>32
	s_setpc_b64 s[14:15]
.LBB2_11462:
	s_or_b64 exec, exec, s[6:7]
	s_and_saveexec_b64 s[6:7], s[4:5]
	s_cbranch_execz .LBB2_11464
.LBB2_11463:
	v_and_b32_e32 v3, 7, v4
	v_ffbh_u32_e32 v7, v3
	v_min_u32_e32 v7, 32, v7
	v_lshrrev_b16_e32 v6, 3, v4
	v_subrev_u32_e32 v12, 28, v7
	v_and_b32_e32 v6, 15, v6
	v_lshlrev_b32_e32 v12, v12, v4
	v_sub_u32_e32 v7, 29, v7
	v_and_b32_e32 v12, 7, v12
	v_cmp_eq_u16_e32 vcc, 0, v6
	v_cndmask_b32_e32 v3, v3, v12, vcc
	v_cndmask_b32_e32 v6, v6, v7, vcc
	v_lshlrev_b32_e32 v7, 24, v4
	v_mov_b32_e32 v12, 0x3b800000
	v_lshlrev_b32_e32 v3, 20, v3
	v_and_b32_e32 v7, 0x80000000, v7
	v_lshl_add_u32 v6, v6, 23, v12
	v_or3_b32 v3, v7, v6, v3
.LBB2_11464:
	s_or_b64 exec, exec, s[6:7]
	s_nop 0
	v_mfma_f32_16x16x4f32 a[0:3], v2, v3, a[0:3]
	v_lshrrev_b32_e32 v3, 8, v8
	s_movk_i32 s4, 0x7f
	v_cmp_gt_i16_sdwa s[6:7], v3, s4 src0_sel:BYTE_0 src1_sel:DWORD
	s_mov_b64 s[4:5], 0
                                        ; implicit-def: $sgpr10
	s_and_saveexec_b64 s[8:9], s[6:7]
	s_xor_b64 s[6:7], exec, s[8:9]
	s_cbranch_execz .LBB2_11465
; %bb.47305:
	s_getpc_b64 s[14:15]
.Lpost_getpc27236:
	s_add_u32 s14, s14, (.LBB2_25801-.Lpost_getpc27236)&4294967295
	s_addc_u32 s15, s15, (.LBB2_25801-.Lpost_getpc27236)>>32
	s_setpc_b64 s[14:15]
.LBB2_11465:
	s_or_saveexec_b64 s[6:7], s[6:7]
	v_mov_b32_e32 v2, s10
	s_xor_b64 exec, exec, s[6:7]
	s_cbranch_execz .LBB2_11466
; %bb.47307:
	s_getpc_b64 s[14:15]
.Lpost_getpc27237:
	s_add_u32 s14, s14, (.LBB2_25804-.Lpost_getpc27237)&4294967295
	s_addc_u32 s15, s15, (.LBB2_25804-.Lpost_getpc27237)>>32
	s_setpc_b64 s[14:15]
.LBB2_11466:
	s_or_b64 exec, exec, s[6:7]
	s_and_saveexec_b64 s[6:7], s[4:5]
	s_cbranch_execz .LBB2_11468
.LBB2_11467:
	v_bfe_u32 v2, v8, 8, 3
	v_ffbh_u32_e32 v7, v2
	v_min_u32_e32 v7, 32, v7
	v_lshrrev_b16_e32 v6, 3, v3
	v_subrev_u32_e32 v12, 28, v7
	v_and_b32_e32 v6, 15, v6
	v_lshlrev_b32_e32 v3, v12, v3
	v_sub_u32_e32 v7, 29, v7
	v_and_b32_e32 v3, 7, v3
	v_cmp_eq_u16_e32 vcc, 0, v6
	v_cndmask_b32_e32 v2, v2, v3, vcc
	v_cndmask_b32_e32 v3, v6, v7, vcc
	v_lshlrev_b32_e32 v6, 16, v8
	v_mov_b32_e32 v7, 0x3b800000
	v_lshlrev_b32_e32 v2, 20, v2
	v_and_b32_e32 v6, 0x80000000, v6
	v_lshl_add_u32 v3, v3, 23, v7
	v_or3_b32 v2, v6, v3, v2
.LBB2_11468:
	s_or_b64 exec, exec, s[6:7]
	v_lshrrev_b32_e32 v3, 8, v4
	s_movk_i32 s4, 0x7f
	v_cmp_gt_i16_sdwa s[6:7], v3, s4 src0_sel:BYTE_0 src1_sel:DWORD
	s_mov_b64 s[4:5], 0
                                        ; implicit-def: $sgpr10
	s_and_saveexec_b64 s[8:9], s[6:7]
	s_xor_b64 s[6:7], exec, s[8:9]
	s_cbranch_execz .LBB2_11469
; %bb.47309:
	s_getpc_b64 s[14:15]
.Lpost_getpc27238:
	s_add_u32 s14, s14, (.LBB2_25805-.Lpost_getpc27238)&4294967295
	s_addc_u32 s15, s15, (.LBB2_25805-.Lpost_getpc27238)>>32
	s_setpc_b64 s[14:15]
.LBB2_11469:
	s_or_saveexec_b64 s[6:7], s[6:7]
	v_mov_b32_e32 v6, s10
	s_xor_b64 exec, exec, s[6:7]
	s_cbranch_execz .LBB2_11470
; %bb.47311:
	s_getpc_b64 s[14:15]
.Lpost_getpc27239:
	s_add_u32 s14, s14, (.LBB2_25808-.Lpost_getpc27239)&4294967295
	s_addc_u32 s15, s15, (.LBB2_25808-.Lpost_getpc27239)>>32
	s_setpc_b64 s[14:15]
.LBB2_11470:
	s_or_b64 exec, exec, s[6:7]
	s_and_saveexec_b64 s[6:7], s[4:5]
	s_cbranch_execz .LBB2_11472
.LBB2_11471:
	v_bfe_u32 v6, v4, 8, 3
	v_ffbh_u32_e32 v12, v6
	v_min_u32_e32 v12, 32, v12
	v_lshrrev_b16_e32 v7, 3, v3
	v_subrev_u32_e32 v13, 28, v12
	v_and_b32_e32 v7, 15, v7
	v_lshlrev_b32_e32 v3, v13, v3
	v_sub_u32_e32 v12, 29, v12
	v_and_b32_e32 v3, 7, v3
	v_cmp_eq_u16_e32 vcc, 0, v7
	v_cndmask_b32_e32 v3, v6, v3, vcc
	v_cndmask_b32_e32 v6, v7, v12, vcc
	v_lshlrev_b32_e32 v7, 16, v4
	v_mov_b32_e32 v12, 0x3b800000
	v_lshlrev_b32_e32 v3, 20, v3
	v_and_b32_e32 v7, 0x80000000, v7
	v_lshl_add_u32 v6, v6, 23, v12
	v_or3_b32 v6, v7, v6, v3
.LBB2_11472:
	s_or_b64 exec, exec, s[6:7]
	s_nop 0
	v_mfma_f32_16x16x4f32 a[0:3], v2, v6, a[0:3]
	s_movk_i32 s4, 0xff
	v_and_b32_sdwa v3, v8, s4 dst_sel:DWORD dst_unused:UNUSED_PAD src0_sel:WORD_1 src1_sel:DWORD
	s_movk_i32 s4, 0x7f
	v_cmp_lt_i16_e32 vcc, s4, v3
	s_mov_b64 s[4:5], 0
                                        ; implicit-def: $sgpr10
	s_and_saveexec_b64 s[6:7], vcc
	s_xor_b64 s[6:7], exec, s[6:7]
	s_cbranch_execz .LBB2_11473
; %bb.47313:
	s_getpc_b64 s[14:15]
.Lpost_getpc27240:
	s_add_u32 s14, s14, (.LBB2_25809-.Lpost_getpc27240)&4294967295
	s_addc_u32 s15, s15, (.LBB2_25809-.Lpost_getpc27240)>>32
	s_setpc_b64 s[14:15]
.LBB2_11473:
	s_or_saveexec_b64 s[6:7], s[6:7]
	v_mov_b32_e32 v2, s10
	s_xor_b64 exec, exec, s[6:7]
	s_cbranch_execz .LBB2_11474
; %bb.47315:
	s_getpc_b64 s[14:15]
.Lpost_getpc27241:
	s_add_u32 s14, s14, (.LBB2_25812-.Lpost_getpc27241)&4294967295
	s_addc_u32 s15, s15, (.LBB2_25812-.Lpost_getpc27241)>>32
	s_setpc_b64 s[14:15]
.LBB2_11474:
	s_or_b64 exec, exec, s[6:7]
	s_and_saveexec_b64 s[6:7], s[4:5]
	s_cbranch_execz .LBB2_11476
.LBB2_11475:
	v_bfe_u32 v2, v8, 16, 3
	v_ffbh_u32_e32 v7, v2
	v_min_u32_e32 v7, 32, v7
	v_lshrrev_b32_e32 v3, 19, v8
	v_subrev_u32_e32 v12, 28, v7
	v_and_b32_e32 v3, 15, v3
	v_lshlrev_b32_sdwa v12, v12, v8 dst_sel:DWORD dst_unused:UNUSED_PAD src0_sel:DWORD src1_sel:WORD_1
	v_bfe_u32 v6, v8, 19, 4
	v_sub_u32_e32 v7, 29, v7
	v_and_b32_e32 v12, 7, v12
	v_cmp_eq_u16_e32 vcc, 0, v3
	v_cndmask_b32_e32 v2, v2, v12, vcc
	v_cndmask_b32_e32 v3, v6, v7, vcc
	v_lshlrev_b32_e32 v6, 8, v8
	v_mov_b32_e32 v7, 0x3b800000
	v_lshlrev_b32_e32 v2, 20, v2
	v_and_b32_e32 v6, 0x80000000, v6
	v_lshl_add_u32 v3, v3, 23, v7
	v_or3_b32 v2, v6, v3, v2
.LBB2_11476:
	s_or_b64 exec, exec, s[6:7]
	s_movk_i32 s4, 0xff
	v_and_b32_sdwa v3, v4, s4 dst_sel:DWORD dst_unused:UNUSED_PAD src0_sel:WORD_1 src1_sel:DWORD
	s_movk_i32 s4, 0x7f
	v_cmp_lt_i16_e32 vcc, s4, v3
	s_mov_b64 s[4:5], 0
                                        ; implicit-def: $sgpr10
	s_and_saveexec_b64 s[6:7], vcc
	s_xor_b64 s[6:7], exec, s[6:7]
	s_cbranch_execz .LBB2_11477
; %bb.47317:
	s_getpc_b64 s[14:15]
.Lpost_getpc27242:
	s_add_u32 s14, s14, (.LBB2_25813-.Lpost_getpc27242)&4294967295
	s_addc_u32 s15, s15, (.LBB2_25813-.Lpost_getpc27242)>>32
	s_setpc_b64 s[14:15]
.LBB2_11477:
	s_or_saveexec_b64 s[6:7], s[6:7]
	v_mov_b32_e32 v6, s10
	s_xor_b64 exec, exec, s[6:7]
	s_cbranch_execz .LBB2_11478
; %bb.47319:
	s_getpc_b64 s[14:15]
.Lpost_getpc27243:
	s_add_u32 s14, s14, (.LBB2_25816-.Lpost_getpc27243)&4294967295
	s_addc_u32 s15, s15, (.LBB2_25816-.Lpost_getpc27243)>>32
	s_setpc_b64 s[14:15]
.LBB2_11478:
	s_or_b64 exec, exec, s[6:7]
	s_and_saveexec_b64 s[6:7], s[4:5]
	s_cbranch_execz .LBB2_11480
.LBB2_11479:
	v_bfe_u32 v3, v4, 16, 3
	v_ffbh_u32_e32 v12, v3
	v_min_u32_e32 v12, 32, v12
	v_lshrrev_b32_e32 v6, 19, v4
	v_subrev_u32_e32 v13, 28, v12
	v_and_b32_e32 v6, 15, v6
	v_lshlrev_b32_sdwa v13, v13, v4 dst_sel:DWORD dst_unused:UNUSED_PAD src0_sel:DWORD src1_sel:WORD_1
	v_bfe_u32 v7, v4, 19, 4
	v_sub_u32_e32 v12, 29, v12
	v_and_b32_e32 v13, 7, v13
	v_cmp_eq_u16_e32 vcc, 0, v6
	v_cndmask_b32_e32 v3, v3, v13, vcc
	v_cndmask_b32_e32 v6, v7, v12, vcc
	v_lshlrev_b32_e32 v7, 8, v4
	v_mov_b32_e32 v12, 0x3b800000
	v_lshlrev_b32_e32 v3, 20, v3
	v_and_b32_e32 v7, 0x80000000, v7
	v_lshl_add_u32 v6, v6, 23, v12
	v_or3_b32 v6, v7, v6, v3
.LBB2_11480:
	s_or_b64 exec, exec, s[6:7]
	s_nop 0
	v_mfma_f32_16x16x4f32 a[0:3], v2, v6, a[0:3]
	s_movk_i32 s4, 0x7f
	v_cmp_gt_i16_sdwa s[6:7], v8, s4 src0_sel:BYTE_3 src1_sel:DWORD
	s_mov_b64 s[4:5], 0
                                        ; implicit-def: $sgpr10
	s_and_saveexec_b64 s[8:9], s[6:7]
	s_xor_b64 s[6:7], exec, s[8:9]
	s_cbranch_execz .LBB2_11481
; %bb.47321:
	s_getpc_b64 s[14:15]
.Lpost_getpc27244:
	s_add_u32 s14, s14, (.LBB2_25817-.Lpost_getpc27244)&4294967295
	s_addc_u32 s15, s15, (.LBB2_25817-.Lpost_getpc27244)>>32
	s_setpc_b64 s[14:15]
.LBB2_11481:
	s_or_saveexec_b64 s[6:7], s[6:7]
	v_mov_b32_e32 v2, s10
	s_xor_b64 exec, exec, s[6:7]
	s_cbranch_execz .LBB2_11482
; %bb.47323:
	s_getpc_b64 s[14:15]
.Lpost_getpc27245:
	s_add_u32 s14, s14, (.LBB2_25820-.Lpost_getpc27245)&4294967295
	s_addc_u32 s15, s15, (.LBB2_25820-.Lpost_getpc27245)>>32
	s_setpc_b64 s[14:15]
.LBB2_11482:
	s_or_b64 exec, exec, s[6:7]
	s_and_saveexec_b64 s[6:7], s[4:5]
	s_cbranch_execz .LBB2_11484
.LBB2_11483:
	v_bfe_u32 v2, v8, 24, 3
	v_ffbh_u32_e32 v12, v2
	v_min_u32_e32 v12, 32, v12
	v_lshrrev_b32_e32 v6, 27, v8
	v_subrev_u32_e32 v13, 28, v12
	v_and_b32_e32 v3, 0x80000000, v8
	v_and_b32_e32 v6, 15, v6
	v_bfe_u32 v7, v8, 27, 4
	v_lshlrev_b32_sdwa v8, v13, v8 dst_sel:DWORD dst_unused:UNUSED_PAD src0_sel:DWORD src1_sel:BYTE_3
	v_sub_u32_e32 v12, 29, v12
	v_and_b32_e32 v8, 7, v8
	v_cmp_eq_u16_e32 vcc, 0, v6
	v_cndmask_b32_e32 v2, v2, v8, vcc
	v_cndmask_b32_e32 v6, v7, v12, vcc
	v_mov_b32_e32 v7, 0x3b800000
	v_lshlrev_b32_e32 v2, 20, v2
	v_lshl_add_u32 v6, v6, 23, v7
	v_or3_b32 v2, v3, v6, v2
.LBB2_11484:
	s_or_b64 exec, exec, s[6:7]
	s_movk_i32 s4, 0x7f
	v_cmp_gt_i16_sdwa s[6:7], v4, s4 src0_sel:BYTE_3 src1_sel:DWORD
	s_mov_b64 s[4:5], 0
                                        ; implicit-def: $sgpr10
	s_and_saveexec_b64 s[8:9], s[6:7]
	s_xor_b64 s[6:7], exec, s[8:9]
	s_cbranch_execz .LBB2_11485
; %bb.47325:
	s_getpc_b64 s[14:15]
.Lpost_getpc27246:
	s_add_u32 s14, s14, (.LBB2_25821-.Lpost_getpc27246)&4294967295
	s_addc_u32 s15, s15, (.LBB2_25821-.Lpost_getpc27246)>>32
	s_setpc_b64 s[14:15]
.LBB2_11485:
	s_or_saveexec_b64 s[6:7], s[6:7]
	v_mov_b32_e32 v3, s10
	s_xor_b64 exec, exec, s[6:7]
	s_cbranch_execz .LBB2_11486
; %bb.47327:
	s_getpc_b64 s[14:15]
.Lpost_getpc27247:
	s_add_u32 s14, s14, (.LBB2_25824-.Lpost_getpc27247)&4294967295
	s_addc_u32 s15, s15, (.LBB2_25824-.Lpost_getpc27247)>>32
	s_setpc_b64 s[14:15]
.LBB2_11486:
	s_or_b64 exec, exec, s[6:7]
	s_and_saveexec_b64 s[6:7], s[4:5]
	s_cbranch_execz .LBB2_11488
.LBB2_11487:
	v_bfe_u32 v3, v4, 24, 3
	v_ffbh_u32_e32 v12, v3
	v_min_u32_e32 v12, 32, v12
	v_lshrrev_b32_e32 v7, 27, v4
	v_subrev_u32_e32 v13, 28, v12
	v_and_b32_e32 v6, 0x80000000, v4
	v_and_b32_e32 v7, 15, v7
	v_bfe_u32 v8, v4, 27, 4
	v_lshlrev_b32_sdwa v4, v13, v4 dst_sel:DWORD dst_unused:UNUSED_PAD src0_sel:DWORD src1_sel:BYTE_3
	v_sub_u32_e32 v12, 29, v12
	v_and_b32_e32 v4, 7, v4
	v_cmp_eq_u16_e32 vcc, 0, v7
	v_cndmask_b32_e32 v3, v3, v4, vcc
	v_cndmask_b32_e32 v4, v8, v12, vcc
	v_mov_b32_e32 v7, 0x3b800000
	v_lshlrev_b32_e32 v3, 20, v3
	v_lshl_add_u32 v4, v4, 23, v7
	v_or3_b32 v3, v6, v4, v3
.LBB2_11488:
	s_or_b64 exec, exec, s[6:7]
	s_nop 0
	v_mfma_f32_16x16x4f32 a[0:3], v2, v3, a[0:3]
	s_movk_i32 s4, 0x7f
	v_cmp_gt_i16_sdwa s[6:7], v9, s4 src0_sel:BYTE_0 src1_sel:DWORD
	s_mov_b64 s[4:5], 0
                                        ; implicit-def: $sgpr10
	s_and_saveexec_b64 s[8:9], s[6:7]
	s_xor_b64 s[6:7], exec, s[8:9]
	s_cbranch_execz .LBB2_11489
; %bb.47329:
	s_getpc_b64 s[14:15]
.Lpost_getpc27248:
	s_add_u32 s14, s14, (.LBB2_25825-.Lpost_getpc27248)&4294967295
	s_addc_u32 s15, s15, (.LBB2_25825-.Lpost_getpc27248)>>32
	s_setpc_b64 s[14:15]
.LBB2_11489:
	s_or_saveexec_b64 s[6:7], s[6:7]
	v_mov_b32_e32 v2, s10
	s_xor_b64 exec, exec, s[6:7]
	s_cbranch_execz .LBB2_11490
; %bb.47331:
	s_getpc_b64 s[14:15]
.Lpost_getpc27249:
	s_add_u32 s14, s14, (.LBB2_25828-.Lpost_getpc27249)&4294967295
	s_addc_u32 s15, s15, (.LBB2_25828-.Lpost_getpc27249)>>32
	s_setpc_b64 s[14:15]
.LBB2_11490:
	s_or_b64 exec, exec, s[6:7]
	s_and_saveexec_b64 s[6:7], s[4:5]
	s_cbranch_execz .LBB2_11492
.LBB2_11491:
	v_mov_b32_e32 v2, 8
	v_and_b32_e32 v3, 7, v9
	v_lshrrev_b32_sdwa v2, v2, v9 dst_sel:BYTE_1 dst_unused:UNUSED_PAD src0_sel:DWORD src1_sel:DWORD
	v_ffbh_u32_e32 v4, v3
	v_or_b32_sdwa v2, v9, v2 dst_sel:DWORD dst_unused:UNUSED_PAD src0_sel:BYTE_0 src1_sel:DWORD
	v_min_u32_e32 v4, 32, v4
	v_lshrrev_b16_e32 v2, 3, v2
	v_subrev_u32_e32 v6, 28, v4
	v_and_b32_e32 v2, 15, v2
	v_lshlrev_b32_e32 v6, v6, v9
	v_sub_u32_e32 v4, 29, v4
	v_and_b32_e32 v6, 7, v6
	v_cmp_eq_u16_e32 vcc, 0, v2
	v_cndmask_b32_e32 v3, v3, v6, vcc
	v_cndmask_b32_e32 v2, v2, v4, vcc
	v_lshlrev_b32_e32 v4, 24, v9
	v_mov_b32_e32 v6, 0x3b800000
	v_lshlrev_b32_e32 v3, 20, v3
	v_and_b32_e32 v4, 0x80000000, v4
	v_lshl_add_u32 v2, v2, 23, v6
	v_or3_b32 v2, v4, v2, v3
.LBB2_11492:
	s_or_b64 exec, exec, s[6:7]
	s_movk_i32 s4, 0x7f
	v_cmp_gt_i16_sdwa s[6:7], v5, s4 src0_sel:BYTE_0 src1_sel:DWORD
	s_mov_b64 s[4:5], 0
                                        ; implicit-def: $sgpr10
	s_and_saveexec_b64 s[8:9], s[6:7]
	s_xor_b64 s[6:7], exec, s[8:9]
	s_cbranch_execz .LBB2_11493
; %bb.47333:
	s_getpc_b64 s[14:15]
.Lpost_getpc27250:
	s_add_u32 s14, s14, (.LBB2_25829-.Lpost_getpc27250)&4294967295
	s_addc_u32 s15, s15, (.LBB2_25829-.Lpost_getpc27250)>>32
	s_setpc_b64 s[14:15]
.LBB2_11493:
	s_or_saveexec_b64 s[6:7], s[6:7]
	v_mov_b32_e32 v3, s10
	s_xor_b64 exec, exec, s[6:7]
	s_cbranch_execz .LBB2_11494
; %bb.47335:
	s_getpc_b64 s[14:15]
.Lpost_getpc27251:
	s_add_u32 s14, s14, (.LBB2_25832-.Lpost_getpc27251)&4294967295
	s_addc_u32 s15, s15, (.LBB2_25832-.Lpost_getpc27251)>>32
	s_setpc_b64 s[14:15]
.LBB2_11494:
	s_or_b64 exec, exec, s[6:7]
	s_and_saveexec_b64 s[6:7], s[4:5]
	s_cbranch_execz .LBB2_11496
.LBB2_11495:
	v_mov_b32_e32 v3, 8
	v_and_b32_e32 v4, 7, v5
	v_lshrrev_b32_sdwa v3, v3, v5 dst_sel:BYTE_1 dst_unused:UNUSED_PAD src0_sel:DWORD src1_sel:DWORD
	v_ffbh_u32_e32 v6, v4
	v_or_b32_sdwa v3, v5, v3 dst_sel:DWORD dst_unused:UNUSED_PAD src0_sel:BYTE_0 src1_sel:DWORD
	v_min_u32_e32 v6, 32, v6
	v_lshrrev_b16_e32 v3, 3, v3
	v_subrev_u32_e32 v7, 28, v6
	v_and_b32_e32 v3, 15, v3
	v_lshlrev_b32_e32 v7, v7, v5
	v_sub_u32_e32 v6, 29, v6
	v_and_b32_e32 v7, 7, v7
	v_cmp_eq_u16_e32 vcc, 0, v3
	v_cndmask_b32_e32 v4, v4, v7, vcc
	v_cndmask_b32_e32 v3, v3, v6, vcc
	v_lshlrev_b32_e32 v6, 24, v5
	v_mov_b32_e32 v7, 0x3b800000
	v_lshlrev_b32_e32 v4, 20, v4
	v_and_b32_e32 v6, 0x80000000, v6
	v_lshl_add_u32 v3, v3, 23, v7
	v_or3_b32 v3, v6, v3, v4
.LBB2_11496:
	s_or_b64 exec, exec, s[6:7]
	s_nop 0
	v_mfma_f32_16x16x4f32 a[0:3], v2, v3, a[0:3]
	v_lshrrev_b32_e32 v3, 8, v9
	s_movk_i32 s4, 0x7f
	v_cmp_gt_i16_sdwa s[6:7], v3, s4 src0_sel:BYTE_0 src1_sel:DWORD
	s_mov_b64 s[4:5], 0
                                        ; implicit-def: $sgpr10
	s_and_saveexec_b64 s[8:9], s[6:7]
	s_xor_b64 s[6:7], exec, s[8:9]
	s_cbranch_execz .LBB2_11497
; %bb.47337:
	s_getpc_b64 s[14:15]
.Lpost_getpc27252:
	s_add_u32 s14, s14, (.LBB2_25833-.Lpost_getpc27252)&4294967295
	s_addc_u32 s15, s15, (.LBB2_25833-.Lpost_getpc27252)>>32
	s_setpc_b64 s[14:15]
.LBB2_11497:
	s_or_saveexec_b64 s[6:7], s[6:7]
	v_mov_b32_e32 v2, s10
	s_xor_b64 exec, exec, s[6:7]
	s_cbranch_execz .LBB2_11498
; %bb.47339:
	s_getpc_b64 s[14:15]
.Lpost_getpc27253:
	s_add_u32 s14, s14, (.LBB2_25836-.Lpost_getpc27253)&4294967295
	s_addc_u32 s15, s15, (.LBB2_25836-.Lpost_getpc27253)>>32
	s_setpc_b64 s[14:15]
.LBB2_11498:
	s_or_b64 exec, exec, s[6:7]
	s_and_saveexec_b64 s[6:7], s[4:5]
	s_cbranch_execz .LBB2_11500
.LBB2_11499:
	v_bfe_u32 v2, v9, 8, 3
	v_ffbh_u32_e32 v6, v2
	v_min_u32_e32 v6, 32, v6
	v_lshrrev_b16_e32 v4, 3, v3
	v_subrev_u32_e32 v7, 28, v6
	v_and_b32_e32 v4, 15, v4
	v_lshlrev_b32_e32 v3, v7, v3
	v_sub_u32_e32 v6, 29, v6
	v_and_b32_e32 v3, 7, v3
	v_cmp_eq_u16_e32 vcc, 0, v4
	v_cndmask_b32_e32 v2, v2, v3, vcc
	v_cndmask_b32_e32 v3, v4, v6, vcc
	v_lshlrev_b32_e32 v4, 16, v9
	v_mov_b32_e32 v6, 0x3b800000
	v_lshlrev_b32_e32 v2, 20, v2
	v_and_b32_e32 v4, 0x80000000, v4
	v_lshl_add_u32 v3, v3, 23, v6
	v_or3_b32 v2, v4, v3, v2
.LBB2_11500:
	s_or_b64 exec, exec, s[6:7]
	v_lshrrev_b32_e32 v3, 8, v5
	s_movk_i32 s4, 0x7f
	v_cmp_gt_i16_sdwa s[6:7], v3, s4 src0_sel:BYTE_0 src1_sel:DWORD
	s_mov_b64 s[4:5], 0
                                        ; implicit-def: $sgpr10
	s_and_saveexec_b64 s[8:9], s[6:7]
	s_xor_b64 s[6:7], exec, s[8:9]
	s_cbranch_execz .LBB2_11501
; %bb.47341:
	s_getpc_b64 s[14:15]
.Lpost_getpc27254:
	s_add_u32 s14, s14, (.LBB2_25837-.Lpost_getpc27254)&4294967295
	s_addc_u32 s15, s15, (.LBB2_25837-.Lpost_getpc27254)>>32
	s_setpc_b64 s[14:15]
.LBB2_11501:
	s_or_saveexec_b64 s[6:7], s[6:7]
	v_mov_b32_e32 v4, s10
	s_xor_b64 exec, exec, s[6:7]
	s_cbranch_execz .LBB2_11502
; %bb.47343:
	s_getpc_b64 s[14:15]
.Lpost_getpc27255:
	s_add_u32 s14, s14, (.LBB2_25840-.Lpost_getpc27255)&4294967295
	s_addc_u32 s15, s15, (.LBB2_25840-.Lpost_getpc27255)>>32
	s_setpc_b64 s[14:15]
.LBB2_11502:
	s_or_b64 exec, exec, s[6:7]
	s_and_saveexec_b64 s[6:7], s[4:5]
	s_cbranch_execz .LBB2_11504
.LBB2_11503:
	v_bfe_u32 v4, v5, 8, 3
	v_ffbh_u32_e32 v7, v4
	v_min_u32_e32 v7, 32, v7
	v_lshrrev_b16_e32 v6, 3, v3
	v_subrev_u32_e32 v8, 28, v7
	v_and_b32_e32 v6, 15, v6
	v_lshlrev_b32_e32 v3, v8, v3
	v_sub_u32_e32 v7, 29, v7
	v_and_b32_e32 v3, 7, v3
	v_cmp_eq_u16_e32 vcc, 0, v6
	v_cndmask_b32_e32 v3, v4, v3, vcc
	v_cndmask_b32_e32 v4, v6, v7, vcc
	v_lshlrev_b32_e32 v6, 16, v5
	v_mov_b32_e32 v7, 0x3b800000
	v_lshlrev_b32_e32 v3, 20, v3
	v_and_b32_e32 v6, 0x80000000, v6
	v_lshl_add_u32 v4, v4, 23, v7
	v_or3_b32 v4, v6, v4, v3
.LBB2_11504:
	s_or_b64 exec, exec, s[6:7]
	s_nop 0
	v_mfma_f32_16x16x4f32 a[0:3], v2, v4, a[0:3]
	s_movk_i32 s4, 0xff
	v_and_b32_sdwa v3, v9, s4 dst_sel:DWORD dst_unused:UNUSED_PAD src0_sel:WORD_1 src1_sel:DWORD
	s_movk_i32 s4, 0x7f
	v_cmp_lt_i16_e32 vcc, s4, v3
	s_mov_b64 s[4:5], 0
                                        ; implicit-def: $sgpr10
	s_and_saveexec_b64 s[6:7], vcc
	s_xor_b64 s[6:7], exec, s[6:7]
	s_cbranch_execz .LBB2_11505
; %bb.47345:
	s_getpc_b64 s[14:15]
.Lpost_getpc27256:
	s_add_u32 s14, s14, (.LBB2_25841-.Lpost_getpc27256)&4294967295
	s_addc_u32 s15, s15, (.LBB2_25841-.Lpost_getpc27256)>>32
	s_setpc_b64 s[14:15]
.LBB2_11505:
	s_or_saveexec_b64 s[6:7], s[6:7]
	v_mov_b32_e32 v2, s10
	s_xor_b64 exec, exec, s[6:7]
	s_cbranch_execz .LBB2_11506
; %bb.47347:
	s_getpc_b64 s[14:15]
.Lpost_getpc27257:
	s_add_u32 s14, s14, (.LBB2_25844-.Lpost_getpc27257)&4294967295
	s_addc_u32 s15, s15, (.LBB2_25844-.Lpost_getpc27257)>>32
	s_setpc_b64 s[14:15]
.LBB2_11506:
	s_or_b64 exec, exec, s[6:7]
	s_and_saveexec_b64 s[6:7], s[4:5]
	s_cbranch_execz .LBB2_11508
.LBB2_11507:
	v_bfe_u32 v2, v9, 16, 3
	v_ffbh_u32_e32 v6, v2
	v_min_u32_e32 v6, 32, v6
	v_lshrrev_b32_e32 v3, 19, v9
	v_subrev_u32_e32 v7, 28, v6
	v_and_b32_e32 v3, 15, v3
	v_lshlrev_b32_sdwa v7, v7, v9 dst_sel:DWORD dst_unused:UNUSED_PAD src0_sel:DWORD src1_sel:WORD_1
	v_bfe_u32 v4, v9, 19, 4
	v_sub_u32_e32 v6, 29, v6
	v_and_b32_e32 v7, 7, v7
	v_cmp_eq_u16_e32 vcc, 0, v3
	v_cndmask_b32_e32 v2, v2, v7, vcc
	v_cndmask_b32_e32 v3, v4, v6, vcc
	v_lshlrev_b32_e32 v4, 8, v9
	v_mov_b32_e32 v6, 0x3b800000
	v_lshlrev_b32_e32 v2, 20, v2
	v_and_b32_e32 v4, 0x80000000, v4
	v_lshl_add_u32 v3, v3, 23, v6
	v_or3_b32 v2, v4, v3, v2
.LBB2_11508:
	s_or_b64 exec, exec, s[6:7]
	s_movk_i32 s4, 0xff
	v_and_b32_sdwa v3, v5, s4 dst_sel:DWORD dst_unused:UNUSED_PAD src0_sel:WORD_1 src1_sel:DWORD
	s_movk_i32 s4, 0x7f
	v_cmp_lt_i16_e32 vcc, s4, v3
	s_mov_b64 s[4:5], 0
                                        ; implicit-def: $sgpr10
	s_and_saveexec_b64 s[6:7], vcc
	s_xor_b64 s[6:7], exec, s[6:7]
	s_cbranch_execz .LBB2_11509
; %bb.47349:
	s_getpc_b64 s[14:15]
.Lpost_getpc27258:
	s_add_u32 s14, s14, (.LBB2_25845-.Lpost_getpc27258)&4294967295
	s_addc_u32 s15, s15, (.LBB2_25845-.Lpost_getpc27258)>>32
	s_setpc_b64 s[14:15]
.LBB2_11509:
	s_or_saveexec_b64 s[6:7], s[6:7]
	v_mov_b32_e32 v4, s10
	s_xor_b64 exec, exec, s[6:7]
	s_cbranch_execz .LBB2_11510
; %bb.47351:
	s_getpc_b64 s[14:15]
.Lpost_getpc27259:
	s_add_u32 s14, s14, (.LBB2_25848-.Lpost_getpc27259)&4294967295
	s_addc_u32 s15, s15, (.LBB2_25848-.Lpost_getpc27259)>>32
	s_setpc_b64 s[14:15]
.LBB2_11510:
	s_or_b64 exec, exec, s[6:7]
	s_and_saveexec_b64 s[6:7], s[4:5]
	s_cbranch_execz .LBB2_11512
.LBB2_11511:
	v_bfe_u32 v3, v5, 16, 3
	v_ffbh_u32_e32 v7, v3
	v_min_u32_e32 v7, 32, v7
	v_lshrrev_b32_e32 v4, 19, v5
	v_subrev_u32_e32 v8, 28, v7
	v_and_b32_e32 v4, 15, v4
	v_lshlrev_b32_sdwa v8, v8, v5 dst_sel:DWORD dst_unused:UNUSED_PAD src0_sel:DWORD src1_sel:WORD_1
	v_bfe_u32 v6, v5, 19, 4
	v_sub_u32_e32 v7, 29, v7
	v_and_b32_e32 v8, 7, v8
	v_cmp_eq_u16_e32 vcc, 0, v4
	v_cndmask_b32_e32 v3, v3, v8, vcc
	v_cndmask_b32_e32 v4, v6, v7, vcc
	v_lshlrev_b32_e32 v6, 8, v5
	v_mov_b32_e32 v7, 0x3b800000
	v_lshlrev_b32_e32 v3, 20, v3
	v_and_b32_e32 v6, 0x80000000, v6
	v_lshl_add_u32 v4, v4, 23, v7
	v_or3_b32 v4, v6, v4, v3
.LBB2_11512:
	s_or_b64 exec, exec, s[6:7]
	s_nop 0
	v_mfma_f32_16x16x4f32 a[0:3], v2, v4, a[0:3]
	s_movk_i32 s4, 0x7f
	v_cmp_gt_i16_sdwa s[6:7], v9, s4 src0_sel:BYTE_3 src1_sel:DWORD
	s_mov_b64 s[4:5], 0
                                        ; implicit-def: $sgpr10
	s_and_saveexec_b64 s[8:9], s[6:7]
	s_xor_b64 s[6:7], exec, s[8:9]
	s_cbranch_execz .LBB2_11513
; %bb.47353:
	s_getpc_b64 s[14:15]
.Lpost_getpc27260:
	s_add_u32 s14, s14, (.LBB2_25849-.Lpost_getpc27260)&4294967295
	s_addc_u32 s15, s15, (.LBB2_25849-.Lpost_getpc27260)>>32
	s_setpc_b64 s[14:15]
.LBB2_11513:
	s_or_saveexec_b64 s[6:7], s[6:7]
	v_mov_b32_e32 v2, s10
	s_xor_b64 exec, exec, s[6:7]
	s_cbranch_execz .LBB2_11514
; %bb.47355:
	s_getpc_b64 s[14:15]
.Lpost_getpc27261:
	s_add_u32 s14, s14, (.LBB2_25852-.Lpost_getpc27261)&4294967295
	s_addc_u32 s15, s15, (.LBB2_25852-.Lpost_getpc27261)>>32
	s_setpc_b64 s[14:15]
.LBB2_11514:
	s_or_b64 exec, exec, s[6:7]
	s_and_saveexec_b64 s[6:7], s[4:5]
	s_cbranch_execz .LBB2_11516
.LBB2_11515:
	v_bfe_u32 v2, v9, 24, 3
	v_ffbh_u32_e32 v7, v2
	v_min_u32_e32 v7, 32, v7
	v_lshrrev_b32_e32 v4, 27, v9
	v_subrev_u32_e32 v8, 28, v7
	v_and_b32_e32 v4, 15, v4
	v_lshlrev_b32_sdwa v8, v8, v9 dst_sel:DWORD dst_unused:UNUSED_PAD src0_sel:DWORD src1_sel:BYTE_3
	v_bfe_u32 v6, v9, 27, 4
	v_sub_u32_e32 v7, 29, v7
	v_and_b32_e32 v8, 7, v8
	v_cmp_eq_u16_e32 vcc, 0, v4
	v_cndmask_b32_e32 v2, v2, v8, vcc
	v_cndmask_b32_e32 v4, v6, v7, vcc
	v_mov_b32_e32 v6, 0x3b800000
	v_and_b32_e32 v3, 0x80000000, v9
	v_lshlrev_b32_e32 v2, 20, v2
	v_lshl_add_u32 v4, v4, 23, v6
	v_or3_b32 v2, v3, v4, v2
.LBB2_11516:
	s_or_b64 exec, exec, s[6:7]
	s_movk_i32 s4, 0x7f
	v_cmp_gt_i16_sdwa s[6:7], v5, s4 src0_sel:BYTE_3 src1_sel:DWORD
	s_mov_b64 s[4:5], 0
                                        ; implicit-def: $sgpr10
	s_and_saveexec_b64 s[8:9], s[6:7]
	s_xor_b64 s[6:7], exec, s[8:9]
	s_cbranch_execz .LBB2_11517
; %bb.47357:
	s_getpc_b64 s[14:15]
.Lpost_getpc27262:
	s_add_u32 s14, s14, (.LBB2_25853-.Lpost_getpc27262)&4294967295
	s_addc_u32 s15, s15, (.LBB2_25853-.Lpost_getpc27262)>>32
	s_setpc_b64 s[14:15]
.LBB2_11517:
	s_or_saveexec_b64 s[6:7], s[6:7]
	v_mov_b32_e32 v3, s10
	s_xor_b64 exec, exec, s[6:7]
	s_cbranch_execz .LBB2_11518
; %bb.47359:
	s_getpc_b64 s[14:15]
.Lpost_getpc27263:
	s_add_u32 s14, s14, (.LBB2_25856-.Lpost_getpc27263)&4294967295
	s_addc_u32 s15, s15, (.LBB2_25856-.Lpost_getpc27263)>>32
	s_setpc_b64 s[14:15]
.LBB2_11518:
	s_or_b64 exec, exec, s[6:7]
	s_and_saveexec_b64 s[6:7], s[4:5]
	s_cbranch_execz .LBB2_11520
.LBB2_11519:
	v_bfe_u32 v3, v5, 24, 3
	v_ffbh_u32_e32 v8, v3
	v_min_u32_e32 v8, 32, v8
	v_lshrrev_b32_e32 v6, 27, v5
	v_subrev_u32_e32 v9, 28, v8
	v_and_b32_e32 v4, 0x80000000, v5
	v_and_b32_e32 v6, 15, v6
	v_bfe_u32 v7, v5, 27, 4
	v_lshlrev_b32_sdwa v5, v9, v5 dst_sel:DWORD dst_unused:UNUSED_PAD src0_sel:DWORD src1_sel:BYTE_3
	v_sub_u32_e32 v8, 29, v8
	v_and_b32_e32 v5, 7, v5
	v_cmp_eq_u16_e32 vcc, 0, v6
	v_cndmask_b32_e32 v3, v3, v5, vcc
	v_cndmask_b32_e32 v5, v7, v8, vcc
	v_mov_b32_e32 v6, 0x3b800000
	v_lshlrev_b32_e32 v3, 20, v3
	v_lshl_add_u32 v5, v5, 23, v6
	v_or3_b32 v3, v4, v5, v3
.LBB2_11520:
	s_or_b64 exec, exec, s[6:7]
	s_nop 0
	v_mfma_f32_16x16x4f32 a[0:3], v2, v3, a[0:3]
	s_movk_i32 s4, 0x7f
                                        ; implicit-def: $sgpr10
	s_nop 7
	s_nop 1
	flat_store_dwordx4 v[10:11], a[0:3] offset:528
	flat_load_dwordx4 v[12:15], v[0:1]
	s_nop 0
	flat_load_dwordx2 v[10:11], v[0:1] offset:16
	s_waitcnt vmcnt(0) lgkmcnt(0)
	flat_load_dwordx4 v[6:9], v[12:13] offset:176
	flat_load_dwordx4 v[2:5], v[14:15] offset:160
	s_waitcnt vmcnt(0) lgkmcnt(0)
	v_cmp_gt_i16_sdwa s[6:7], v6, s4 src0_sel:BYTE_0 src1_sel:DWORD
	s_mov_b64 s[4:5], 0
	s_and_saveexec_b64 s[8:9], s[6:7]
	s_xor_b64 s[6:7], exec, s[8:9]
	s_cbranch_execz .LBB2_11521
; %bb.47361:
	s_getpc_b64 s[14:15]
.Lpost_getpc27264:
	s_add_u32 s14, s14, (.LBB2_25857-.Lpost_getpc27264)&4294967295
	s_addc_u32 s15, s15, (.LBB2_25857-.Lpost_getpc27264)>>32
	s_setpc_b64 s[14:15]
.LBB2_11521:
	s_or_saveexec_b64 s[6:7], s[6:7]
	v_mov_b32_e32 v12, s10
	s_xor_b64 exec, exec, s[6:7]
	s_cbranch_execz .LBB2_11522
; %bb.47363:
	s_getpc_b64 s[14:15]
.Lpost_getpc27265:
	s_add_u32 s14, s14, (.LBB2_25860-.Lpost_getpc27265)&4294967295
	s_addc_u32 s15, s15, (.LBB2_25860-.Lpost_getpc27265)>>32
	s_setpc_b64 s[14:15]
.LBB2_11522:
	s_or_b64 exec, exec, s[6:7]
	s_and_saveexec_b64 s[6:7], s[4:5]
	s_cbranch_execz .LBB2_11524
.LBB2_11523:
	v_and_b32_e32 v12, 7, v6
	v_ffbh_u32_e32 v14, v12
	v_min_u32_e32 v14, 32, v14
	v_lshrrev_b16_e32 v13, 3, v6
	v_subrev_u32_e32 v15, 28, v14
	v_and_b32_e32 v13, 15, v13
	v_lshlrev_b32_e32 v15, v15, v6
	v_sub_u32_e32 v14, 29, v14
	v_and_b32_e32 v15, 7, v15
	v_cmp_eq_u16_e32 vcc, 0, v13
	v_cndmask_b32_e32 v12, v12, v15, vcc
	v_cndmask_b32_e32 v13, v13, v14, vcc
	v_lshlrev_b32_e32 v14, 24, v6
	v_mov_b32_e32 v15, 0x3b800000
	v_lshlrev_b32_e32 v12, 20, v12
	v_and_b32_e32 v14, 0x80000000, v14
	v_lshl_add_u32 v13, v13, 23, v15
	v_or3_b32 v12, v14, v13, v12
.LBB2_11524:
	s_or_b64 exec, exec, s[6:7]
	s_movk_i32 s4, 0x7f
	v_cmp_gt_i16_sdwa s[6:7], v2, s4 src0_sel:BYTE_0 src1_sel:DWORD
	s_mov_b64 s[4:5], 0
                                        ; implicit-def: $sgpr10
	s_and_saveexec_b64 s[8:9], s[6:7]
	s_xor_b64 s[6:7], exec, s[8:9]
	s_cbranch_execz .LBB2_11525
; %bb.47365:
	s_getpc_b64 s[14:15]
.Lpost_getpc27266:
	s_add_u32 s14, s14, (.LBB2_25861-.Lpost_getpc27266)&4294967295
	s_addc_u32 s15, s15, (.LBB2_25861-.Lpost_getpc27266)>>32
	s_setpc_b64 s[14:15]
.LBB2_11525:
	s_or_saveexec_b64 s[6:7], s[6:7]
	v_mov_b32_e32 v13, s10
	s_xor_b64 exec, exec, s[6:7]
	s_cbranch_execz .LBB2_11526
; %bb.47367:
	s_getpc_b64 s[14:15]
.Lpost_getpc27267:
	s_add_u32 s14, s14, (.LBB2_25864-.Lpost_getpc27267)&4294967295
	s_addc_u32 s15, s15, (.LBB2_25864-.Lpost_getpc27267)>>32
	s_setpc_b64 s[14:15]
.LBB2_11526:
	s_or_b64 exec, exec, s[6:7]
	s_and_saveexec_b64 s[6:7], s[4:5]
	s_cbranch_execz .LBB2_11528
.LBB2_11527:
	v_and_b32_e32 v13, 7, v2
	v_ffbh_u32_e32 v15, v13
	v_min_u32_e32 v15, 32, v15
	v_lshrrev_b16_e32 v14, 3, v2
	v_subrev_u32_e32 v16, 28, v15
	v_and_b32_e32 v14, 15, v14
	v_lshlrev_b32_e32 v16, v16, v2
	v_sub_u32_e32 v15, 29, v15
	v_and_b32_e32 v16, 7, v16
	v_cmp_eq_u16_e32 vcc, 0, v14
	v_cndmask_b32_e32 v13, v13, v16, vcc
	v_cndmask_b32_e32 v14, v14, v15, vcc
	v_lshlrev_b32_e32 v15, 24, v2
	v_mov_b32_e32 v16, 0x3b800000
	v_lshlrev_b32_e32 v13, 20, v13
	v_and_b32_e32 v15, 0x80000000, v15
	v_lshl_add_u32 v14, v14, 23, v16
	v_or3_b32 v13, v15, v14, v13
.LBB2_11528:
	s_or_b64 exec, exec, s[6:7]
	flat_load_dwordx4 a[0:3], v[10:11] offset:544
	s_movk_i32 s4, 0x7f
                                        ; implicit-def: $sgpr10
	s_waitcnt vmcnt(0) lgkmcnt(0)
	v_mfma_f32_16x16x4f32 a[0:3], v12, v13, a[0:3]
	v_lshrrev_b32_e32 v13, 8, v6
	v_cmp_gt_i16_sdwa s[6:7], v13, s4 src0_sel:BYTE_0 src1_sel:DWORD
	s_mov_b64 s[4:5], 0
	s_and_saveexec_b64 s[8:9], s[6:7]
	s_xor_b64 s[6:7], exec, s[8:9]
	s_cbranch_execz .LBB2_11529
; %bb.47369:
	s_getpc_b64 s[14:15]
.Lpost_getpc27268:
	s_add_u32 s14, s14, (.LBB2_25865-.Lpost_getpc27268)&4294967295
	s_addc_u32 s15, s15, (.LBB2_25865-.Lpost_getpc27268)>>32
	s_setpc_b64 s[14:15]
.LBB2_11529:
	s_or_saveexec_b64 s[6:7], s[6:7]
	v_mov_b32_e32 v12, s10
	s_xor_b64 exec, exec, s[6:7]
	s_cbranch_execz .LBB2_11530
; %bb.47371:
	s_getpc_b64 s[14:15]
.Lpost_getpc27269:
	s_add_u32 s14, s14, (.LBB2_25868-.Lpost_getpc27269)&4294967295
	s_addc_u32 s15, s15, (.LBB2_25868-.Lpost_getpc27269)>>32
	s_setpc_b64 s[14:15]
.LBB2_11530:
	s_or_b64 exec, exec, s[6:7]
	s_and_saveexec_b64 s[6:7], s[4:5]
	s_cbranch_execz .LBB2_11532
.LBB2_11531:
	v_bfe_u32 v12, v6, 8, 3
	v_ffbh_u32_e32 v15, v12
	v_min_u32_e32 v15, 32, v15
	v_lshrrev_b16_e32 v14, 3, v13
	v_subrev_u32_e32 v16, 28, v15
	v_and_b32_e32 v14, 15, v14
	v_lshlrev_b32_e32 v13, v16, v13
	v_sub_u32_e32 v15, 29, v15
	v_and_b32_e32 v13, 7, v13
	v_cmp_eq_u16_e32 vcc, 0, v14
	v_cndmask_b32_e32 v12, v12, v13, vcc
	v_cndmask_b32_e32 v13, v14, v15, vcc
	v_lshlrev_b32_e32 v14, 16, v6
	v_mov_b32_e32 v15, 0x3b800000
	v_lshlrev_b32_e32 v12, 20, v12
	v_and_b32_e32 v14, 0x80000000, v14
	v_lshl_add_u32 v13, v13, 23, v15
	v_or3_b32 v12, v14, v13, v12
.LBB2_11532:
	s_or_b64 exec, exec, s[6:7]
	v_lshrrev_b32_e32 v13, 8, v2
	s_movk_i32 s4, 0x7f
	v_cmp_gt_i16_sdwa s[6:7], v13, s4 src0_sel:BYTE_0 src1_sel:DWORD
	s_mov_b64 s[4:5], 0
                                        ; implicit-def: $sgpr10
	s_and_saveexec_b64 s[8:9], s[6:7]
	s_xor_b64 s[6:7], exec, s[8:9]
	s_cbranch_execz .LBB2_11533
; %bb.47373:
	s_getpc_b64 s[14:15]
.Lpost_getpc27270:
	s_add_u32 s14, s14, (.LBB2_25869-.Lpost_getpc27270)&4294967295
	s_addc_u32 s15, s15, (.LBB2_25869-.Lpost_getpc27270)>>32
	s_setpc_b64 s[14:15]
.LBB2_11533:
	s_or_saveexec_b64 s[6:7], s[6:7]
	v_mov_b32_e32 v14, s10
	s_xor_b64 exec, exec, s[6:7]
	s_cbranch_execz .LBB2_11534
; %bb.47375:
	s_getpc_b64 s[14:15]
.Lpost_getpc27271:
	s_add_u32 s14, s14, (.LBB2_25872-.Lpost_getpc27271)&4294967295
	s_addc_u32 s15, s15, (.LBB2_25872-.Lpost_getpc27271)>>32
	s_setpc_b64 s[14:15]
.LBB2_11534:
	s_or_b64 exec, exec, s[6:7]
	s_and_saveexec_b64 s[6:7], s[4:5]
	s_cbranch_execz .LBB2_11536
.LBB2_11535:
	v_bfe_u32 v14, v2, 8, 3
	v_ffbh_u32_e32 v16, v14
	v_min_u32_e32 v16, 32, v16
	v_lshrrev_b16_e32 v15, 3, v13
	v_subrev_u32_e32 v17, 28, v16
	v_and_b32_e32 v15, 15, v15
	v_lshlrev_b32_e32 v13, v17, v13
	v_sub_u32_e32 v16, 29, v16
	v_and_b32_e32 v13, 7, v13
	v_cmp_eq_u16_e32 vcc, 0, v15
	v_cndmask_b32_e32 v13, v14, v13, vcc
	v_cndmask_b32_e32 v14, v15, v16, vcc
	v_lshlrev_b32_e32 v15, 16, v2
	v_mov_b32_e32 v16, 0x3b800000
	v_lshlrev_b32_e32 v13, 20, v13
	v_and_b32_e32 v15, 0x80000000, v15
	v_lshl_add_u32 v14, v14, 23, v16
	v_or3_b32 v14, v15, v14, v13
.LBB2_11536:
	s_or_b64 exec, exec, s[6:7]
	s_nop 0
	v_mfma_f32_16x16x4f32 a[0:3], v12, v14, a[0:3]
	s_movk_i32 s4, 0xff
	v_and_b32_sdwa v13, v6, s4 dst_sel:DWORD dst_unused:UNUSED_PAD src0_sel:WORD_1 src1_sel:DWORD
	s_movk_i32 s4, 0x7f
	v_cmp_lt_i16_e32 vcc, s4, v13
	s_mov_b64 s[4:5], 0
                                        ; implicit-def: $sgpr10
	s_and_saveexec_b64 s[6:7], vcc
	s_xor_b64 s[6:7], exec, s[6:7]
	s_cbranch_execz .LBB2_11537
; %bb.47377:
	s_getpc_b64 s[14:15]
.Lpost_getpc27272:
	s_add_u32 s14, s14, (.LBB2_25873-.Lpost_getpc27272)&4294967295
	s_addc_u32 s15, s15, (.LBB2_25873-.Lpost_getpc27272)>>32
	s_setpc_b64 s[14:15]
.LBB2_11537:
	s_or_saveexec_b64 s[6:7], s[6:7]
	v_mov_b32_e32 v12, s10
	s_xor_b64 exec, exec, s[6:7]
	s_cbranch_execz .LBB2_11538
; %bb.47379:
	s_getpc_b64 s[14:15]
.Lpost_getpc27273:
	s_add_u32 s14, s14, (.LBB2_25876-.Lpost_getpc27273)&4294967295
	s_addc_u32 s15, s15, (.LBB2_25876-.Lpost_getpc27273)>>32
	s_setpc_b64 s[14:15]
.LBB2_11538:
	s_or_b64 exec, exec, s[6:7]
	s_and_saveexec_b64 s[6:7], s[4:5]
	s_cbranch_execz .LBB2_11540
.LBB2_11539:
	v_bfe_u32 v12, v6, 16, 3
	v_ffbh_u32_e32 v15, v12
	v_min_u32_e32 v15, 32, v15
	v_lshrrev_b32_e32 v13, 19, v6
	v_subrev_u32_e32 v16, 28, v15
	v_and_b32_e32 v13, 15, v13
	v_lshlrev_b32_sdwa v16, v16, v6 dst_sel:DWORD dst_unused:UNUSED_PAD src0_sel:DWORD src1_sel:WORD_1
	v_bfe_u32 v14, v6, 19, 4
	v_sub_u32_e32 v15, 29, v15
	v_and_b32_e32 v16, 7, v16
	v_cmp_eq_u16_e32 vcc, 0, v13
	v_cndmask_b32_e32 v12, v12, v16, vcc
	v_cndmask_b32_e32 v13, v14, v15, vcc
	v_lshlrev_b32_e32 v14, 8, v6
	v_mov_b32_e32 v15, 0x3b800000
	v_lshlrev_b32_e32 v12, 20, v12
	v_and_b32_e32 v14, 0x80000000, v14
	v_lshl_add_u32 v13, v13, 23, v15
	v_or3_b32 v12, v14, v13, v12
.LBB2_11540:
	s_or_b64 exec, exec, s[6:7]
	s_movk_i32 s4, 0xff
	v_and_b32_sdwa v13, v2, s4 dst_sel:DWORD dst_unused:UNUSED_PAD src0_sel:WORD_1 src1_sel:DWORD
	s_movk_i32 s4, 0x7f
	v_cmp_lt_i16_e32 vcc, s4, v13
	s_mov_b64 s[4:5], 0
                                        ; implicit-def: $sgpr10
	s_and_saveexec_b64 s[6:7], vcc
	s_xor_b64 s[6:7], exec, s[6:7]
	s_cbranch_execz .LBB2_11541
; %bb.47381:
	s_getpc_b64 s[14:15]
.Lpost_getpc27274:
	s_add_u32 s14, s14, (.LBB2_25877-.Lpost_getpc27274)&4294967295
	s_addc_u32 s15, s15, (.LBB2_25877-.Lpost_getpc27274)>>32
	s_setpc_b64 s[14:15]
.LBB2_11541:
	s_or_saveexec_b64 s[6:7], s[6:7]
	v_mov_b32_e32 v14, s10
	s_xor_b64 exec, exec, s[6:7]
	s_cbranch_execz .LBB2_11542
; %bb.47383:
	s_getpc_b64 s[14:15]
.Lpost_getpc27275:
	s_add_u32 s14, s14, (.LBB2_25880-.Lpost_getpc27275)&4294967295
	s_addc_u32 s15, s15, (.LBB2_25880-.Lpost_getpc27275)>>32
	s_setpc_b64 s[14:15]
.LBB2_11542:
	s_or_b64 exec, exec, s[6:7]
	s_and_saveexec_b64 s[6:7], s[4:5]
	s_cbranch_execz .LBB2_11544
.LBB2_11543:
	v_bfe_u32 v13, v2, 16, 3
	v_ffbh_u32_e32 v16, v13
	v_min_u32_e32 v16, 32, v16
	v_lshrrev_b32_e32 v14, 19, v2
	v_subrev_u32_e32 v17, 28, v16
	v_and_b32_e32 v14, 15, v14
	v_lshlrev_b32_sdwa v17, v17, v2 dst_sel:DWORD dst_unused:UNUSED_PAD src0_sel:DWORD src1_sel:WORD_1
	v_bfe_u32 v15, v2, 19, 4
	v_sub_u32_e32 v16, 29, v16
	v_and_b32_e32 v17, 7, v17
	v_cmp_eq_u16_e32 vcc, 0, v14
	v_cndmask_b32_e32 v13, v13, v17, vcc
	v_cndmask_b32_e32 v14, v15, v16, vcc
	v_lshlrev_b32_e32 v15, 8, v2
	v_mov_b32_e32 v16, 0x3b800000
	v_lshlrev_b32_e32 v13, 20, v13
	v_and_b32_e32 v15, 0x80000000, v15
	v_lshl_add_u32 v14, v14, 23, v16
	v_or3_b32 v14, v15, v14, v13
.LBB2_11544:
	s_or_b64 exec, exec, s[6:7]
	s_nop 0
	v_mfma_f32_16x16x4f32 a[0:3], v12, v14, a[0:3]
	s_movk_i32 s4, 0x7f
	v_cmp_gt_i16_sdwa s[6:7], v6, s4 src0_sel:BYTE_3 src1_sel:DWORD
	s_mov_b64 s[4:5], 0
                                        ; implicit-def: $sgpr10
	s_and_saveexec_b64 s[8:9], s[6:7]
	s_xor_b64 s[6:7], exec, s[8:9]
	s_cbranch_execz .LBB2_11545
; %bb.47385:
	s_getpc_b64 s[14:15]
.Lpost_getpc27276:
	s_add_u32 s14, s14, (.LBB2_25881-.Lpost_getpc27276)&4294967295
	s_addc_u32 s15, s15, (.LBB2_25881-.Lpost_getpc27276)>>32
	s_setpc_b64 s[14:15]
.LBB2_11545:
	s_or_saveexec_b64 s[6:7], s[6:7]
	v_mov_b32_e32 v12, s10
	s_xor_b64 exec, exec, s[6:7]
	s_cbranch_execz .LBB2_11546
; %bb.47387:
	s_getpc_b64 s[14:15]
.Lpost_getpc27277:
	s_add_u32 s14, s14, (.LBB2_25884-.Lpost_getpc27277)&4294967295
	s_addc_u32 s15, s15, (.LBB2_25884-.Lpost_getpc27277)>>32
	s_setpc_b64 s[14:15]
.LBB2_11546:
	s_or_b64 exec, exec, s[6:7]
	s_and_saveexec_b64 s[6:7], s[4:5]
	s_cbranch_execz .LBB2_11548
.LBB2_11547:
	v_bfe_u32 v12, v6, 24, 3
	v_ffbh_u32_e32 v16, v12
	v_min_u32_e32 v16, 32, v16
	v_lshrrev_b32_e32 v14, 27, v6
	v_subrev_u32_e32 v17, 28, v16
	v_and_b32_e32 v13, 0x80000000, v6
	v_and_b32_e32 v14, 15, v14
	v_bfe_u32 v15, v6, 27, 4
	v_lshlrev_b32_sdwa v6, v17, v6 dst_sel:DWORD dst_unused:UNUSED_PAD src0_sel:DWORD src1_sel:BYTE_3
	v_sub_u32_e32 v16, 29, v16
	v_and_b32_e32 v6, 7, v6
	v_cmp_eq_u16_e32 vcc, 0, v14
	v_cndmask_b32_e32 v6, v12, v6, vcc
	v_cndmask_b32_e32 v12, v15, v16, vcc
	v_mov_b32_e32 v14, 0x3b800000
	v_lshlrev_b32_e32 v6, 20, v6
	v_lshl_add_u32 v12, v12, 23, v14
	v_or3_b32 v12, v13, v12, v6
.LBB2_11548:
	s_or_b64 exec, exec, s[6:7]
	s_movk_i32 s4, 0x7f
	v_cmp_gt_i16_sdwa s[6:7], v2, s4 src0_sel:BYTE_3 src1_sel:DWORD
	s_mov_b64 s[4:5], 0
                                        ; implicit-def: $sgpr10
	s_and_saveexec_b64 s[8:9], s[6:7]
	s_xor_b64 s[6:7], exec, s[8:9]
	s_cbranch_execz .LBB2_11549
; %bb.47389:
	s_getpc_b64 s[14:15]
.Lpost_getpc27278:
	s_add_u32 s14, s14, (.LBB2_25885-.Lpost_getpc27278)&4294967295
	s_addc_u32 s15, s15, (.LBB2_25885-.Lpost_getpc27278)>>32
	s_setpc_b64 s[14:15]
.LBB2_11549:
	s_or_saveexec_b64 s[6:7], s[6:7]
	v_mov_b32_e32 v6, s10
	s_xor_b64 exec, exec, s[6:7]
	s_cbranch_execz .LBB2_11550
; %bb.47391:
	s_getpc_b64 s[14:15]
.Lpost_getpc27279:
	s_add_u32 s14, s14, (.LBB2_25888-.Lpost_getpc27279)&4294967295
	s_addc_u32 s15, s15, (.LBB2_25888-.Lpost_getpc27279)>>32
	s_setpc_b64 s[14:15]
.LBB2_11550:
	s_or_b64 exec, exec, s[6:7]
	s_and_saveexec_b64 s[6:7], s[4:5]
	s_cbranch_execz .LBB2_11552
.LBB2_11551:
	v_bfe_u32 v6, v2, 24, 3
	v_ffbh_u32_e32 v16, v6
	v_min_u32_e32 v16, 32, v16
	v_lshrrev_b32_e32 v14, 27, v2
	v_subrev_u32_e32 v17, 28, v16
	v_and_b32_e32 v13, 0x80000000, v2
	v_and_b32_e32 v14, 15, v14
	v_bfe_u32 v15, v2, 27, 4
	v_lshlrev_b32_sdwa v2, v17, v2 dst_sel:DWORD dst_unused:UNUSED_PAD src0_sel:DWORD src1_sel:BYTE_3
	v_sub_u32_e32 v16, 29, v16
	v_and_b32_e32 v2, 7, v2
	v_cmp_eq_u16_e32 vcc, 0, v14
	v_cndmask_b32_e32 v2, v6, v2, vcc
	v_cndmask_b32_e32 v6, v15, v16, vcc
	v_mov_b32_e32 v14, 0x3b800000
	v_lshlrev_b32_e32 v2, 20, v2
	v_lshl_add_u32 v6, v6, 23, v14
	v_or3_b32 v6, v13, v6, v2
.LBB2_11552:
	s_or_b64 exec, exec, s[6:7]
	s_nop 0
	v_mfma_f32_16x16x4f32 a[0:3], v12, v6, a[0:3]
	s_movk_i32 s4, 0x7f
	v_cmp_gt_i16_sdwa s[6:7], v7, s4 src0_sel:BYTE_0 src1_sel:DWORD
	s_mov_b64 s[4:5], 0
                                        ; implicit-def: $sgpr10
	s_and_saveexec_b64 s[8:9], s[6:7]
	s_xor_b64 s[6:7], exec, s[8:9]
	s_cbranch_execz .LBB2_11553
; %bb.47393:
	s_getpc_b64 s[14:15]
.Lpost_getpc27280:
	s_add_u32 s14, s14, (.LBB2_25889-.Lpost_getpc27280)&4294967295
	s_addc_u32 s15, s15, (.LBB2_25889-.Lpost_getpc27280)>>32
	s_setpc_b64 s[14:15]
.LBB2_11553:
	s_or_saveexec_b64 s[6:7], s[6:7]
	v_mov_b32_e32 v2, s10
	s_xor_b64 exec, exec, s[6:7]
	s_cbranch_execz .LBB2_11554
; %bb.47395:
	s_getpc_b64 s[14:15]
.Lpost_getpc27281:
	s_add_u32 s14, s14, (.LBB2_25892-.Lpost_getpc27281)&4294967295
	s_addc_u32 s15, s15, (.LBB2_25892-.Lpost_getpc27281)>>32
	s_setpc_b64 s[14:15]
.LBB2_11554:
	s_or_b64 exec, exec, s[6:7]
	s_and_saveexec_b64 s[6:7], s[4:5]
	s_cbranch_execz .LBB2_11556
.LBB2_11555:
	v_and_b32_e32 v2, 7, v7
	v_ffbh_u32_e32 v12, v2
	v_min_u32_e32 v12, 32, v12
	v_lshrrev_b16_e32 v6, 3, v7
	v_subrev_u32_e32 v13, 28, v12
	v_and_b32_e32 v6, 15, v6
	v_lshlrev_b32_e32 v13, v13, v7
	v_sub_u32_e32 v12, 29, v12
	v_and_b32_e32 v13, 7, v13
	v_cmp_eq_u16_e32 vcc, 0, v6
	v_cndmask_b32_e32 v2, v2, v13, vcc
	v_cndmask_b32_e32 v6, v6, v12, vcc
	v_lshlrev_b32_e32 v12, 24, v7
	v_mov_b32_e32 v13, 0x3b800000
	v_lshlrev_b32_e32 v2, 20, v2
	v_and_b32_e32 v12, 0x80000000, v12
	v_lshl_add_u32 v6, v6, 23, v13
	v_or3_b32 v2, v12, v6, v2
.LBB2_11556:
	s_or_b64 exec, exec, s[6:7]
	s_movk_i32 s4, 0x7f
	v_cmp_gt_i16_sdwa s[6:7], v3, s4 src0_sel:BYTE_0 src1_sel:DWORD
	s_mov_b64 s[4:5], 0
                                        ; implicit-def: $sgpr10
	s_and_saveexec_b64 s[8:9], s[6:7]
	s_xor_b64 s[6:7], exec, s[8:9]
	s_cbranch_execz .LBB2_11557
; %bb.47397:
	s_getpc_b64 s[14:15]
.Lpost_getpc27282:
	s_add_u32 s14, s14, (.LBB2_25893-.Lpost_getpc27282)&4294967295
	s_addc_u32 s15, s15, (.LBB2_25893-.Lpost_getpc27282)>>32
	s_setpc_b64 s[14:15]
.LBB2_11557:
	s_or_saveexec_b64 s[6:7], s[6:7]
	v_mov_b32_e32 v6, s10
	s_xor_b64 exec, exec, s[6:7]
	s_cbranch_execz .LBB2_11558
; %bb.47399:
	s_getpc_b64 s[14:15]
.Lpost_getpc27283:
	s_add_u32 s14, s14, (.LBB2_25896-.Lpost_getpc27283)&4294967295
	s_addc_u32 s15, s15, (.LBB2_25896-.Lpost_getpc27283)>>32
	s_setpc_b64 s[14:15]
.LBB2_11558:
	s_or_b64 exec, exec, s[6:7]
	s_and_saveexec_b64 s[6:7], s[4:5]
	s_cbranch_execz .LBB2_11560
.LBB2_11559:
	v_and_b32_e32 v6, 7, v3
	v_ffbh_u32_e32 v13, v6
	v_min_u32_e32 v13, 32, v13
	v_lshrrev_b16_e32 v12, 3, v3
	v_subrev_u32_e32 v14, 28, v13
	v_and_b32_e32 v12, 15, v12
	v_lshlrev_b32_e32 v14, v14, v3
	v_sub_u32_e32 v13, 29, v13
	v_and_b32_e32 v14, 7, v14
	v_cmp_eq_u16_e32 vcc, 0, v12
	v_cndmask_b32_e32 v6, v6, v14, vcc
	v_cndmask_b32_e32 v12, v12, v13, vcc
	v_lshlrev_b32_e32 v13, 24, v3
	v_mov_b32_e32 v14, 0x3b800000
	v_lshlrev_b32_e32 v6, 20, v6
	v_and_b32_e32 v13, 0x80000000, v13
	v_lshl_add_u32 v12, v12, 23, v14
	v_or3_b32 v6, v13, v12, v6
.LBB2_11560:
	s_or_b64 exec, exec, s[6:7]
	s_nop 0
	v_mfma_f32_16x16x4f32 a[0:3], v2, v6, a[0:3]
	v_lshrrev_b32_e32 v6, 8, v7
	s_movk_i32 s4, 0x7f
	v_cmp_gt_i16_sdwa s[6:7], v6, s4 src0_sel:BYTE_0 src1_sel:DWORD
	s_mov_b64 s[4:5], 0
                                        ; implicit-def: $sgpr10
	s_and_saveexec_b64 s[8:9], s[6:7]
	s_xor_b64 s[6:7], exec, s[8:9]
	s_cbranch_execz .LBB2_11561
; %bb.47401:
	s_getpc_b64 s[14:15]
.Lpost_getpc27284:
	s_add_u32 s14, s14, (.LBB2_25897-.Lpost_getpc27284)&4294967295
	s_addc_u32 s15, s15, (.LBB2_25897-.Lpost_getpc27284)>>32
	s_setpc_b64 s[14:15]
.LBB2_11561:
	s_or_saveexec_b64 s[6:7], s[6:7]
	v_mov_b32_e32 v2, s10
	s_xor_b64 exec, exec, s[6:7]
	s_cbranch_execz .LBB2_11562
; %bb.47403:
	s_getpc_b64 s[14:15]
.Lpost_getpc27285:
	s_add_u32 s14, s14, (.LBB2_25900-.Lpost_getpc27285)&4294967295
	s_addc_u32 s15, s15, (.LBB2_25900-.Lpost_getpc27285)>>32
	s_setpc_b64 s[14:15]
.LBB2_11562:
	s_or_b64 exec, exec, s[6:7]
	s_and_saveexec_b64 s[6:7], s[4:5]
	s_cbranch_execz .LBB2_11564
.LBB2_11563:
	v_bfe_u32 v2, v7, 8, 3
	v_ffbh_u32_e32 v13, v2
	v_min_u32_e32 v13, 32, v13
	v_lshrrev_b16_e32 v12, 3, v6
	v_subrev_u32_e32 v14, 28, v13
	v_and_b32_e32 v12, 15, v12
	v_lshlrev_b32_e32 v6, v14, v6
	v_sub_u32_e32 v13, 29, v13
	v_and_b32_e32 v6, 7, v6
	v_cmp_eq_u16_e32 vcc, 0, v12
	v_cndmask_b32_e32 v2, v2, v6, vcc
	v_cndmask_b32_e32 v6, v12, v13, vcc
	v_lshlrev_b32_e32 v12, 16, v7
	v_mov_b32_e32 v13, 0x3b800000
	v_lshlrev_b32_e32 v2, 20, v2
	v_and_b32_e32 v12, 0x80000000, v12
	v_lshl_add_u32 v6, v6, 23, v13
	v_or3_b32 v2, v12, v6, v2
.LBB2_11564:
	s_or_b64 exec, exec, s[6:7]
	v_lshrrev_b32_e32 v6, 8, v3
	s_movk_i32 s4, 0x7f
	v_cmp_gt_i16_sdwa s[6:7], v6, s4 src0_sel:BYTE_0 src1_sel:DWORD
	s_mov_b64 s[4:5], 0
                                        ; implicit-def: $sgpr10
	s_and_saveexec_b64 s[8:9], s[6:7]
	s_xor_b64 s[6:7], exec, s[8:9]
	s_cbranch_execz .LBB2_11565
; %bb.47405:
	s_getpc_b64 s[14:15]
.Lpost_getpc27286:
	s_add_u32 s14, s14, (.LBB2_25901-.Lpost_getpc27286)&4294967295
	s_addc_u32 s15, s15, (.LBB2_25901-.Lpost_getpc27286)>>32
	s_setpc_b64 s[14:15]
.LBB2_11565:
	s_or_saveexec_b64 s[6:7], s[6:7]
	v_mov_b32_e32 v12, s10
	s_xor_b64 exec, exec, s[6:7]
	s_cbranch_execz .LBB2_11566
; %bb.47407:
	s_getpc_b64 s[14:15]
.Lpost_getpc27287:
	s_add_u32 s14, s14, (.LBB2_25904-.Lpost_getpc27287)&4294967295
	s_addc_u32 s15, s15, (.LBB2_25904-.Lpost_getpc27287)>>32
	s_setpc_b64 s[14:15]
.LBB2_11566:
	s_or_b64 exec, exec, s[6:7]
	s_and_saveexec_b64 s[6:7], s[4:5]
	s_cbranch_execz .LBB2_11568
.LBB2_11567:
	v_bfe_u32 v12, v3, 8, 3
	v_ffbh_u32_e32 v14, v12
	v_min_u32_e32 v14, 32, v14
	v_lshrrev_b16_e32 v13, 3, v6
	v_subrev_u32_e32 v15, 28, v14
	v_and_b32_e32 v13, 15, v13
	v_lshlrev_b32_e32 v6, v15, v6
	v_sub_u32_e32 v14, 29, v14
	v_and_b32_e32 v6, 7, v6
	v_cmp_eq_u16_e32 vcc, 0, v13
	v_cndmask_b32_e32 v6, v12, v6, vcc
	v_cndmask_b32_e32 v12, v13, v14, vcc
	v_lshlrev_b32_e32 v13, 16, v3
	v_mov_b32_e32 v14, 0x3b800000
	v_lshlrev_b32_e32 v6, 20, v6
	v_and_b32_e32 v13, 0x80000000, v13
	v_lshl_add_u32 v12, v12, 23, v14
	v_or3_b32 v12, v13, v12, v6
.LBB2_11568:
	s_or_b64 exec, exec, s[6:7]
	s_nop 0
	v_mfma_f32_16x16x4f32 a[0:3], v2, v12, a[0:3]
	s_movk_i32 s4, 0xff
	v_and_b32_sdwa v6, v7, s4 dst_sel:DWORD dst_unused:UNUSED_PAD src0_sel:WORD_1 src1_sel:DWORD
	s_movk_i32 s4, 0x7f
	v_cmp_lt_i16_e32 vcc, s4, v6
	s_mov_b64 s[4:5], 0
                                        ; implicit-def: $sgpr10
	s_and_saveexec_b64 s[6:7], vcc
	s_xor_b64 s[6:7], exec, s[6:7]
	s_cbranch_execz .LBB2_11569
; %bb.47409:
	s_getpc_b64 s[14:15]
.Lpost_getpc27288:
	s_add_u32 s14, s14, (.LBB2_25905-.Lpost_getpc27288)&4294967295
	s_addc_u32 s15, s15, (.LBB2_25905-.Lpost_getpc27288)>>32
	s_setpc_b64 s[14:15]
.LBB2_11569:
	s_or_saveexec_b64 s[6:7], s[6:7]
	v_mov_b32_e32 v2, s10
	s_xor_b64 exec, exec, s[6:7]
	s_cbranch_execz .LBB2_11570
; %bb.47411:
	s_getpc_b64 s[14:15]
.Lpost_getpc27289:
	s_add_u32 s14, s14, (.LBB2_25908-.Lpost_getpc27289)&4294967295
	s_addc_u32 s15, s15, (.LBB2_25908-.Lpost_getpc27289)>>32
	s_setpc_b64 s[14:15]
.LBB2_11570:
	s_or_b64 exec, exec, s[6:7]
	s_and_saveexec_b64 s[6:7], s[4:5]
	s_cbranch_execz .LBB2_11572
.LBB2_11571:
	v_bfe_u32 v2, v7, 16, 3
	v_ffbh_u32_e32 v13, v2
	v_min_u32_e32 v13, 32, v13
	v_lshrrev_b32_e32 v6, 19, v7
	v_subrev_u32_e32 v14, 28, v13
	v_and_b32_e32 v6, 15, v6
	v_lshlrev_b32_sdwa v14, v14, v7 dst_sel:DWORD dst_unused:UNUSED_PAD src0_sel:DWORD src1_sel:WORD_1
	v_bfe_u32 v12, v7, 19, 4
	v_sub_u32_e32 v13, 29, v13
	v_and_b32_e32 v14, 7, v14
	v_cmp_eq_u16_e32 vcc, 0, v6
	v_cndmask_b32_e32 v2, v2, v14, vcc
	v_cndmask_b32_e32 v6, v12, v13, vcc
	v_lshlrev_b32_e32 v12, 8, v7
	v_mov_b32_e32 v13, 0x3b800000
	v_lshlrev_b32_e32 v2, 20, v2
	v_and_b32_e32 v12, 0x80000000, v12
	v_lshl_add_u32 v6, v6, 23, v13
	v_or3_b32 v2, v12, v6, v2
.LBB2_11572:
	s_or_b64 exec, exec, s[6:7]
	s_movk_i32 s4, 0xff
	v_and_b32_sdwa v6, v3, s4 dst_sel:DWORD dst_unused:UNUSED_PAD src0_sel:WORD_1 src1_sel:DWORD
	s_movk_i32 s4, 0x7f
	v_cmp_lt_i16_e32 vcc, s4, v6
	s_mov_b64 s[4:5], 0
                                        ; implicit-def: $sgpr10
	s_and_saveexec_b64 s[6:7], vcc
	s_xor_b64 s[6:7], exec, s[6:7]
	s_cbranch_execz .LBB2_11573
; %bb.47413:
	s_getpc_b64 s[14:15]
.Lpost_getpc27290:
	s_add_u32 s14, s14, (.LBB2_25909-.Lpost_getpc27290)&4294967295
	s_addc_u32 s15, s15, (.LBB2_25909-.Lpost_getpc27290)>>32
	s_setpc_b64 s[14:15]
.LBB2_11573:
	s_or_saveexec_b64 s[6:7], s[6:7]
	v_mov_b32_e32 v12, s10
	s_xor_b64 exec, exec, s[6:7]
	s_cbranch_execz .LBB2_11574
; %bb.47415:
	s_getpc_b64 s[14:15]
.Lpost_getpc27291:
	s_add_u32 s14, s14, (.LBB2_25912-.Lpost_getpc27291)&4294967295
	s_addc_u32 s15, s15, (.LBB2_25912-.Lpost_getpc27291)>>32
	s_setpc_b64 s[14:15]
.LBB2_11574:
	s_or_b64 exec, exec, s[6:7]
	s_and_saveexec_b64 s[6:7], s[4:5]
	s_cbranch_execz .LBB2_11576
.LBB2_11575:
	v_bfe_u32 v6, v3, 16, 3
	v_ffbh_u32_e32 v14, v6
	v_min_u32_e32 v14, 32, v14
	v_lshrrev_b32_e32 v12, 19, v3
	v_subrev_u32_e32 v15, 28, v14
	v_and_b32_e32 v12, 15, v12
	v_lshlrev_b32_sdwa v15, v15, v3 dst_sel:DWORD dst_unused:UNUSED_PAD src0_sel:DWORD src1_sel:WORD_1
	v_bfe_u32 v13, v3, 19, 4
	v_sub_u32_e32 v14, 29, v14
	v_and_b32_e32 v15, 7, v15
	v_cmp_eq_u16_e32 vcc, 0, v12
	v_cndmask_b32_e32 v6, v6, v15, vcc
	v_cndmask_b32_e32 v12, v13, v14, vcc
	v_lshlrev_b32_e32 v13, 8, v3
	v_mov_b32_e32 v14, 0x3b800000
	v_lshlrev_b32_e32 v6, 20, v6
	v_and_b32_e32 v13, 0x80000000, v13
	v_lshl_add_u32 v12, v12, 23, v14
	v_or3_b32 v12, v13, v12, v6
.LBB2_11576:
	s_or_b64 exec, exec, s[6:7]
	s_nop 0
	v_mfma_f32_16x16x4f32 a[0:3], v2, v12, a[0:3]
	s_movk_i32 s4, 0x7f
	v_cmp_gt_i16_sdwa s[6:7], v7, s4 src0_sel:BYTE_3 src1_sel:DWORD
	s_mov_b64 s[4:5], 0
                                        ; implicit-def: $sgpr10
	s_and_saveexec_b64 s[8:9], s[6:7]
	s_xor_b64 s[6:7], exec, s[8:9]
	s_cbranch_execz .LBB2_11577
; %bb.47417:
	s_getpc_b64 s[14:15]
.Lpost_getpc27292:
	s_add_u32 s14, s14, (.LBB2_25913-.Lpost_getpc27292)&4294967295
	s_addc_u32 s15, s15, (.LBB2_25913-.Lpost_getpc27292)>>32
	s_setpc_b64 s[14:15]
.LBB2_11577:
	s_or_saveexec_b64 s[6:7], s[6:7]
	v_mov_b32_e32 v2, s10
	s_xor_b64 exec, exec, s[6:7]
	s_cbranch_execz .LBB2_11578
; %bb.47419:
	s_getpc_b64 s[14:15]
.Lpost_getpc27293:
	s_add_u32 s14, s14, (.LBB2_25916-.Lpost_getpc27293)&4294967295
	s_addc_u32 s15, s15, (.LBB2_25916-.Lpost_getpc27293)>>32
	s_setpc_b64 s[14:15]
.LBB2_11578:
	s_or_b64 exec, exec, s[6:7]
	s_and_saveexec_b64 s[6:7], s[4:5]
	s_cbranch_execz .LBB2_11580
.LBB2_11579:
	v_bfe_u32 v2, v7, 24, 3
	v_ffbh_u32_e32 v14, v2
	v_min_u32_e32 v14, 32, v14
	v_lshrrev_b32_e32 v12, 27, v7
	v_subrev_u32_e32 v15, 28, v14
	v_and_b32_e32 v6, 0x80000000, v7
	v_and_b32_e32 v12, 15, v12
	v_bfe_u32 v13, v7, 27, 4
	v_lshlrev_b32_sdwa v7, v15, v7 dst_sel:DWORD dst_unused:UNUSED_PAD src0_sel:DWORD src1_sel:BYTE_3
	v_sub_u32_e32 v14, 29, v14
	v_and_b32_e32 v7, 7, v7
	v_cmp_eq_u16_e32 vcc, 0, v12
	v_cndmask_b32_e32 v2, v2, v7, vcc
	v_cndmask_b32_e32 v7, v13, v14, vcc
	v_mov_b32_e32 v12, 0x3b800000
	v_lshlrev_b32_e32 v2, 20, v2
	v_lshl_add_u32 v7, v7, 23, v12
	v_or3_b32 v2, v6, v7, v2
.LBB2_11580:
	s_or_b64 exec, exec, s[6:7]
	s_movk_i32 s4, 0x7f
	v_cmp_gt_i16_sdwa s[6:7], v3, s4 src0_sel:BYTE_3 src1_sel:DWORD
	s_mov_b64 s[4:5], 0
                                        ; implicit-def: $sgpr10
	s_and_saveexec_b64 s[8:9], s[6:7]
	s_xor_b64 s[6:7], exec, s[8:9]
	s_cbranch_execz .LBB2_11581
; %bb.47421:
	s_getpc_b64 s[14:15]
.Lpost_getpc27294:
	s_add_u32 s14, s14, (.LBB2_25917-.Lpost_getpc27294)&4294967295
	s_addc_u32 s15, s15, (.LBB2_25917-.Lpost_getpc27294)>>32
	s_setpc_b64 s[14:15]
.LBB2_11581:
	s_or_saveexec_b64 s[6:7], s[6:7]
	v_mov_b32_e32 v6, s10
	s_xor_b64 exec, exec, s[6:7]
	s_cbranch_execz .LBB2_11582
; %bb.47423:
	s_getpc_b64 s[14:15]
.Lpost_getpc27295:
	s_add_u32 s14, s14, (.LBB2_25920-.Lpost_getpc27295)&4294967295
	s_addc_u32 s15, s15, (.LBB2_25920-.Lpost_getpc27295)>>32
	s_setpc_b64 s[14:15]
.LBB2_11582:
	s_or_b64 exec, exec, s[6:7]
	s_and_saveexec_b64 s[6:7], s[4:5]
	s_cbranch_execz .LBB2_11584
.LBB2_11583:
	v_bfe_u32 v6, v3, 24, 3
	v_ffbh_u32_e32 v14, v6
	v_min_u32_e32 v14, 32, v14
	v_lshrrev_b32_e32 v12, 27, v3
	v_subrev_u32_e32 v15, 28, v14
	v_and_b32_e32 v7, 0x80000000, v3
	v_and_b32_e32 v12, 15, v12
	v_bfe_u32 v13, v3, 27, 4
	v_lshlrev_b32_sdwa v3, v15, v3 dst_sel:DWORD dst_unused:UNUSED_PAD src0_sel:DWORD src1_sel:BYTE_3
	v_sub_u32_e32 v14, 29, v14
	v_and_b32_e32 v3, 7, v3
	v_cmp_eq_u16_e32 vcc, 0, v12
	v_cndmask_b32_e32 v3, v6, v3, vcc
	v_cndmask_b32_e32 v6, v13, v14, vcc
	v_mov_b32_e32 v12, 0x3b800000
	v_lshlrev_b32_e32 v3, 20, v3
	v_lshl_add_u32 v6, v6, 23, v12
	v_or3_b32 v6, v7, v6, v3
.LBB2_11584:
	s_or_b64 exec, exec, s[6:7]
	s_nop 0
	v_mfma_f32_16x16x4f32 a[0:3], v2, v6, a[0:3]
	s_movk_i32 s4, 0x7f
	v_cmp_gt_i16_sdwa s[6:7], v8, s4 src0_sel:BYTE_0 src1_sel:DWORD
	s_mov_b64 s[4:5], 0
                                        ; implicit-def: $sgpr10
	s_and_saveexec_b64 s[8:9], s[6:7]
	s_xor_b64 s[6:7], exec, s[8:9]
	s_cbranch_execz .LBB2_11585
; %bb.47425:
	s_getpc_b64 s[14:15]
.Lpost_getpc27296:
	s_add_u32 s14, s14, (.LBB2_25921-.Lpost_getpc27296)&4294967295
	s_addc_u32 s15, s15, (.LBB2_25921-.Lpost_getpc27296)>>32
	s_setpc_b64 s[14:15]
.LBB2_11585:
	s_or_saveexec_b64 s[6:7], s[6:7]
	v_mov_b32_e32 v2, s10
	s_xor_b64 exec, exec, s[6:7]
	s_cbranch_execz .LBB2_11586
; %bb.47427:
	s_getpc_b64 s[14:15]
.Lpost_getpc27297:
	s_add_u32 s14, s14, (.LBB2_25924-.Lpost_getpc27297)&4294967295
	s_addc_u32 s15, s15, (.LBB2_25924-.Lpost_getpc27297)>>32
	s_setpc_b64 s[14:15]
.LBB2_11586:
	s_or_b64 exec, exec, s[6:7]
	s_and_saveexec_b64 s[6:7], s[4:5]
	s_cbranch_execz .LBB2_11588
.LBB2_11587:
	v_and_b32_e32 v2, 7, v8
	v_ffbh_u32_e32 v6, v2
	v_min_u32_e32 v6, 32, v6
	v_lshrrev_b16_e32 v3, 3, v8
	v_subrev_u32_e32 v7, 28, v6
	v_and_b32_e32 v3, 15, v3
	v_lshlrev_b32_e32 v7, v7, v8
	v_sub_u32_e32 v6, 29, v6
	v_and_b32_e32 v7, 7, v7
	v_cmp_eq_u16_e32 vcc, 0, v3
	v_cndmask_b32_e32 v2, v2, v7, vcc
	v_cndmask_b32_e32 v3, v3, v6, vcc
	v_lshlrev_b32_e32 v6, 24, v8
	v_mov_b32_e32 v7, 0x3b800000
	v_lshlrev_b32_e32 v2, 20, v2
	v_and_b32_e32 v6, 0x80000000, v6
	v_lshl_add_u32 v3, v3, 23, v7
	v_or3_b32 v2, v6, v3, v2
.LBB2_11588:
	s_or_b64 exec, exec, s[6:7]
	s_movk_i32 s4, 0x7f
	v_cmp_gt_i16_sdwa s[6:7], v4, s4 src0_sel:BYTE_0 src1_sel:DWORD
	s_mov_b64 s[4:5], 0
                                        ; implicit-def: $sgpr10
	s_and_saveexec_b64 s[8:9], s[6:7]
	s_xor_b64 s[6:7], exec, s[8:9]
	s_cbranch_execz .LBB2_11589
; %bb.47429:
	s_getpc_b64 s[14:15]
.Lpost_getpc27298:
	s_add_u32 s14, s14, (.LBB2_25925-.Lpost_getpc27298)&4294967295
	s_addc_u32 s15, s15, (.LBB2_25925-.Lpost_getpc27298)>>32
	s_setpc_b64 s[14:15]
.LBB2_11589:
	s_or_saveexec_b64 s[6:7], s[6:7]
	v_mov_b32_e32 v3, s10
	s_xor_b64 exec, exec, s[6:7]
	s_cbranch_execz .LBB2_11590
; %bb.47431:
	s_getpc_b64 s[14:15]
.Lpost_getpc27299:
	s_add_u32 s14, s14, (.LBB2_25928-.Lpost_getpc27299)&4294967295
	s_addc_u32 s15, s15, (.LBB2_25928-.Lpost_getpc27299)>>32
	s_setpc_b64 s[14:15]
.LBB2_11590:
	s_or_b64 exec, exec, s[6:7]
	s_and_saveexec_b64 s[6:7], s[4:5]
	s_cbranch_execz .LBB2_11592
.LBB2_11591:
	v_and_b32_e32 v3, 7, v4
	v_ffbh_u32_e32 v7, v3
	v_min_u32_e32 v7, 32, v7
	v_lshrrev_b16_e32 v6, 3, v4
	v_subrev_u32_e32 v12, 28, v7
	v_and_b32_e32 v6, 15, v6
	v_lshlrev_b32_e32 v12, v12, v4
	v_sub_u32_e32 v7, 29, v7
	v_and_b32_e32 v12, 7, v12
	v_cmp_eq_u16_e32 vcc, 0, v6
	v_cndmask_b32_e32 v3, v3, v12, vcc
	v_cndmask_b32_e32 v6, v6, v7, vcc
	v_lshlrev_b32_e32 v7, 24, v4
	v_mov_b32_e32 v12, 0x3b800000
	v_lshlrev_b32_e32 v3, 20, v3
	v_and_b32_e32 v7, 0x80000000, v7
	v_lshl_add_u32 v6, v6, 23, v12
	v_or3_b32 v3, v7, v6, v3
.LBB2_11592:
	s_or_b64 exec, exec, s[6:7]
	s_nop 0
	v_mfma_f32_16x16x4f32 a[0:3], v2, v3, a[0:3]
	v_lshrrev_b32_e32 v3, 8, v8
	s_movk_i32 s4, 0x7f
	v_cmp_gt_i16_sdwa s[6:7], v3, s4 src0_sel:BYTE_0 src1_sel:DWORD
	s_mov_b64 s[4:5], 0
                                        ; implicit-def: $sgpr10
	s_and_saveexec_b64 s[8:9], s[6:7]
	s_xor_b64 s[6:7], exec, s[8:9]
	s_cbranch_execz .LBB2_11593
; %bb.47433:
	s_getpc_b64 s[14:15]
.Lpost_getpc27300:
	s_add_u32 s14, s14, (.LBB2_25929-.Lpost_getpc27300)&4294967295
	s_addc_u32 s15, s15, (.LBB2_25929-.Lpost_getpc27300)>>32
	s_setpc_b64 s[14:15]
.LBB2_11593:
	s_or_saveexec_b64 s[6:7], s[6:7]
	v_mov_b32_e32 v2, s10
	s_xor_b64 exec, exec, s[6:7]
	s_cbranch_execz .LBB2_11594
; %bb.47435:
	s_getpc_b64 s[14:15]
.Lpost_getpc27301:
	s_add_u32 s14, s14, (.LBB2_25932-.Lpost_getpc27301)&4294967295
	s_addc_u32 s15, s15, (.LBB2_25932-.Lpost_getpc27301)>>32
	s_setpc_b64 s[14:15]
.LBB2_11594:
	s_or_b64 exec, exec, s[6:7]
	s_and_saveexec_b64 s[6:7], s[4:5]
	s_cbranch_execz .LBB2_11596
.LBB2_11595:
	v_bfe_u32 v2, v8, 8, 3
	v_ffbh_u32_e32 v7, v2
	v_min_u32_e32 v7, 32, v7
	v_lshrrev_b16_e32 v6, 3, v3
	v_subrev_u32_e32 v12, 28, v7
	v_and_b32_e32 v6, 15, v6
	v_lshlrev_b32_e32 v3, v12, v3
	v_sub_u32_e32 v7, 29, v7
	v_and_b32_e32 v3, 7, v3
	v_cmp_eq_u16_e32 vcc, 0, v6
	v_cndmask_b32_e32 v2, v2, v3, vcc
	v_cndmask_b32_e32 v3, v6, v7, vcc
	v_lshlrev_b32_e32 v6, 16, v8
	v_mov_b32_e32 v7, 0x3b800000
	v_lshlrev_b32_e32 v2, 20, v2
	v_and_b32_e32 v6, 0x80000000, v6
	v_lshl_add_u32 v3, v3, 23, v7
	v_or3_b32 v2, v6, v3, v2
.LBB2_11596:
	s_or_b64 exec, exec, s[6:7]
	v_lshrrev_b32_e32 v3, 8, v4
	s_movk_i32 s4, 0x7f
	v_cmp_gt_i16_sdwa s[6:7], v3, s4 src0_sel:BYTE_0 src1_sel:DWORD
	s_mov_b64 s[4:5], 0
                                        ; implicit-def: $sgpr10
	s_and_saveexec_b64 s[8:9], s[6:7]
	s_xor_b64 s[6:7], exec, s[8:9]
	s_cbranch_execz .LBB2_11597
; %bb.47437:
	s_getpc_b64 s[14:15]
.Lpost_getpc27302:
	s_add_u32 s14, s14, (.LBB2_25933-.Lpost_getpc27302)&4294967295
	s_addc_u32 s15, s15, (.LBB2_25933-.Lpost_getpc27302)>>32
	s_setpc_b64 s[14:15]
.LBB2_11597:
	s_or_saveexec_b64 s[6:7], s[6:7]
	v_mov_b32_e32 v6, s10
	s_xor_b64 exec, exec, s[6:7]
	s_cbranch_execz .LBB2_11598
; %bb.47439:
	s_getpc_b64 s[14:15]
.Lpost_getpc27303:
	s_add_u32 s14, s14, (.LBB2_25936-.Lpost_getpc27303)&4294967295
	s_addc_u32 s15, s15, (.LBB2_25936-.Lpost_getpc27303)>>32
	s_setpc_b64 s[14:15]
.LBB2_11598:
	s_or_b64 exec, exec, s[6:7]
	s_and_saveexec_b64 s[6:7], s[4:5]
	s_cbranch_execz .LBB2_11600
.LBB2_11599:
	v_bfe_u32 v6, v4, 8, 3
	v_ffbh_u32_e32 v12, v6
	v_min_u32_e32 v12, 32, v12
	v_lshrrev_b16_e32 v7, 3, v3
	v_subrev_u32_e32 v13, 28, v12
	v_and_b32_e32 v7, 15, v7
	v_lshlrev_b32_e32 v3, v13, v3
	v_sub_u32_e32 v12, 29, v12
	v_and_b32_e32 v3, 7, v3
	v_cmp_eq_u16_e32 vcc, 0, v7
	v_cndmask_b32_e32 v3, v6, v3, vcc
	v_cndmask_b32_e32 v6, v7, v12, vcc
	v_lshlrev_b32_e32 v7, 16, v4
	v_mov_b32_e32 v12, 0x3b800000
	v_lshlrev_b32_e32 v3, 20, v3
	v_and_b32_e32 v7, 0x80000000, v7
	v_lshl_add_u32 v6, v6, 23, v12
	v_or3_b32 v6, v7, v6, v3
.LBB2_11600:
	s_or_b64 exec, exec, s[6:7]
	s_nop 0
	v_mfma_f32_16x16x4f32 a[0:3], v2, v6, a[0:3]
	s_movk_i32 s4, 0xff
	v_and_b32_sdwa v3, v8, s4 dst_sel:DWORD dst_unused:UNUSED_PAD src0_sel:WORD_1 src1_sel:DWORD
	s_movk_i32 s4, 0x7f
	v_cmp_lt_i16_e32 vcc, s4, v3
	s_mov_b64 s[4:5], 0
                                        ; implicit-def: $sgpr10
	s_and_saveexec_b64 s[6:7], vcc
	s_xor_b64 s[6:7], exec, s[6:7]
	s_cbranch_execz .LBB2_11601
; %bb.47441:
	s_getpc_b64 s[14:15]
.Lpost_getpc27304:
	s_add_u32 s14, s14, (.LBB2_25937-.Lpost_getpc27304)&4294967295
	s_addc_u32 s15, s15, (.LBB2_25937-.Lpost_getpc27304)>>32
	s_setpc_b64 s[14:15]
.LBB2_11601:
	s_or_saveexec_b64 s[6:7], s[6:7]
	v_mov_b32_e32 v2, s10
	s_xor_b64 exec, exec, s[6:7]
	s_cbranch_execz .LBB2_11602
; %bb.47443:
	s_getpc_b64 s[14:15]
.Lpost_getpc27305:
	s_add_u32 s14, s14, (.LBB2_25940-.Lpost_getpc27305)&4294967295
	s_addc_u32 s15, s15, (.LBB2_25940-.Lpost_getpc27305)>>32
	s_setpc_b64 s[14:15]
.LBB2_11602:
	s_or_b64 exec, exec, s[6:7]
	s_and_saveexec_b64 s[6:7], s[4:5]
	s_cbranch_execz .LBB2_11604
.LBB2_11603:
	v_bfe_u32 v2, v8, 16, 3
	v_ffbh_u32_e32 v7, v2
	v_min_u32_e32 v7, 32, v7
	v_lshrrev_b32_e32 v3, 19, v8
	v_subrev_u32_e32 v12, 28, v7
	v_and_b32_e32 v3, 15, v3
	v_lshlrev_b32_sdwa v12, v12, v8 dst_sel:DWORD dst_unused:UNUSED_PAD src0_sel:DWORD src1_sel:WORD_1
	v_bfe_u32 v6, v8, 19, 4
	v_sub_u32_e32 v7, 29, v7
	v_and_b32_e32 v12, 7, v12
	v_cmp_eq_u16_e32 vcc, 0, v3
	v_cndmask_b32_e32 v2, v2, v12, vcc
	v_cndmask_b32_e32 v3, v6, v7, vcc
	v_lshlrev_b32_e32 v6, 8, v8
	v_mov_b32_e32 v7, 0x3b800000
	v_lshlrev_b32_e32 v2, 20, v2
	v_and_b32_e32 v6, 0x80000000, v6
	v_lshl_add_u32 v3, v3, 23, v7
	v_or3_b32 v2, v6, v3, v2
.LBB2_11604:
	s_or_b64 exec, exec, s[6:7]
	s_movk_i32 s4, 0xff
	v_and_b32_sdwa v3, v4, s4 dst_sel:DWORD dst_unused:UNUSED_PAD src0_sel:WORD_1 src1_sel:DWORD
	s_movk_i32 s4, 0x7f
	v_cmp_lt_i16_e32 vcc, s4, v3
	s_mov_b64 s[4:5], 0
                                        ; implicit-def: $sgpr10
	s_and_saveexec_b64 s[6:7], vcc
	s_xor_b64 s[6:7], exec, s[6:7]
	s_cbranch_execz .LBB2_11605
; %bb.47445:
	s_getpc_b64 s[14:15]
.Lpost_getpc27306:
	s_add_u32 s14, s14, (.LBB2_25941-.Lpost_getpc27306)&4294967295
	s_addc_u32 s15, s15, (.LBB2_25941-.Lpost_getpc27306)>>32
	s_setpc_b64 s[14:15]
.LBB2_11605:
	s_or_saveexec_b64 s[6:7], s[6:7]
	v_mov_b32_e32 v6, s10
	s_xor_b64 exec, exec, s[6:7]
	s_cbranch_execz .LBB2_11606
; %bb.47447:
	s_getpc_b64 s[14:15]
.Lpost_getpc27307:
	s_add_u32 s14, s14, (.LBB2_25944-.Lpost_getpc27307)&4294967295
	s_addc_u32 s15, s15, (.LBB2_25944-.Lpost_getpc27307)>>32
	s_setpc_b64 s[14:15]
.LBB2_11606:
	s_or_b64 exec, exec, s[6:7]
	s_and_saveexec_b64 s[6:7], s[4:5]
	s_cbranch_execz .LBB2_11608
.LBB2_11607:
	v_bfe_u32 v3, v4, 16, 3
	v_ffbh_u32_e32 v12, v3
	v_min_u32_e32 v12, 32, v12
	v_lshrrev_b32_e32 v6, 19, v4
	v_subrev_u32_e32 v13, 28, v12
	v_and_b32_e32 v6, 15, v6
	v_lshlrev_b32_sdwa v13, v13, v4 dst_sel:DWORD dst_unused:UNUSED_PAD src0_sel:DWORD src1_sel:WORD_1
	v_bfe_u32 v7, v4, 19, 4
	v_sub_u32_e32 v12, 29, v12
	v_and_b32_e32 v13, 7, v13
	v_cmp_eq_u16_e32 vcc, 0, v6
	v_cndmask_b32_e32 v3, v3, v13, vcc
	v_cndmask_b32_e32 v6, v7, v12, vcc
	v_lshlrev_b32_e32 v7, 8, v4
	v_mov_b32_e32 v12, 0x3b800000
	v_lshlrev_b32_e32 v3, 20, v3
	v_and_b32_e32 v7, 0x80000000, v7
	v_lshl_add_u32 v6, v6, 23, v12
	v_or3_b32 v6, v7, v6, v3
.LBB2_11608:
	s_or_b64 exec, exec, s[6:7]
	s_nop 0
	v_mfma_f32_16x16x4f32 a[0:3], v2, v6, a[0:3]
	s_movk_i32 s4, 0x7f
	v_cmp_gt_i16_sdwa s[6:7], v8, s4 src0_sel:BYTE_3 src1_sel:DWORD
	s_mov_b64 s[4:5], 0
                                        ; implicit-def: $sgpr10
	s_and_saveexec_b64 s[8:9], s[6:7]
	s_xor_b64 s[6:7], exec, s[8:9]
	s_cbranch_execz .LBB2_11609
; %bb.47449:
	s_getpc_b64 s[14:15]
.Lpost_getpc27308:
	s_add_u32 s14, s14, (.LBB2_25945-.Lpost_getpc27308)&4294967295
	s_addc_u32 s15, s15, (.LBB2_25945-.Lpost_getpc27308)>>32
	s_setpc_b64 s[14:15]
.LBB2_11609:
	s_or_saveexec_b64 s[6:7], s[6:7]
	v_mov_b32_e32 v2, s10
	s_xor_b64 exec, exec, s[6:7]
	s_cbranch_execz .LBB2_11610
; %bb.47451:
	s_getpc_b64 s[14:15]
.Lpost_getpc27309:
	s_add_u32 s14, s14, (.LBB2_25948-.Lpost_getpc27309)&4294967295
	s_addc_u32 s15, s15, (.LBB2_25948-.Lpost_getpc27309)>>32
	s_setpc_b64 s[14:15]
.LBB2_11610:
	s_or_b64 exec, exec, s[6:7]
	s_and_saveexec_b64 s[6:7], s[4:5]
	s_cbranch_execz .LBB2_11612
.LBB2_11611:
	v_bfe_u32 v2, v8, 24, 3
	v_ffbh_u32_e32 v12, v2
	v_min_u32_e32 v12, 32, v12
	v_lshrrev_b32_e32 v6, 27, v8
	v_subrev_u32_e32 v13, 28, v12
	v_and_b32_e32 v3, 0x80000000, v8
	v_and_b32_e32 v6, 15, v6
	v_bfe_u32 v7, v8, 27, 4
	v_lshlrev_b32_sdwa v8, v13, v8 dst_sel:DWORD dst_unused:UNUSED_PAD src0_sel:DWORD src1_sel:BYTE_3
	v_sub_u32_e32 v12, 29, v12
	v_and_b32_e32 v8, 7, v8
	v_cmp_eq_u16_e32 vcc, 0, v6
	v_cndmask_b32_e32 v2, v2, v8, vcc
	v_cndmask_b32_e32 v6, v7, v12, vcc
	v_mov_b32_e32 v7, 0x3b800000
	v_lshlrev_b32_e32 v2, 20, v2
	v_lshl_add_u32 v6, v6, 23, v7
	v_or3_b32 v2, v3, v6, v2
.LBB2_11612:
	s_or_b64 exec, exec, s[6:7]
	s_movk_i32 s4, 0x7f
	v_cmp_gt_i16_sdwa s[6:7], v4, s4 src0_sel:BYTE_3 src1_sel:DWORD
	s_mov_b64 s[4:5], 0
                                        ; implicit-def: $sgpr10
	s_and_saveexec_b64 s[8:9], s[6:7]
	s_xor_b64 s[6:7], exec, s[8:9]
	s_cbranch_execz .LBB2_11613
; %bb.47453:
	s_getpc_b64 s[14:15]
.Lpost_getpc27310:
	s_add_u32 s14, s14, (.LBB2_25949-.Lpost_getpc27310)&4294967295
	s_addc_u32 s15, s15, (.LBB2_25949-.Lpost_getpc27310)>>32
	s_setpc_b64 s[14:15]
.LBB2_11613:
	s_or_saveexec_b64 s[6:7], s[6:7]
	v_mov_b32_e32 v3, s10
	s_xor_b64 exec, exec, s[6:7]
	s_cbranch_execz .LBB2_11614
; %bb.47455:
	s_getpc_b64 s[14:15]
.Lpost_getpc27311:
	s_add_u32 s14, s14, (.LBB2_25952-.Lpost_getpc27311)&4294967295
	s_addc_u32 s15, s15, (.LBB2_25952-.Lpost_getpc27311)>>32
	s_setpc_b64 s[14:15]
.LBB2_11614:
	s_or_b64 exec, exec, s[6:7]
	s_and_saveexec_b64 s[6:7], s[4:5]
	s_cbranch_execz .LBB2_11616
.LBB2_11615:
	v_bfe_u32 v3, v4, 24, 3
	v_ffbh_u32_e32 v12, v3
	v_min_u32_e32 v12, 32, v12
	v_lshrrev_b32_e32 v7, 27, v4
	v_subrev_u32_e32 v13, 28, v12
	v_and_b32_e32 v6, 0x80000000, v4
	v_and_b32_e32 v7, 15, v7
	v_bfe_u32 v8, v4, 27, 4
	v_lshlrev_b32_sdwa v4, v13, v4 dst_sel:DWORD dst_unused:UNUSED_PAD src0_sel:DWORD src1_sel:BYTE_3
	v_sub_u32_e32 v12, 29, v12
	v_and_b32_e32 v4, 7, v4
	v_cmp_eq_u16_e32 vcc, 0, v7
	v_cndmask_b32_e32 v3, v3, v4, vcc
	v_cndmask_b32_e32 v4, v8, v12, vcc
	v_mov_b32_e32 v7, 0x3b800000
	v_lshlrev_b32_e32 v3, 20, v3
	v_lshl_add_u32 v4, v4, 23, v7
	v_or3_b32 v3, v6, v4, v3
.LBB2_11616:
	s_or_b64 exec, exec, s[6:7]
	s_nop 0
	v_mfma_f32_16x16x4f32 a[0:3], v2, v3, a[0:3]
	s_movk_i32 s4, 0x7f
	v_cmp_gt_i16_sdwa s[6:7], v9, s4 src0_sel:BYTE_0 src1_sel:DWORD
	s_mov_b64 s[4:5], 0
                                        ; implicit-def: $sgpr10
	s_and_saveexec_b64 s[8:9], s[6:7]
	s_xor_b64 s[6:7], exec, s[8:9]
	s_cbranch_execz .LBB2_11617
; %bb.47457:
	s_getpc_b64 s[14:15]
.Lpost_getpc27312:
	s_add_u32 s14, s14, (.LBB2_25953-.Lpost_getpc27312)&4294967295
	s_addc_u32 s15, s15, (.LBB2_25953-.Lpost_getpc27312)>>32
	s_setpc_b64 s[14:15]
.LBB2_11617:
	s_or_saveexec_b64 s[6:7], s[6:7]
	v_mov_b32_e32 v2, s10
	s_xor_b64 exec, exec, s[6:7]
	s_cbranch_execz .LBB2_11618
; %bb.47459:
	s_getpc_b64 s[14:15]
.Lpost_getpc27313:
	s_add_u32 s14, s14, (.LBB2_25956-.Lpost_getpc27313)&4294967295
	s_addc_u32 s15, s15, (.LBB2_25956-.Lpost_getpc27313)>>32
	s_setpc_b64 s[14:15]
.LBB2_11618:
	s_or_b64 exec, exec, s[6:7]
	s_and_saveexec_b64 s[6:7], s[4:5]
	s_cbranch_execz .LBB2_11620
.LBB2_11619:
	v_mov_b32_e32 v2, 8
	v_and_b32_e32 v3, 7, v9
	v_lshrrev_b32_sdwa v2, v2, v9 dst_sel:BYTE_1 dst_unused:UNUSED_PAD src0_sel:DWORD src1_sel:DWORD
	v_ffbh_u32_e32 v4, v3
	v_or_b32_sdwa v2, v9, v2 dst_sel:DWORD dst_unused:UNUSED_PAD src0_sel:BYTE_0 src1_sel:DWORD
	v_min_u32_e32 v4, 32, v4
	v_lshrrev_b16_e32 v2, 3, v2
	v_subrev_u32_e32 v6, 28, v4
	v_and_b32_e32 v2, 15, v2
	v_lshlrev_b32_e32 v6, v6, v9
	v_sub_u32_e32 v4, 29, v4
	v_and_b32_e32 v6, 7, v6
	v_cmp_eq_u16_e32 vcc, 0, v2
	v_cndmask_b32_e32 v3, v3, v6, vcc
	v_cndmask_b32_e32 v2, v2, v4, vcc
	v_lshlrev_b32_e32 v4, 24, v9
	v_mov_b32_e32 v6, 0x3b800000
	v_lshlrev_b32_e32 v3, 20, v3
	v_and_b32_e32 v4, 0x80000000, v4
	v_lshl_add_u32 v2, v2, 23, v6
	v_or3_b32 v2, v4, v2, v3
.LBB2_11620:
	s_or_b64 exec, exec, s[6:7]
	s_movk_i32 s4, 0x7f
	v_cmp_gt_i16_sdwa s[6:7], v5, s4 src0_sel:BYTE_0 src1_sel:DWORD
	s_mov_b64 s[4:5], 0
                                        ; implicit-def: $sgpr10
	s_and_saveexec_b64 s[8:9], s[6:7]
	s_xor_b64 s[6:7], exec, s[8:9]
	s_cbranch_execz .LBB2_11621
; %bb.47461:
	s_getpc_b64 s[14:15]
.Lpost_getpc27314:
	s_add_u32 s14, s14, (.LBB2_25957-.Lpost_getpc27314)&4294967295
	s_addc_u32 s15, s15, (.LBB2_25957-.Lpost_getpc27314)>>32
	s_setpc_b64 s[14:15]
.LBB2_11621:
	s_or_saveexec_b64 s[6:7], s[6:7]
	v_mov_b32_e32 v3, s10
	s_xor_b64 exec, exec, s[6:7]
	s_cbranch_execz .LBB2_11622
; %bb.47463:
	s_getpc_b64 s[14:15]
.Lpost_getpc27315:
	s_add_u32 s14, s14, (.LBB2_25960-.Lpost_getpc27315)&4294967295
	s_addc_u32 s15, s15, (.LBB2_25960-.Lpost_getpc27315)>>32
	s_setpc_b64 s[14:15]
.LBB2_11622:
	s_or_b64 exec, exec, s[6:7]
	s_and_saveexec_b64 s[6:7], s[4:5]
	s_cbranch_execz .LBB2_11624
.LBB2_11623:
	v_mov_b32_e32 v3, 8
	v_and_b32_e32 v4, 7, v5
	v_lshrrev_b32_sdwa v3, v3, v5 dst_sel:BYTE_1 dst_unused:UNUSED_PAD src0_sel:DWORD src1_sel:DWORD
	v_ffbh_u32_e32 v6, v4
	v_or_b32_sdwa v3, v5, v3 dst_sel:DWORD dst_unused:UNUSED_PAD src0_sel:BYTE_0 src1_sel:DWORD
	v_min_u32_e32 v6, 32, v6
	v_lshrrev_b16_e32 v3, 3, v3
	v_subrev_u32_e32 v7, 28, v6
	v_and_b32_e32 v3, 15, v3
	v_lshlrev_b32_e32 v7, v7, v5
	v_sub_u32_e32 v6, 29, v6
	v_and_b32_e32 v7, 7, v7
	v_cmp_eq_u16_e32 vcc, 0, v3
	v_cndmask_b32_e32 v4, v4, v7, vcc
	v_cndmask_b32_e32 v3, v3, v6, vcc
	v_lshlrev_b32_e32 v6, 24, v5
	v_mov_b32_e32 v7, 0x3b800000
	v_lshlrev_b32_e32 v4, 20, v4
	v_and_b32_e32 v6, 0x80000000, v6
	v_lshl_add_u32 v3, v3, 23, v7
	v_or3_b32 v3, v6, v3, v4
.LBB2_11624:
	s_or_b64 exec, exec, s[6:7]
	s_nop 0
	v_mfma_f32_16x16x4f32 a[0:3], v2, v3, a[0:3]
	v_lshrrev_b32_e32 v3, 8, v9
	s_movk_i32 s4, 0x7f
	v_cmp_gt_i16_sdwa s[6:7], v3, s4 src0_sel:BYTE_0 src1_sel:DWORD
	s_mov_b64 s[4:5], 0
                                        ; implicit-def: $sgpr10
	s_and_saveexec_b64 s[8:9], s[6:7]
	s_xor_b64 s[6:7], exec, s[8:9]
	s_cbranch_execz .LBB2_11625
; %bb.47465:
	s_getpc_b64 s[14:15]
.Lpost_getpc27316:
	s_add_u32 s14, s14, (.LBB2_25961-.Lpost_getpc27316)&4294967295
	s_addc_u32 s15, s15, (.LBB2_25961-.Lpost_getpc27316)>>32
	s_setpc_b64 s[14:15]
.LBB2_11625:
	s_or_saveexec_b64 s[6:7], s[6:7]
	v_mov_b32_e32 v2, s10
	s_xor_b64 exec, exec, s[6:7]
	s_cbranch_execz .LBB2_11626
; %bb.47467:
	s_getpc_b64 s[14:15]
.Lpost_getpc27317:
	s_add_u32 s14, s14, (.LBB2_25964-.Lpost_getpc27317)&4294967295
	s_addc_u32 s15, s15, (.LBB2_25964-.Lpost_getpc27317)>>32
	s_setpc_b64 s[14:15]
.LBB2_11626:
	s_or_b64 exec, exec, s[6:7]
	s_and_saveexec_b64 s[6:7], s[4:5]
	s_cbranch_execz .LBB2_11628
.LBB2_11627:
	v_bfe_u32 v2, v9, 8, 3
	v_ffbh_u32_e32 v6, v2
	v_min_u32_e32 v6, 32, v6
	v_lshrrev_b16_e32 v4, 3, v3
	v_subrev_u32_e32 v7, 28, v6
	v_and_b32_e32 v4, 15, v4
	v_lshlrev_b32_e32 v3, v7, v3
	v_sub_u32_e32 v6, 29, v6
	v_and_b32_e32 v3, 7, v3
	v_cmp_eq_u16_e32 vcc, 0, v4
	v_cndmask_b32_e32 v2, v2, v3, vcc
	v_cndmask_b32_e32 v3, v4, v6, vcc
	v_lshlrev_b32_e32 v4, 16, v9
	v_mov_b32_e32 v6, 0x3b800000
	v_lshlrev_b32_e32 v2, 20, v2
	v_and_b32_e32 v4, 0x80000000, v4
	v_lshl_add_u32 v3, v3, 23, v6
	v_or3_b32 v2, v4, v3, v2
.LBB2_11628:
	s_or_b64 exec, exec, s[6:7]
	v_lshrrev_b32_e32 v3, 8, v5
	s_movk_i32 s4, 0x7f
	v_cmp_gt_i16_sdwa s[6:7], v3, s4 src0_sel:BYTE_0 src1_sel:DWORD
	s_mov_b64 s[4:5], 0
                                        ; implicit-def: $sgpr10
	s_and_saveexec_b64 s[8:9], s[6:7]
	s_xor_b64 s[6:7], exec, s[8:9]
	s_cbranch_execz .LBB2_11629
; %bb.47469:
	s_getpc_b64 s[14:15]
.Lpost_getpc27318:
	s_add_u32 s14, s14, (.LBB2_25965-.Lpost_getpc27318)&4294967295
	s_addc_u32 s15, s15, (.LBB2_25965-.Lpost_getpc27318)>>32
	s_setpc_b64 s[14:15]
.LBB2_11629:
	s_or_saveexec_b64 s[6:7], s[6:7]
	v_mov_b32_e32 v4, s10
	s_xor_b64 exec, exec, s[6:7]
	s_cbranch_execz .LBB2_11630
; %bb.47471:
	s_getpc_b64 s[14:15]
.Lpost_getpc27319:
	s_add_u32 s14, s14, (.LBB2_25968-.Lpost_getpc27319)&4294967295
	s_addc_u32 s15, s15, (.LBB2_25968-.Lpost_getpc27319)>>32
	s_setpc_b64 s[14:15]
.LBB2_11630:
	s_or_b64 exec, exec, s[6:7]
	s_and_saveexec_b64 s[6:7], s[4:5]
	s_cbranch_execz .LBB2_11632
.LBB2_11631:
	v_bfe_u32 v4, v5, 8, 3
	v_ffbh_u32_e32 v7, v4
	v_min_u32_e32 v7, 32, v7
	v_lshrrev_b16_e32 v6, 3, v3
	v_subrev_u32_e32 v8, 28, v7
	v_and_b32_e32 v6, 15, v6
	v_lshlrev_b32_e32 v3, v8, v3
	v_sub_u32_e32 v7, 29, v7
	v_and_b32_e32 v3, 7, v3
	v_cmp_eq_u16_e32 vcc, 0, v6
	v_cndmask_b32_e32 v3, v4, v3, vcc
	v_cndmask_b32_e32 v4, v6, v7, vcc
	v_lshlrev_b32_e32 v6, 16, v5
	v_mov_b32_e32 v7, 0x3b800000
	v_lshlrev_b32_e32 v3, 20, v3
	v_and_b32_e32 v6, 0x80000000, v6
	v_lshl_add_u32 v4, v4, 23, v7
	v_or3_b32 v4, v6, v4, v3
.LBB2_11632:
	s_or_b64 exec, exec, s[6:7]
	s_nop 0
	v_mfma_f32_16x16x4f32 a[0:3], v2, v4, a[0:3]
	s_movk_i32 s4, 0xff
	v_and_b32_sdwa v3, v9, s4 dst_sel:DWORD dst_unused:UNUSED_PAD src0_sel:WORD_1 src1_sel:DWORD
	s_movk_i32 s4, 0x7f
	v_cmp_lt_i16_e32 vcc, s4, v3
	s_mov_b64 s[4:5], 0
                                        ; implicit-def: $sgpr10
	s_and_saveexec_b64 s[6:7], vcc
	s_xor_b64 s[6:7], exec, s[6:7]
	s_cbranch_execz .LBB2_11633
; %bb.47473:
	s_getpc_b64 s[14:15]
.Lpost_getpc27320:
	s_add_u32 s14, s14, (.LBB2_25969-.Lpost_getpc27320)&4294967295
	s_addc_u32 s15, s15, (.LBB2_25969-.Lpost_getpc27320)>>32
	s_setpc_b64 s[14:15]
.LBB2_11633:
	s_or_saveexec_b64 s[6:7], s[6:7]
	v_mov_b32_e32 v2, s10
	s_xor_b64 exec, exec, s[6:7]
	s_cbranch_execz .LBB2_11634
; %bb.47475:
	s_getpc_b64 s[14:15]
.Lpost_getpc27321:
	s_add_u32 s14, s14, (.LBB2_25972-.Lpost_getpc27321)&4294967295
	s_addc_u32 s15, s15, (.LBB2_25972-.Lpost_getpc27321)>>32
	s_setpc_b64 s[14:15]
.LBB2_11634:
	s_or_b64 exec, exec, s[6:7]
	s_and_saveexec_b64 s[6:7], s[4:5]
	s_cbranch_execz .LBB2_11636
.LBB2_11635:
	v_bfe_u32 v2, v9, 16, 3
	v_ffbh_u32_e32 v6, v2
	v_min_u32_e32 v6, 32, v6
	v_lshrrev_b32_e32 v3, 19, v9
	v_subrev_u32_e32 v7, 28, v6
	v_and_b32_e32 v3, 15, v3
	v_lshlrev_b32_sdwa v7, v7, v9 dst_sel:DWORD dst_unused:UNUSED_PAD src0_sel:DWORD src1_sel:WORD_1
	v_bfe_u32 v4, v9, 19, 4
	v_sub_u32_e32 v6, 29, v6
	v_and_b32_e32 v7, 7, v7
	v_cmp_eq_u16_e32 vcc, 0, v3
	v_cndmask_b32_e32 v2, v2, v7, vcc
	v_cndmask_b32_e32 v3, v4, v6, vcc
	v_lshlrev_b32_e32 v4, 8, v9
	v_mov_b32_e32 v6, 0x3b800000
	v_lshlrev_b32_e32 v2, 20, v2
	v_and_b32_e32 v4, 0x80000000, v4
	v_lshl_add_u32 v3, v3, 23, v6
	v_or3_b32 v2, v4, v3, v2
.LBB2_11636:
	s_or_b64 exec, exec, s[6:7]
	s_movk_i32 s4, 0xff
	v_and_b32_sdwa v3, v5, s4 dst_sel:DWORD dst_unused:UNUSED_PAD src0_sel:WORD_1 src1_sel:DWORD
	s_movk_i32 s4, 0x7f
	v_cmp_lt_i16_e32 vcc, s4, v3
	s_mov_b64 s[4:5], 0
                                        ; implicit-def: $sgpr10
	s_and_saveexec_b64 s[6:7], vcc
	s_xor_b64 s[6:7], exec, s[6:7]
	s_cbranch_execz .LBB2_11637
; %bb.47477:
	s_getpc_b64 s[14:15]
.Lpost_getpc27322:
	s_add_u32 s14, s14, (.LBB2_25973-.Lpost_getpc27322)&4294967295
	s_addc_u32 s15, s15, (.LBB2_25973-.Lpost_getpc27322)>>32
	s_setpc_b64 s[14:15]
.LBB2_11637:
	s_or_saveexec_b64 s[6:7], s[6:7]
	v_mov_b32_e32 v4, s10
	s_xor_b64 exec, exec, s[6:7]
	s_cbranch_execz .LBB2_11638
; %bb.47479:
	s_getpc_b64 s[14:15]
.Lpost_getpc27323:
	s_add_u32 s14, s14, (.LBB2_25976-.Lpost_getpc27323)&4294967295
	s_addc_u32 s15, s15, (.LBB2_25976-.Lpost_getpc27323)>>32
	s_setpc_b64 s[14:15]
.LBB2_11638:
	s_or_b64 exec, exec, s[6:7]
	s_and_saveexec_b64 s[6:7], s[4:5]
	s_cbranch_execz .LBB2_11640
.LBB2_11639:
	v_bfe_u32 v3, v5, 16, 3
	v_ffbh_u32_e32 v7, v3
	v_min_u32_e32 v7, 32, v7
	v_lshrrev_b32_e32 v4, 19, v5
	v_subrev_u32_e32 v8, 28, v7
	v_and_b32_e32 v4, 15, v4
	v_lshlrev_b32_sdwa v8, v8, v5 dst_sel:DWORD dst_unused:UNUSED_PAD src0_sel:DWORD src1_sel:WORD_1
	v_bfe_u32 v6, v5, 19, 4
	v_sub_u32_e32 v7, 29, v7
	v_and_b32_e32 v8, 7, v8
	v_cmp_eq_u16_e32 vcc, 0, v4
	v_cndmask_b32_e32 v3, v3, v8, vcc
	v_cndmask_b32_e32 v4, v6, v7, vcc
	v_lshlrev_b32_e32 v6, 8, v5
	v_mov_b32_e32 v7, 0x3b800000
	v_lshlrev_b32_e32 v3, 20, v3
	v_and_b32_e32 v6, 0x80000000, v6
	v_lshl_add_u32 v4, v4, 23, v7
	v_or3_b32 v4, v6, v4, v3
.LBB2_11640:
	s_or_b64 exec, exec, s[6:7]
	s_nop 0
	v_mfma_f32_16x16x4f32 a[0:3], v2, v4, a[0:3]
	s_movk_i32 s4, 0x7f
	v_cmp_gt_i16_sdwa s[6:7], v9, s4 src0_sel:BYTE_3 src1_sel:DWORD
	s_mov_b64 s[4:5], 0
                                        ; implicit-def: $sgpr10
	s_and_saveexec_b64 s[8:9], s[6:7]
	s_xor_b64 s[6:7], exec, s[8:9]
	s_cbranch_execz .LBB2_11641
; %bb.47481:
	s_getpc_b64 s[14:15]
.Lpost_getpc27324:
	s_add_u32 s14, s14, (.LBB2_25977-.Lpost_getpc27324)&4294967295
	s_addc_u32 s15, s15, (.LBB2_25977-.Lpost_getpc27324)>>32
	s_setpc_b64 s[14:15]
.LBB2_11641:
	s_or_saveexec_b64 s[6:7], s[6:7]
	v_mov_b32_e32 v2, s10
	s_xor_b64 exec, exec, s[6:7]
	s_cbranch_execz .LBB2_11642
; %bb.47483:
	s_getpc_b64 s[14:15]
.Lpost_getpc27325:
	s_add_u32 s14, s14, (.LBB2_25980-.Lpost_getpc27325)&4294967295
	s_addc_u32 s15, s15, (.LBB2_25980-.Lpost_getpc27325)>>32
	s_setpc_b64 s[14:15]
.LBB2_11642:
	s_or_b64 exec, exec, s[6:7]
	s_and_saveexec_b64 s[6:7], s[4:5]
	s_cbranch_execz .LBB2_11644
.LBB2_11643:
	v_bfe_u32 v2, v9, 24, 3
	v_ffbh_u32_e32 v7, v2
	v_min_u32_e32 v7, 32, v7
	v_lshrrev_b32_e32 v4, 27, v9
	v_subrev_u32_e32 v8, 28, v7
	v_and_b32_e32 v4, 15, v4
	v_lshlrev_b32_sdwa v8, v8, v9 dst_sel:DWORD dst_unused:UNUSED_PAD src0_sel:DWORD src1_sel:BYTE_3
	v_bfe_u32 v6, v9, 27, 4
	v_sub_u32_e32 v7, 29, v7
	v_and_b32_e32 v8, 7, v8
	v_cmp_eq_u16_e32 vcc, 0, v4
	v_cndmask_b32_e32 v2, v2, v8, vcc
	v_cndmask_b32_e32 v4, v6, v7, vcc
	v_mov_b32_e32 v6, 0x3b800000
	v_and_b32_e32 v3, 0x80000000, v9
	v_lshlrev_b32_e32 v2, 20, v2
	v_lshl_add_u32 v4, v4, 23, v6
	v_or3_b32 v2, v3, v4, v2
.LBB2_11644:
	s_or_b64 exec, exec, s[6:7]
	s_movk_i32 s4, 0x7f
	v_cmp_gt_i16_sdwa s[6:7], v5, s4 src0_sel:BYTE_3 src1_sel:DWORD
	s_mov_b64 s[4:5], 0
                                        ; implicit-def: $sgpr10
	s_and_saveexec_b64 s[8:9], s[6:7]
	s_xor_b64 s[6:7], exec, s[8:9]
	s_cbranch_execz .LBB2_11645
; %bb.47485:
	s_getpc_b64 s[14:15]
.Lpost_getpc27326:
	s_add_u32 s14, s14, (.LBB2_25981-.Lpost_getpc27326)&4294967295
	s_addc_u32 s15, s15, (.LBB2_25981-.Lpost_getpc27326)>>32
	s_setpc_b64 s[14:15]
.LBB2_11645:
	s_or_saveexec_b64 s[6:7], s[6:7]
	v_mov_b32_e32 v3, s10
	s_xor_b64 exec, exec, s[6:7]
	s_cbranch_execz .LBB2_11646
; %bb.47487:
	s_getpc_b64 s[14:15]
.Lpost_getpc27327:
	s_add_u32 s14, s14, (.LBB2_25984-.Lpost_getpc27327)&4294967295
	s_addc_u32 s15, s15, (.LBB2_25984-.Lpost_getpc27327)>>32
	s_setpc_b64 s[14:15]
.LBB2_11646:
	s_or_b64 exec, exec, s[6:7]
	s_and_saveexec_b64 s[6:7], s[4:5]
	s_cbranch_execz .LBB2_11648
.LBB2_11647:
	v_bfe_u32 v3, v5, 24, 3
	v_ffbh_u32_e32 v8, v3
	v_min_u32_e32 v8, 32, v8
	v_lshrrev_b32_e32 v6, 27, v5
	v_subrev_u32_e32 v9, 28, v8
	v_and_b32_e32 v4, 0x80000000, v5
	v_and_b32_e32 v6, 15, v6
	v_bfe_u32 v7, v5, 27, 4
	v_lshlrev_b32_sdwa v5, v9, v5 dst_sel:DWORD dst_unused:UNUSED_PAD src0_sel:DWORD src1_sel:BYTE_3
	v_sub_u32_e32 v8, 29, v8
	v_and_b32_e32 v5, 7, v5
	v_cmp_eq_u16_e32 vcc, 0, v6
	v_cndmask_b32_e32 v3, v3, v5, vcc
	v_cndmask_b32_e32 v5, v7, v8, vcc
	v_mov_b32_e32 v6, 0x3b800000
	v_lshlrev_b32_e32 v3, 20, v3
	v_lshl_add_u32 v5, v5, 23, v6
	v_or3_b32 v3, v4, v5, v3
.LBB2_11648:
	s_or_b64 exec, exec, s[6:7]
	s_nop 0
	v_mfma_f32_16x16x4f32 a[0:3], v2, v3, a[0:3]
	s_movk_i32 s4, 0x7f
                                        ; implicit-def: $sgpr10
	s_nop 7
	s_nop 1
	flat_store_dwordx4 v[10:11], a[0:3] offset:544
	flat_load_dwordx4 v[12:15], v[0:1]
	s_nop 0
	flat_load_dwordx2 v[10:11], v[0:1] offset:16
	s_waitcnt vmcnt(0) lgkmcnt(0)
	flat_load_dwordx4 v[6:9], v[12:13] offset:176
	flat_load_dwordx4 v[2:5], v[14:15] offset:176
	s_waitcnt vmcnt(0) lgkmcnt(0)
	v_cmp_gt_i16_sdwa s[6:7], v6, s4 src0_sel:BYTE_0 src1_sel:DWORD
	s_mov_b64 s[4:5], 0
	s_and_saveexec_b64 s[8:9], s[6:7]
	s_xor_b64 s[6:7], exec, s[8:9]
	s_cbranch_execz .LBB2_11649
; %bb.47489:
	s_getpc_b64 s[14:15]
.Lpost_getpc27328:
	s_add_u32 s14, s14, (.LBB2_25985-.Lpost_getpc27328)&4294967295
	s_addc_u32 s15, s15, (.LBB2_25985-.Lpost_getpc27328)>>32
	s_setpc_b64 s[14:15]
.LBB2_11649:
	s_or_saveexec_b64 s[6:7], s[6:7]
	v_mov_b32_e32 v12, s10
	s_xor_b64 exec, exec, s[6:7]
	s_cbranch_execz .LBB2_11650
; %bb.47491:
	s_getpc_b64 s[14:15]
.Lpost_getpc27329:
	s_add_u32 s14, s14, (.LBB2_25988-.Lpost_getpc27329)&4294967295
	s_addc_u32 s15, s15, (.LBB2_25988-.Lpost_getpc27329)>>32
	s_setpc_b64 s[14:15]
.LBB2_11650:
	s_or_b64 exec, exec, s[6:7]
	s_and_saveexec_b64 s[6:7], s[4:5]
	s_cbranch_execz .LBB2_11652
.LBB2_11651:
	v_and_b32_e32 v12, 7, v6
	v_ffbh_u32_e32 v14, v12
	v_min_u32_e32 v14, 32, v14
	v_lshrrev_b16_e32 v13, 3, v6
	v_subrev_u32_e32 v15, 28, v14
	v_and_b32_e32 v13, 15, v13
	v_lshlrev_b32_e32 v15, v15, v6
	v_sub_u32_e32 v14, 29, v14
	v_and_b32_e32 v15, 7, v15
	v_cmp_eq_u16_e32 vcc, 0, v13
	v_cndmask_b32_e32 v12, v12, v15, vcc
	v_cndmask_b32_e32 v13, v13, v14, vcc
	v_lshlrev_b32_e32 v14, 24, v6
	v_mov_b32_e32 v15, 0x3b800000
	v_lshlrev_b32_e32 v12, 20, v12
	v_and_b32_e32 v14, 0x80000000, v14
	v_lshl_add_u32 v13, v13, 23, v15
	v_or3_b32 v12, v14, v13, v12
.LBB2_11652:
	s_or_b64 exec, exec, s[6:7]
	s_movk_i32 s4, 0x7f
	v_cmp_gt_i16_sdwa s[6:7], v2, s4 src0_sel:BYTE_0 src1_sel:DWORD
	s_mov_b64 s[4:5], 0
                                        ; implicit-def: $sgpr10
	s_and_saveexec_b64 s[8:9], s[6:7]
	s_xor_b64 s[6:7], exec, s[8:9]
	s_cbranch_execz .LBB2_11653
; %bb.47493:
	s_getpc_b64 s[14:15]
.Lpost_getpc27330:
	s_add_u32 s14, s14, (.LBB2_25989-.Lpost_getpc27330)&4294967295
	s_addc_u32 s15, s15, (.LBB2_25989-.Lpost_getpc27330)>>32
	s_setpc_b64 s[14:15]
.LBB2_11653:
	s_or_saveexec_b64 s[6:7], s[6:7]
	v_mov_b32_e32 v13, s10
	s_xor_b64 exec, exec, s[6:7]
	s_cbranch_execz .LBB2_11654
; %bb.47495:
	s_getpc_b64 s[14:15]
.Lpost_getpc27331:
	s_add_u32 s14, s14, (.LBB2_25992-.Lpost_getpc27331)&4294967295
	s_addc_u32 s15, s15, (.LBB2_25992-.Lpost_getpc27331)>>32
	s_setpc_b64 s[14:15]
.LBB2_11654:
	s_or_b64 exec, exec, s[6:7]
	s_and_saveexec_b64 s[6:7], s[4:5]
	s_cbranch_execz .LBB2_11656
.LBB2_11655:
	v_and_b32_e32 v13, 7, v2
	v_ffbh_u32_e32 v15, v13
	v_min_u32_e32 v15, 32, v15
	v_lshrrev_b16_e32 v14, 3, v2
	v_subrev_u32_e32 v16, 28, v15
	v_and_b32_e32 v14, 15, v14
	v_lshlrev_b32_e32 v16, v16, v2
	v_sub_u32_e32 v15, 29, v15
	v_and_b32_e32 v16, 7, v16
	v_cmp_eq_u16_e32 vcc, 0, v14
	v_cndmask_b32_e32 v13, v13, v16, vcc
	v_cndmask_b32_e32 v14, v14, v15, vcc
	v_lshlrev_b32_e32 v15, 24, v2
	v_mov_b32_e32 v16, 0x3b800000
	v_lshlrev_b32_e32 v13, 20, v13
	v_and_b32_e32 v15, 0x80000000, v15
	v_lshl_add_u32 v14, v14, 23, v16
	v_or3_b32 v13, v15, v14, v13
.LBB2_11656:
	s_or_b64 exec, exec, s[6:7]
	flat_load_dwordx4 a[0:3], v[10:11] offset:560
	s_movk_i32 s4, 0x7f
                                        ; implicit-def: $sgpr10
	s_waitcnt vmcnt(0) lgkmcnt(0)
	v_mfma_f32_16x16x4f32 a[0:3], v12, v13, a[0:3]
	v_lshrrev_b32_e32 v13, 8, v6
	v_cmp_gt_i16_sdwa s[6:7], v13, s4 src0_sel:BYTE_0 src1_sel:DWORD
	s_mov_b64 s[4:5], 0
	s_and_saveexec_b64 s[8:9], s[6:7]
	s_xor_b64 s[6:7], exec, s[8:9]
	s_cbranch_execz .LBB2_11657
; %bb.47497:
	s_getpc_b64 s[14:15]
.Lpost_getpc27332:
	s_add_u32 s14, s14, (.LBB2_25993-.Lpost_getpc27332)&4294967295
	s_addc_u32 s15, s15, (.LBB2_25993-.Lpost_getpc27332)>>32
	s_setpc_b64 s[14:15]
.LBB2_11657:
	s_or_saveexec_b64 s[6:7], s[6:7]
	v_mov_b32_e32 v12, s10
	s_xor_b64 exec, exec, s[6:7]
	s_cbranch_execz .LBB2_11658
; %bb.47499:
	s_getpc_b64 s[14:15]
.Lpost_getpc27333:
	s_add_u32 s14, s14, (.LBB2_25996-.Lpost_getpc27333)&4294967295
	s_addc_u32 s15, s15, (.LBB2_25996-.Lpost_getpc27333)>>32
	s_setpc_b64 s[14:15]
.LBB2_11658:
	s_or_b64 exec, exec, s[6:7]
	s_and_saveexec_b64 s[6:7], s[4:5]
	s_cbranch_execz .LBB2_11660
.LBB2_11659:
	v_bfe_u32 v12, v6, 8, 3
	v_ffbh_u32_e32 v15, v12
	v_min_u32_e32 v15, 32, v15
	v_lshrrev_b16_e32 v14, 3, v13
	v_subrev_u32_e32 v16, 28, v15
	v_and_b32_e32 v14, 15, v14
	v_lshlrev_b32_e32 v13, v16, v13
	v_sub_u32_e32 v15, 29, v15
	v_and_b32_e32 v13, 7, v13
	v_cmp_eq_u16_e32 vcc, 0, v14
	v_cndmask_b32_e32 v12, v12, v13, vcc
	v_cndmask_b32_e32 v13, v14, v15, vcc
	v_lshlrev_b32_e32 v14, 16, v6
	v_mov_b32_e32 v15, 0x3b800000
	v_lshlrev_b32_e32 v12, 20, v12
	v_and_b32_e32 v14, 0x80000000, v14
	v_lshl_add_u32 v13, v13, 23, v15
	v_or3_b32 v12, v14, v13, v12
.LBB2_11660:
	s_or_b64 exec, exec, s[6:7]
	v_lshrrev_b32_e32 v13, 8, v2
	s_movk_i32 s4, 0x7f
	v_cmp_gt_i16_sdwa s[6:7], v13, s4 src0_sel:BYTE_0 src1_sel:DWORD
	s_mov_b64 s[4:5], 0
                                        ; implicit-def: $sgpr10
	s_and_saveexec_b64 s[8:9], s[6:7]
	s_xor_b64 s[6:7], exec, s[8:9]
	s_cbranch_execz .LBB2_11661
; %bb.47501:
	s_getpc_b64 s[14:15]
.Lpost_getpc27334:
	s_add_u32 s14, s14, (.LBB2_25997-.Lpost_getpc27334)&4294967295
	s_addc_u32 s15, s15, (.LBB2_25997-.Lpost_getpc27334)>>32
	s_setpc_b64 s[14:15]
.LBB2_11661:
	s_or_saveexec_b64 s[6:7], s[6:7]
	v_mov_b32_e32 v14, s10
	s_xor_b64 exec, exec, s[6:7]
	s_cbranch_execz .LBB2_11662
; %bb.47503:
	s_getpc_b64 s[14:15]
.Lpost_getpc27335:
	s_add_u32 s14, s14, (.LBB2_26000-.Lpost_getpc27335)&4294967295
	s_addc_u32 s15, s15, (.LBB2_26000-.Lpost_getpc27335)>>32
	s_setpc_b64 s[14:15]
.LBB2_11662:
	s_or_b64 exec, exec, s[6:7]
	s_and_saveexec_b64 s[6:7], s[4:5]
	s_cbranch_execz .LBB2_11664
.LBB2_11663:
	v_bfe_u32 v14, v2, 8, 3
	v_ffbh_u32_e32 v16, v14
	v_min_u32_e32 v16, 32, v16
	v_lshrrev_b16_e32 v15, 3, v13
	v_subrev_u32_e32 v17, 28, v16
	v_and_b32_e32 v15, 15, v15
	v_lshlrev_b32_e32 v13, v17, v13
	v_sub_u32_e32 v16, 29, v16
	v_and_b32_e32 v13, 7, v13
	v_cmp_eq_u16_e32 vcc, 0, v15
	v_cndmask_b32_e32 v13, v14, v13, vcc
	v_cndmask_b32_e32 v14, v15, v16, vcc
	v_lshlrev_b32_e32 v15, 16, v2
	v_mov_b32_e32 v16, 0x3b800000
	v_lshlrev_b32_e32 v13, 20, v13
	v_and_b32_e32 v15, 0x80000000, v15
	v_lshl_add_u32 v14, v14, 23, v16
	v_or3_b32 v14, v15, v14, v13
.LBB2_11664:
	s_or_b64 exec, exec, s[6:7]
	s_nop 0
	v_mfma_f32_16x16x4f32 a[0:3], v12, v14, a[0:3]
	s_movk_i32 s4, 0xff
	v_and_b32_sdwa v13, v6, s4 dst_sel:DWORD dst_unused:UNUSED_PAD src0_sel:WORD_1 src1_sel:DWORD
	s_movk_i32 s4, 0x7f
	v_cmp_lt_i16_e32 vcc, s4, v13
	s_mov_b64 s[4:5], 0
                                        ; implicit-def: $sgpr10
	s_and_saveexec_b64 s[6:7], vcc
	s_xor_b64 s[6:7], exec, s[6:7]
	s_cbranch_execz .LBB2_11665
; %bb.47505:
	s_getpc_b64 s[14:15]
.Lpost_getpc27336:
	s_add_u32 s14, s14, (.LBB2_26001-.Lpost_getpc27336)&4294967295
	s_addc_u32 s15, s15, (.LBB2_26001-.Lpost_getpc27336)>>32
	s_setpc_b64 s[14:15]
.LBB2_11665:
	s_or_saveexec_b64 s[6:7], s[6:7]
	v_mov_b32_e32 v12, s10
	s_xor_b64 exec, exec, s[6:7]
	s_cbranch_execz .LBB2_11666
; %bb.47507:
	s_getpc_b64 s[14:15]
.Lpost_getpc27337:
	s_add_u32 s14, s14, (.LBB2_26004-.Lpost_getpc27337)&4294967295
	s_addc_u32 s15, s15, (.LBB2_26004-.Lpost_getpc27337)>>32
	s_setpc_b64 s[14:15]
.LBB2_11666:
	s_or_b64 exec, exec, s[6:7]
	s_and_saveexec_b64 s[6:7], s[4:5]
	s_cbranch_execz .LBB2_11668
.LBB2_11667:
	v_bfe_u32 v12, v6, 16, 3
	v_ffbh_u32_e32 v15, v12
	v_min_u32_e32 v15, 32, v15
	v_lshrrev_b32_e32 v13, 19, v6
	v_subrev_u32_e32 v16, 28, v15
	v_and_b32_e32 v13, 15, v13
	v_lshlrev_b32_sdwa v16, v16, v6 dst_sel:DWORD dst_unused:UNUSED_PAD src0_sel:DWORD src1_sel:WORD_1
	v_bfe_u32 v14, v6, 19, 4
	v_sub_u32_e32 v15, 29, v15
	v_and_b32_e32 v16, 7, v16
	v_cmp_eq_u16_e32 vcc, 0, v13
	v_cndmask_b32_e32 v12, v12, v16, vcc
	v_cndmask_b32_e32 v13, v14, v15, vcc
	v_lshlrev_b32_e32 v14, 8, v6
	v_mov_b32_e32 v15, 0x3b800000
	v_lshlrev_b32_e32 v12, 20, v12
	v_and_b32_e32 v14, 0x80000000, v14
	v_lshl_add_u32 v13, v13, 23, v15
	v_or3_b32 v12, v14, v13, v12
.LBB2_11668:
	s_or_b64 exec, exec, s[6:7]
	s_movk_i32 s4, 0xff
	v_and_b32_sdwa v13, v2, s4 dst_sel:DWORD dst_unused:UNUSED_PAD src0_sel:WORD_1 src1_sel:DWORD
	s_movk_i32 s4, 0x7f
	v_cmp_lt_i16_e32 vcc, s4, v13
	s_mov_b64 s[4:5], 0
                                        ; implicit-def: $sgpr10
	s_and_saveexec_b64 s[6:7], vcc
	s_xor_b64 s[6:7], exec, s[6:7]
	s_cbranch_execz .LBB2_11669
; %bb.47509:
	s_getpc_b64 s[14:15]
.Lpost_getpc27338:
	s_add_u32 s14, s14, (.LBB2_26005-.Lpost_getpc27338)&4294967295
	s_addc_u32 s15, s15, (.LBB2_26005-.Lpost_getpc27338)>>32
	s_setpc_b64 s[14:15]
.LBB2_11669:
	s_or_saveexec_b64 s[6:7], s[6:7]
	v_mov_b32_e32 v14, s10
	s_xor_b64 exec, exec, s[6:7]
	s_cbranch_execz .LBB2_11670
; %bb.47511:
	s_getpc_b64 s[14:15]
.Lpost_getpc27339:
	s_add_u32 s14, s14, (.LBB2_26008-.Lpost_getpc27339)&4294967295
	s_addc_u32 s15, s15, (.LBB2_26008-.Lpost_getpc27339)>>32
	s_setpc_b64 s[14:15]
.LBB2_11670:
	s_or_b64 exec, exec, s[6:7]
	s_and_saveexec_b64 s[6:7], s[4:5]
	s_cbranch_execz .LBB2_11672
.LBB2_11671:
	v_bfe_u32 v13, v2, 16, 3
	v_ffbh_u32_e32 v16, v13
	v_min_u32_e32 v16, 32, v16
	v_lshrrev_b32_e32 v14, 19, v2
	v_subrev_u32_e32 v17, 28, v16
	v_and_b32_e32 v14, 15, v14
	v_lshlrev_b32_sdwa v17, v17, v2 dst_sel:DWORD dst_unused:UNUSED_PAD src0_sel:DWORD src1_sel:WORD_1
	v_bfe_u32 v15, v2, 19, 4
	v_sub_u32_e32 v16, 29, v16
	v_and_b32_e32 v17, 7, v17
	v_cmp_eq_u16_e32 vcc, 0, v14
	v_cndmask_b32_e32 v13, v13, v17, vcc
	v_cndmask_b32_e32 v14, v15, v16, vcc
	v_lshlrev_b32_e32 v15, 8, v2
	v_mov_b32_e32 v16, 0x3b800000
	v_lshlrev_b32_e32 v13, 20, v13
	v_and_b32_e32 v15, 0x80000000, v15
	v_lshl_add_u32 v14, v14, 23, v16
	v_or3_b32 v14, v15, v14, v13
.LBB2_11672:
	s_or_b64 exec, exec, s[6:7]
	s_nop 0
	v_mfma_f32_16x16x4f32 a[0:3], v12, v14, a[0:3]
	s_movk_i32 s4, 0x7f
	v_cmp_gt_i16_sdwa s[6:7], v6, s4 src0_sel:BYTE_3 src1_sel:DWORD
	s_mov_b64 s[4:5], 0
                                        ; implicit-def: $sgpr10
	s_and_saveexec_b64 s[8:9], s[6:7]
	s_xor_b64 s[6:7], exec, s[8:9]
	s_cbranch_execz .LBB2_11673
; %bb.47513:
	s_getpc_b64 s[14:15]
.Lpost_getpc27340:
	s_add_u32 s14, s14, (.LBB2_26009-.Lpost_getpc27340)&4294967295
	s_addc_u32 s15, s15, (.LBB2_26009-.Lpost_getpc27340)>>32
	s_setpc_b64 s[14:15]
.LBB2_11673:
	s_or_saveexec_b64 s[6:7], s[6:7]
	v_mov_b32_e32 v12, s10
	s_xor_b64 exec, exec, s[6:7]
	s_cbranch_execz .LBB2_11674
; %bb.47515:
	s_getpc_b64 s[14:15]
.Lpost_getpc27341:
	s_add_u32 s14, s14, (.LBB2_26012-.Lpost_getpc27341)&4294967295
	s_addc_u32 s15, s15, (.LBB2_26012-.Lpost_getpc27341)>>32
	s_setpc_b64 s[14:15]
.LBB2_11674:
	s_or_b64 exec, exec, s[6:7]
	s_and_saveexec_b64 s[6:7], s[4:5]
	s_cbranch_execz .LBB2_11676
.LBB2_11675:
	v_bfe_u32 v12, v6, 24, 3
	v_ffbh_u32_e32 v16, v12
	v_min_u32_e32 v16, 32, v16
	v_lshrrev_b32_e32 v14, 27, v6
	v_subrev_u32_e32 v17, 28, v16
	v_and_b32_e32 v13, 0x80000000, v6
	v_and_b32_e32 v14, 15, v14
	v_bfe_u32 v15, v6, 27, 4
	v_lshlrev_b32_sdwa v6, v17, v6 dst_sel:DWORD dst_unused:UNUSED_PAD src0_sel:DWORD src1_sel:BYTE_3
	v_sub_u32_e32 v16, 29, v16
	v_and_b32_e32 v6, 7, v6
	v_cmp_eq_u16_e32 vcc, 0, v14
	v_cndmask_b32_e32 v6, v12, v6, vcc
	v_cndmask_b32_e32 v12, v15, v16, vcc
	v_mov_b32_e32 v14, 0x3b800000
	v_lshlrev_b32_e32 v6, 20, v6
	v_lshl_add_u32 v12, v12, 23, v14
	v_or3_b32 v12, v13, v12, v6
.LBB2_11676:
	s_or_b64 exec, exec, s[6:7]
	s_movk_i32 s4, 0x7f
	v_cmp_gt_i16_sdwa s[6:7], v2, s4 src0_sel:BYTE_3 src1_sel:DWORD
	s_mov_b64 s[4:5], 0
                                        ; implicit-def: $sgpr10
	s_and_saveexec_b64 s[8:9], s[6:7]
	s_xor_b64 s[6:7], exec, s[8:9]
	s_cbranch_execz .LBB2_11677
; %bb.47517:
	s_getpc_b64 s[14:15]
.Lpost_getpc27342:
	s_add_u32 s14, s14, (.LBB2_26013-.Lpost_getpc27342)&4294967295
	s_addc_u32 s15, s15, (.LBB2_26013-.Lpost_getpc27342)>>32
	s_setpc_b64 s[14:15]
.LBB2_11677:
	s_or_saveexec_b64 s[6:7], s[6:7]
	v_mov_b32_e32 v6, s10
	s_xor_b64 exec, exec, s[6:7]
	s_cbranch_execz .LBB2_11678
; %bb.47519:
	s_getpc_b64 s[14:15]
.Lpost_getpc27343:
	s_add_u32 s14, s14, (.LBB2_26016-.Lpost_getpc27343)&4294967295
	s_addc_u32 s15, s15, (.LBB2_26016-.Lpost_getpc27343)>>32
	s_setpc_b64 s[14:15]
.LBB2_11678:
	s_or_b64 exec, exec, s[6:7]
	s_and_saveexec_b64 s[6:7], s[4:5]
	s_cbranch_execz .LBB2_11680
.LBB2_11679:
	v_bfe_u32 v6, v2, 24, 3
	v_ffbh_u32_e32 v16, v6
	v_min_u32_e32 v16, 32, v16
	v_lshrrev_b32_e32 v14, 27, v2
	v_subrev_u32_e32 v17, 28, v16
	v_and_b32_e32 v13, 0x80000000, v2
	v_and_b32_e32 v14, 15, v14
	v_bfe_u32 v15, v2, 27, 4
	v_lshlrev_b32_sdwa v2, v17, v2 dst_sel:DWORD dst_unused:UNUSED_PAD src0_sel:DWORD src1_sel:BYTE_3
	v_sub_u32_e32 v16, 29, v16
	v_and_b32_e32 v2, 7, v2
	v_cmp_eq_u16_e32 vcc, 0, v14
	v_cndmask_b32_e32 v2, v6, v2, vcc
	v_cndmask_b32_e32 v6, v15, v16, vcc
	v_mov_b32_e32 v14, 0x3b800000
	v_lshlrev_b32_e32 v2, 20, v2
	v_lshl_add_u32 v6, v6, 23, v14
	v_or3_b32 v6, v13, v6, v2
.LBB2_11680:
	s_or_b64 exec, exec, s[6:7]
	s_nop 0
	v_mfma_f32_16x16x4f32 a[0:3], v12, v6, a[0:3]
	s_movk_i32 s4, 0x7f
	v_cmp_gt_i16_sdwa s[6:7], v7, s4 src0_sel:BYTE_0 src1_sel:DWORD
	s_mov_b64 s[4:5], 0
                                        ; implicit-def: $sgpr10
	s_and_saveexec_b64 s[8:9], s[6:7]
	s_xor_b64 s[6:7], exec, s[8:9]
	s_cbranch_execz .LBB2_11681
; %bb.47521:
	s_getpc_b64 s[14:15]
.Lpost_getpc27344:
	s_add_u32 s14, s14, (.LBB2_26017-.Lpost_getpc27344)&4294967295
	s_addc_u32 s15, s15, (.LBB2_26017-.Lpost_getpc27344)>>32
	s_setpc_b64 s[14:15]
.LBB2_11681:
	s_or_saveexec_b64 s[6:7], s[6:7]
	v_mov_b32_e32 v2, s10
	s_xor_b64 exec, exec, s[6:7]
	s_cbranch_execz .LBB2_11682
; %bb.47523:
	s_getpc_b64 s[14:15]
.Lpost_getpc27345:
	s_add_u32 s14, s14, (.LBB2_26020-.Lpost_getpc27345)&4294967295
	s_addc_u32 s15, s15, (.LBB2_26020-.Lpost_getpc27345)>>32
	s_setpc_b64 s[14:15]
.LBB2_11682:
	s_or_b64 exec, exec, s[6:7]
	s_and_saveexec_b64 s[6:7], s[4:5]
	s_cbranch_execz .LBB2_11684
.LBB2_11683:
	v_and_b32_e32 v2, 7, v7
	v_ffbh_u32_e32 v12, v2
	v_min_u32_e32 v12, 32, v12
	v_lshrrev_b16_e32 v6, 3, v7
	v_subrev_u32_e32 v13, 28, v12
	v_and_b32_e32 v6, 15, v6
	v_lshlrev_b32_e32 v13, v13, v7
	v_sub_u32_e32 v12, 29, v12
	v_and_b32_e32 v13, 7, v13
	v_cmp_eq_u16_e32 vcc, 0, v6
	v_cndmask_b32_e32 v2, v2, v13, vcc
	v_cndmask_b32_e32 v6, v6, v12, vcc
	v_lshlrev_b32_e32 v12, 24, v7
	v_mov_b32_e32 v13, 0x3b800000
	v_lshlrev_b32_e32 v2, 20, v2
	v_and_b32_e32 v12, 0x80000000, v12
	v_lshl_add_u32 v6, v6, 23, v13
	v_or3_b32 v2, v12, v6, v2
.LBB2_11684:
	s_or_b64 exec, exec, s[6:7]
	s_movk_i32 s4, 0x7f
	v_cmp_gt_i16_sdwa s[6:7], v3, s4 src0_sel:BYTE_0 src1_sel:DWORD
	s_mov_b64 s[4:5], 0
                                        ; implicit-def: $sgpr10
	s_and_saveexec_b64 s[8:9], s[6:7]
	s_xor_b64 s[6:7], exec, s[8:9]
	s_cbranch_execz .LBB2_11685
; %bb.47525:
	s_getpc_b64 s[14:15]
.Lpost_getpc27346:
	s_add_u32 s14, s14, (.LBB2_26021-.Lpost_getpc27346)&4294967295
	s_addc_u32 s15, s15, (.LBB2_26021-.Lpost_getpc27346)>>32
	s_setpc_b64 s[14:15]
.LBB2_11685:
	s_or_saveexec_b64 s[6:7], s[6:7]
	v_mov_b32_e32 v6, s10
	s_xor_b64 exec, exec, s[6:7]
	s_cbranch_execz .LBB2_11686
; %bb.47527:
	s_getpc_b64 s[14:15]
.Lpost_getpc27347:
	s_add_u32 s14, s14, (.LBB2_26024-.Lpost_getpc27347)&4294967295
	s_addc_u32 s15, s15, (.LBB2_26024-.Lpost_getpc27347)>>32
	s_setpc_b64 s[14:15]
.LBB2_11686:
	s_or_b64 exec, exec, s[6:7]
	s_and_saveexec_b64 s[6:7], s[4:5]
	s_cbranch_execz .LBB2_11688
.LBB2_11687:
	v_and_b32_e32 v6, 7, v3
	v_ffbh_u32_e32 v13, v6
	v_min_u32_e32 v13, 32, v13
	v_lshrrev_b16_e32 v12, 3, v3
	v_subrev_u32_e32 v14, 28, v13
	v_and_b32_e32 v12, 15, v12
	v_lshlrev_b32_e32 v14, v14, v3
	v_sub_u32_e32 v13, 29, v13
	v_and_b32_e32 v14, 7, v14
	v_cmp_eq_u16_e32 vcc, 0, v12
	v_cndmask_b32_e32 v6, v6, v14, vcc
	v_cndmask_b32_e32 v12, v12, v13, vcc
	v_lshlrev_b32_e32 v13, 24, v3
	v_mov_b32_e32 v14, 0x3b800000
	v_lshlrev_b32_e32 v6, 20, v6
	v_and_b32_e32 v13, 0x80000000, v13
	v_lshl_add_u32 v12, v12, 23, v14
	v_or3_b32 v6, v13, v12, v6
.LBB2_11688:
	s_or_b64 exec, exec, s[6:7]
	s_nop 0
	v_mfma_f32_16x16x4f32 a[0:3], v2, v6, a[0:3]
	v_lshrrev_b32_e32 v6, 8, v7
	s_movk_i32 s4, 0x7f
	v_cmp_gt_i16_sdwa s[6:7], v6, s4 src0_sel:BYTE_0 src1_sel:DWORD
	s_mov_b64 s[4:5], 0
                                        ; implicit-def: $sgpr10
	s_and_saveexec_b64 s[8:9], s[6:7]
	s_xor_b64 s[6:7], exec, s[8:9]
	s_cbranch_execz .LBB2_11689
; %bb.47529:
	s_getpc_b64 s[14:15]
.Lpost_getpc27348:
	s_add_u32 s14, s14, (.LBB2_26025-.Lpost_getpc27348)&4294967295
	s_addc_u32 s15, s15, (.LBB2_26025-.Lpost_getpc27348)>>32
	s_setpc_b64 s[14:15]
.LBB2_11689:
	s_or_saveexec_b64 s[6:7], s[6:7]
	v_mov_b32_e32 v2, s10
	s_xor_b64 exec, exec, s[6:7]
	s_cbranch_execz .LBB2_11690
; %bb.47531:
	s_getpc_b64 s[14:15]
.Lpost_getpc27349:
	s_add_u32 s14, s14, (.LBB2_26028-.Lpost_getpc27349)&4294967295
	s_addc_u32 s15, s15, (.LBB2_26028-.Lpost_getpc27349)>>32
	s_setpc_b64 s[14:15]
.LBB2_11690:
	s_or_b64 exec, exec, s[6:7]
	s_and_saveexec_b64 s[6:7], s[4:5]
	s_cbranch_execz .LBB2_11692
.LBB2_11691:
	v_bfe_u32 v2, v7, 8, 3
	v_ffbh_u32_e32 v13, v2
	v_min_u32_e32 v13, 32, v13
	v_lshrrev_b16_e32 v12, 3, v6
	v_subrev_u32_e32 v14, 28, v13
	v_and_b32_e32 v12, 15, v12
	v_lshlrev_b32_e32 v6, v14, v6
	v_sub_u32_e32 v13, 29, v13
	v_and_b32_e32 v6, 7, v6
	v_cmp_eq_u16_e32 vcc, 0, v12
	v_cndmask_b32_e32 v2, v2, v6, vcc
	v_cndmask_b32_e32 v6, v12, v13, vcc
	v_lshlrev_b32_e32 v12, 16, v7
	v_mov_b32_e32 v13, 0x3b800000
	v_lshlrev_b32_e32 v2, 20, v2
	v_and_b32_e32 v12, 0x80000000, v12
	v_lshl_add_u32 v6, v6, 23, v13
	v_or3_b32 v2, v12, v6, v2
.LBB2_11692:
	s_or_b64 exec, exec, s[6:7]
	v_lshrrev_b32_e32 v6, 8, v3
	s_movk_i32 s4, 0x7f
	v_cmp_gt_i16_sdwa s[6:7], v6, s4 src0_sel:BYTE_0 src1_sel:DWORD
	s_mov_b64 s[4:5], 0
                                        ; implicit-def: $sgpr10
	s_and_saveexec_b64 s[8:9], s[6:7]
	s_xor_b64 s[6:7], exec, s[8:9]
	s_cbranch_execz .LBB2_11693
; %bb.47533:
	s_getpc_b64 s[14:15]
.Lpost_getpc27350:
	s_add_u32 s14, s14, (.LBB2_26029-.Lpost_getpc27350)&4294967295
	s_addc_u32 s15, s15, (.LBB2_26029-.Lpost_getpc27350)>>32
	s_setpc_b64 s[14:15]
.LBB2_11693:
	s_or_saveexec_b64 s[6:7], s[6:7]
	v_mov_b32_e32 v12, s10
	s_xor_b64 exec, exec, s[6:7]
	s_cbranch_execz .LBB2_11694
; %bb.47535:
	s_getpc_b64 s[14:15]
.Lpost_getpc27351:
	s_add_u32 s14, s14, (.LBB2_26032-.Lpost_getpc27351)&4294967295
	s_addc_u32 s15, s15, (.LBB2_26032-.Lpost_getpc27351)>>32
	s_setpc_b64 s[14:15]
.LBB2_11694:
	s_or_b64 exec, exec, s[6:7]
	s_and_saveexec_b64 s[6:7], s[4:5]
	s_cbranch_execz .LBB2_11696
.LBB2_11695:
	v_bfe_u32 v12, v3, 8, 3
	v_ffbh_u32_e32 v14, v12
	v_min_u32_e32 v14, 32, v14
	v_lshrrev_b16_e32 v13, 3, v6
	v_subrev_u32_e32 v15, 28, v14
	v_and_b32_e32 v13, 15, v13
	v_lshlrev_b32_e32 v6, v15, v6
	v_sub_u32_e32 v14, 29, v14
	v_and_b32_e32 v6, 7, v6
	v_cmp_eq_u16_e32 vcc, 0, v13
	v_cndmask_b32_e32 v6, v12, v6, vcc
	v_cndmask_b32_e32 v12, v13, v14, vcc
	v_lshlrev_b32_e32 v13, 16, v3
	v_mov_b32_e32 v14, 0x3b800000
	v_lshlrev_b32_e32 v6, 20, v6
	v_and_b32_e32 v13, 0x80000000, v13
	v_lshl_add_u32 v12, v12, 23, v14
	v_or3_b32 v12, v13, v12, v6
.LBB2_11696:
	s_or_b64 exec, exec, s[6:7]
	s_nop 0
	v_mfma_f32_16x16x4f32 a[0:3], v2, v12, a[0:3]
	s_movk_i32 s4, 0xff
	v_and_b32_sdwa v6, v7, s4 dst_sel:DWORD dst_unused:UNUSED_PAD src0_sel:WORD_1 src1_sel:DWORD
	s_movk_i32 s4, 0x7f
	v_cmp_lt_i16_e32 vcc, s4, v6
	s_mov_b64 s[4:5], 0
                                        ; implicit-def: $sgpr10
	s_and_saveexec_b64 s[6:7], vcc
	s_xor_b64 s[6:7], exec, s[6:7]
	s_cbranch_execz .LBB2_11697
; %bb.47537:
	s_getpc_b64 s[14:15]
.Lpost_getpc27352:
	s_add_u32 s14, s14, (.LBB2_26033-.Lpost_getpc27352)&4294967295
	s_addc_u32 s15, s15, (.LBB2_26033-.Lpost_getpc27352)>>32
	s_setpc_b64 s[14:15]
.LBB2_11697:
	s_or_saveexec_b64 s[6:7], s[6:7]
	v_mov_b32_e32 v2, s10
	s_xor_b64 exec, exec, s[6:7]
	s_cbranch_execz .LBB2_11698
; %bb.47539:
	s_getpc_b64 s[14:15]
.Lpost_getpc27353:
	s_add_u32 s14, s14, (.LBB2_26036-.Lpost_getpc27353)&4294967295
	s_addc_u32 s15, s15, (.LBB2_26036-.Lpost_getpc27353)>>32
	s_setpc_b64 s[14:15]
.LBB2_11698:
	s_or_b64 exec, exec, s[6:7]
	s_and_saveexec_b64 s[6:7], s[4:5]
	s_cbranch_execz .LBB2_11700
.LBB2_11699:
	v_bfe_u32 v2, v7, 16, 3
	v_ffbh_u32_e32 v13, v2
	v_min_u32_e32 v13, 32, v13
	v_lshrrev_b32_e32 v6, 19, v7
	v_subrev_u32_e32 v14, 28, v13
	v_and_b32_e32 v6, 15, v6
	v_lshlrev_b32_sdwa v14, v14, v7 dst_sel:DWORD dst_unused:UNUSED_PAD src0_sel:DWORD src1_sel:WORD_1
	v_bfe_u32 v12, v7, 19, 4
	v_sub_u32_e32 v13, 29, v13
	v_and_b32_e32 v14, 7, v14
	v_cmp_eq_u16_e32 vcc, 0, v6
	v_cndmask_b32_e32 v2, v2, v14, vcc
	v_cndmask_b32_e32 v6, v12, v13, vcc
	v_lshlrev_b32_e32 v12, 8, v7
	v_mov_b32_e32 v13, 0x3b800000
	v_lshlrev_b32_e32 v2, 20, v2
	v_and_b32_e32 v12, 0x80000000, v12
	v_lshl_add_u32 v6, v6, 23, v13
	v_or3_b32 v2, v12, v6, v2
.LBB2_11700:
	s_or_b64 exec, exec, s[6:7]
	s_movk_i32 s4, 0xff
	v_and_b32_sdwa v6, v3, s4 dst_sel:DWORD dst_unused:UNUSED_PAD src0_sel:WORD_1 src1_sel:DWORD
	s_movk_i32 s4, 0x7f
	v_cmp_lt_i16_e32 vcc, s4, v6
	s_mov_b64 s[4:5], 0
                                        ; implicit-def: $sgpr10
	s_and_saveexec_b64 s[6:7], vcc
	s_xor_b64 s[6:7], exec, s[6:7]
	s_cbranch_execz .LBB2_11701
; %bb.47541:
	s_getpc_b64 s[14:15]
.Lpost_getpc27354:
	s_add_u32 s14, s14, (.LBB2_26037-.Lpost_getpc27354)&4294967295
	s_addc_u32 s15, s15, (.LBB2_26037-.Lpost_getpc27354)>>32
	s_setpc_b64 s[14:15]
.LBB2_11701:
	s_or_saveexec_b64 s[6:7], s[6:7]
	v_mov_b32_e32 v12, s10
	s_xor_b64 exec, exec, s[6:7]
	s_cbranch_execz .LBB2_11702
; %bb.47543:
	s_getpc_b64 s[14:15]
.Lpost_getpc27355:
	s_add_u32 s14, s14, (.LBB2_26040-.Lpost_getpc27355)&4294967295
	s_addc_u32 s15, s15, (.LBB2_26040-.Lpost_getpc27355)>>32
	s_setpc_b64 s[14:15]
.LBB2_11702:
	s_or_b64 exec, exec, s[6:7]
	s_and_saveexec_b64 s[6:7], s[4:5]
	s_cbranch_execz .LBB2_11704
.LBB2_11703:
	v_bfe_u32 v6, v3, 16, 3
	v_ffbh_u32_e32 v14, v6
	v_min_u32_e32 v14, 32, v14
	v_lshrrev_b32_e32 v12, 19, v3
	v_subrev_u32_e32 v15, 28, v14
	v_and_b32_e32 v12, 15, v12
	v_lshlrev_b32_sdwa v15, v15, v3 dst_sel:DWORD dst_unused:UNUSED_PAD src0_sel:DWORD src1_sel:WORD_1
	v_bfe_u32 v13, v3, 19, 4
	v_sub_u32_e32 v14, 29, v14
	v_and_b32_e32 v15, 7, v15
	v_cmp_eq_u16_e32 vcc, 0, v12
	v_cndmask_b32_e32 v6, v6, v15, vcc
	v_cndmask_b32_e32 v12, v13, v14, vcc
	v_lshlrev_b32_e32 v13, 8, v3
	v_mov_b32_e32 v14, 0x3b800000
	v_lshlrev_b32_e32 v6, 20, v6
	v_and_b32_e32 v13, 0x80000000, v13
	v_lshl_add_u32 v12, v12, 23, v14
	v_or3_b32 v12, v13, v12, v6
.LBB2_11704:
	s_or_b64 exec, exec, s[6:7]
	s_nop 0
	v_mfma_f32_16x16x4f32 a[0:3], v2, v12, a[0:3]
	s_movk_i32 s4, 0x7f
	v_cmp_gt_i16_sdwa s[6:7], v7, s4 src0_sel:BYTE_3 src1_sel:DWORD
	s_mov_b64 s[4:5], 0
                                        ; implicit-def: $sgpr10
	s_and_saveexec_b64 s[8:9], s[6:7]
	s_xor_b64 s[6:7], exec, s[8:9]
	s_cbranch_execz .LBB2_11705
; %bb.47545:
	s_getpc_b64 s[14:15]
.Lpost_getpc27356:
	s_add_u32 s14, s14, (.LBB2_26041-.Lpost_getpc27356)&4294967295
	s_addc_u32 s15, s15, (.LBB2_26041-.Lpost_getpc27356)>>32
	s_setpc_b64 s[14:15]
.LBB2_11705:
	s_or_saveexec_b64 s[6:7], s[6:7]
	v_mov_b32_e32 v2, s10
	s_xor_b64 exec, exec, s[6:7]
	s_cbranch_execz .LBB2_11706
; %bb.47547:
	s_getpc_b64 s[14:15]
.Lpost_getpc27357:
	s_add_u32 s14, s14, (.LBB2_26044-.Lpost_getpc27357)&4294967295
	s_addc_u32 s15, s15, (.LBB2_26044-.Lpost_getpc27357)>>32
	s_setpc_b64 s[14:15]
.LBB2_11706:
	s_or_b64 exec, exec, s[6:7]
	s_and_saveexec_b64 s[6:7], s[4:5]
	s_cbranch_execz .LBB2_11708
.LBB2_11707:
	v_bfe_u32 v2, v7, 24, 3
	v_ffbh_u32_e32 v14, v2
	v_min_u32_e32 v14, 32, v14
	v_lshrrev_b32_e32 v12, 27, v7
	v_subrev_u32_e32 v15, 28, v14
	v_and_b32_e32 v6, 0x80000000, v7
	v_and_b32_e32 v12, 15, v12
	v_bfe_u32 v13, v7, 27, 4
	v_lshlrev_b32_sdwa v7, v15, v7 dst_sel:DWORD dst_unused:UNUSED_PAD src0_sel:DWORD src1_sel:BYTE_3
	v_sub_u32_e32 v14, 29, v14
	v_and_b32_e32 v7, 7, v7
	v_cmp_eq_u16_e32 vcc, 0, v12
	v_cndmask_b32_e32 v2, v2, v7, vcc
	v_cndmask_b32_e32 v7, v13, v14, vcc
	v_mov_b32_e32 v12, 0x3b800000
	v_lshlrev_b32_e32 v2, 20, v2
	v_lshl_add_u32 v7, v7, 23, v12
	v_or3_b32 v2, v6, v7, v2
.LBB2_11708:
	s_or_b64 exec, exec, s[6:7]
	s_movk_i32 s4, 0x7f
	v_cmp_gt_i16_sdwa s[6:7], v3, s4 src0_sel:BYTE_3 src1_sel:DWORD
	s_mov_b64 s[4:5], 0
                                        ; implicit-def: $sgpr10
	s_and_saveexec_b64 s[8:9], s[6:7]
	s_xor_b64 s[6:7], exec, s[8:9]
	s_cbranch_execz .LBB2_11709
; %bb.47549:
	s_getpc_b64 s[14:15]
.Lpost_getpc27358:
	s_add_u32 s14, s14, (.LBB2_26045-.Lpost_getpc27358)&4294967295
	s_addc_u32 s15, s15, (.LBB2_26045-.Lpost_getpc27358)>>32
	s_setpc_b64 s[14:15]
.LBB2_11709:
	s_or_saveexec_b64 s[6:7], s[6:7]
	v_mov_b32_e32 v6, s10
	s_xor_b64 exec, exec, s[6:7]
	s_cbranch_execz .LBB2_11710
; %bb.47551:
	s_getpc_b64 s[14:15]
.Lpost_getpc27359:
	s_add_u32 s14, s14, (.LBB2_26048-.Lpost_getpc27359)&4294967295
	s_addc_u32 s15, s15, (.LBB2_26048-.Lpost_getpc27359)>>32
	s_setpc_b64 s[14:15]
.LBB2_11710:
	s_or_b64 exec, exec, s[6:7]
	s_and_saveexec_b64 s[6:7], s[4:5]
	s_cbranch_execz .LBB2_11712
.LBB2_11711:
	v_bfe_u32 v6, v3, 24, 3
	v_ffbh_u32_e32 v14, v6
	v_min_u32_e32 v14, 32, v14
	v_lshrrev_b32_e32 v12, 27, v3
	v_subrev_u32_e32 v15, 28, v14
	v_and_b32_e32 v7, 0x80000000, v3
	v_and_b32_e32 v12, 15, v12
	v_bfe_u32 v13, v3, 27, 4
	v_lshlrev_b32_sdwa v3, v15, v3 dst_sel:DWORD dst_unused:UNUSED_PAD src0_sel:DWORD src1_sel:BYTE_3
	v_sub_u32_e32 v14, 29, v14
	v_and_b32_e32 v3, 7, v3
	v_cmp_eq_u16_e32 vcc, 0, v12
	v_cndmask_b32_e32 v3, v6, v3, vcc
	v_cndmask_b32_e32 v6, v13, v14, vcc
	v_mov_b32_e32 v12, 0x3b800000
	v_lshlrev_b32_e32 v3, 20, v3
	v_lshl_add_u32 v6, v6, 23, v12
	v_or3_b32 v6, v7, v6, v3
.LBB2_11712:
	s_or_b64 exec, exec, s[6:7]
	s_nop 0
	v_mfma_f32_16x16x4f32 a[0:3], v2, v6, a[0:3]
	s_movk_i32 s4, 0x7f
	v_cmp_gt_i16_sdwa s[6:7], v8, s4 src0_sel:BYTE_0 src1_sel:DWORD
	s_mov_b64 s[4:5], 0
                                        ; implicit-def: $sgpr10
	s_and_saveexec_b64 s[8:9], s[6:7]
	s_xor_b64 s[6:7], exec, s[8:9]
	s_cbranch_execz .LBB2_11713
; %bb.47553:
	s_getpc_b64 s[14:15]
.Lpost_getpc27360:
	s_add_u32 s14, s14, (.LBB2_26049-.Lpost_getpc27360)&4294967295
	s_addc_u32 s15, s15, (.LBB2_26049-.Lpost_getpc27360)>>32
	s_setpc_b64 s[14:15]
.LBB2_11713:
	s_or_saveexec_b64 s[6:7], s[6:7]
	v_mov_b32_e32 v2, s10
	s_xor_b64 exec, exec, s[6:7]
	s_cbranch_execz .LBB2_11714
; %bb.47555:
	s_getpc_b64 s[14:15]
.Lpost_getpc27361:
	s_add_u32 s14, s14, (.LBB2_26052-.Lpost_getpc27361)&4294967295
	s_addc_u32 s15, s15, (.LBB2_26052-.Lpost_getpc27361)>>32
	s_setpc_b64 s[14:15]
.LBB2_11714:
	s_or_b64 exec, exec, s[6:7]
	s_and_saveexec_b64 s[6:7], s[4:5]
	s_cbranch_execz .LBB2_11716
.LBB2_11715:
	v_and_b32_e32 v2, 7, v8
	v_ffbh_u32_e32 v6, v2
	v_min_u32_e32 v6, 32, v6
	v_lshrrev_b16_e32 v3, 3, v8
	v_subrev_u32_e32 v7, 28, v6
	v_and_b32_e32 v3, 15, v3
	v_lshlrev_b32_e32 v7, v7, v8
	v_sub_u32_e32 v6, 29, v6
	v_and_b32_e32 v7, 7, v7
	v_cmp_eq_u16_e32 vcc, 0, v3
	v_cndmask_b32_e32 v2, v2, v7, vcc
	v_cndmask_b32_e32 v3, v3, v6, vcc
	v_lshlrev_b32_e32 v6, 24, v8
	v_mov_b32_e32 v7, 0x3b800000
	v_lshlrev_b32_e32 v2, 20, v2
	v_and_b32_e32 v6, 0x80000000, v6
	v_lshl_add_u32 v3, v3, 23, v7
	v_or3_b32 v2, v6, v3, v2
.LBB2_11716:
	s_or_b64 exec, exec, s[6:7]
	s_movk_i32 s4, 0x7f
	v_cmp_gt_i16_sdwa s[6:7], v4, s4 src0_sel:BYTE_0 src1_sel:DWORD
	s_mov_b64 s[4:5], 0
                                        ; implicit-def: $sgpr10
	s_and_saveexec_b64 s[8:9], s[6:7]
	s_xor_b64 s[6:7], exec, s[8:9]
	s_cbranch_execz .LBB2_11717
; %bb.47557:
	s_getpc_b64 s[14:15]
.Lpost_getpc27362:
	s_add_u32 s14, s14, (.LBB2_26053-.Lpost_getpc27362)&4294967295
	s_addc_u32 s15, s15, (.LBB2_26053-.Lpost_getpc27362)>>32
	s_setpc_b64 s[14:15]
.LBB2_11717:
	s_or_saveexec_b64 s[6:7], s[6:7]
	v_mov_b32_e32 v3, s10
	s_xor_b64 exec, exec, s[6:7]
	s_cbranch_execz .LBB2_11718
; %bb.47559:
	s_getpc_b64 s[14:15]
.Lpost_getpc27363:
	s_add_u32 s14, s14, (.LBB2_26056-.Lpost_getpc27363)&4294967295
	s_addc_u32 s15, s15, (.LBB2_26056-.Lpost_getpc27363)>>32
	s_setpc_b64 s[14:15]
.LBB2_11718:
	s_or_b64 exec, exec, s[6:7]
	s_and_saveexec_b64 s[6:7], s[4:5]
	s_cbranch_execz .LBB2_11720
.LBB2_11719:
	v_and_b32_e32 v3, 7, v4
	v_ffbh_u32_e32 v7, v3
	v_min_u32_e32 v7, 32, v7
	v_lshrrev_b16_e32 v6, 3, v4
	v_subrev_u32_e32 v12, 28, v7
	v_and_b32_e32 v6, 15, v6
	v_lshlrev_b32_e32 v12, v12, v4
	v_sub_u32_e32 v7, 29, v7
	v_and_b32_e32 v12, 7, v12
	v_cmp_eq_u16_e32 vcc, 0, v6
	v_cndmask_b32_e32 v3, v3, v12, vcc
	v_cndmask_b32_e32 v6, v6, v7, vcc
	v_lshlrev_b32_e32 v7, 24, v4
	v_mov_b32_e32 v12, 0x3b800000
	v_lshlrev_b32_e32 v3, 20, v3
	v_and_b32_e32 v7, 0x80000000, v7
	v_lshl_add_u32 v6, v6, 23, v12
	v_or3_b32 v3, v7, v6, v3
.LBB2_11720:
	s_or_b64 exec, exec, s[6:7]
	s_nop 0
	v_mfma_f32_16x16x4f32 a[0:3], v2, v3, a[0:3]
	v_lshrrev_b32_e32 v3, 8, v8
	s_movk_i32 s4, 0x7f
	v_cmp_gt_i16_sdwa s[6:7], v3, s4 src0_sel:BYTE_0 src1_sel:DWORD
	s_mov_b64 s[4:5], 0
                                        ; implicit-def: $sgpr10
	s_and_saveexec_b64 s[8:9], s[6:7]
	s_xor_b64 s[6:7], exec, s[8:9]
	s_cbranch_execz .LBB2_11721
; %bb.47561:
	s_getpc_b64 s[14:15]
.Lpost_getpc27364:
	s_add_u32 s14, s14, (.LBB2_26057-.Lpost_getpc27364)&4294967295
	s_addc_u32 s15, s15, (.LBB2_26057-.Lpost_getpc27364)>>32
	s_setpc_b64 s[14:15]
.LBB2_11721:
	s_or_saveexec_b64 s[6:7], s[6:7]
	v_mov_b32_e32 v2, s10
	s_xor_b64 exec, exec, s[6:7]
	s_cbranch_execz .LBB2_11722
; %bb.47563:
	s_getpc_b64 s[14:15]
.Lpost_getpc27365:
	s_add_u32 s14, s14, (.LBB2_26060-.Lpost_getpc27365)&4294967295
	s_addc_u32 s15, s15, (.LBB2_26060-.Lpost_getpc27365)>>32
	s_setpc_b64 s[14:15]
.LBB2_11722:
	s_or_b64 exec, exec, s[6:7]
	s_and_saveexec_b64 s[6:7], s[4:5]
	s_cbranch_execz .LBB2_11724
.LBB2_11723:
	v_bfe_u32 v2, v8, 8, 3
	v_ffbh_u32_e32 v7, v2
	v_min_u32_e32 v7, 32, v7
	v_lshrrev_b16_e32 v6, 3, v3
	v_subrev_u32_e32 v12, 28, v7
	v_and_b32_e32 v6, 15, v6
	v_lshlrev_b32_e32 v3, v12, v3
	v_sub_u32_e32 v7, 29, v7
	v_and_b32_e32 v3, 7, v3
	v_cmp_eq_u16_e32 vcc, 0, v6
	v_cndmask_b32_e32 v2, v2, v3, vcc
	v_cndmask_b32_e32 v3, v6, v7, vcc
	v_lshlrev_b32_e32 v6, 16, v8
	v_mov_b32_e32 v7, 0x3b800000
	v_lshlrev_b32_e32 v2, 20, v2
	v_and_b32_e32 v6, 0x80000000, v6
	v_lshl_add_u32 v3, v3, 23, v7
	v_or3_b32 v2, v6, v3, v2
.LBB2_11724:
	s_or_b64 exec, exec, s[6:7]
	v_lshrrev_b32_e32 v3, 8, v4
	s_movk_i32 s4, 0x7f
	v_cmp_gt_i16_sdwa s[6:7], v3, s4 src0_sel:BYTE_0 src1_sel:DWORD
	s_mov_b64 s[4:5], 0
                                        ; implicit-def: $sgpr10
	s_and_saveexec_b64 s[8:9], s[6:7]
	s_xor_b64 s[6:7], exec, s[8:9]
	s_cbranch_execz .LBB2_11725
; %bb.47565:
	s_getpc_b64 s[14:15]
.Lpost_getpc27366:
	s_add_u32 s14, s14, (.LBB2_26061-.Lpost_getpc27366)&4294967295
	s_addc_u32 s15, s15, (.LBB2_26061-.Lpost_getpc27366)>>32
	s_setpc_b64 s[14:15]
.LBB2_11725:
	s_or_saveexec_b64 s[6:7], s[6:7]
	v_mov_b32_e32 v6, s10
	s_xor_b64 exec, exec, s[6:7]
	s_cbranch_execz .LBB2_11726
; %bb.47567:
	s_getpc_b64 s[14:15]
.Lpost_getpc27367:
	s_add_u32 s14, s14, (.LBB2_26064-.Lpost_getpc27367)&4294967295
	s_addc_u32 s15, s15, (.LBB2_26064-.Lpost_getpc27367)>>32
	s_setpc_b64 s[14:15]
.LBB2_11726:
	s_or_b64 exec, exec, s[6:7]
	s_and_saveexec_b64 s[6:7], s[4:5]
	s_cbranch_execz .LBB2_11728
.LBB2_11727:
	v_bfe_u32 v6, v4, 8, 3
	v_ffbh_u32_e32 v12, v6
	v_min_u32_e32 v12, 32, v12
	v_lshrrev_b16_e32 v7, 3, v3
	v_subrev_u32_e32 v13, 28, v12
	v_and_b32_e32 v7, 15, v7
	v_lshlrev_b32_e32 v3, v13, v3
	v_sub_u32_e32 v12, 29, v12
	v_and_b32_e32 v3, 7, v3
	v_cmp_eq_u16_e32 vcc, 0, v7
	v_cndmask_b32_e32 v3, v6, v3, vcc
	v_cndmask_b32_e32 v6, v7, v12, vcc
	v_lshlrev_b32_e32 v7, 16, v4
	v_mov_b32_e32 v12, 0x3b800000
	v_lshlrev_b32_e32 v3, 20, v3
	v_and_b32_e32 v7, 0x80000000, v7
	v_lshl_add_u32 v6, v6, 23, v12
	v_or3_b32 v6, v7, v6, v3
.LBB2_11728:
	s_or_b64 exec, exec, s[6:7]
	s_nop 0
	v_mfma_f32_16x16x4f32 a[0:3], v2, v6, a[0:3]
	s_movk_i32 s4, 0xff
	v_and_b32_sdwa v3, v8, s4 dst_sel:DWORD dst_unused:UNUSED_PAD src0_sel:WORD_1 src1_sel:DWORD
	s_movk_i32 s4, 0x7f
	v_cmp_lt_i16_e32 vcc, s4, v3
	s_mov_b64 s[4:5], 0
                                        ; implicit-def: $sgpr10
	s_and_saveexec_b64 s[6:7], vcc
	s_xor_b64 s[6:7], exec, s[6:7]
	s_cbranch_execz .LBB2_11729
; %bb.47569:
	s_getpc_b64 s[14:15]
.Lpost_getpc27368:
	s_add_u32 s14, s14, (.LBB2_26065-.Lpost_getpc27368)&4294967295
	s_addc_u32 s15, s15, (.LBB2_26065-.Lpost_getpc27368)>>32
	s_setpc_b64 s[14:15]
.LBB2_11729:
	s_or_saveexec_b64 s[6:7], s[6:7]
	v_mov_b32_e32 v2, s10
	s_xor_b64 exec, exec, s[6:7]
	s_cbranch_execz .LBB2_11730
; %bb.47571:
	s_getpc_b64 s[14:15]
.Lpost_getpc27369:
	s_add_u32 s14, s14, (.LBB2_26068-.Lpost_getpc27369)&4294967295
	s_addc_u32 s15, s15, (.LBB2_26068-.Lpost_getpc27369)>>32
	s_setpc_b64 s[14:15]
.LBB2_11730:
	s_or_b64 exec, exec, s[6:7]
	s_and_saveexec_b64 s[6:7], s[4:5]
	s_cbranch_execz .LBB2_11732
.LBB2_11731:
	v_bfe_u32 v2, v8, 16, 3
	v_ffbh_u32_e32 v7, v2
	v_min_u32_e32 v7, 32, v7
	v_lshrrev_b32_e32 v3, 19, v8
	v_subrev_u32_e32 v12, 28, v7
	v_and_b32_e32 v3, 15, v3
	v_lshlrev_b32_sdwa v12, v12, v8 dst_sel:DWORD dst_unused:UNUSED_PAD src0_sel:DWORD src1_sel:WORD_1
	v_bfe_u32 v6, v8, 19, 4
	v_sub_u32_e32 v7, 29, v7
	v_and_b32_e32 v12, 7, v12
	v_cmp_eq_u16_e32 vcc, 0, v3
	v_cndmask_b32_e32 v2, v2, v12, vcc
	v_cndmask_b32_e32 v3, v6, v7, vcc
	v_lshlrev_b32_e32 v6, 8, v8
	v_mov_b32_e32 v7, 0x3b800000
	v_lshlrev_b32_e32 v2, 20, v2
	v_and_b32_e32 v6, 0x80000000, v6
	v_lshl_add_u32 v3, v3, 23, v7
	v_or3_b32 v2, v6, v3, v2
.LBB2_11732:
	s_or_b64 exec, exec, s[6:7]
	s_movk_i32 s4, 0xff
	v_and_b32_sdwa v3, v4, s4 dst_sel:DWORD dst_unused:UNUSED_PAD src0_sel:WORD_1 src1_sel:DWORD
	s_movk_i32 s4, 0x7f
	v_cmp_lt_i16_e32 vcc, s4, v3
	s_mov_b64 s[4:5], 0
                                        ; implicit-def: $sgpr10
	s_and_saveexec_b64 s[6:7], vcc
	s_xor_b64 s[6:7], exec, s[6:7]
	s_cbranch_execz .LBB2_11733
; %bb.47573:
	s_getpc_b64 s[14:15]
.Lpost_getpc27370:
	s_add_u32 s14, s14, (.LBB2_26069-.Lpost_getpc27370)&4294967295
	s_addc_u32 s15, s15, (.LBB2_26069-.Lpost_getpc27370)>>32
	s_setpc_b64 s[14:15]
.LBB2_11733:
	s_or_saveexec_b64 s[6:7], s[6:7]
	v_mov_b32_e32 v6, s10
	s_xor_b64 exec, exec, s[6:7]
	s_cbranch_execz .LBB2_11734
; %bb.47575:
	s_getpc_b64 s[14:15]
.Lpost_getpc27371:
	s_add_u32 s14, s14, (.LBB2_26072-.Lpost_getpc27371)&4294967295
	s_addc_u32 s15, s15, (.LBB2_26072-.Lpost_getpc27371)>>32
	s_setpc_b64 s[14:15]
.LBB2_11734:
	s_or_b64 exec, exec, s[6:7]
	s_and_saveexec_b64 s[6:7], s[4:5]
	s_cbranch_execz .LBB2_11736
.LBB2_11735:
	v_bfe_u32 v3, v4, 16, 3
	v_ffbh_u32_e32 v12, v3
	v_min_u32_e32 v12, 32, v12
	v_lshrrev_b32_e32 v6, 19, v4
	v_subrev_u32_e32 v13, 28, v12
	v_and_b32_e32 v6, 15, v6
	v_lshlrev_b32_sdwa v13, v13, v4 dst_sel:DWORD dst_unused:UNUSED_PAD src0_sel:DWORD src1_sel:WORD_1
	v_bfe_u32 v7, v4, 19, 4
	v_sub_u32_e32 v12, 29, v12
	v_and_b32_e32 v13, 7, v13
	v_cmp_eq_u16_e32 vcc, 0, v6
	v_cndmask_b32_e32 v3, v3, v13, vcc
	v_cndmask_b32_e32 v6, v7, v12, vcc
	v_lshlrev_b32_e32 v7, 8, v4
	v_mov_b32_e32 v12, 0x3b800000
	v_lshlrev_b32_e32 v3, 20, v3
	v_and_b32_e32 v7, 0x80000000, v7
	v_lshl_add_u32 v6, v6, 23, v12
	v_or3_b32 v6, v7, v6, v3
.LBB2_11736:
	s_or_b64 exec, exec, s[6:7]
	s_nop 0
	v_mfma_f32_16x16x4f32 a[0:3], v2, v6, a[0:3]
	s_movk_i32 s4, 0x7f
	v_cmp_gt_i16_sdwa s[6:7], v8, s4 src0_sel:BYTE_3 src1_sel:DWORD
	s_mov_b64 s[4:5], 0
                                        ; implicit-def: $sgpr10
	s_and_saveexec_b64 s[8:9], s[6:7]
	s_xor_b64 s[6:7], exec, s[8:9]
	s_cbranch_execz .LBB2_11737
; %bb.47577:
	s_getpc_b64 s[14:15]
.Lpost_getpc27372:
	s_add_u32 s14, s14, (.LBB2_26073-.Lpost_getpc27372)&4294967295
	s_addc_u32 s15, s15, (.LBB2_26073-.Lpost_getpc27372)>>32
	s_setpc_b64 s[14:15]
.LBB2_11737:
	s_or_saveexec_b64 s[6:7], s[6:7]
	v_mov_b32_e32 v2, s10
	s_xor_b64 exec, exec, s[6:7]
	s_cbranch_execz .LBB2_11738
; %bb.47579:
	s_getpc_b64 s[14:15]
.Lpost_getpc27373:
	s_add_u32 s14, s14, (.LBB2_26076-.Lpost_getpc27373)&4294967295
	s_addc_u32 s15, s15, (.LBB2_26076-.Lpost_getpc27373)>>32
	s_setpc_b64 s[14:15]
.LBB2_11738:
	s_or_b64 exec, exec, s[6:7]
	s_and_saveexec_b64 s[6:7], s[4:5]
	s_cbranch_execz .LBB2_11740
.LBB2_11739:
	v_bfe_u32 v2, v8, 24, 3
	v_ffbh_u32_e32 v12, v2
	v_min_u32_e32 v12, 32, v12
	v_lshrrev_b32_e32 v6, 27, v8
	v_subrev_u32_e32 v13, 28, v12
	v_and_b32_e32 v3, 0x80000000, v8
	v_and_b32_e32 v6, 15, v6
	v_bfe_u32 v7, v8, 27, 4
	v_lshlrev_b32_sdwa v8, v13, v8 dst_sel:DWORD dst_unused:UNUSED_PAD src0_sel:DWORD src1_sel:BYTE_3
	v_sub_u32_e32 v12, 29, v12
	v_and_b32_e32 v8, 7, v8
	v_cmp_eq_u16_e32 vcc, 0, v6
	v_cndmask_b32_e32 v2, v2, v8, vcc
	v_cndmask_b32_e32 v6, v7, v12, vcc
	v_mov_b32_e32 v7, 0x3b800000
	v_lshlrev_b32_e32 v2, 20, v2
	v_lshl_add_u32 v6, v6, 23, v7
	v_or3_b32 v2, v3, v6, v2
.LBB2_11740:
	s_or_b64 exec, exec, s[6:7]
	s_movk_i32 s4, 0x7f
	v_cmp_gt_i16_sdwa s[6:7], v4, s4 src0_sel:BYTE_3 src1_sel:DWORD
	s_mov_b64 s[4:5], 0
                                        ; implicit-def: $sgpr10
	s_and_saveexec_b64 s[8:9], s[6:7]
	s_xor_b64 s[6:7], exec, s[8:9]
	s_cbranch_execz .LBB2_11741
; %bb.47581:
	s_getpc_b64 s[14:15]
.Lpost_getpc27374:
	s_add_u32 s14, s14, (.LBB2_26077-.Lpost_getpc27374)&4294967295
	s_addc_u32 s15, s15, (.LBB2_26077-.Lpost_getpc27374)>>32
	s_setpc_b64 s[14:15]
.LBB2_11741:
	s_or_saveexec_b64 s[6:7], s[6:7]
	v_mov_b32_e32 v3, s10
	s_xor_b64 exec, exec, s[6:7]
	s_cbranch_execz .LBB2_11742
; %bb.47583:
	s_getpc_b64 s[14:15]
.Lpost_getpc27375:
	s_add_u32 s14, s14, (.LBB2_26080-.Lpost_getpc27375)&4294967295
	s_addc_u32 s15, s15, (.LBB2_26080-.Lpost_getpc27375)>>32
	s_setpc_b64 s[14:15]
.LBB2_11742:
	s_or_b64 exec, exec, s[6:7]
	s_and_saveexec_b64 s[6:7], s[4:5]
	s_cbranch_execz .LBB2_11744
.LBB2_11743:
	v_bfe_u32 v3, v4, 24, 3
	v_ffbh_u32_e32 v12, v3
	v_min_u32_e32 v12, 32, v12
	v_lshrrev_b32_e32 v7, 27, v4
	v_subrev_u32_e32 v13, 28, v12
	v_and_b32_e32 v6, 0x80000000, v4
	v_and_b32_e32 v7, 15, v7
	v_bfe_u32 v8, v4, 27, 4
	v_lshlrev_b32_sdwa v4, v13, v4 dst_sel:DWORD dst_unused:UNUSED_PAD src0_sel:DWORD src1_sel:BYTE_3
	v_sub_u32_e32 v12, 29, v12
	v_and_b32_e32 v4, 7, v4
	v_cmp_eq_u16_e32 vcc, 0, v7
	v_cndmask_b32_e32 v3, v3, v4, vcc
	v_cndmask_b32_e32 v4, v8, v12, vcc
	v_mov_b32_e32 v7, 0x3b800000
	v_lshlrev_b32_e32 v3, 20, v3
	v_lshl_add_u32 v4, v4, 23, v7
	v_or3_b32 v3, v6, v4, v3
.LBB2_11744:
	s_or_b64 exec, exec, s[6:7]
	s_nop 0
	v_mfma_f32_16x16x4f32 a[0:3], v2, v3, a[0:3]
	s_movk_i32 s4, 0x7f
	v_cmp_gt_i16_sdwa s[6:7], v9, s4 src0_sel:BYTE_0 src1_sel:DWORD
	s_mov_b64 s[4:5], 0
                                        ; implicit-def: $sgpr10
	s_and_saveexec_b64 s[8:9], s[6:7]
	s_xor_b64 s[6:7], exec, s[8:9]
	s_cbranch_execz .LBB2_11745
; %bb.47585:
	s_getpc_b64 s[14:15]
.Lpost_getpc27376:
	s_add_u32 s14, s14, (.LBB2_26081-.Lpost_getpc27376)&4294967295
	s_addc_u32 s15, s15, (.LBB2_26081-.Lpost_getpc27376)>>32
	s_setpc_b64 s[14:15]
.LBB2_11745:
	s_or_saveexec_b64 s[6:7], s[6:7]
	v_mov_b32_e32 v2, s10
	s_xor_b64 exec, exec, s[6:7]
	s_cbranch_execz .LBB2_11746
; %bb.47587:
	s_getpc_b64 s[14:15]
.Lpost_getpc27377:
	s_add_u32 s14, s14, (.LBB2_26084-.Lpost_getpc27377)&4294967295
	s_addc_u32 s15, s15, (.LBB2_26084-.Lpost_getpc27377)>>32
	s_setpc_b64 s[14:15]
.LBB2_11746:
	s_or_b64 exec, exec, s[6:7]
	s_and_saveexec_b64 s[6:7], s[4:5]
	s_cbranch_execz .LBB2_11748
.LBB2_11747:
	v_mov_b32_e32 v2, 8
	v_and_b32_e32 v3, 7, v9
	v_lshrrev_b32_sdwa v2, v2, v9 dst_sel:BYTE_1 dst_unused:UNUSED_PAD src0_sel:DWORD src1_sel:DWORD
	v_ffbh_u32_e32 v4, v3
	v_or_b32_sdwa v2, v9, v2 dst_sel:DWORD dst_unused:UNUSED_PAD src0_sel:BYTE_0 src1_sel:DWORD
	v_min_u32_e32 v4, 32, v4
	v_lshrrev_b16_e32 v2, 3, v2
	v_subrev_u32_e32 v6, 28, v4
	v_and_b32_e32 v2, 15, v2
	v_lshlrev_b32_e32 v6, v6, v9
	v_sub_u32_e32 v4, 29, v4
	v_and_b32_e32 v6, 7, v6
	v_cmp_eq_u16_e32 vcc, 0, v2
	v_cndmask_b32_e32 v3, v3, v6, vcc
	v_cndmask_b32_e32 v2, v2, v4, vcc
	v_lshlrev_b32_e32 v4, 24, v9
	v_mov_b32_e32 v6, 0x3b800000
	v_lshlrev_b32_e32 v3, 20, v3
	v_and_b32_e32 v4, 0x80000000, v4
	v_lshl_add_u32 v2, v2, 23, v6
	v_or3_b32 v2, v4, v2, v3
.LBB2_11748:
	s_or_b64 exec, exec, s[6:7]
	s_movk_i32 s4, 0x7f
	v_cmp_gt_i16_sdwa s[6:7], v5, s4 src0_sel:BYTE_0 src1_sel:DWORD
	s_mov_b64 s[4:5], 0
                                        ; implicit-def: $sgpr10
	s_and_saveexec_b64 s[8:9], s[6:7]
	s_xor_b64 s[6:7], exec, s[8:9]
	s_cbranch_execz .LBB2_11749
; %bb.47589:
	s_getpc_b64 s[14:15]
.Lpost_getpc27378:
	s_add_u32 s14, s14, (.LBB2_26085-.Lpost_getpc27378)&4294967295
	s_addc_u32 s15, s15, (.LBB2_26085-.Lpost_getpc27378)>>32
	s_setpc_b64 s[14:15]
.LBB2_11749:
	s_or_saveexec_b64 s[6:7], s[6:7]
	v_mov_b32_e32 v3, s10
	s_xor_b64 exec, exec, s[6:7]
	s_cbranch_execz .LBB2_11750
; %bb.47591:
	s_getpc_b64 s[14:15]
.Lpost_getpc27379:
	s_add_u32 s14, s14, (.LBB2_26088-.Lpost_getpc27379)&4294967295
	s_addc_u32 s15, s15, (.LBB2_26088-.Lpost_getpc27379)>>32
	s_setpc_b64 s[14:15]
.LBB2_11750:
	s_or_b64 exec, exec, s[6:7]
	s_and_saveexec_b64 s[6:7], s[4:5]
	s_cbranch_execz .LBB2_11752
.LBB2_11751:
	v_mov_b32_e32 v3, 8
	v_and_b32_e32 v4, 7, v5
	v_lshrrev_b32_sdwa v3, v3, v5 dst_sel:BYTE_1 dst_unused:UNUSED_PAD src0_sel:DWORD src1_sel:DWORD
	v_ffbh_u32_e32 v6, v4
	v_or_b32_sdwa v3, v5, v3 dst_sel:DWORD dst_unused:UNUSED_PAD src0_sel:BYTE_0 src1_sel:DWORD
	v_min_u32_e32 v6, 32, v6
	v_lshrrev_b16_e32 v3, 3, v3
	v_subrev_u32_e32 v7, 28, v6
	v_and_b32_e32 v3, 15, v3
	v_lshlrev_b32_e32 v7, v7, v5
	v_sub_u32_e32 v6, 29, v6
	v_and_b32_e32 v7, 7, v7
	v_cmp_eq_u16_e32 vcc, 0, v3
	v_cndmask_b32_e32 v4, v4, v7, vcc
	v_cndmask_b32_e32 v3, v3, v6, vcc
	v_lshlrev_b32_e32 v6, 24, v5
	v_mov_b32_e32 v7, 0x3b800000
	v_lshlrev_b32_e32 v4, 20, v4
	v_and_b32_e32 v6, 0x80000000, v6
	v_lshl_add_u32 v3, v3, 23, v7
	v_or3_b32 v3, v6, v3, v4
.LBB2_11752:
	s_or_b64 exec, exec, s[6:7]
	s_nop 0
	v_mfma_f32_16x16x4f32 a[0:3], v2, v3, a[0:3]
	v_lshrrev_b32_e32 v3, 8, v9
	s_movk_i32 s4, 0x7f
	v_cmp_gt_i16_sdwa s[6:7], v3, s4 src0_sel:BYTE_0 src1_sel:DWORD
	s_mov_b64 s[4:5], 0
                                        ; implicit-def: $sgpr10
	s_and_saveexec_b64 s[8:9], s[6:7]
	s_xor_b64 s[6:7], exec, s[8:9]
	s_cbranch_execz .LBB2_11753
; %bb.47593:
	s_getpc_b64 s[14:15]
.Lpost_getpc27380:
	s_add_u32 s14, s14, (.LBB2_26089-.Lpost_getpc27380)&4294967295
	s_addc_u32 s15, s15, (.LBB2_26089-.Lpost_getpc27380)>>32
	s_setpc_b64 s[14:15]
.LBB2_11753:
	s_or_saveexec_b64 s[6:7], s[6:7]
	v_mov_b32_e32 v2, s10
	s_xor_b64 exec, exec, s[6:7]
	s_cbranch_execz .LBB2_11754
; %bb.47595:
	s_getpc_b64 s[14:15]
.Lpost_getpc27381:
	s_add_u32 s14, s14, (.LBB2_26092-.Lpost_getpc27381)&4294967295
	s_addc_u32 s15, s15, (.LBB2_26092-.Lpost_getpc27381)>>32
	s_setpc_b64 s[14:15]
.LBB2_11754:
	s_or_b64 exec, exec, s[6:7]
	s_and_saveexec_b64 s[6:7], s[4:5]
	s_cbranch_execz .LBB2_11756
.LBB2_11755:
	v_bfe_u32 v2, v9, 8, 3
	v_ffbh_u32_e32 v6, v2
	v_min_u32_e32 v6, 32, v6
	v_lshrrev_b16_e32 v4, 3, v3
	v_subrev_u32_e32 v7, 28, v6
	v_and_b32_e32 v4, 15, v4
	v_lshlrev_b32_e32 v3, v7, v3
	v_sub_u32_e32 v6, 29, v6
	v_and_b32_e32 v3, 7, v3
	v_cmp_eq_u16_e32 vcc, 0, v4
	v_cndmask_b32_e32 v2, v2, v3, vcc
	v_cndmask_b32_e32 v3, v4, v6, vcc
	v_lshlrev_b32_e32 v4, 16, v9
	v_mov_b32_e32 v6, 0x3b800000
	v_lshlrev_b32_e32 v2, 20, v2
	v_and_b32_e32 v4, 0x80000000, v4
	v_lshl_add_u32 v3, v3, 23, v6
	v_or3_b32 v2, v4, v3, v2
.LBB2_11756:
	s_or_b64 exec, exec, s[6:7]
	v_lshrrev_b32_e32 v3, 8, v5
	s_movk_i32 s4, 0x7f
	v_cmp_gt_i16_sdwa s[6:7], v3, s4 src0_sel:BYTE_0 src1_sel:DWORD
	s_mov_b64 s[4:5], 0
                                        ; implicit-def: $sgpr10
	s_and_saveexec_b64 s[8:9], s[6:7]
	s_xor_b64 s[6:7], exec, s[8:9]
	s_cbranch_execz .LBB2_11757
; %bb.47597:
	s_getpc_b64 s[14:15]
.Lpost_getpc27382:
	s_add_u32 s14, s14, (.LBB2_26093-.Lpost_getpc27382)&4294967295
	s_addc_u32 s15, s15, (.LBB2_26093-.Lpost_getpc27382)>>32
	s_setpc_b64 s[14:15]
.LBB2_11757:
	s_or_saveexec_b64 s[6:7], s[6:7]
	v_mov_b32_e32 v4, s10
	s_xor_b64 exec, exec, s[6:7]
	s_cbranch_execz .LBB2_11758
; %bb.47599:
	s_getpc_b64 s[14:15]
.Lpost_getpc27383:
	s_add_u32 s14, s14, (.LBB2_26096-.Lpost_getpc27383)&4294967295
	s_addc_u32 s15, s15, (.LBB2_26096-.Lpost_getpc27383)>>32
	s_setpc_b64 s[14:15]
.LBB2_11758:
	s_or_b64 exec, exec, s[6:7]
	s_and_saveexec_b64 s[6:7], s[4:5]
	s_cbranch_execz .LBB2_11760
.LBB2_11759:
	v_bfe_u32 v4, v5, 8, 3
	v_ffbh_u32_e32 v7, v4
	v_min_u32_e32 v7, 32, v7
	v_lshrrev_b16_e32 v6, 3, v3
	v_subrev_u32_e32 v8, 28, v7
	v_and_b32_e32 v6, 15, v6
	v_lshlrev_b32_e32 v3, v8, v3
	v_sub_u32_e32 v7, 29, v7
	v_and_b32_e32 v3, 7, v3
	v_cmp_eq_u16_e32 vcc, 0, v6
	v_cndmask_b32_e32 v3, v4, v3, vcc
	v_cndmask_b32_e32 v4, v6, v7, vcc
	v_lshlrev_b32_e32 v6, 16, v5
	v_mov_b32_e32 v7, 0x3b800000
	v_lshlrev_b32_e32 v3, 20, v3
	v_and_b32_e32 v6, 0x80000000, v6
	v_lshl_add_u32 v4, v4, 23, v7
	v_or3_b32 v4, v6, v4, v3
.LBB2_11760:
	s_or_b64 exec, exec, s[6:7]
	s_nop 0
	v_mfma_f32_16x16x4f32 a[0:3], v2, v4, a[0:3]
	s_movk_i32 s4, 0xff
	v_and_b32_sdwa v3, v9, s4 dst_sel:DWORD dst_unused:UNUSED_PAD src0_sel:WORD_1 src1_sel:DWORD
	s_movk_i32 s4, 0x7f
	v_cmp_lt_i16_e32 vcc, s4, v3
	s_mov_b64 s[4:5], 0
                                        ; implicit-def: $sgpr10
	s_and_saveexec_b64 s[6:7], vcc
	s_xor_b64 s[6:7], exec, s[6:7]
	s_cbranch_execz .LBB2_11761
; %bb.47601:
	s_getpc_b64 s[14:15]
.Lpost_getpc27384:
	s_add_u32 s14, s14, (.LBB2_26097-.Lpost_getpc27384)&4294967295
	s_addc_u32 s15, s15, (.LBB2_26097-.Lpost_getpc27384)>>32
	s_setpc_b64 s[14:15]
.LBB2_11761:
	s_or_saveexec_b64 s[6:7], s[6:7]
	v_mov_b32_e32 v2, s10
	s_xor_b64 exec, exec, s[6:7]
	s_cbranch_execz .LBB2_11762
; %bb.47603:
	s_getpc_b64 s[14:15]
.Lpost_getpc27385:
	s_add_u32 s14, s14, (.LBB2_26100-.Lpost_getpc27385)&4294967295
	s_addc_u32 s15, s15, (.LBB2_26100-.Lpost_getpc27385)>>32
	s_setpc_b64 s[14:15]
.LBB2_11762:
	s_or_b64 exec, exec, s[6:7]
	s_and_saveexec_b64 s[6:7], s[4:5]
	s_cbranch_execz .LBB2_11764
.LBB2_11763:
	v_bfe_u32 v2, v9, 16, 3
	v_ffbh_u32_e32 v6, v2
	v_min_u32_e32 v6, 32, v6
	v_lshrrev_b32_e32 v3, 19, v9
	v_subrev_u32_e32 v7, 28, v6
	v_and_b32_e32 v3, 15, v3
	v_lshlrev_b32_sdwa v7, v7, v9 dst_sel:DWORD dst_unused:UNUSED_PAD src0_sel:DWORD src1_sel:WORD_1
	v_bfe_u32 v4, v9, 19, 4
	v_sub_u32_e32 v6, 29, v6
	v_and_b32_e32 v7, 7, v7
	v_cmp_eq_u16_e32 vcc, 0, v3
	v_cndmask_b32_e32 v2, v2, v7, vcc
	v_cndmask_b32_e32 v3, v4, v6, vcc
	v_lshlrev_b32_e32 v4, 8, v9
	v_mov_b32_e32 v6, 0x3b800000
	v_lshlrev_b32_e32 v2, 20, v2
	v_and_b32_e32 v4, 0x80000000, v4
	v_lshl_add_u32 v3, v3, 23, v6
	v_or3_b32 v2, v4, v3, v2
.LBB2_11764:
	s_or_b64 exec, exec, s[6:7]
	s_movk_i32 s4, 0xff
	v_and_b32_sdwa v3, v5, s4 dst_sel:DWORD dst_unused:UNUSED_PAD src0_sel:WORD_1 src1_sel:DWORD
	s_movk_i32 s4, 0x7f
	v_cmp_lt_i16_e32 vcc, s4, v3
	s_mov_b64 s[4:5], 0
                                        ; implicit-def: $sgpr10
	s_and_saveexec_b64 s[6:7], vcc
	s_xor_b64 s[6:7], exec, s[6:7]
	s_cbranch_execz .LBB2_11765
; %bb.47605:
	s_getpc_b64 s[14:15]
.Lpost_getpc27386:
	s_add_u32 s14, s14, (.LBB2_26101-.Lpost_getpc27386)&4294967295
	s_addc_u32 s15, s15, (.LBB2_26101-.Lpost_getpc27386)>>32
	s_setpc_b64 s[14:15]
.LBB2_11765:
	s_or_saveexec_b64 s[6:7], s[6:7]
	v_mov_b32_e32 v4, s10
	s_xor_b64 exec, exec, s[6:7]
	s_cbranch_execz .LBB2_11766
; %bb.47607:
	s_getpc_b64 s[14:15]
.Lpost_getpc27387:
	s_add_u32 s14, s14, (.LBB2_26104-.Lpost_getpc27387)&4294967295
	s_addc_u32 s15, s15, (.LBB2_26104-.Lpost_getpc27387)>>32
	s_setpc_b64 s[14:15]
.LBB2_11766:
	s_or_b64 exec, exec, s[6:7]
	s_and_saveexec_b64 s[6:7], s[4:5]
	s_cbranch_execz .LBB2_11768
.LBB2_11767:
	v_bfe_u32 v3, v5, 16, 3
	v_ffbh_u32_e32 v7, v3
	v_min_u32_e32 v7, 32, v7
	v_lshrrev_b32_e32 v4, 19, v5
	v_subrev_u32_e32 v8, 28, v7
	v_and_b32_e32 v4, 15, v4
	v_lshlrev_b32_sdwa v8, v8, v5 dst_sel:DWORD dst_unused:UNUSED_PAD src0_sel:DWORD src1_sel:WORD_1
	v_bfe_u32 v6, v5, 19, 4
	v_sub_u32_e32 v7, 29, v7
	v_and_b32_e32 v8, 7, v8
	v_cmp_eq_u16_e32 vcc, 0, v4
	v_cndmask_b32_e32 v3, v3, v8, vcc
	v_cndmask_b32_e32 v4, v6, v7, vcc
	v_lshlrev_b32_e32 v6, 8, v5
	v_mov_b32_e32 v7, 0x3b800000
	v_lshlrev_b32_e32 v3, 20, v3
	v_and_b32_e32 v6, 0x80000000, v6
	v_lshl_add_u32 v4, v4, 23, v7
	v_or3_b32 v4, v6, v4, v3
.LBB2_11768:
	s_or_b64 exec, exec, s[6:7]
	s_nop 0
	v_mfma_f32_16x16x4f32 a[0:3], v2, v4, a[0:3]
	s_movk_i32 s4, 0x7f
	v_cmp_gt_i16_sdwa s[6:7], v9, s4 src0_sel:BYTE_3 src1_sel:DWORD
	s_mov_b64 s[4:5], 0
                                        ; implicit-def: $sgpr10
	s_and_saveexec_b64 s[8:9], s[6:7]
	s_xor_b64 s[6:7], exec, s[8:9]
	s_cbranch_execz .LBB2_11769
; %bb.47609:
	s_getpc_b64 s[14:15]
.Lpost_getpc27388:
	s_add_u32 s14, s14, (.LBB2_26105-.Lpost_getpc27388)&4294967295
	s_addc_u32 s15, s15, (.LBB2_26105-.Lpost_getpc27388)>>32
	s_setpc_b64 s[14:15]
.LBB2_11769:
	s_or_saveexec_b64 s[6:7], s[6:7]
	v_mov_b32_e32 v2, s10
	s_xor_b64 exec, exec, s[6:7]
	s_cbranch_execz .LBB2_11770
; %bb.47611:
	s_getpc_b64 s[14:15]
.Lpost_getpc27389:
	s_add_u32 s14, s14, (.LBB2_26108-.Lpost_getpc27389)&4294967295
	s_addc_u32 s15, s15, (.LBB2_26108-.Lpost_getpc27389)>>32
	s_setpc_b64 s[14:15]
.LBB2_11770:
	s_or_b64 exec, exec, s[6:7]
	s_and_saveexec_b64 s[6:7], s[4:5]
	s_cbranch_execz .LBB2_11772
.LBB2_11771:
	v_bfe_u32 v2, v9, 24, 3
	v_ffbh_u32_e32 v7, v2
	v_min_u32_e32 v7, 32, v7
	v_lshrrev_b32_e32 v4, 27, v9
	v_subrev_u32_e32 v8, 28, v7
	v_and_b32_e32 v4, 15, v4
	v_lshlrev_b32_sdwa v8, v8, v9 dst_sel:DWORD dst_unused:UNUSED_PAD src0_sel:DWORD src1_sel:BYTE_3
	v_bfe_u32 v6, v9, 27, 4
	v_sub_u32_e32 v7, 29, v7
	v_and_b32_e32 v8, 7, v8
	v_cmp_eq_u16_e32 vcc, 0, v4
	v_cndmask_b32_e32 v2, v2, v8, vcc
	v_cndmask_b32_e32 v4, v6, v7, vcc
	v_mov_b32_e32 v6, 0x3b800000
	v_and_b32_e32 v3, 0x80000000, v9
	v_lshlrev_b32_e32 v2, 20, v2
	v_lshl_add_u32 v4, v4, 23, v6
	v_or3_b32 v2, v3, v4, v2
.LBB2_11772:
	s_or_b64 exec, exec, s[6:7]
	s_movk_i32 s4, 0x7f
	v_cmp_gt_i16_sdwa s[6:7], v5, s4 src0_sel:BYTE_3 src1_sel:DWORD
	s_mov_b64 s[4:5], 0
                                        ; implicit-def: $sgpr10
	s_and_saveexec_b64 s[8:9], s[6:7]
	s_xor_b64 s[6:7], exec, s[8:9]
	s_cbranch_execz .LBB2_11773
; %bb.47613:
	s_getpc_b64 s[14:15]
.Lpost_getpc27390:
	s_add_u32 s14, s14, (.LBB2_26109-.Lpost_getpc27390)&4294967295
	s_addc_u32 s15, s15, (.LBB2_26109-.Lpost_getpc27390)>>32
	s_setpc_b64 s[14:15]
.LBB2_11773:
	s_or_saveexec_b64 s[6:7], s[6:7]
	v_mov_b32_e32 v3, s10
	s_xor_b64 exec, exec, s[6:7]
	s_cbranch_execz .LBB2_11774
; %bb.47615:
	s_getpc_b64 s[14:15]
.Lpost_getpc27391:
	s_add_u32 s14, s14, (.LBB2_26112-.Lpost_getpc27391)&4294967295
	s_addc_u32 s15, s15, (.LBB2_26112-.Lpost_getpc27391)>>32
	s_setpc_b64 s[14:15]
.LBB2_11774:
	s_or_b64 exec, exec, s[6:7]
	s_and_saveexec_b64 s[6:7], s[4:5]
	s_cbranch_execz .LBB2_11776
.LBB2_11775:
	v_bfe_u32 v3, v5, 24, 3
	v_ffbh_u32_e32 v8, v3
	v_min_u32_e32 v8, 32, v8
	v_lshrrev_b32_e32 v6, 27, v5
	v_subrev_u32_e32 v9, 28, v8
	v_and_b32_e32 v4, 0x80000000, v5
	v_and_b32_e32 v6, 15, v6
	v_bfe_u32 v7, v5, 27, 4
	v_lshlrev_b32_sdwa v5, v9, v5 dst_sel:DWORD dst_unused:UNUSED_PAD src0_sel:DWORD src1_sel:BYTE_3
	v_sub_u32_e32 v8, 29, v8
	v_and_b32_e32 v5, 7, v5
	v_cmp_eq_u16_e32 vcc, 0, v6
	v_cndmask_b32_e32 v3, v3, v5, vcc
	v_cndmask_b32_e32 v5, v7, v8, vcc
	v_mov_b32_e32 v6, 0x3b800000
	v_lshlrev_b32_e32 v3, 20, v3
	v_lshl_add_u32 v5, v5, 23, v6
	v_or3_b32 v3, v4, v5, v3
.LBB2_11776:
	s_or_b64 exec, exec, s[6:7]
	s_nop 0
	v_mfma_f32_16x16x4f32 a[0:3], v2, v3, a[0:3]
	s_movk_i32 s4, 0x7f
                                        ; implicit-def: $sgpr10
	s_nop 7
	s_nop 1
	flat_store_dwordx4 v[10:11], a[0:3] offset:560
	flat_load_dwordx4 v[12:15], v[0:1]
	s_nop 0
	flat_load_dwordx2 v[10:11], v[0:1] offset:16
	s_waitcnt vmcnt(0) lgkmcnt(0)
	flat_load_dwordx4 v[6:9], v[12:13] offset:176
	flat_load_dwordx4 v[2:5], v[14:15] offset:192
	s_waitcnt vmcnt(0) lgkmcnt(0)
	v_cmp_gt_i16_sdwa s[6:7], v6, s4 src0_sel:BYTE_0 src1_sel:DWORD
	s_mov_b64 s[4:5], 0
	s_and_saveexec_b64 s[8:9], s[6:7]
	s_xor_b64 s[6:7], exec, s[8:9]
	s_cbranch_execz .LBB2_11777
; %bb.47617:
	s_getpc_b64 s[14:15]
.Lpost_getpc27392:
	s_add_u32 s14, s14, (.LBB2_26113-.Lpost_getpc27392)&4294967295
	s_addc_u32 s15, s15, (.LBB2_26113-.Lpost_getpc27392)>>32
	s_setpc_b64 s[14:15]
.LBB2_11777:
	s_or_saveexec_b64 s[6:7], s[6:7]
	v_mov_b32_e32 v12, s10
	s_xor_b64 exec, exec, s[6:7]
	s_cbranch_execz .LBB2_11778
; %bb.47619:
	s_getpc_b64 s[14:15]
.Lpost_getpc27393:
	s_add_u32 s14, s14, (.LBB2_26116-.Lpost_getpc27393)&4294967295
	s_addc_u32 s15, s15, (.LBB2_26116-.Lpost_getpc27393)>>32
	s_setpc_b64 s[14:15]
.LBB2_11778:
	s_or_b64 exec, exec, s[6:7]
	s_and_saveexec_b64 s[6:7], s[4:5]
	s_cbranch_execz .LBB2_11780
.LBB2_11779:
	v_and_b32_e32 v12, 7, v6
	v_ffbh_u32_e32 v14, v12
	v_min_u32_e32 v14, 32, v14
	v_lshrrev_b16_e32 v13, 3, v6
	v_subrev_u32_e32 v15, 28, v14
	v_and_b32_e32 v13, 15, v13
	v_lshlrev_b32_e32 v15, v15, v6
	v_sub_u32_e32 v14, 29, v14
	v_and_b32_e32 v15, 7, v15
	v_cmp_eq_u16_e32 vcc, 0, v13
	v_cndmask_b32_e32 v12, v12, v15, vcc
	v_cndmask_b32_e32 v13, v13, v14, vcc
	v_lshlrev_b32_e32 v14, 24, v6
	v_mov_b32_e32 v15, 0x3b800000
	v_lshlrev_b32_e32 v12, 20, v12
	v_and_b32_e32 v14, 0x80000000, v14
	v_lshl_add_u32 v13, v13, 23, v15
	v_or3_b32 v12, v14, v13, v12
.LBB2_11780:
	s_or_b64 exec, exec, s[6:7]
	s_movk_i32 s4, 0x7f
	v_cmp_gt_i16_sdwa s[6:7], v2, s4 src0_sel:BYTE_0 src1_sel:DWORD
	s_mov_b64 s[4:5], 0
                                        ; implicit-def: $sgpr10
	s_and_saveexec_b64 s[8:9], s[6:7]
	s_xor_b64 s[6:7], exec, s[8:9]
	s_cbranch_execz .LBB2_11781
; %bb.47621:
	s_getpc_b64 s[14:15]
.Lpost_getpc27394:
	s_add_u32 s14, s14, (.LBB2_26117-.Lpost_getpc27394)&4294967295
	s_addc_u32 s15, s15, (.LBB2_26117-.Lpost_getpc27394)>>32
	s_setpc_b64 s[14:15]
.LBB2_11781:
	s_or_saveexec_b64 s[6:7], s[6:7]
	v_mov_b32_e32 v13, s10
	s_xor_b64 exec, exec, s[6:7]
	s_cbranch_execz .LBB2_11782
; %bb.47623:
	s_getpc_b64 s[14:15]
.Lpost_getpc27395:
	s_add_u32 s14, s14, (.LBB2_26120-.Lpost_getpc27395)&4294967295
	s_addc_u32 s15, s15, (.LBB2_26120-.Lpost_getpc27395)>>32
	s_setpc_b64 s[14:15]
.LBB2_11782:
	s_or_b64 exec, exec, s[6:7]
	s_and_saveexec_b64 s[6:7], s[4:5]
	s_cbranch_execz .LBB2_11784
.LBB2_11783:
	v_and_b32_e32 v13, 7, v2
	v_ffbh_u32_e32 v15, v13
	v_min_u32_e32 v15, 32, v15
	v_lshrrev_b16_e32 v14, 3, v2
	v_subrev_u32_e32 v16, 28, v15
	v_and_b32_e32 v14, 15, v14
	v_lshlrev_b32_e32 v16, v16, v2
	v_sub_u32_e32 v15, 29, v15
	v_and_b32_e32 v16, 7, v16
	v_cmp_eq_u16_e32 vcc, 0, v14
	v_cndmask_b32_e32 v13, v13, v16, vcc
	v_cndmask_b32_e32 v14, v14, v15, vcc
	v_lshlrev_b32_e32 v15, 24, v2
	v_mov_b32_e32 v16, 0x3b800000
	v_lshlrev_b32_e32 v13, 20, v13
	v_and_b32_e32 v15, 0x80000000, v15
	v_lshl_add_u32 v14, v14, 23, v16
	v_or3_b32 v13, v15, v14, v13
.LBB2_11784:
	s_or_b64 exec, exec, s[6:7]
	flat_load_dwordx4 a[0:3], v[10:11] offset:576
	s_movk_i32 s4, 0x7f
                                        ; implicit-def: $sgpr10
	s_waitcnt vmcnt(0) lgkmcnt(0)
	v_mfma_f32_16x16x4f32 a[0:3], v12, v13, a[0:3]
	v_lshrrev_b32_e32 v13, 8, v6
	v_cmp_gt_i16_sdwa s[6:7], v13, s4 src0_sel:BYTE_0 src1_sel:DWORD
	s_mov_b64 s[4:5], 0
	s_and_saveexec_b64 s[8:9], s[6:7]
	s_xor_b64 s[6:7], exec, s[8:9]
	s_cbranch_execz .LBB2_11785
; %bb.47625:
	s_getpc_b64 s[14:15]
.Lpost_getpc27396:
	s_add_u32 s14, s14, (.LBB2_26121-.Lpost_getpc27396)&4294967295
	s_addc_u32 s15, s15, (.LBB2_26121-.Lpost_getpc27396)>>32
	s_setpc_b64 s[14:15]
.LBB2_11785:
	s_or_saveexec_b64 s[6:7], s[6:7]
	v_mov_b32_e32 v12, s10
	s_xor_b64 exec, exec, s[6:7]
	s_cbranch_execz .LBB2_11786
; %bb.47627:
	s_getpc_b64 s[14:15]
.Lpost_getpc27397:
	s_add_u32 s14, s14, (.LBB2_26124-.Lpost_getpc27397)&4294967295
	s_addc_u32 s15, s15, (.LBB2_26124-.Lpost_getpc27397)>>32
	s_setpc_b64 s[14:15]
.LBB2_11786:
	s_or_b64 exec, exec, s[6:7]
	s_and_saveexec_b64 s[6:7], s[4:5]
	s_cbranch_execz .LBB2_11788
.LBB2_11787:
	v_bfe_u32 v12, v6, 8, 3
	v_ffbh_u32_e32 v15, v12
	v_min_u32_e32 v15, 32, v15
	v_lshrrev_b16_e32 v14, 3, v13
	v_subrev_u32_e32 v16, 28, v15
	v_and_b32_e32 v14, 15, v14
	v_lshlrev_b32_e32 v13, v16, v13
	v_sub_u32_e32 v15, 29, v15
	v_and_b32_e32 v13, 7, v13
	v_cmp_eq_u16_e32 vcc, 0, v14
	v_cndmask_b32_e32 v12, v12, v13, vcc
	v_cndmask_b32_e32 v13, v14, v15, vcc
	v_lshlrev_b32_e32 v14, 16, v6
	v_mov_b32_e32 v15, 0x3b800000
	v_lshlrev_b32_e32 v12, 20, v12
	v_and_b32_e32 v14, 0x80000000, v14
	v_lshl_add_u32 v13, v13, 23, v15
	v_or3_b32 v12, v14, v13, v12
.LBB2_11788:
	s_or_b64 exec, exec, s[6:7]
	v_lshrrev_b32_e32 v13, 8, v2
	s_movk_i32 s4, 0x7f
	v_cmp_gt_i16_sdwa s[6:7], v13, s4 src0_sel:BYTE_0 src1_sel:DWORD
	s_mov_b64 s[4:5], 0
                                        ; implicit-def: $sgpr10
	s_and_saveexec_b64 s[8:9], s[6:7]
	s_xor_b64 s[6:7], exec, s[8:9]
	s_cbranch_execz .LBB2_11789
; %bb.47629:
	s_getpc_b64 s[14:15]
.Lpost_getpc27398:
	s_add_u32 s14, s14, (.LBB2_26125-.Lpost_getpc27398)&4294967295
	s_addc_u32 s15, s15, (.LBB2_26125-.Lpost_getpc27398)>>32
	s_setpc_b64 s[14:15]
.LBB2_11789:
	s_or_saveexec_b64 s[6:7], s[6:7]
	v_mov_b32_e32 v14, s10
	s_xor_b64 exec, exec, s[6:7]
	s_cbranch_execz .LBB2_11790
; %bb.47631:
	s_getpc_b64 s[14:15]
.Lpost_getpc27399:
	s_add_u32 s14, s14, (.LBB2_26128-.Lpost_getpc27399)&4294967295
	s_addc_u32 s15, s15, (.LBB2_26128-.Lpost_getpc27399)>>32
	s_setpc_b64 s[14:15]
.LBB2_11790:
	s_or_b64 exec, exec, s[6:7]
	s_and_saveexec_b64 s[6:7], s[4:5]
	s_cbranch_execz .LBB2_11792
.LBB2_11791:
	v_bfe_u32 v14, v2, 8, 3
	v_ffbh_u32_e32 v16, v14
	v_min_u32_e32 v16, 32, v16
	v_lshrrev_b16_e32 v15, 3, v13
	v_subrev_u32_e32 v17, 28, v16
	v_and_b32_e32 v15, 15, v15
	v_lshlrev_b32_e32 v13, v17, v13
	v_sub_u32_e32 v16, 29, v16
	v_and_b32_e32 v13, 7, v13
	v_cmp_eq_u16_e32 vcc, 0, v15
	v_cndmask_b32_e32 v13, v14, v13, vcc
	v_cndmask_b32_e32 v14, v15, v16, vcc
	v_lshlrev_b32_e32 v15, 16, v2
	v_mov_b32_e32 v16, 0x3b800000
	v_lshlrev_b32_e32 v13, 20, v13
	v_and_b32_e32 v15, 0x80000000, v15
	v_lshl_add_u32 v14, v14, 23, v16
	v_or3_b32 v14, v15, v14, v13
.LBB2_11792:
	s_or_b64 exec, exec, s[6:7]
	s_nop 0
	v_mfma_f32_16x16x4f32 a[0:3], v12, v14, a[0:3]
	s_movk_i32 s4, 0xff
	v_and_b32_sdwa v13, v6, s4 dst_sel:DWORD dst_unused:UNUSED_PAD src0_sel:WORD_1 src1_sel:DWORD
	s_movk_i32 s4, 0x7f
	v_cmp_lt_i16_e32 vcc, s4, v13
	s_mov_b64 s[4:5], 0
                                        ; implicit-def: $sgpr10
	s_and_saveexec_b64 s[6:7], vcc
	s_xor_b64 s[6:7], exec, s[6:7]
	s_cbranch_execz .LBB2_11793
; %bb.47633:
	s_getpc_b64 s[14:15]
.Lpost_getpc27400:
	s_add_u32 s14, s14, (.LBB2_26129-.Lpost_getpc27400)&4294967295
	s_addc_u32 s15, s15, (.LBB2_26129-.Lpost_getpc27400)>>32
	s_setpc_b64 s[14:15]
.LBB2_11793:
	s_or_saveexec_b64 s[6:7], s[6:7]
	v_mov_b32_e32 v12, s10
	s_xor_b64 exec, exec, s[6:7]
	s_cbranch_execz .LBB2_11794
; %bb.47635:
	s_getpc_b64 s[14:15]
.Lpost_getpc27401:
	s_add_u32 s14, s14, (.LBB2_26132-.Lpost_getpc27401)&4294967295
	s_addc_u32 s15, s15, (.LBB2_26132-.Lpost_getpc27401)>>32
	s_setpc_b64 s[14:15]
.LBB2_11794:
	s_or_b64 exec, exec, s[6:7]
	s_and_saveexec_b64 s[6:7], s[4:5]
	s_cbranch_execz .LBB2_11796
.LBB2_11795:
	v_bfe_u32 v12, v6, 16, 3
	v_ffbh_u32_e32 v15, v12
	v_min_u32_e32 v15, 32, v15
	v_lshrrev_b32_e32 v13, 19, v6
	v_subrev_u32_e32 v16, 28, v15
	v_and_b32_e32 v13, 15, v13
	v_lshlrev_b32_sdwa v16, v16, v6 dst_sel:DWORD dst_unused:UNUSED_PAD src0_sel:DWORD src1_sel:WORD_1
	v_bfe_u32 v14, v6, 19, 4
	v_sub_u32_e32 v15, 29, v15
	v_and_b32_e32 v16, 7, v16
	v_cmp_eq_u16_e32 vcc, 0, v13
	v_cndmask_b32_e32 v12, v12, v16, vcc
	v_cndmask_b32_e32 v13, v14, v15, vcc
	v_lshlrev_b32_e32 v14, 8, v6
	v_mov_b32_e32 v15, 0x3b800000
	v_lshlrev_b32_e32 v12, 20, v12
	v_and_b32_e32 v14, 0x80000000, v14
	v_lshl_add_u32 v13, v13, 23, v15
	v_or3_b32 v12, v14, v13, v12
.LBB2_11796:
	s_or_b64 exec, exec, s[6:7]
	s_movk_i32 s4, 0xff
	v_and_b32_sdwa v13, v2, s4 dst_sel:DWORD dst_unused:UNUSED_PAD src0_sel:WORD_1 src1_sel:DWORD
	s_movk_i32 s4, 0x7f
	v_cmp_lt_i16_e32 vcc, s4, v13
	s_mov_b64 s[4:5], 0
                                        ; implicit-def: $sgpr10
	s_and_saveexec_b64 s[6:7], vcc
	s_xor_b64 s[6:7], exec, s[6:7]
	s_cbranch_execz .LBB2_11797
; %bb.47637:
	s_getpc_b64 s[14:15]
.Lpost_getpc27402:
	s_add_u32 s14, s14, (.LBB2_26133-.Lpost_getpc27402)&4294967295
	s_addc_u32 s15, s15, (.LBB2_26133-.Lpost_getpc27402)>>32
	s_setpc_b64 s[14:15]
.LBB2_11797:
	s_or_saveexec_b64 s[6:7], s[6:7]
	v_mov_b32_e32 v14, s10
	s_xor_b64 exec, exec, s[6:7]
	s_cbranch_execz .LBB2_11798
; %bb.47639:
	s_getpc_b64 s[14:15]
.Lpost_getpc27403:
	s_add_u32 s14, s14, (.LBB2_26136-.Lpost_getpc27403)&4294967295
	s_addc_u32 s15, s15, (.LBB2_26136-.Lpost_getpc27403)>>32
	s_setpc_b64 s[14:15]
.LBB2_11798:
	s_or_b64 exec, exec, s[6:7]
	s_and_saveexec_b64 s[6:7], s[4:5]
	s_cbranch_execz .LBB2_11800
.LBB2_11799:
	v_bfe_u32 v13, v2, 16, 3
	v_ffbh_u32_e32 v16, v13
	v_min_u32_e32 v16, 32, v16
	v_lshrrev_b32_e32 v14, 19, v2
	v_subrev_u32_e32 v17, 28, v16
	v_and_b32_e32 v14, 15, v14
	v_lshlrev_b32_sdwa v17, v17, v2 dst_sel:DWORD dst_unused:UNUSED_PAD src0_sel:DWORD src1_sel:WORD_1
	v_bfe_u32 v15, v2, 19, 4
	v_sub_u32_e32 v16, 29, v16
	v_and_b32_e32 v17, 7, v17
	v_cmp_eq_u16_e32 vcc, 0, v14
	v_cndmask_b32_e32 v13, v13, v17, vcc
	v_cndmask_b32_e32 v14, v15, v16, vcc
	v_lshlrev_b32_e32 v15, 8, v2
	v_mov_b32_e32 v16, 0x3b800000
	v_lshlrev_b32_e32 v13, 20, v13
	v_and_b32_e32 v15, 0x80000000, v15
	v_lshl_add_u32 v14, v14, 23, v16
	v_or3_b32 v14, v15, v14, v13
.LBB2_11800:
	s_or_b64 exec, exec, s[6:7]
	s_nop 0
	v_mfma_f32_16x16x4f32 a[0:3], v12, v14, a[0:3]
	s_movk_i32 s4, 0x7f
	v_cmp_gt_i16_sdwa s[6:7], v6, s4 src0_sel:BYTE_3 src1_sel:DWORD
	s_mov_b64 s[4:5], 0
                                        ; implicit-def: $sgpr10
	s_and_saveexec_b64 s[8:9], s[6:7]
	s_xor_b64 s[6:7], exec, s[8:9]
	s_cbranch_execz .LBB2_11801
; %bb.47641:
	s_getpc_b64 s[14:15]
.Lpost_getpc27404:
	s_add_u32 s14, s14, (.LBB2_26137-.Lpost_getpc27404)&4294967295
	s_addc_u32 s15, s15, (.LBB2_26137-.Lpost_getpc27404)>>32
	s_setpc_b64 s[14:15]
.LBB2_11801:
	s_or_saveexec_b64 s[6:7], s[6:7]
	v_mov_b32_e32 v12, s10
	s_xor_b64 exec, exec, s[6:7]
	s_cbranch_execz .LBB2_11802
; %bb.47643:
	s_getpc_b64 s[14:15]
.Lpost_getpc27405:
	s_add_u32 s14, s14, (.LBB2_26140-.Lpost_getpc27405)&4294967295
	s_addc_u32 s15, s15, (.LBB2_26140-.Lpost_getpc27405)>>32
	s_setpc_b64 s[14:15]
.LBB2_11802:
	s_or_b64 exec, exec, s[6:7]
	s_and_saveexec_b64 s[6:7], s[4:5]
	s_cbranch_execz .LBB2_11804
.LBB2_11803:
	v_bfe_u32 v12, v6, 24, 3
	v_ffbh_u32_e32 v16, v12
	v_min_u32_e32 v16, 32, v16
	v_lshrrev_b32_e32 v14, 27, v6
	v_subrev_u32_e32 v17, 28, v16
	v_and_b32_e32 v13, 0x80000000, v6
	v_and_b32_e32 v14, 15, v14
	v_bfe_u32 v15, v6, 27, 4
	v_lshlrev_b32_sdwa v6, v17, v6 dst_sel:DWORD dst_unused:UNUSED_PAD src0_sel:DWORD src1_sel:BYTE_3
	v_sub_u32_e32 v16, 29, v16
	v_and_b32_e32 v6, 7, v6
	v_cmp_eq_u16_e32 vcc, 0, v14
	v_cndmask_b32_e32 v6, v12, v6, vcc
	v_cndmask_b32_e32 v12, v15, v16, vcc
	v_mov_b32_e32 v14, 0x3b800000
	v_lshlrev_b32_e32 v6, 20, v6
	v_lshl_add_u32 v12, v12, 23, v14
	v_or3_b32 v12, v13, v12, v6
.LBB2_11804:
	s_or_b64 exec, exec, s[6:7]
	s_movk_i32 s4, 0x7f
	v_cmp_gt_i16_sdwa s[6:7], v2, s4 src0_sel:BYTE_3 src1_sel:DWORD
	s_mov_b64 s[4:5], 0
                                        ; implicit-def: $sgpr10
	s_and_saveexec_b64 s[8:9], s[6:7]
	s_xor_b64 s[6:7], exec, s[8:9]
	s_cbranch_execz .LBB2_11805
; %bb.47645:
	s_getpc_b64 s[14:15]
.Lpost_getpc27406:
	s_add_u32 s14, s14, (.LBB2_26141-.Lpost_getpc27406)&4294967295
	s_addc_u32 s15, s15, (.LBB2_26141-.Lpost_getpc27406)>>32
	s_setpc_b64 s[14:15]
.LBB2_11805:
	s_or_saveexec_b64 s[6:7], s[6:7]
	v_mov_b32_e32 v6, s10
	s_xor_b64 exec, exec, s[6:7]
	s_cbranch_execz .LBB2_11806
; %bb.47647:
	s_getpc_b64 s[14:15]
.Lpost_getpc27407:
	s_add_u32 s14, s14, (.LBB2_26144-.Lpost_getpc27407)&4294967295
	s_addc_u32 s15, s15, (.LBB2_26144-.Lpost_getpc27407)>>32
	s_setpc_b64 s[14:15]
.LBB2_11806:
	s_or_b64 exec, exec, s[6:7]
	s_and_saveexec_b64 s[6:7], s[4:5]
	s_cbranch_execz .LBB2_11808
.LBB2_11807:
	v_bfe_u32 v6, v2, 24, 3
	v_ffbh_u32_e32 v16, v6
	v_min_u32_e32 v16, 32, v16
	v_lshrrev_b32_e32 v14, 27, v2
	v_subrev_u32_e32 v17, 28, v16
	v_and_b32_e32 v13, 0x80000000, v2
	v_and_b32_e32 v14, 15, v14
	v_bfe_u32 v15, v2, 27, 4
	v_lshlrev_b32_sdwa v2, v17, v2 dst_sel:DWORD dst_unused:UNUSED_PAD src0_sel:DWORD src1_sel:BYTE_3
	v_sub_u32_e32 v16, 29, v16
	v_and_b32_e32 v2, 7, v2
	v_cmp_eq_u16_e32 vcc, 0, v14
	v_cndmask_b32_e32 v2, v6, v2, vcc
	v_cndmask_b32_e32 v6, v15, v16, vcc
	v_mov_b32_e32 v14, 0x3b800000
	v_lshlrev_b32_e32 v2, 20, v2
	v_lshl_add_u32 v6, v6, 23, v14
	v_or3_b32 v6, v13, v6, v2
.LBB2_11808:
	s_or_b64 exec, exec, s[6:7]
	s_nop 0
	v_mfma_f32_16x16x4f32 a[0:3], v12, v6, a[0:3]
	s_movk_i32 s4, 0x7f
	v_cmp_gt_i16_sdwa s[6:7], v7, s4 src0_sel:BYTE_0 src1_sel:DWORD
	s_mov_b64 s[4:5], 0
                                        ; implicit-def: $sgpr10
	s_and_saveexec_b64 s[8:9], s[6:7]
	s_xor_b64 s[6:7], exec, s[8:9]
	s_cbranch_execz .LBB2_11809
; %bb.47649:
	s_getpc_b64 s[14:15]
.Lpost_getpc27408:
	s_add_u32 s14, s14, (.LBB2_26145-.Lpost_getpc27408)&4294967295
	s_addc_u32 s15, s15, (.LBB2_26145-.Lpost_getpc27408)>>32
	s_setpc_b64 s[14:15]
.LBB2_11809:
	s_or_saveexec_b64 s[6:7], s[6:7]
	v_mov_b32_e32 v2, s10
	s_xor_b64 exec, exec, s[6:7]
	s_cbranch_execz .LBB2_11810
; %bb.47651:
	s_getpc_b64 s[14:15]
.Lpost_getpc27409:
	s_add_u32 s14, s14, (.LBB2_26148-.Lpost_getpc27409)&4294967295
	s_addc_u32 s15, s15, (.LBB2_26148-.Lpost_getpc27409)>>32
	s_setpc_b64 s[14:15]
.LBB2_11810:
	s_or_b64 exec, exec, s[6:7]
	s_and_saveexec_b64 s[6:7], s[4:5]
	s_cbranch_execz .LBB2_11812
.LBB2_11811:
	v_and_b32_e32 v2, 7, v7
	v_ffbh_u32_e32 v12, v2
	v_min_u32_e32 v12, 32, v12
	v_lshrrev_b16_e32 v6, 3, v7
	v_subrev_u32_e32 v13, 28, v12
	v_and_b32_e32 v6, 15, v6
	v_lshlrev_b32_e32 v13, v13, v7
	v_sub_u32_e32 v12, 29, v12
	v_and_b32_e32 v13, 7, v13
	v_cmp_eq_u16_e32 vcc, 0, v6
	v_cndmask_b32_e32 v2, v2, v13, vcc
	v_cndmask_b32_e32 v6, v6, v12, vcc
	v_lshlrev_b32_e32 v12, 24, v7
	v_mov_b32_e32 v13, 0x3b800000
	v_lshlrev_b32_e32 v2, 20, v2
	v_and_b32_e32 v12, 0x80000000, v12
	v_lshl_add_u32 v6, v6, 23, v13
	v_or3_b32 v2, v12, v6, v2
.LBB2_11812:
	s_or_b64 exec, exec, s[6:7]
	s_movk_i32 s4, 0x7f
	v_cmp_gt_i16_sdwa s[6:7], v3, s4 src0_sel:BYTE_0 src1_sel:DWORD
	s_mov_b64 s[4:5], 0
                                        ; implicit-def: $sgpr10
	s_and_saveexec_b64 s[8:9], s[6:7]
	s_xor_b64 s[6:7], exec, s[8:9]
	s_cbranch_execz .LBB2_11813
; %bb.47653:
	s_getpc_b64 s[14:15]
.Lpost_getpc27410:
	s_add_u32 s14, s14, (.LBB2_26149-.Lpost_getpc27410)&4294967295
	s_addc_u32 s15, s15, (.LBB2_26149-.Lpost_getpc27410)>>32
	s_setpc_b64 s[14:15]
.LBB2_11813:
	s_or_saveexec_b64 s[6:7], s[6:7]
	v_mov_b32_e32 v6, s10
	s_xor_b64 exec, exec, s[6:7]
	s_cbranch_execz .LBB2_11814
; %bb.47655:
	s_getpc_b64 s[14:15]
.Lpost_getpc27411:
	s_add_u32 s14, s14, (.LBB2_26152-.Lpost_getpc27411)&4294967295
	s_addc_u32 s15, s15, (.LBB2_26152-.Lpost_getpc27411)>>32
	s_setpc_b64 s[14:15]
.LBB2_11814:
	s_or_b64 exec, exec, s[6:7]
	s_and_saveexec_b64 s[6:7], s[4:5]
	s_cbranch_execz .LBB2_11816
.LBB2_11815:
	v_and_b32_e32 v6, 7, v3
	v_ffbh_u32_e32 v13, v6
	v_min_u32_e32 v13, 32, v13
	v_lshrrev_b16_e32 v12, 3, v3
	v_subrev_u32_e32 v14, 28, v13
	v_and_b32_e32 v12, 15, v12
	v_lshlrev_b32_e32 v14, v14, v3
	v_sub_u32_e32 v13, 29, v13
	v_and_b32_e32 v14, 7, v14
	v_cmp_eq_u16_e32 vcc, 0, v12
	v_cndmask_b32_e32 v6, v6, v14, vcc
	v_cndmask_b32_e32 v12, v12, v13, vcc
	v_lshlrev_b32_e32 v13, 24, v3
	v_mov_b32_e32 v14, 0x3b800000
	v_lshlrev_b32_e32 v6, 20, v6
	v_and_b32_e32 v13, 0x80000000, v13
	v_lshl_add_u32 v12, v12, 23, v14
	v_or3_b32 v6, v13, v12, v6
.LBB2_11816:
	s_or_b64 exec, exec, s[6:7]
	s_nop 0
	v_mfma_f32_16x16x4f32 a[0:3], v2, v6, a[0:3]
	v_lshrrev_b32_e32 v6, 8, v7
	s_movk_i32 s4, 0x7f
	v_cmp_gt_i16_sdwa s[6:7], v6, s4 src0_sel:BYTE_0 src1_sel:DWORD
	s_mov_b64 s[4:5], 0
                                        ; implicit-def: $sgpr10
	s_and_saveexec_b64 s[8:9], s[6:7]
	s_xor_b64 s[6:7], exec, s[8:9]
	s_cbranch_execz .LBB2_11817
; %bb.47657:
	s_getpc_b64 s[14:15]
.Lpost_getpc27412:
	s_add_u32 s14, s14, (.LBB2_26153-.Lpost_getpc27412)&4294967295
	s_addc_u32 s15, s15, (.LBB2_26153-.Lpost_getpc27412)>>32
	s_setpc_b64 s[14:15]
.LBB2_11817:
	s_or_saveexec_b64 s[6:7], s[6:7]
	v_mov_b32_e32 v2, s10
	s_xor_b64 exec, exec, s[6:7]
	s_cbranch_execz .LBB2_11818
; %bb.47659:
	s_getpc_b64 s[14:15]
.Lpost_getpc27413:
	s_add_u32 s14, s14, (.LBB2_26156-.Lpost_getpc27413)&4294967295
	s_addc_u32 s15, s15, (.LBB2_26156-.Lpost_getpc27413)>>32
	s_setpc_b64 s[14:15]
.LBB2_11818:
	s_or_b64 exec, exec, s[6:7]
	s_and_saveexec_b64 s[6:7], s[4:5]
	s_cbranch_execz .LBB2_11820
.LBB2_11819:
	v_bfe_u32 v2, v7, 8, 3
	v_ffbh_u32_e32 v13, v2
	v_min_u32_e32 v13, 32, v13
	v_lshrrev_b16_e32 v12, 3, v6
	v_subrev_u32_e32 v14, 28, v13
	v_and_b32_e32 v12, 15, v12
	v_lshlrev_b32_e32 v6, v14, v6
	v_sub_u32_e32 v13, 29, v13
	v_and_b32_e32 v6, 7, v6
	v_cmp_eq_u16_e32 vcc, 0, v12
	v_cndmask_b32_e32 v2, v2, v6, vcc
	v_cndmask_b32_e32 v6, v12, v13, vcc
	v_lshlrev_b32_e32 v12, 16, v7
	v_mov_b32_e32 v13, 0x3b800000
	v_lshlrev_b32_e32 v2, 20, v2
	v_and_b32_e32 v12, 0x80000000, v12
	v_lshl_add_u32 v6, v6, 23, v13
	v_or3_b32 v2, v12, v6, v2
.LBB2_11820:
	s_or_b64 exec, exec, s[6:7]
	v_lshrrev_b32_e32 v6, 8, v3
	s_movk_i32 s4, 0x7f
	v_cmp_gt_i16_sdwa s[6:7], v6, s4 src0_sel:BYTE_0 src1_sel:DWORD
	s_mov_b64 s[4:5], 0
                                        ; implicit-def: $sgpr10
	s_and_saveexec_b64 s[8:9], s[6:7]
	s_xor_b64 s[6:7], exec, s[8:9]
	s_cbranch_execz .LBB2_11821
; %bb.47661:
	s_getpc_b64 s[14:15]
.Lpost_getpc27414:
	s_add_u32 s14, s14, (.LBB2_26157-.Lpost_getpc27414)&4294967295
	s_addc_u32 s15, s15, (.LBB2_26157-.Lpost_getpc27414)>>32
	s_setpc_b64 s[14:15]
.LBB2_11821:
	s_or_saveexec_b64 s[6:7], s[6:7]
	v_mov_b32_e32 v12, s10
	s_xor_b64 exec, exec, s[6:7]
	s_cbranch_execz .LBB2_11822
; %bb.47663:
	s_getpc_b64 s[14:15]
.Lpost_getpc27415:
	s_add_u32 s14, s14, (.LBB2_26160-.Lpost_getpc27415)&4294967295
	s_addc_u32 s15, s15, (.LBB2_26160-.Lpost_getpc27415)>>32
	s_setpc_b64 s[14:15]
.LBB2_11822:
	s_or_b64 exec, exec, s[6:7]
	s_and_saveexec_b64 s[6:7], s[4:5]
	s_cbranch_execz .LBB2_11824
.LBB2_11823:
	v_bfe_u32 v12, v3, 8, 3
	v_ffbh_u32_e32 v14, v12
	v_min_u32_e32 v14, 32, v14
	v_lshrrev_b16_e32 v13, 3, v6
	v_subrev_u32_e32 v15, 28, v14
	v_and_b32_e32 v13, 15, v13
	v_lshlrev_b32_e32 v6, v15, v6
	v_sub_u32_e32 v14, 29, v14
	v_and_b32_e32 v6, 7, v6
	v_cmp_eq_u16_e32 vcc, 0, v13
	v_cndmask_b32_e32 v6, v12, v6, vcc
	v_cndmask_b32_e32 v12, v13, v14, vcc
	v_lshlrev_b32_e32 v13, 16, v3
	v_mov_b32_e32 v14, 0x3b800000
	v_lshlrev_b32_e32 v6, 20, v6
	v_and_b32_e32 v13, 0x80000000, v13
	v_lshl_add_u32 v12, v12, 23, v14
	v_or3_b32 v12, v13, v12, v6
.LBB2_11824:
	s_or_b64 exec, exec, s[6:7]
	s_nop 0
	v_mfma_f32_16x16x4f32 a[0:3], v2, v12, a[0:3]
	s_movk_i32 s4, 0xff
	v_and_b32_sdwa v6, v7, s4 dst_sel:DWORD dst_unused:UNUSED_PAD src0_sel:WORD_1 src1_sel:DWORD
	s_movk_i32 s4, 0x7f
	v_cmp_lt_i16_e32 vcc, s4, v6
	s_mov_b64 s[4:5], 0
                                        ; implicit-def: $sgpr10
	s_and_saveexec_b64 s[6:7], vcc
	s_xor_b64 s[6:7], exec, s[6:7]
	s_cbranch_execz .LBB2_11825
; %bb.47665:
	s_getpc_b64 s[14:15]
.Lpost_getpc27416:
	s_add_u32 s14, s14, (.LBB2_26161-.Lpost_getpc27416)&4294967295
	s_addc_u32 s15, s15, (.LBB2_26161-.Lpost_getpc27416)>>32
	s_setpc_b64 s[14:15]
.LBB2_11825:
	s_or_saveexec_b64 s[6:7], s[6:7]
	v_mov_b32_e32 v2, s10
	s_xor_b64 exec, exec, s[6:7]
	s_cbranch_execz .LBB2_11826
; %bb.47667:
	s_getpc_b64 s[14:15]
.Lpost_getpc27417:
	s_add_u32 s14, s14, (.LBB2_26164-.Lpost_getpc27417)&4294967295
	s_addc_u32 s15, s15, (.LBB2_26164-.Lpost_getpc27417)>>32
	s_setpc_b64 s[14:15]
.LBB2_11826:
	s_or_b64 exec, exec, s[6:7]
	s_and_saveexec_b64 s[6:7], s[4:5]
	s_cbranch_execz .LBB2_11828
.LBB2_11827:
	v_bfe_u32 v2, v7, 16, 3
	v_ffbh_u32_e32 v13, v2
	v_min_u32_e32 v13, 32, v13
	v_lshrrev_b32_e32 v6, 19, v7
	v_subrev_u32_e32 v14, 28, v13
	v_and_b32_e32 v6, 15, v6
	v_lshlrev_b32_sdwa v14, v14, v7 dst_sel:DWORD dst_unused:UNUSED_PAD src0_sel:DWORD src1_sel:WORD_1
	v_bfe_u32 v12, v7, 19, 4
	v_sub_u32_e32 v13, 29, v13
	v_and_b32_e32 v14, 7, v14
	v_cmp_eq_u16_e32 vcc, 0, v6
	v_cndmask_b32_e32 v2, v2, v14, vcc
	v_cndmask_b32_e32 v6, v12, v13, vcc
	v_lshlrev_b32_e32 v12, 8, v7
	v_mov_b32_e32 v13, 0x3b800000
	v_lshlrev_b32_e32 v2, 20, v2
	v_and_b32_e32 v12, 0x80000000, v12
	v_lshl_add_u32 v6, v6, 23, v13
	v_or3_b32 v2, v12, v6, v2
.LBB2_11828:
	s_or_b64 exec, exec, s[6:7]
	s_movk_i32 s4, 0xff
	v_and_b32_sdwa v6, v3, s4 dst_sel:DWORD dst_unused:UNUSED_PAD src0_sel:WORD_1 src1_sel:DWORD
	s_movk_i32 s4, 0x7f
	v_cmp_lt_i16_e32 vcc, s4, v6
	s_mov_b64 s[4:5], 0
                                        ; implicit-def: $sgpr10
	s_and_saveexec_b64 s[6:7], vcc
	s_xor_b64 s[6:7], exec, s[6:7]
	s_cbranch_execz .LBB2_11829
; %bb.47669:
	s_getpc_b64 s[14:15]
.Lpost_getpc27418:
	s_add_u32 s14, s14, (.LBB2_26165-.Lpost_getpc27418)&4294967295
	s_addc_u32 s15, s15, (.LBB2_26165-.Lpost_getpc27418)>>32
	s_setpc_b64 s[14:15]
.LBB2_11829:
	s_or_saveexec_b64 s[6:7], s[6:7]
	v_mov_b32_e32 v12, s10
	s_xor_b64 exec, exec, s[6:7]
	s_cbranch_execz .LBB2_11830
; %bb.47671:
	s_getpc_b64 s[14:15]
.Lpost_getpc27419:
	s_add_u32 s14, s14, (.LBB2_26168-.Lpost_getpc27419)&4294967295
	s_addc_u32 s15, s15, (.LBB2_26168-.Lpost_getpc27419)>>32
	s_setpc_b64 s[14:15]
.LBB2_11830:
	s_or_b64 exec, exec, s[6:7]
	s_and_saveexec_b64 s[6:7], s[4:5]
	s_cbranch_execz .LBB2_11832
.LBB2_11831:
	v_bfe_u32 v6, v3, 16, 3
	v_ffbh_u32_e32 v14, v6
	v_min_u32_e32 v14, 32, v14
	v_lshrrev_b32_e32 v12, 19, v3
	v_subrev_u32_e32 v15, 28, v14
	v_and_b32_e32 v12, 15, v12
	v_lshlrev_b32_sdwa v15, v15, v3 dst_sel:DWORD dst_unused:UNUSED_PAD src0_sel:DWORD src1_sel:WORD_1
	v_bfe_u32 v13, v3, 19, 4
	v_sub_u32_e32 v14, 29, v14
	v_and_b32_e32 v15, 7, v15
	v_cmp_eq_u16_e32 vcc, 0, v12
	v_cndmask_b32_e32 v6, v6, v15, vcc
	v_cndmask_b32_e32 v12, v13, v14, vcc
	v_lshlrev_b32_e32 v13, 8, v3
	v_mov_b32_e32 v14, 0x3b800000
	v_lshlrev_b32_e32 v6, 20, v6
	v_and_b32_e32 v13, 0x80000000, v13
	v_lshl_add_u32 v12, v12, 23, v14
	v_or3_b32 v12, v13, v12, v6
.LBB2_11832:
	s_or_b64 exec, exec, s[6:7]
	s_nop 0
	v_mfma_f32_16x16x4f32 a[0:3], v2, v12, a[0:3]
	s_movk_i32 s4, 0x7f
	v_cmp_gt_i16_sdwa s[6:7], v7, s4 src0_sel:BYTE_3 src1_sel:DWORD
	s_mov_b64 s[4:5], 0
                                        ; implicit-def: $sgpr10
	s_and_saveexec_b64 s[8:9], s[6:7]
	s_xor_b64 s[6:7], exec, s[8:9]
	s_cbranch_execz .LBB2_11833
; %bb.47673:
	s_getpc_b64 s[14:15]
.Lpost_getpc27420:
	s_add_u32 s14, s14, (.LBB2_26169-.Lpost_getpc27420)&4294967295
	s_addc_u32 s15, s15, (.LBB2_26169-.Lpost_getpc27420)>>32
	s_setpc_b64 s[14:15]
.LBB2_11833:
	s_or_saveexec_b64 s[6:7], s[6:7]
	v_mov_b32_e32 v2, s10
	s_xor_b64 exec, exec, s[6:7]
	s_cbranch_execz .LBB2_11834
; %bb.47675:
	s_getpc_b64 s[14:15]
.Lpost_getpc27421:
	s_add_u32 s14, s14, (.LBB2_26172-.Lpost_getpc27421)&4294967295
	s_addc_u32 s15, s15, (.LBB2_26172-.Lpost_getpc27421)>>32
	s_setpc_b64 s[14:15]
.LBB2_11834:
	s_or_b64 exec, exec, s[6:7]
	s_and_saveexec_b64 s[6:7], s[4:5]
	s_cbranch_execz .LBB2_11836
.LBB2_11835:
	v_bfe_u32 v2, v7, 24, 3
	v_ffbh_u32_e32 v14, v2
	v_min_u32_e32 v14, 32, v14
	v_lshrrev_b32_e32 v12, 27, v7
	v_subrev_u32_e32 v15, 28, v14
	v_and_b32_e32 v6, 0x80000000, v7
	v_and_b32_e32 v12, 15, v12
	v_bfe_u32 v13, v7, 27, 4
	v_lshlrev_b32_sdwa v7, v15, v7 dst_sel:DWORD dst_unused:UNUSED_PAD src0_sel:DWORD src1_sel:BYTE_3
	v_sub_u32_e32 v14, 29, v14
	v_and_b32_e32 v7, 7, v7
	v_cmp_eq_u16_e32 vcc, 0, v12
	v_cndmask_b32_e32 v2, v2, v7, vcc
	v_cndmask_b32_e32 v7, v13, v14, vcc
	v_mov_b32_e32 v12, 0x3b800000
	v_lshlrev_b32_e32 v2, 20, v2
	v_lshl_add_u32 v7, v7, 23, v12
	v_or3_b32 v2, v6, v7, v2
.LBB2_11836:
	s_or_b64 exec, exec, s[6:7]
	s_movk_i32 s4, 0x7f
	v_cmp_gt_i16_sdwa s[6:7], v3, s4 src0_sel:BYTE_3 src1_sel:DWORD
	s_mov_b64 s[4:5], 0
                                        ; implicit-def: $sgpr10
	s_and_saveexec_b64 s[8:9], s[6:7]
	s_xor_b64 s[6:7], exec, s[8:9]
	s_cbranch_execz .LBB2_11837
; %bb.47677:
	s_getpc_b64 s[14:15]
.Lpost_getpc27422:
	s_add_u32 s14, s14, (.LBB2_26173-.Lpost_getpc27422)&4294967295
	s_addc_u32 s15, s15, (.LBB2_26173-.Lpost_getpc27422)>>32
	s_setpc_b64 s[14:15]
.LBB2_11837:
	s_or_saveexec_b64 s[6:7], s[6:7]
	v_mov_b32_e32 v6, s10
	s_xor_b64 exec, exec, s[6:7]
	s_cbranch_execz .LBB2_11838
; %bb.47679:
	s_getpc_b64 s[14:15]
.Lpost_getpc27423:
	s_add_u32 s14, s14, (.LBB2_26176-.Lpost_getpc27423)&4294967295
	s_addc_u32 s15, s15, (.LBB2_26176-.Lpost_getpc27423)>>32
	s_setpc_b64 s[14:15]
.LBB2_11838:
	s_or_b64 exec, exec, s[6:7]
	s_and_saveexec_b64 s[6:7], s[4:5]
	s_cbranch_execz .LBB2_11840
.LBB2_11839:
	v_bfe_u32 v6, v3, 24, 3
	v_ffbh_u32_e32 v14, v6
	v_min_u32_e32 v14, 32, v14
	v_lshrrev_b32_e32 v12, 27, v3
	v_subrev_u32_e32 v15, 28, v14
	v_and_b32_e32 v7, 0x80000000, v3
	v_and_b32_e32 v12, 15, v12
	v_bfe_u32 v13, v3, 27, 4
	v_lshlrev_b32_sdwa v3, v15, v3 dst_sel:DWORD dst_unused:UNUSED_PAD src0_sel:DWORD src1_sel:BYTE_3
	v_sub_u32_e32 v14, 29, v14
	v_and_b32_e32 v3, 7, v3
	v_cmp_eq_u16_e32 vcc, 0, v12
	v_cndmask_b32_e32 v3, v6, v3, vcc
	v_cndmask_b32_e32 v6, v13, v14, vcc
	v_mov_b32_e32 v12, 0x3b800000
	v_lshlrev_b32_e32 v3, 20, v3
	v_lshl_add_u32 v6, v6, 23, v12
	v_or3_b32 v6, v7, v6, v3
.LBB2_11840:
	s_or_b64 exec, exec, s[6:7]
	s_nop 0
	v_mfma_f32_16x16x4f32 a[0:3], v2, v6, a[0:3]
	s_movk_i32 s4, 0x7f
	v_cmp_gt_i16_sdwa s[6:7], v8, s4 src0_sel:BYTE_0 src1_sel:DWORD
	s_mov_b64 s[4:5], 0
                                        ; implicit-def: $sgpr10
	s_and_saveexec_b64 s[8:9], s[6:7]
	s_xor_b64 s[6:7], exec, s[8:9]
	s_cbranch_execz .LBB2_11841
; %bb.47681:
	s_getpc_b64 s[14:15]
.Lpost_getpc27424:
	s_add_u32 s14, s14, (.LBB2_26177-.Lpost_getpc27424)&4294967295
	s_addc_u32 s15, s15, (.LBB2_26177-.Lpost_getpc27424)>>32
	s_setpc_b64 s[14:15]
.LBB2_11841:
	s_or_saveexec_b64 s[6:7], s[6:7]
	v_mov_b32_e32 v2, s10
	s_xor_b64 exec, exec, s[6:7]
	s_cbranch_execz .LBB2_11842
; %bb.47683:
	s_getpc_b64 s[14:15]
.Lpost_getpc27425:
	s_add_u32 s14, s14, (.LBB2_26180-.Lpost_getpc27425)&4294967295
	s_addc_u32 s15, s15, (.LBB2_26180-.Lpost_getpc27425)>>32
	s_setpc_b64 s[14:15]
.LBB2_11842:
	s_or_b64 exec, exec, s[6:7]
	s_and_saveexec_b64 s[6:7], s[4:5]
	s_cbranch_execz .LBB2_11844
.LBB2_11843:
	v_and_b32_e32 v2, 7, v8
	v_ffbh_u32_e32 v6, v2
	v_min_u32_e32 v6, 32, v6
	v_lshrrev_b16_e32 v3, 3, v8
	v_subrev_u32_e32 v7, 28, v6
	v_and_b32_e32 v3, 15, v3
	v_lshlrev_b32_e32 v7, v7, v8
	v_sub_u32_e32 v6, 29, v6
	v_and_b32_e32 v7, 7, v7
	v_cmp_eq_u16_e32 vcc, 0, v3
	v_cndmask_b32_e32 v2, v2, v7, vcc
	v_cndmask_b32_e32 v3, v3, v6, vcc
	v_lshlrev_b32_e32 v6, 24, v8
	v_mov_b32_e32 v7, 0x3b800000
	v_lshlrev_b32_e32 v2, 20, v2
	v_and_b32_e32 v6, 0x80000000, v6
	v_lshl_add_u32 v3, v3, 23, v7
	v_or3_b32 v2, v6, v3, v2
.LBB2_11844:
	s_or_b64 exec, exec, s[6:7]
	s_movk_i32 s4, 0x7f
	v_cmp_gt_i16_sdwa s[6:7], v4, s4 src0_sel:BYTE_0 src1_sel:DWORD
	s_mov_b64 s[4:5], 0
                                        ; implicit-def: $sgpr10
	s_and_saveexec_b64 s[8:9], s[6:7]
	s_xor_b64 s[6:7], exec, s[8:9]
	s_cbranch_execz .LBB2_11845
; %bb.47685:
	s_getpc_b64 s[14:15]
.Lpost_getpc27426:
	s_add_u32 s14, s14, (.LBB2_26181-.Lpost_getpc27426)&4294967295
	s_addc_u32 s15, s15, (.LBB2_26181-.Lpost_getpc27426)>>32
	s_setpc_b64 s[14:15]
.LBB2_11845:
	s_or_saveexec_b64 s[6:7], s[6:7]
	v_mov_b32_e32 v3, s10
	s_xor_b64 exec, exec, s[6:7]
	s_cbranch_execz .LBB2_11846
; %bb.47687:
	s_getpc_b64 s[14:15]
.Lpost_getpc27427:
	s_add_u32 s14, s14, (.LBB2_26184-.Lpost_getpc27427)&4294967295
	s_addc_u32 s15, s15, (.LBB2_26184-.Lpost_getpc27427)>>32
	s_setpc_b64 s[14:15]
.LBB2_11846:
	s_or_b64 exec, exec, s[6:7]
	s_and_saveexec_b64 s[6:7], s[4:5]
	s_cbranch_execz .LBB2_11848
.LBB2_11847:
	v_and_b32_e32 v3, 7, v4
	v_ffbh_u32_e32 v7, v3
	v_min_u32_e32 v7, 32, v7
	v_lshrrev_b16_e32 v6, 3, v4
	v_subrev_u32_e32 v12, 28, v7
	v_and_b32_e32 v6, 15, v6
	v_lshlrev_b32_e32 v12, v12, v4
	v_sub_u32_e32 v7, 29, v7
	v_and_b32_e32 v12, 7, v12
	v_cmp_eq_u16_e32 vcc, 0, v6
	v_cndmask_b32_e32 v3, v3, v12, vcc
	v_cndmask_b32_e32 v6, v6, v7, vcc
	v_lshlrev_b32_e32 v7, 24, v4
	v_mov_b32_e32 v12, 0x3b800000
	v_lshlrev_b32_e32 v3, 20, v3
	v_and_b32_e32 v7, 0x80000000, v7
	v_lshl_add_u32 v6, v6, 23, v12
	v_or3_b32 v3, v7, v6, v3
.LBB2_11848:
	s_or_b64 exec, exec, s[6:7]
	s_nop 0
	v_mfma_f32_16x16x4f32 a[0:3], v2, v3, a[0:3]
	v_lshrrev_b32_e32 v3, 8, v8
	s_movk_i32 s4, 0x7f
	v_cmp_gt_i16_sdwa s[6:7], v3, s4 src0_sel:BYTE_0 src1_sel:DWORD
	s_mov_b64 s[4:5], 0
                                        ; implicit-def: $sgpr10
	s_and_saveexec_b64 s[8:9], s[6:7]
	s_xor_b64 s[6:7], exec, s[8:9]
	s_cbranch_execz .LBB2_11849
; %bb.47689:
	s_getpc_b64 s[14:15]
.Lpost_getpc27428:
	s_add_u32 s14, s14, (.LBB2_26185-.Lpost_getpc27428)&4294967295
	s_addc_u32 s15, s15, (.LBB2_26185-.Lpost_getpc27428)>>32
	s_setpc_b64 s[14:15]
.LBB2_11849:
	s_or_saveexec_b64 s[6:7], s[6:7]
	v_mov_b32_e32 v2, s10
	s_xor_b64 exec, exec, s[6:7]
	s_cbranch_execz .LBB2_11850
; %bb.47691:
	s_getpc_b64 s[14:15]
.Lpost_getpc27429:
	s_add_u32 s14, s14, (.LBB2_26188-.Lpost_getpc27429)&4294967295
	s_addc_u32 s15, s15, (.LBB2_26188-.Lpost_getpc27429)>>32
	s_setpc_b64 s[14:15]
.LBB2_11850:
	s_or_b64 exec, exec, s[6:7]
	s_and_saveexec_b64 s[6:7], s[4:5]
	s_cbranch_execz .LBB2_11852
.LBB2_11851:
	v_bfe_u32 v2, v8, 8, 3
	v_ffbh_u32_e32 v7, v2
	v_min_u32_e32 v7, 32, v7
	v_lshrrev_b16_e32 v6, 3, v3
	v_subrev_u32_e32 v12, 28, v7
	v_and_b32_e32 v6, 15, v6
	v_lshlrev_b32_e32 v3, v12, v3
	v_sub_u32_e32 v7, 29, v7
	v_and_b32_e32 v3, 7, v3
	v_cmp_eq_u16_e32 vcc, 0, v6
	v_cndmask_b32_e32 v2, v2, v3, vcc
	v_cndmask_b32_e32 v3, v6, v7, vcc
	v_lshlrev_b32_e32 v6, 16, v8
	v_mov_b32_e32 v7, 0x3b800000
	v_lshlrev_b32_e32 v2, 20, v2
	v_and_b32_e32 v6, 0x80000000, v6
	v_lshl_add_u32 v3, v3, 23, v7
	v_or3_b32 v2, v6, v3, v2
.LBB2_11852:
	s_or_b64 exec, exec, s[6:7]
	v_lshrrev_b32_e32 v3, 8, v4
	s_movk_i32 s4, 0x7f
	v_cmp_gt_i16_sdwa s[6:7], v3, s4 src0_sel:BYTE_0 src1_sel:DWORD
	s_mov_b64 s[4:5], 0
                                        ; implicit-def: $sgpr10
	s_and_saveexec_b64 s[8:9], s[6:7]
	s_xor_b64 s[6:7], exec, s[8:9]
	s_cbranch_execz .LBB2_11853
; %bb.47693:
	s_getpc_b64 s[14:15]
.Lpost_getpc27430:
	s_add_u32 s14, s14, (.LBB2_26189-.Lpost_getpc27430)&4294967295
	s_addc_u32 s15, s15, (.LBB2_26189-.Lpost_getpc27430)>>32
	s_setpc_b64 s[14:15]
.LBB2_11853:
	s_or_saveexec_b64 s[6:7], s[6:7]
	v_mov_b32_e32 v6, s10
	s_xor_b64 exec, exec, s[6:7]
	s_cbranch_execz .LBB2_11854
; %bb.47695:
	s_getpc_b64 s[14:15]
.Lpost_getpc27431:
	s_add_u32 s14, s14, (.LBB2_26192-.Lpost_getpc27431)&4294967295
	s_addc_u32 s15, s15, (.LBB2_26192-.Lpost_getpc27431)>>32
	s_setpc_b64 s[14:15]
.LBB2_11854:
	s_or_b64 exec, exec, s[6:7]
	s_and_saveexec_b64 s[6:7], s[4:5]
	s_cbranch_execz .LBB2_11856
.LBB2_11855:
	v_bfe_u32 v6, v4, 8, 3
	v_ffbh_u32_e32 v12, v6
	v_min_u32_e32 v12, 32, v12
	v_lshrrev_b16_e32 v7, 3, v3
	v_subrev_u32_e32 v13, 28, v12
	v_and_b32_e32 v7, 15, v7
	v_lshlrev_b32_e32 v3, v13, v3
	v_sub_u32_e32 v12, 29, v12
	v_and_b32_e32 v3, 7, v3
	v_cmp_eq_u16_e32 vcc, 0, v7
	v_cndmask_b32_e32 v3, v6, v3, vcc
	v_cndmask_b32_e32 v6, v7, v12, vcc
	v_lshlrev_b32_e32 v7, 16, v4
	v_mov_b32_e32 v12, 0x3b800000
	v_lshlrev_b32_e32 v3, 20, v3
	v_and_b32_e32 v7, 0x80000000, v7
	v_lshl_add_u32 v6, v6, 23, v12
	v_or3_b32 v6, v7, v6, v3
.LBB2_11856:
	s_or_b64 exec, exec, s[6:7]
	s_nop 0
	v_mfma_f32_16x16x4f32 a[0:3], v2, v6, a[0:3]
	s_movk_i32 s4, 0xff
	v_and_b32_sdwa v3, v8, s4 dst_sel:DWORD dst_unused:UNUSED_PAD src0_sel:WORD_1 src1_sel:DWORD
	s_movk_i32 s4, 0x7f
	v_cmp_lt_i16_e32 vcc, s4, v3
	s_mov_b64 s[4:5], 0
                                        ; implicit-def: $sgpr10
	s_and_saveexec_b64 s[6:7], vcc
	s_xor_b64 s[6:7], exec, s[6:7]
	s_cbranch_execz .LBB2_11857
; %bb.47697:
	s_getpc_b64 s[14:15]
.Lpost_getpc27432:
	s_add_u32 s14, s14, (.LBB2_26193-.Lpost_getpc27432)&4294967295
	s_addc_u32 s15, s15, (.LBB2_26193-.Lpost_getpc27432)>>32
	s_setpc_b64 s[14:15]
.LBB2_11857:
	s_or_saveexec_b64 s[6:7], s[6:7]
	v_mov_b32_e32 v2, s10
	s_xor_b64 exec, exec, s[6:7]
	s_cbranch_execz .LBB2_11858
; %bb.47699:
	s_getpc_b64 s[14:15]
.Lpost_getpc27433:
	s_add_u32 s14, s14, (.LBB2_26196-.Lpost_getpc27433)&4294967295
	s_addc_u32 s15, s15, (.LBB2_26196-.Lpost_getpc27433)>>32
	s_setpc_b64 s[14:15]
.LBB2_11858:
	s_or_b64 exec, exec, s[6:7]
	s_and_saveexec_b64 s[6:7], s[4:5]
	s_cbranch_execz .LBB2_11860
.LBB2_11859:
	v_bfe_u32 v2, v8, 16, 3
	v_ffbh_u32_e32 v7, v2
	v_min_u32_e32 v7, 32, v7
	v_lshrrev_b32_e32 v3, 19, v8
	v_subrev_u32_e32 v12, 28, v7
	v_and_b32_e32 v3, 15, v3
	v_lshlrev_b32_sdwa v12, v12, v8 dst_sel:DWORD dst_unused:UNUSED_PAD src0_sel:DWORD src1_sel:WORD_1
	v_bfe_u32 v6, v8, 19, 4
	v_sub_u32_e32 v7, 29, v7
	v_and_b32_e32 v12, 7, v12
	v_cmp_eq_u16_e32 vcc, 0, v3
	v_cndmask_b32_e32 v2, v2, v12, vcc
	v_cndmask_b32_e32 v3, v6, v7, vcc
	v_lshlrev_b32_e32 v6, 8, v8
	v_mov_b32_e32 v7, 0x3b800000
	v_lshlrev_b32_e32 v2, 20, v2
	v_and_b32_e32 v6, 0x80000000, v6
	v_lshl_add_u32 v3, v3, 23, v7
	v_or3_b32 v2, v6, v3, v2
.LBB2_11860:
	s_or_b64 exec, exec, s[6:7]
	s_movk_i32 s4, 0xff
	v_and_b32_sdwa v3, v4, s4 dst_sel:DWORD dst_unused:UNUSED_PAD src0_sel:WORD_1 src1_sel:DWORD
	s_movk_i32 s4, 0x7f
	v_cmp_lt_i16_e32 vcc, s4, v3
	s_mov_b64 s[4:5], 0
                                        ; implicit-def: $sgpr10
	s_and_saveexec_b64 s[6:7], vcc
	s_xor_b64 s[6:7], exec, s[6:7]
	s_cbranch_execz .LBB2_11861
; %bb.47701:
	s_getpc_b64 s[14:15]
.Lpost_getpc27434:
	s_add_u32 s14, s14, (.LBB2_26197-.Lpost_getpc27434)&4294967295
	s_addc_u32 s15, s15, (.LBB2_26197-.Lpost_getpc27434)>>32
	s_setpc_b64 s[14:15]
.LBB2_11861:
	s_or_saveexec_b64 s[6:7], s[6:7]
	v_mov_b32_e32 v6, s10
	s_xor_b64 exec, exec, s[6:7]
	s_cbranch_execz .LBB2_11862
; %bb.47703:
	s_getpc_b64 s[14:15]
.Lpost_getpc27435:
	s_add_u32 s14, s14, (.LBB2_26200-.Lpost_getpc27435)&4294967295
	s_addc_u32 s15, s15, (.LBB2_26200-.Lpost_getpc27435)>>32
	s_setpc_b64 s[14:15]
.LBB2_11862:
	s_or_b64 exec, exec, s[6:7]
	s_and_saveexec_b64 s[6:7], s[4:5]
	s_cbranch_execz .LBB2_11864
.LBB2_11863:
	v_bfe_u32 v3, v4, 16, 3
	v_ffbh_u32_e32 v12, v3
	v_min_u32_e32 v12, 32, v12
	v_lshrrev_b32_e32 v6, 19, v4
	v_subrev_u32_e32 v13, 28, v12
	v_and_b32_e32 v6, 15, v6
	v_lshlrev_b32_sdwa v13, v13, v4 dst_sel:DWORD dst_unused:UNUSED_PAD src0_sel:DWORD src1_sel:WORD_1
	v_bfe_u32 v7, v4, 19, 4
	v_sub_u32_e32 v12, 29, v12
	v_and_b32_e32 v13, 7, v13
	v_cmp_eq_u16_e32 vcc, 0, v6
	v_cndmask_b32_e32 v3, v3, v13, vcc
	v_cndmask_b32_e32 v6, v7, v12, vcc
	v_lshlrev_b32_e32 v7, 8, v4
	v_mov_b32_e32 v12, 0x3b800000
	v_lshlrev_b32_e32 v3, 20, v3
	v_and_b32_e32 v7, 0x80000000, v7
	v_lshl_add_u32 v6, v6, 23, v12
	v_or3_b32 v6, v7, v6, v3
.LBB2_11864:
	s_or_b64 exec, exec, s[6:7]
	s_nop 0
	v_mfma_f32_16x16x4f32 a[0:3], v2, v6, a[0:3]
	s_movk_i32 s4, 0x7f
	v_cmp_gt_i16_sdwa s[6:7], v8, s4 src0_sel:BYTE_3 src1_sel:DWORD
	s_mov_b64 s[4:5], 0
                                        ; implicit-def: $sgpr10
	s_and_saveexec_b64 s[8:9], s[6:7]
	s_xor_b64 s[6:7], exec, s[8:9]
	s_cbranch_execz .LBB2_11865
; %bb.47705:
	s_getpc_b64 s[14:15]
.Lpost_getpc27436:
	s_add_u32 s14, s14, (.LBB2_26201-.Lpost_getpc27436)&4294967295
	s_addc_u32 s15, s15, (.LBB2_26201-.Lpost_getpc27436)>>32
	s_setpc_b64 s[14:15]
.LBB2_11865:
	s_or_saveexec_b64 s[6:7], s[6:7]
	v_mov_b32_e32 v2, s10
	s_xor_b64 exec, exec, s[6:7]
	s_cbranch_execz .LBB2_11866
; %bb.47707:
	s_getpc_b64 s[14:15]
.Lpost_getpc27437:
	s_add_u32 s14, s14, (.LBB2_26204-.Lpost_getpc27437)&4294967295
	s_addc_u32 s15, s15, (.LBB2_26204-.Lpost_getpc27437)>>32
	s_setpc_b64 s[14:15]
.LBB2_11866:
	s_or_b64 exec, exec, s[6:7]
	s_and_saveexec_b64 s[6:7], s[4:5]
	s_cbranch_execz .LBB2_11868
.LBB2_11867:
	v_bfe_u32 v2, v8, 24, 3
	v_ffbh_u32_e32 v12, v2
	v_min_u32_e32 v12, 32, v12
	v_lshrrev_b32_e32 v6, 27, v8
	v_subrev_u32_e32 v13, 28, v12
	v_and_b32_e32 v3, 0x80000000, v8
	v_and_b32_e32 v6, 15, v6
	v_bfe_u32 v7, v8, 27, 4
	v_lshlrev_b32_sdwa v8, v13, v8 dst_sel:DWORD dst_unused:UNUSED_PAD src0_sel:DWORD src1_sel:BYTE_3
	v_sub_u32_e32 v12, 29, v12
	v_and_b32_e32 v8, 7, v8
	v_cmp_eq_u16_e32 vcc, 0, v6
	v_cndmask_b32_e32 v2, v2, v8, vcc
	v_cndmask_b32_e32 v6, v7, v12, vcc
	v_mov_b32_e32 v7, 0x3b800000
	v_lshlrev_b32_e32 v2, 20, v2
	v_lshl_add_u32 v6, v6, 23, v7
	v_or3_b32 v2, v3, v6, v2
.LBB2_11868:
	s_or_b64 exec, exec, s[6:7]
	s_movk_i32 s4, 0x7f
	v_cmp_gt_i16_sdwa s[6:7], v4, s4 src0_sel:BYTE_3 src1_sel:DWORD
	s_mov_b64 s[4:5], 0
                                        ; implicit-def: $sgpr10
	s_and_saveexec_b64 s[8:9], s[6:7]
	s_xor_b64 s[6:7], exec, s[8:9]
	s_cbranch_execz .LBB2_11869
; %bb.47709:
	s_getpc_b64 s[14:15]
.Lpost_getpc27438:
	s_add_u32 s14, s14, (.LBB2_26205-.Lpost_getpc27438)&4294967295
	s_addc_u32 s15, s15, (.LBB2_26205-.Lpost_getpc27438)>>32
	s_setpc_b64 s[14:15]
.LBB2_11869:
	s_or_saveexec_b64 s[6:7], s[6:7]
	v_mov_b32_e32 v3, s10
	s_xor_b64 exec, exec, s[6:7]
	s_cbranch_execz .LBB2_11870
; %bb.47711:
	s_getpc_b64 s[14:15]
.Lpost_getpc27439:
	s_add_u32 s14, s14, (.LBB2_26208-.Lpost_getpc27439)&4294967295
	s_addc_u32 s15, s15, (.LBB2_26208-.Lpost_getpc27439)>>32
	s_setpc_b64 s[14:15]
.LBB2_11870:
	s_or_b64 exec, exec, s[6:7]
	s_and_saveexec_b64 s[6:7], s[4:5]
	s_cbranch_execz .LBB2_11872
.LBB2_11871:
	v_bfe_u32 v3, v4, 24, 3
	v_ffbh_u32_e32 v12, v3
	v_min_u32_e32 v12, 32, v12
	v_lshrrev_b32_e32 v7, 27, v4
	v_subrev_u32_e32 v13, 28, v12
	v_and_b32_e32 v6, 0x80000000, v4
	v_and_b32_e32 v7, 15, v7
	v_bfe_u32 v8, v4, 27, 4
	v_lshlrev_b32_sdwa v4, v13, v4 dst_sel:DWORD dst_unused:UNUSED_PAD src0_sel:DWORD src1_sel:BYTE_3
	v_sub_u32_e32 v12, 29, v12
	v_and_b32_e32 v4, 7, v4
	v_cmp_eq_u16_e32 vcc, 0, v7
	v_cndmask_b32_e32 v3, v3, v4, vcc
	v_cndmask_b32_e32 v4, v8, v12, vcc
	v_mov_b32_e32 v7, 0x3b800000
	v_lshlrev_b32_e32 v3, 20, v3
	v_lshl_add_u32 v4, v4, 23, v7
	v_or3_b32 v3, v6, v4, v3
.LBB2_11872:
	s_or_b64 exec, exec, s[6:7]
	s_nop 0
	v_mfma_f32_16x16x4f32 a[0:3], v2, v3, a[0:3]
	s_movk_i32 s4, 0x7f
	v_cmp_gt_i16_sdwa s[6:7], v9, s4 src0_sel:BYTE_0 src1_sel:DWORD
	s_mov_b64 s[4:5], 0
                                        ; implicit-def: $sgpr10
	s_and_saveexec_b64 s[8:9], s[6:7]
	s_xor_b64 s[6:7], exec, s[8:9]
	s_cbranch_execz .LBB2_11873
; %bb.47713:
	s_getpc_b64 s[14:15]
.Lpost_getpc27440:
	s_add_u32 s14, s14, (.LBB2_26209-.Lpost_getpc27440)&4294967295
	s_addc_u32 s15, s15, (.LBB2_26209-.Lpost_getpc27440)>>32
	s_setpc_b64 s[14:15]
.LBB2_11873:
	s_or_saveexec_b64 s[6:7], s[6:7]
	v_mov_b32_e32 v2, s10
	s_xor_b64 exec, exec, s[6:7]
	s_cbranch_execz .LBB2_11874
; %bb.47715:
	s_getpc_b64 s[14:15]
.Lpost_getpc27441:
	s_add_u32 s14, s14, (.LBB2_26212-.Lpost_getpc27441)&4294967295
	s_addc_u32 s15, s15, (.LBB2_26212-.Lpost_getpc27441)>>32
	s_setpc_b64 s[14:15]
.LBB2_11874:
	s_or_b64 exec, exec, s[6:7]
	s_and_saveexec_b64 s[6:7], s[4:5]
	s_cbranch_execz .LBB2_11876
.LBB2_11875:
	v_mov_b32_e32 v2, 8
	v_and_b32_e32 v3, 7, v9
	v_lshrrev_b32_sdwa v2, v2, v9 dst_sel:BYTE_1 dst_unused:UNUSED_PAD src0_sel:DWORD src1_sel:DWORD
	v_ffbh_u32_e32 v4, v3
	v_or_b32_sdwa v2, v9, v2 dst_sel:DWORD dst_unused:UNUSED_PAD src0_sel:BYTE_0 src1_sel:DWORD
	v_min_u32_e32 v4, 32, v4
	v_lshrrev_b16_e32 v2, 3, v2
	v_subrev_u32_e32 v6, 28, v4
	v_and_b32_e32 v2, 15, v2
	v_lshlrev_b32_e32 v6, v6, v9
	v_sub_u32_e32 v4, 29, v4
	v_and_b32_e32 v6, 7, v6
	v_cmp_eq_u16_e32 vcc, 0, v2
	v_cndmask_b32_e32 v3, v3, v6, vcc
	v_cndmask_b32_e32 v2, v2, v4, vcc
	v_lshlrev_b32_e32 v4, 24, v9
	v_mov_b32_e32 v6, 0x3b800000
	v_lshlrev_b32_e32 v3, 20, v3
	v_and_b32_e32 v4, 0x80000000, v4
	v_lshl_add_u32 v2, v2, 23, v6
	v_or3_b32 v2, v4, v2, v3
.LBB2_11876:
	s_or_b64 exec, exec, s[6:7]
	s_movk_i32 s4, 0x7f
	v_cmp_gt_i16_sdwa s[6:7], v5, s4 src0_sel:BYTE_0 src1_sel:DWORD
	s_mov_b64 s[4:5], 0
                                        ; implicit-def: $sgpr10
	s_and_saveexec_b64 s[8:9], s[6:7]
	s_xor_b64 s[6:7], exec, s[8:9]
	s_cbranch_execz .LBB2_11877
; %bb.47717:
	s_getpc_b64 s[14:15]
.Lpost_getpc27442:
	s_add_u32 s14, s14, (.LBB2_26213-.Lpost_getpc27442)&4294967295
	s_addc_u32 s15, s15, (.LBB2_26213-.Lpost_getpc27442)>>32
	s_setpc_b64 s[14:15]
.LBB2_11877:
	s_or_saveexec_b64 s[6:7], s[6:7]
	v_mov_b32_e32 v3, s10
	s_xor_b64 exec, exec, s[6:7]
	s_cbranch_execz .LBB2_11878
; %bb.47719:
	s_getpc_b64 s[14:15]
.Lpost_getpc27443:
	s_add_u32 s14, s14, (.LBB2_26216-.Lpost_getpc27443)&4294967295
	s_addc_u32 s15, s15, (.LBB2_26216-.Lpost_getpc27443)>>32
	s_setpc_b64 s[14:15]
.LBB2_11878:
	s_or_b64 exec, exec, s[6:7]
	s_and_saveexec_b64 s[6:7], s[4:5]
	s_cbranch_execz .LBB2_11880
.LBB2_11879:
	v_mov_b32_e32 v3, 8
	v_and_b32_e32 v4, 7, v5
	v_lshrrev_b32_sdwa v3, v3, v5 dst_sel:BYTE_1 dst_unused:UNUSED_PAD src0_sel:DWORD src1_sel:DWORD
	v_ffbh_u32_e32 v6, v4
	v_or_b32_sdwa v3, v5, v3 dst_sel:DWORD dst_unused:UNUSED_PAD src0_sel:BYTE_0 src1_sel:DWORD
	v_min_u32_e32 v6, 32, v6
	v_lshrrev_b16_e32 v3, 3, v3
	v_subrev_u32_e32 v7, 28, v6
	v_and_b32_e32 v3, 15, v3
	v_lshlrev_b32_e32 v7, v7, v5
	v_sub_u32_e32 v6, 29, v6
	v_and_b32_e32 v7, 7, v7
	v_cmp_eq_u16_e32 vcc, 0, v3
	v_cndmask_b32_e32 v4, v4, v7, vcc
	v_cndmask_b32_e32 v3, v3, v6, vcc
	v_lshlrev_b32_e32 v6, 24, v5
	v_mov_b32_e32 v7, 0x3b800000
	v_lshlrev_b32_e32 v4, 20, v4
	v_and_b32_e32 v6, 0x80000000, v6
	v_lshl_add_u32 v3, v3, 23, v7
	v_or3_b32 v3, v6, v3, v4
.LBB2_11880:
	s_or_b64 exec, exec, s[6:7]
	s_nop 0
	v_mfma_f32_16x16x4f32 a[0:3], v2, v3, a[0:3]
	v_lshrrev_b32_e32 v3, 8, v9
	s_movk_i32 s4, 0x7f
	v_cmp_gt_i16_sdwa s[6:7], v3, s4 src0_sel:BYTE_0 src1_sel:DWORD
	s_mov_b64 s[4:5], 0
                                        ; implicit-def: $sgpr10
	s_and_saveexec_b64 s[8:9], s[6:7]
	s_xor_b64 s[6:7], exec, s[8:9]
	s_cbranch_execz .LBB2_11881
; %bb.47721:
	s_getpc_b64 s[14:15]
.Lpost_getpc27444:
	s_add_u32 s14, s14, (.LBB2_26217-.Lpost_getpc27444)&4294967295
	s_addc_u32 s15, s15, (.LBB2_26217-.Lpost_getpc27444)>>32
	s_setpc_b64 s[14:15]
.LBB2_11881:
	s_or_saveexec_b64 s[6:7], s[6:7]
	v_mov_b32_e32 v2, s10
	s_xor_b64 exec, exec, s[6:7]
	s_cbranch_execz .LBB2_11882
; %bb.47723:
	s_getpc_b64 s[14:15]
.Lpost_getpc27445:
	s_add_u32 s14, s14, (.LBB2_26220-.Lpost_getpc27445)&4294967295
	s_addc_u32 s15, s15, (.LBB2_26220-.Lpost_getpc27445)>>32
	s_setpc_b64 s[14:15]
.LBB2_11882:
	s_or_b64 exec, exec, s[6:7]
	s_and_saveexec_b64 s[6:7], s[4:5]
	s_cbranch_execz .LBB2_11884
.LBB2_11883:
	v_bfe_u32 v2, v9, 8, 3
	v_ffbh_u32_e32 v6, v2
	v_min_u32_e32 v6, 32, v6
	v_lshrrev_b16_e32 v4, 3, v3
	v_subrev_u32_e32 v7, 28, v6
	v_and_b32_e32 v4, 15, v4
	v_lshlrev_b32_e32 v3, v7, v3
	v_sub_u32_e32 v6, 29, v6
	v_and_b32_e32 v3, 7, v3
	v_cmp_eq_u16_e32 vcc, 0, v4
	v_cndmask_b32_e32 v2, v2, v3, vcc
	v_cndmask_b32_e32 v3, v4, v6, vcc
	v_lshlrev_b32_e32 v4, 16, v9
	v_mov_b32_e32 v6, 0x3b800000
	v_lshlrev_b32_e32 v2, 20, v2
	v_and_b32_e32 v4, 0x80000000, v4
	v_lshl_add_u32 v3, v3, 23, v6
	v_or3_b32 v2, v4, v3, v2
.LBB2_11884:
	s_or_b64 exec, exec, s[6:7]
	v_lshrrev_b32_e32 v3, 8, v5
	s_movk_i32 s4, 0x7f
	v_cmp_gt_i16_sdwa s[6:7], v3, s4 src0_sel:BYTE_0 src1_sel:DWORD
	s_mov_b64 s[4:5], 0
                                        ; implicit-def: $sgpr10
	s_and_saveexec_b64 s[8:9], s[6:7]
	s_xor_b64 s[6:7], exec, s[8:9]
	s_cbranch_execz .LBB2_11885
; %bb.47725:
	s_getpc_b64 s[14:15]
.Lpost_getpc27446:
	s_add_u32 s14, s14, (.LBB2_26221-.Lpost_getpc27446)&4294967295
	s_addc_u32 s15, s15, (.LBB2_26221-.Lpost_getpc27446)>>32
	s_setpc_b64 s[14:15]
.LBB2_11885:
	s_or_saveexec_b64 s[6:7], s[6:7]
	v_mov_b32_e32 v4, s10
	s_xor_b64 exec, exec, s[6:7]
	s_cbranch_execz .LBB2_11886
; %bb.47727:
	s_getpc_b64 s[14:15]
.Lpost_getpc27447:
	s_add_u32 s14, s14, (.LBB2_26224-.Lpost_getpc27447)&4294967295
	s_addc_u32 s15, s15, (.LBB2_26224-.Lpost_getpc27447)>>32
	s_setpc_b64 s[14:15]
.LBB2_11886:
	s_or_b64 exec, exec, s[6:7]
	s_and_saveexec_b64 s[6:7], s[4:5]
	s_cbranch_execz .LBB2_11888
.LBB2_11887:
	v_bfe_u32 v4, v5, 8, 3
	v_ffbh_u32_e32 v7, v4
	v_min_u32_e32 v7, 32, v7
	v_lshrrev_b16_e32 v6, 3, v3
	v_subrev_u32_e32 v8, 28, v7
	v_and_b32_e32 v6, 15, v6
	v_lshlrev_b32_e32 v3, v8, v3
	v_sub_u32_e32 v7, 29, v7
	v_and_b32_e32 v3, 7, v3
	v_cmp_eq_u16_e32 vcc, 0, v6
	v_cndmask_b32_e32 v3, v4, v3, vcc
	v_cndmask_b32_e32 v4, v6, v7, vcc
	v_lshlrev_b32_e32 v6, 16, v5
	v_mov_b32_e32 v7, 0x3b800000
	v_lshlrev_b32_e32 v3, 20, v3
	v_and_b32_e32 v6, 0x80000000, v6
	v_lshl_add_u32 v4, v4, 23, v7
	v_or3_b32 v4, v6, v4, v3
.LBB2_11888:
	s_or_b64 exec, exec, s[6:7]
	s_nop 0
	v_mfma_f32_16x16x4f32 a[0:3], v2, v4, a[0:3]
	s_movk_i32 s4, 0xff
	v_and_b32_sdwa v3, v9, s4 dst_sel:DWORD dst_unused:UNUSED_PAD src0_sel:WORD_1 src1_sel:DWORD
	s_movk_i32 s4, 0x7f
	v_cmp_lt_i16_e32 vcc, s4, v3
	s_mov_b64 s[4:5], 0
                                        ; implicit-def: $sgpr10
	s_and_saveexec_b64 s[6:7], vcc
	s_xor_b64 s[6:7], exec, s[6:7]
	s_cbranch_execz .LBB2_11889
; %bb.47729:
	s_getpc_b64 s[14:15]
.Lpost_getpc27448:
	s_add_u32 s14, s14, (.LBB2_26225-.Lpost_getpc27448)&4294967295
	s_addc_u32 s15, s15, (.LBB2_26225-.Lpost_getpc27448)>>32
	s_setpc_b64 s[14:15]
.LBB2_11889:
	s_or_saveexec_b64 s[6:7], s[6:7]
	v_mov_b32_e32 v2, s10
	s_xor_b64 exec, exec, s[6:7]
	s_cbranch_execz .LBB2_11890
; %bb.47731:
	s_getpc_b64 s[14:15]
.Lpost_getpc27449:
	s_add_u32 s14, s14, (.LBB2_26228-.Lpost_getpc27449)&4294967295
	s_addc_u32 s15, s15, (.LBB2_26228-.Lpost_getpc27449)>>32
	s_setpc_b64 s[14:15]
.LBB2_11890:
	s_or_b64 exec, exec, s[6:7]
	s_and_saveexec_b64 s[6:7], s[4:5]
	s_cbranch_execz .LBB2_11892
.LBB2_11891:
	v_bfe_u32 v2, v9, 16, 3
	v_ffbh_u32_e32 v6, v2
	v_min_u32_e32 v6, 32, v6
	v_lshrrev_b32_e32 v3, 19, v9
	v_subrev_u32_e32 v7, 28, v6
	v_and_b32_e32 v3, 15, v3
	v_lshlrev_b32_sdwa v7, v7, v9 dst_sel:DWORD dst_unused:UNUSED_PAD src0_sel:DWORD src1_sel:WORD_1
	v_bfe_u32 v4, v9, 19, 4
	v_sub_u32_e32 v6, 29, v6
	v_and_b32_e32 v7, 7, v7
	v_cmp_eq_u16_e32 vcc, 0, v3
	v_cndmask_b32_e32 v2, v2, v7, vcc
	v_cndmask_b32_e32 v3, v4, v6, vcc
	v_lshlrev_b32_e32 v4, 8, v9
	v_mov_b32_e32 v6, 0x3b800000
	v_lshlrev_b32_e32 v2, 20, v2
	v_and_b32_e32 v4, 0x80000000, v4
	v_lshl_add_u32 v3, v3, 23, v6
	v_or3_b32 v2, v4, v3, v2
.LBB2_11892:
	s_or_b64 exec, exec, s[6:7]
	s_movk_i32 s4, 0xff
	v_and_b32_sdwa v3, v5, s4 dst_sel:DWORD dst_unused:UNUSED_PAD src0_sel:WORD_1 src1_sel:DWORD
	s_movk_i32 s4, 0x7f
	v_cmp_lt_i16_e32 vcc, s4, v3
	s_mov_b64 s[4:5], 0
                                        ; implicit-def: $sgpr10
	s_and_saveexec_b64 s[6:7], vcc
	s_xor_b64 s[6:7], exec, s[6:7]
	s_cbranch_execz .LBB2_11893
; %bb.47733:
	s_getpc_b64 s[14:15]
.Lpost_getpc27450:
	s_add_u32 s14, s14, (.LBB2_26229-.Lpost_getpc27450)&4294967295
	s_addc_u32 s15, s15, (.LBB2_26229-.Lpost_getpc27450)>>32
	s_setpc_b64 s[14:15]
.LBB2_11893:
	s_or_saveexec_b64 s[6:7], s[6:7]
	v_mov_b32_e32 v4, s10
	s_xor_b64 exec, exec, s[6:7]
	s_cbranch_execz .LBB2_11894
; %bb.47735:
	s_getpc_b64 s[14:15]
.Lpost_getpc27451:
	s_add_u32 s14, s14, (.LBB2_26232-.Lpost_getpc27451)&4294967295
	s_addc_u32 s15, s15, (.LBB2_26232-.Lpost_getpc27451)>>32
	s_setpc_b64 s[14:15]
.LBB2_11894:
	s_or_b64 exec, exec, s[6:7]
	s_and_saveexec_b64 s[6:7], s[4:5]
	s_cbranch_execz .LBB2_11896
.LBB2_11895:
	v_bfe_u32 v3, v5, 16, 3
	v_ffbh_u32_e32 v7, v3
	v_min_u32_e32 v7, 32, v7
	v_lshrrev_b32_e32 v4, 19, v5
	v_subrev_u32_e32 v8, 28, v7
	v_and_b32_e32 v4, 15, v4
	v_lshlrev_b32_sdwa v8, v8, v5 dst_sel:DWORD dst_unused:UNUSED_PAD src0_sel:DWORD src1_sel:WORD_1
	v_bfe_u32 v6, v5, 19, 4
	v_sub_u32_e32 v7, 29, v7
	v_and_b32_e32 v8, 7, v8
	v_cmp_eq_u16_e32 vcc, 0, v4
	v_cndmask_b32_e32 v3, v3, v8, vcc
	v_cndmask_b32_e32 v4, v6, v7, vcc
	v_lshlrev_b32_e32 v6, 8, v5
	v_mov_b32_e32 v7, 0x3b800000
	v_lshlrev_b32_e32 v3, 20, v3
	v_and_b32_e32 v6, 0x80000000, v6
	v_lshl_add_u32 v4, v4, 23, v7
	v_or3_b32 v4, v6, v4, v3
.LBB2_11896:
	s_or_b64 exec, exec, s[6:7]
	s_nop 0
	v_mfma_f32_16x16x4f32 a[0:3], v2, v4, a[0:3]
	s_movk_i32 s4, 0x7f
	v_cmp_gt_i16_sdwa s[6:7], v9, s4 src0_sel:BYTE_3 src1_sel:DWORD
	s_mov_b64 s[4:5], 0
                                        ; implicit-def: $sgpr10
	s_and_saveexec_b64 s[8:9], s[6:7]
	s_xor_b64 s[6:7], exec, s[8:9]
	s_cbranch_execz .LBB2_11897
; %bb.47737:
	s_getpc_b64 s[14:15]
.Lpost_getpc27452:
	s_add_u32 s14, s14, (.LBB2_26233-.Lpost_getpc27452)&4294967295
	s_addc_u32 s15, s15, (.LBB2_26233-.Lpost_getpc27452)>>32
	s_setpc_b64 s[14:15]
.LBB2_11897:
	s_or_saveexec_b64 s[6:7], s[6:7]
	v_mov_b32_e32 v2, s10
	s_xor_b64 exec, exec, s[6:7]
	s_cbranch_execz .LBB2_11898
; %bb.47739:
	s_getpc_b64 s[14:15]
.Lpost_getpc27453:
	s_add_u32 s14, s14, (.LBB2_26236-.Lpost_getpc27453)&4294967295
	s_addc_u32 s15, s15, (.LBB2_26236-.Lpost_getpc27453)>>32
	s_setpc_b64 s[14:15]
.LBB2_11898:
	s_or_b64 exec, exec, s[6:7]
	s_and_saveexec_b64 s[6:7], s[4:5]
	s_cbranch_execz .LBB2_11900
.LBB2_11899:
	v_bfe_u32 v2, v9, 24, 3
	v_ffbh_u32_e32 v7, v2
	v_min_u32_e32 v7, 32, v7
	v_lshrrev_b32_e32 v4, 27, v9
	v_subrev_u32_e32 v8, 28, v7
	v_and_b32_e32 v4, 15, v4
	v_lshlrev_b32_sdwa v8, v8, v9 dst_sel:DWORD dst_unused:UNUSED_PAD src0_sel:DWORD src1_sel:BYTE_3
	v_bfe_u32 v6, v9, 27, 4
	v_sub_u32_e32 v7, 29, v7
	v_and_b32_e32 v8, 7, v8
	v_cmp_eq_u16_e32 vcc, 0, v4
	v_cndmask_b32_e32 v2, v2, v8, vcc
	v_cndmask_b32_e32 v4, v6, v7, vcc
	v_mov_b32_e32 v6, 0x3b800000
	v_and_b32_e32 v3, 0x80000000, v9
	v_lshlrev_b32_e32 v2, 20, v2
	v_lshl_add_u32 v4, v4, 23, v6
	v_or3_b32 v2, v3, v4, v2
.LBB2_11900:
	s_or_b64 exec, exec, s[6:7]
	s_movk_i32 s4, 0x7f
	v_cmp_gt_i16_sdwa s[6:7], v5, s4 src0_sel:BYTE_3 src1_sel:DWORD
	s_mov_b64 s[4:5], 0
                                        ; implicit-def: $sgpr10
	s_and_saveexec_b64 s[8:9], s[6:7]
	s_xor_b64 s[6:7], exec, s[8:9]
	s_cbranch_execz .LBB2_11901
; %bb.47741:
	s_getpc_b64 s[14:15]
.Lpost_getpc27454:
	s_add_u32 s14, s14, (.LBB2_26237-.Lpost_getpc27454)&4294967295
	s_addc_u32 s15, s15, (.LBB2_26237-.Lpost_getpc27454)>>32
	s_setpc_b64 s[14:15]
.LBB2_11901:
	s_or_saveexec_b64 s[6:7], s[6:7]
	v_mov_b32_e32 v3, s10
	s_xor_b64 exec, exec, s[6:7]
	s_cbranch_execz .LBB2_11902
; %bb.47743:
	s_getpc_b64 s[14:15]
.Lpost_getpc27455:
	s_add_u32 s14, s14, (.LBB2_26240-.Lpost_getpc27455)&4294967295
	s_addc_u32 s15, s15, (.LBB2_26240-.Lpost_getpc27455)>>32
	s_setpc_b64 s[14:15]
.LBB2_11902:
	s_or_b64 exec, exec, s[6:7]
	s_and_saveexec_b64 s[6:7], s[4:5]
	s_cbranch_execz .LBB2_11904
.LBB2_11903:
	v_bfe_u32 v3, v5, 24, 3
	v_ffbh_u32_e32 v8, v3
	v_min_u32_e32 v8, 32, v8
	v_lshrrev_b32_e32 v6, 27, v5
	v_subrev_u32_e32 v9, 28, v8
	v_and_b32_e32 v4, 0x80000000, v5
	v_and_b32_e32 v6, 15, v6
	v_bfe_u32 v7, v5, 27, 4
	v_lshlrev_b32_sdwa v5, v9, v5 dst_sel:DWORD dst_unused:UNUSED_PAD src0_sel:DWORD src1_sel:BYTE_3
	v_sub_u32_e32 v8, 29, v8
	v_and_b32_e32 v5, 7, v5
	v_cmp_eq_u16_e32 vcc, 0, v6
	v_cndmask_b32_e32 v3, v3, v5, vcc
	v_cndmask_b32_e32 v5, v7, v8, vcc
	v_mov_b32_e32 v6, 0x3b800000
	v_lshlrev_b32_e32 v3, 20, v3
	v_lshl_add_u32 v5, v5, 23, v6
	v_or3_b32 v3, v4, v5, v3
.LBB2_11904:
	s_or_b64 exec, exec, s[6:7]
	s_nop 0
	v_mfma_f32_16x16x4f32 a[0:3], v2, v3, a[0:3]
	s_movk_i32 s4, 0x7f
                                        ; implicit-def: $sgpr10
	s_nop 7
	s_nop 1
	flat_store_dwordx4 v[10:11], a[0:3] offset:576
	flat_load_dwordx4 v[12:15], v[0:1]
	s_nop 0
	flat_load_dwordx2 v[10:11], v[0:1] offset:16
	s_waitcnt vmcnt(0) lgkmcnt(0)
	flat_load_dwordx4 v[6:9], v[12:13] offset:176
	flat_load_dwordx4 v[2:5], v[14:15] offset:208
	s_waitcnt vmcnt(0) lgkmcnt(0)
	v_cmp_gt_i16_sdwa s[6:7], v6, s4 src0_sel:BYTE_0 src1_sel:DWORD
	s_mov_b64 s[4:5], 0
	s_and_saveexec_b64 s[8:9], s[6:7]
	s_xor_b64 s[6:7], exec, s[8:9]
	s_cbranch_execz .LBB2_11905
; %bb.47745:
	s_getpc_b64 s[14:15]
.Lpost_getpc27456:
	s_add_u32 s14, s14, (.LBB2_26241-.Lpost_getpc27456)&4294967295
	s_addc_u32 s15, s15, (.LBB2_26241-.Lpost_getpc27456)>>32
	s_setpc_b64 s[14:15]
.LBB2_11905:
	s_or_saveexec_b64 s[6:7], s[6:7]
	v_mov_b32_e32 v12, s10
	s_xor_b64 exec, exec, s[6:7]
	s_cbranch_execz .LBB2_11906
; %bb.47747:
	s_getpc_b64 s[14:15]
.Lpost_getpc27457:
	s_add_u32 s14, s14, (.LBB2_26244-.Lpost_getpc27457)&4294967295
	s_addc_u32 s15, s15, (.LBB2_26244-.Lpost_getpc27457)>>32
	s_setpc_b64 s[14:15]
.LBB2_11906:
	s_or_b64 exec, exec, s[6:7]
	s_and_saveexec_b64 s[6:7], s[4:5]
	s_cbranch_execz .LBB2_11908
.LBB2_11907:
	v_and_b32_e32 v12, 7, v6
	v_ffbh_u32_e32 v14, v12
	v_min_u32_e32 v14, 32, v14
	v_lshrrev_b16_e32 v13, 3, v6
	v_subrev_u32_e32 v15, 28, v14
	v_and_b32_e32 v13, 15, v13
	v_lshlrev_b32_e32 v15, v15, v6
	v_sub_u32_e32 v14, 29, v14
	v_and_b32_e32 v15, 7, v15
	v_cmp_eq_u16_e32 vcc, 0, v13
	v_cndmask_b32_e32 v12, v12, v15, vcc
	v_cndmask_b32_e32 v13, v13, v14, vcc
	v_lshlrev_b32_e32 v14, 24, v6
	v_mov_b32_e32 v15, 0x3b800000
	v_lshlrev_b32_e32 v12, 20, v12
	v_and_b32_e32 v14, 0x80000000, v14
	v_lshl_add_u32 v13, v13, 23, v15
	v_or3_b32 v12, v14, v13, v12
.LBB2_11908:
	s_or_b64 exec, exec, s[6:7]
	s_movk_i32 s4, 0x7f
	v_cmp_gt_i16_sdwa s[6:7], v2, s4 src0_sel:BYTE_0 src1_sel:DWORD
	s_mov_b64 s[4:5], 0
                                        ; implicit-def: $sgpr10
	s_and_saveexec_b64 s[8:9], s[6:7]
	s_xor_b64 s[6:7], exec, s[8:9]
	s_cbranch_execz .LBB2_11909
; %bb.47749:
	s_getpc_b64 s[14:15]
.Lpost_getpc27458:
	s_add_u32 s14, s14, (.LBB2_26245-.Lpost_getpc27458)&4294967295
	s_addc_u32 s15, s15, (.LBB2_26245-.Lpost_getpc27458)>>32
	s_setpc_b64 s[14:15]
.LBB2_11909:
	s_or_saveexec_b64 s[6:7], s[6:7]
	v_mov_b32_e32 v13, s10
	s_xor_b64 exec, exec, s[6:7]
	s_cbranch_execz .LBB2_11910
; %bb.47751:
	s_getpc_b64 s[14:15]
.Lpost_getpc27459:
	s_add_u32 s14, s14, (.LBB2_26248-.Lpost_getpc27459)&4294967295
	s_addc_u32 s15, s15, (.LBB2_26248-.Lpost_getpc27459)>>32
	s_setpc_b64 s[14:15]
.LBB2_11910:
	s_or_b64 exec, exec, s[6:7]
	s_and_saveexec_b64 s[6:7], s[4:5]
	s_cbranch_execz .LBB2_11912
.LBB2_11911:
	v_and_b32_e32 v13, 7, v2
	v_ffbh_u32_e32 v15, v13
	v_min_u32_e32 v15, 32, v15
	v_lshrrev_b16_e32 v14, 3, v2
	v_subrev_u32_e32 v16, 28, v15
	v_and_b32_e32 v14, 15, v14
	v_lshlrev_b32_e32 v16, v16, v2
	v_sub_u32_e32 v15, 29, v15
	v_and_b32_e32 v16, 7, v16
	v_cmp_eq_u16_e32 vcc, 0, v14
	v_cndmask_b32_e32 v13, v13, v16, vcc
	v_cndmask_b32_e32 v14, v14, v15, vcc
	v_lshlrev_b32_e32 v15, 24, v2
	v_mov_b32_e32 v16, 0x3b800000
	v_lshlrev_b32_e32 v13, 20, v13
	v_and_b32_e32 v15, 0x80000000, v15
	v_lshl_add_u32 v14, v14, 23, v16
	v_or3_b32 v13, v15, v14, v13
.LBB2_11912:
	s_or_b64 exec, exec, s[6:7]
	flat_load_dwordx4 a[0:3], v[10:11] offset:592
	s_movk_i32 s4, 0x7f
                                        ; implicit-def: $sgpr10
	s_waitcnt vmcnt(0) lgkmcnt(0)
	v_mfma_f32_16x16x4f32 a[0:3], v12, v13, a[0:3]
	v_lshrrev_b32_e32 v13, 8, v6
	v_cmp_gt_i16_sdwa s[6:7], v13, s4 src0_sel:BYTE_0 src1_sel:DWORD
	s_mov_b64 s[4:5], 0
	s_and_saveexec_b64 s[8:9], s[6:7]
	s_xor_b64 s[6:7], exec, s[8:9]
	s_cbranch_execz .LBB2_11913
; %bb.47753:
	s_getpc_b64 s[14:15]
.Lpost_getpc27460:
	s_add_u32 s14, s14, (.LBB2_26249-.Lpost_getpc27460)&4294967295
	s_addc_u32 s15, s15, (.LBB2_26249-.Lpost_getpc27460)>>32
	s_setpc_b64 s[14:15]
.LBB2_11913:
	s_or_saveexec_b64 s[6:7], s[6:7]
	v_mov_b32_e32 v12, s10
	s_xor_b64 exec, exec, s[6:7]
	s_cbranch_execz .LBB2_11914
; %bb.47755:
	s_getpc_b64 s[14:15]
.Lpost_getpc27461:
	s_add_u32 s14, s14, (.LBB2_26252-.Lpost_getpc27461)&4294967295
	s_addc_u32 s15, s15, (.LBB2_26252-.Lpost_getpc27461)>>32
	s_setpc_b64 s[14:15]
.LBB2_11914:
	s_or_b64 exec, exec, s[6:7]
	s_and_saveexec_b64 s[6:7], s[4:5]
	s_cbranch_execz .LBB2_11916
.LBB2_11915:
	v_bfe_u32 v12, v6, 8, 3
	v_ffbh_u32_e32 v15, v12
	v_min_u32_e32 v15, 32, v15
	v_lshrrev_b16_e32 v14, 3, v13
	v_subrev_u32_e32 v16, 28, v15
	v_and_b32_e32 v14, 15, v14
	v_lshlrev_b32_e32 v13, v16, v13
	v_sub_u32_e32 v15, 29, v15
	v_and_b32_e32 v13, 7, v13
	v_cmp_eq_u16_e32 vcc, 0, v14
	v_cndmask_b32_e32 v12, v12, v13, vcc
	v_cndmask_b32_e32 v13, v14, v15, vcc
	v_lshlrev_b32_e32 v14, 16, v6
	v_mov_b32_e32 v15, 0x3b800000
	v_lshlrev_b32_e32 v12, 20, v12
	v_and_b32_e32 v14, 0x80000000, v14
	v_lshl_add_u32 v13, v13, 23, v15
	v_or3_b32 v12, v14, v13, v12
.LBB2_11916:
	s_or_b64 exec, exec, s[6:7]
	v_lshrrev_b32_e32 v13, 8, v2
	s_movk_i32 s4, 0x7f
	v_cmp_gt_i16_sdwa s[6:7], v13, s4 src0_sel:BYTE_0 src1_sel:DWORD
	s_mov_b64 s[4:5], 0
                                        ; implicit-def: $sgpr10
	s_and_saveexec_b64 s[8:9], s[6:7]
	s_xor_b64 s[6:7], exec, s[8:9]
	s_cbranch_execz .LBB2_11917
; %bb.47757:
	s_getpc_b64 s[14:15]
.Lpost_getpc27462:
	s_add_u32 s14, s14, (.LBB2_26253-.Lpost_getpc27462)&4294967295
	s_addc_u32 s15, s15, (.LBB2_26253-.Lpost_getpc27462)>>32
	s_setpc_b64 s[14:15]
.LBB2_11917:
	s_or_saveexec_b64 s[6:7], s[6:7]
	v_mov_b32_e32 v14, s10
	s_xor_b64 exec, exec, s[6:7]
	s_cbranch_execz .LBB2_11918
; %bb.47759:
	s_getpc_b64 s[14:15]
.Lpost_getpc27463:
	s_add_u32 s14, s14, (.LBB2_26256-.Lpost_getpc27463)&4294967295
	s_addc_u32 s15, s15, (.LBB2_26256-.Lpost_getpc27463)>>32
	s_setpc_b64 s[14:15]
.LBB2_11918:
	s_or_b64 exec, exec, s[6:7]
	s_and_saveexec_b64 s[6:7], s[4:5]
	s_cbranch_execz .LBB2_11920
.LBB2_11919:
	v_bfe_u32 v14, v2, 8, 3
	v_ffbh_u32_e32 v16, v14
	v_min_u32_e32 v16, 32, v16
	v_lshrrev_b16_e32 v15, 3, v13
	v_subrev_u32_e32 v17, 28, v16
	v_and_b32_e32 v15, 15, v15
	v_lshlrev_b32_e32 v13, v17, v13
	v_sub_u32_e32 v16, 29, v16
	v_and_b32_e32 v13, 7, v13
	v_cmp_eq_u16_e32 vcc, 0, v15
	v_cndmask_b32_e32 v13, v14, v13, vcc
	v_cndmask_b32_e32 v14, v15, v16, vcc
	v_lshlrev_b32_e32 v15, 16, v2
	v_mov_b32_e32 v16, 0x3b800000
	v_lshlrev_b32_e32 v13, 20, v13
	v_and_b32_e32 v15, 0x80000000, v15
	v_lshl_add_u32 v14, v14, 23, v16
	v_or3_b32 v14, v15, v14, v13
.LBB2_11920:
	s_or_b64 exec, exec, s[6:7]
	s_nop 0
	v_mfma_f32_16x16x4f32 a[0:3], v12, v14, a[0:3]
	s_movk_i32 s4, 0xff
	v_and_b32_sdwa v13, v6, s4 dst_sel:DWORD dst_unused:UNUSED_PAD src0_sel:WORD_1 src1_sel:DWORD
	s_movk_i32 s4, 0x7f
	v_cmp_lt_i16_e32 vcc, s4, v13
	s_mov_b64 s[4:5], 0
                                        ; implicit-def: $sgpr10
	s_and_saveexec_b64 s[6:7], vcc
	s_xor_b64 s[6:7], exec, s[6:7]
	s_cbranch_execz .LBB2_11921
; %bb.47761:
	s_getpc_b64 s[14:15]
.Lpost_getpc27464:
	s_add_u32 s14, s14, (.LBB2_26257-.Lpost_getpc27464)&4294967295
	s_addc_u32 s15, s15, (.LBB2_26257-.Lpost_getpc27464)>>32
	s_setpc_b64 s[14:15]
.LBB2_11921:
	s_or_saveexec_b64 s[6:7], s[6:7]
	v_mov_b32_e32 v12, s10
	s_xor_b64 exec, exec, s[6:7]
	s_cbranch_execz .LBB2_11922
; %bb.47763:
	s_getpc_b64 s[14:15]
.Lpost_getpc27465:
	s_add_u32 s14, s14, (.LBB2_26260-.Lpost_getpc27465)&4294967295
	s_addc_u32 s15, s15, (.LBB2_26260-.Lpost_getpc27465)>>32
	s_setpc_b64 s[14:15]
.LBB2_11922:
	s_or_b64 exec, exec, s[6:7]
	s_and_saveexec_b64 s[6:7], s[4:5]
	s_cbranch_execz .LBB2_11924
.LBB2_11923:
	v_bfe_u32 v12, v6, 16, 3
	v_ffbh_u32_e32 v15, v12
	v_min_u32_e32 v15, 32, v15
	v_lshrrev_b32_e32 v13, 19, v6
	v_subrev_u32_e32 v16, 28, v15
	v_and_b32_e32 v13, 15, v13
	v_lshlrev_b32_sdwa v16, v16, v6 dst_sel:DWORD dst_unused:UNUSED_PAD src0_sel:DWORD src1_sel:WORD_1
	v_bfe_u32 v14, v6, 19, 4
	v_sub_u32_e32 v15, 29, v15
	v_and_b32_e32 v16, 7, v16
	v_cmp_eq_u16_e32 vcc, 0, v13
	v_cndmask_b32_e32 v12, v12, v16, vcc
	v_cndmask_b32_e32 v13, v14, v15, vcc
	v_lshlrev_b32_e32 v14, 8, v6
	v_mov_b32_e32 v15, 0x3b800000
	v_lshlrev_b32_e32 v12, 20, v12
	v_and_b32_e32 v14, 0x80000000, v14
	v_lshl_add_u32 v13, v13, 23, v15
	v_or3_b32 v12, v14, v13, v12
.LBB2_11924:
	s_or_b64 exec, exec, s[6:7]
	s_movk_i32 s4, 0xff
	v_and_b32_sdwa v13, v2, s4 dst_sel:DWORD dst_unused:UNUSED_PAD src0_sel:WORD_1 src1_sel:DWORD
	s_movk_i32 s4, 0x7f
	v_cmp_lt_i16_e32 vcc, s4, v13
	s_mov_b64 s[4:5], 0
                                        ; implicit-def: $sgpr10
	s_and_saveexec_b64 s[6:7], vcc
	s_xor_b64 s[6:7], exec, s[6:7]
	s_cbranch_execz .LBB2_11925
; %bb.47765:
	s_getpc_b64 s[14:15]
.Lpost_getpc27466:
	s_add_u32 s14, s14, (.LBB2_26261-.Lpost_getpc27466)&4294967295
	s_addc_u32 s15, s15, (.LBB2_26261-.Lpost_getpc27466)>>32
	s_setpc_b64 s[14:15]
.LBB2_11925:
	s_or_saveexec_b64 s[6:7], s[6:7]
	v_mov_b32_e32 v14, s10
	s_xor_b64 exec, exec, s[6:7]
	s_cbranch_execz .LBB2_11926
; %bb.47767:
	s_getpc_b64 s[14:15]
.Lpost_getpc27467:
	s_add_u32 s14, s14, (.LBB2_26264-.Lpost_getpc27467)&4294967295
	s_addc_u32 s15, s15, (.LBB2_26264-.Lpost_getpc27467)>>32
	s_setpc_b64 s[14:15]
.LBB2_11926:
	s_or_b64 exec, exec, s[6:7]
	s_and_saveexec_b64 s[6:7], s[4:5]
	s_cbranch_execz .LBB2_11928
.LBB2_11927:
	v_bfe_u32 v13, v2, 16, 3
	v_ffbh_u32_e32 v16, v13
	v_min_u32_e32 v16, 32, v16
	v_lshrrev_b32_e32 v14, 19, v2
	v_subrev_u32_e32 v17, 28, v16
	v_and_b32_e32 v14, 15, v14
	v_lshlrev_b32_sdwa v17, v17, v2 dst_sel:DWORD dst_unused:UNUSED_PAD src0_sel:DWORD src1_sel:WORD_1
	v_bfe_u32 v15, v2, 19, 4
	v_sub_u32_e32 v16, 29, v16
	v_and_b32_e32 v17, 7, v17
	v_cmp_eq_u16_e32 vcc, 0, v14
	v_cndmask_b32_e32 v13, v13, v17, vcc
	v_cndmask_b32_e32 v14, v15, v16, vcc
	v_lshlrev_b32_e32 v15, 8, v2
	v_mov_b32_e32 v16, 0x3b800000
	v_lshlrev_b32_e32 v13, 20, v13
	v_and_b32_e32 v15, 0x80000000, v15
	v_lshl_add_u32 v14, v14, 23, v16
	v_or3_b32 v14, v15, v14, v13
.LBB2_11928:
	s_or_b64 exec, exec, s[6:7]
	s_nop 0
	v_mfma_f32_16x16x4f32 a[0:3], v12, v14, a[0:3]
	s_movk_i32 s4, 0x7f
	v_cmp_gt_i16_sdwa s[6:7], v6, s4 src0_sel:BYTE_3 src1_sel:DWORD
	s_mov_b64 s[4:5], 0
                                        ; implicit-def: $sgpr10
	s_and_saveexec_b64 s[8:9], s[6:7]
	s_xor_b64 s[6:7], exec, s[8:9]
	s_cbranch_execz .LBB2_11929
; %bb.47769:
	s_getpc_b64 s[14:15]
.Lpost_getpc27468:
	s_add_u32 s14, s14, (.LBB2_26265-.Lpost_getpc27468)&4294967295
	s_addc_u32 s15, s15, (.LBB2_26265-.Lpost_getpc27468)>>32
	s_setpc_b64 s[14:15]
.LBB2_11929:
	s_or_saveexec_b64 s[6:7], s[6:7]
	v_mov_b32_e32 v12, s10
	s_xor_b64 exec, exec, s[6:7]
	s_cbranch_execz .LBB2_11930
; %bb.47771:
	s_getpc_b64 s[14:15]
.Lpost_getpc27469:
	s_add_u32 s14, s14, (.LBB2_26268-.Lpost_getpc27469)&4294967295
	s_addc_u32 s15, s15, (.LBB2_26268-.Lpost_getpc27469)>>32
	s_setpc_b64 s[14:15]
.LBB2_11930:
	s_or_b64 exec, exec, s[6:7]
	s_and_saveexec_b64 s[6:7], s[4:5]
	s_cbranch_execz .LBB2_11932
.LBB2_11931:
	v_bfe_u32 v12, v6, 24, 3
	v_ffbh_u32_e32 v16, v12
	v_min_u32_e32 v16, 32, v16
	v_lshrrev_b32_e32 v14, 27, v6
	v_subrev_u32_e32 v17, 28, v16
	v_and_b32_e32 v13, 0x80000000, v6
	v_and_b32_e32 v14, 15, v14
	v_bfe_u32 v15, v6, 27, 4
	v_lshlrev_b32_sdwa v6, v17, v6 dst_sel:DWORD dst_unused:UNUSED_PAD src0_sel:DWORD src1_sel:BYTE_3
	v_sub_u32_e32 v16, 29, v16
	v_and_b32_e32 v6, 7, v6
	v_cmp_eq_u16_e32 vcc, 0, v14
	v_cndmask_b32_e32 v6, v12, v6, vcc
	v_cndmask_b32_e32 v12, v15, v16, vcc
	v_mov_b32_e32 v14, 0x3b800000
	v_lshlrev_b32_e32 v6, 20, v6
	v_lshl_add_u32 v12, v12, 23, v14
	v_or3_b32 v12, v13, v12, v6
.LBB2_11932:
	s_or_b64 exec, exec, s[6:7]
	s_movk_i32 s4, 0x7f
	v_cmp_gt_i16_sdwa s[6:7], v2, s4 src0_sel:BYTE_3 src1_sel:DWORD
	s_mov_b64 s[4:5], 0
                                        ; implicit-def: $sgpr10
	s_and_saveexec_b64 s[8:9], s[6:7]
	s_xor_b64 s[6:7], exec, s[8:9]
	s_cbranch_execz .LBB2_11933
; %bb.47773:
	s_getpc_b64 s[14:15]
.Lpost_getpc27470:
	s_add_u32 s14, s14, (.LBB2_26269-.Lpost_getpc27470)&4294967295
	s_addc_u32 s15, s15, (.LBB2_26269-.Lpost_getpc27470)>>32
	s_setpc_b64 s[14:15]
.LBB2_11933:
	s_or_saveexec_b64 s[6:7], s[6:7]
	v_mov_b32_e32 v6, s10
	s_xor_b64 exec, exec, s[6:7]
	s_cbranch_execz .LBB2_11934
; %bb.47775:
	s_getpc_b64 s[14:15]
.Lpost_getpc27471:
	s_add_u32 s14, s14, (.LBB2_26272-.Lpost_getpc27471)&4294967295
	s_addc_u32 s15, s15, (.LBB2_26272-.Lpost_getpc27471)>>32
	s_setpc_b64 s[14:15]
.LBB2_11934:
	s_or_b64 exec, exec, s[6:7]
	s_and_saveexec_b64 s[6:7], s[4:5]
	s_cbranch_execz .LBB2_11936
.LBB2_11935:
	v_bfe_u32 v6, v2, 24, 3
	v_ffbh_u32_e32 v16, v6
	v_min_u32_e32 v16, 32, v16
	v_lshrrev_b32_e32 v14, 27, v2
	v_subrev_u32_e32 v17, 28, v16
	v_and_b32_e32 v13, 0x80000000, v2
	v_and_b32_e32 v14, 15, v14
	v_bfe_u32 v15, v2, 27, 4
	v_lshlrev_b32_sdwa v2, v17, v2 dst_sel:DWORD dst_unused:UNUSED_PAD src0_sel:DWORD src1_sel:BYTE_3
	v_sub_u32_e32 v16, 29, v16
	v_and_b32_e32 v2, 7, v2
	v_cmp_eq_u16_e32 vcc, 0, v14
	v_cndmask_b32_e32 v2, v6, v2, vcc
	v_cndmask_b32_e32 v6, v15, v16, vcc
	v_mov_b32_e32 v14, 0x3b800000
	v_lshlrev_b32_e32 v2, 20, v2
	v_lshl_add_u32 v6, v6, 23, v14
	v_or3_b32 v6, v13, v6, v2
.LBB2_11936:
	s_or_b64 exec, exec, s[6:7]
	s_nop 0
	v_mfma_f32_16x16x4f32 a[0:3], v12, v6, a[0:3]
	s_movk_i32 s4, 0x7f
	v_cmp_gt_i16_sdwa s[6:7], v7, s4 src0_sel:BYTE_0 src1_sel:DWORD
	s_mov_b64 s[4:5], 0
                                        ; implicit-def: $sgpr10
	s_and_saveexec_b64 s[8:9], s[6:7]
	s_xor_b64 s[6:7], exec, s[8:9]
	s_cbranch_execz .LBB2_11937
; %bb.47777:
	s_getpc_b64 s[14:15]
.Lpost_getpc27472:
	s_add_u32 s14, s14, (.LBB2_26273-.Lpost_getpc27472)&4294967295
	s_addc_u32 s15, s15, (.LBB2_26273-.Lpost_getpc27472)>>32
	s_setpc_b64 s[14:15]
.LBB2_11937:
	s_or_saveexec_b64 s[6:7], s[6:7]
	v_mov_b32_e32 v2, s10
	s_xor_b64 exec, exec, s[6:7]
	s_cbranch_execz .LBB2_11938
; %bb.47779:
	s_getpc_b64 s[14:15]
.Lpost_getpc27473:
	s_add_u32 s14, s14, (.LBB2_26276-.Lpost_getpc27473)&4294967295
	s_addc_u32 s15, s15, (.LBB2_26276-.Lpost_getpc27473)>>32
	s_setpc_b64 s[14:15]
.LBB2_11938:
	s_or_b64 exec, exec, s[6:7]
	s_and_saveexec_b64 s[6:7], s[4:5]
	s_cbranch_execz .LBB2_11940
.LBB2_11939:
	v_and_b32_e32 v2, 7, v7
	v_ffbh_u32_e32 v12, v2
	v_min_u32_e32 v12, 32, v12
	v_lshrrev_b16_e32 v6, 3, v7
	v_subrev_u32_e32 v13, 28, v12
	v_and_b32_e32 v6, 15, v6
	v_lshlrev_b32_e32 v13, v13, v7
	v_sub_u32_e32 v12, 29, v12
	v_and_b32_e32 v13, 7, v13
	v_cmp_eq_u16_e32 vcc, 0, v6
	v_cndmask_b32_e32 v2, v2, v13, vcc
	v_cndmask_b32_e32 v6, v6, v12, vcc
	v_lshlrev_b32_e32 v12, 24, v7
	v_mov_b32_e32 v13, 0x3b800000
	v_lshlrev_b32_e32 v2, 20, v2
	v_and_b32_e32 v12, 0x80000000, v12
	v_lshl_add_u32 v6, v6, 23, v13
	v_or3_b32 v2, v12, v6, v2
.LBB2_11940:
	s_or_b64 exec, exec, s[6:7]
	s_movk_i32 s4, 0x7f
	v_cmp_gt_i16_sdwa s[6:7], v3, s4 src0_sel:BYTE_0 src1_sel:DWORD
	s_mov_b64 s[4:5], 0
                                        ; implicit-def: $sgpr10
	s_and_saveexec_b64 s[8:9], s[6:7]
	s_xor_b64 s[6:7], exec, s[8:9]
	s_cbranch_execz .LBB2_11941
; %bb.47781:
	s_getpc_b64 s[14:15]
.Lpost_getpc27474:
	s_add_u32 s14, s14, (.LBB2_26277-.Lpost_getpc27474)&4294967295
	s_addc_u32 s15, s15, (.LBB2_26277-.Lpost_getpc27474)>>32
	s_setpc_b64 s[14:15]
.LBB2_11941:
	s_or_saveexec_b64 s[6:7], s[6:7]
	v_mov_b32_e32 v6, s10
	s_xor_b64 exec, exec, s[6:7]
	s_cbranch_execz .LBB2_11942
; %bb.47783:
	s_getpc_b64 s[14:15]
.Lpost_getpc27475:
	s_add_u32 s14, s14, (.LBB2_26280-.Lpost_getpc27475)&4294967295
	s_addc_u32 s15, s15, (.LBB2_26280-.Lpost_getpc27475)>>32
	s_setpc_b64 s[14:15]
.LBB2_11942:
	s_or_b64 exec, exec, s[6:7]
	s_and_saveexec_b64 s[6:7], s[4:5]
	s_cbranch_execz .LBB2_11944
.LBB2_11943:
	v_and_b32_e32 v6, 7, v3
	v_ffbh_u32_e32 v13, v6
	v_min_u32_e32 v13, 32, v13
	v_lshrrev_b16_e32 v12, 3, v3
	v_subrev_u32_e32 v14, 28, v13
	v_and_b32_e32 v12, 15, v12
	v_lshlrev_b32_e32 v14, v14, v3
	v_sub_u32_e32 v13, 29, v13
	v_and_b32_e32 v14, 7, v14
	v_cmp_eq_u16_e32 vcc, 0, v12
	v_cndmask_b32_e32 v6, v6, v14, vcc
	v_cndmask_b32_e32 v12, v12, v13, vcc
	v_lshlrev_b32_e32 v13, 24, v3
	v_mov_b32_e32 v14, 0x3b800000
	v_lshlrev_b32_e32 v6, 20, v6
	v_and_b32_e32 v13, 0x80000000, v13
	v_lshl_add_u32 v12, v12, 23, v14
	v_or3_b32 v6, v13, v12, v6
.LBB2_11944:
	s_or_b64 exec, exec, s[6:7]
	s_nop 0
	v_mfma_f32_16x16x4f32 a[0:3], v2, v6, a[0:3]
	v_lshrrev_b32_e32 v6, 8, v7
	s_movk_i32 s4, 0x7f
	v_cmp_gt_i16_sdwa s[6:7], v6, s4 src0_sel:BYTE_0 src1_sel:DWORD
	s_mov_b64 s[4:5], 0
                                        ; implicit-def: $sgpr10
	s_and_saveexec_b64 s[8:9], s[6:7]
	s_xor_b64 s[6:7], exec, s[8:9]
	s_cbranch_execz .LBB2_11945
; %bb.47785:
	s_getpc_b64 s[14:15]
.Lpost_getpc27476:
	s_add_u32 s14, s14, (.LBB2_26281-.Lpost_getpc27476)&4294967295
	s_addc_u32 s15, s15, (.LBB2_26281-.Lpost_getpc27476)>>32
	s_setpc_b64 s[14:15]
.LBB2_11945:
	s_or_saveexec_b64 s[6:7], s[6:7]
	v_mov_b32_e32 v2, s10
	s_xor_b64 exec, exec, s[6:7]
	s_cbranch_execz .LBB2_11946
; %bb.47787:
	s_getpc_b64 s[14:15]
.Lpost_getpc27477:
	s_add_u32 s14, s14, (.LBB2_26284-.Lpost_getpc27477)&4294967295
	s_addc_u32 s15, s15, (.LBB2_26284-.Lpost_getpc27477)>>32
	s_setpc_b64 s[14:15]
.LBB2_11946:
	s_or_b64 exec, exec, s[6:7]
	s_and_saveexec_b64 s[6:7], s[4:5]
	s_cbranch_execz .LBB2_11948
.LBB2_11947:
	v_bfe_u32 v2, v7, 8, 3
	v_ffbh_u32_e32 v13, v2
	v_min_u32_e32 v13, 32, v13
	v_lshrrev_b16_e32 v12, 3, v6
	v_subrev_u32_e32 v14, 28, v13
	v_and_b32_e32 v12, 15, v12
	v_lshlrev_b32_e32 v6, v14, v6
	v_sub_u32_e32 v13, 29, v13
	v_and_b32_e32 v6, 7, v6
	v_cmp_eq_u16_e32 vcc, 0, v12
	v_cndmask_b32_e32 v2, v2, v6, vcc
	v_cndmask_b32_e32 v6, v12, v13, vcc
	v_lshlrev_b32_e32 v12, 16, v7
	v_mov_b32_e32 v13, 0x3b800000
	v_lshlrev_b32_e32 v2, 20, v2
	v_and_b32_e32 v12, 0x80000000, v12
	v_lshl_add_u32 v6, v6, 23, v13
	v_or3_b32 v2, v12, v6, v2
.LBB2_11948:
	s_or_b64 exec, exec, s[6:7]
	v_lshrrev_b32_e32 v6, 8, v3
	s_movk_i32 s4, 0x7f
	v_cmp_gt_i16_sdwa s[6:7], v6, s4 src0_sel:BYTE_0 src1_sel:DWORD
	s_mov_b64 s[4:5], 0
                                        ; implicit-def: $sgpr10
	s_and_saveexec_b64 s[8:9], s[6:7]
	s_xor_b64 s[6:7], exec, s[8:9]
	s_cbranch_execz .LBB2_11949
; %bb.47789:
	s_getpc_b64 s[14:15]
.Lpost_getpc27478:
	s_add_u32 s14, s14, (.LBB2_26285-.Lpost_getpc27478)&4294967295
	s_addc_u32 s15, s15, (.LBB2_26285-.Lpost_getpc27478)>>32
	s_setpc_b64 s[14:15]
.LBB2_11949:
	s_or_saveexec_b64 s[6:7], s[6:7]
	v_mov_b32_e32 v12, s10
	s_xor_b64 exec, exec, s[6:7]
	s_cbranch_execz .LBB2_11950
; %bb.47791:
	s_getpc_b64 s[14:15]
.Lpost_getpc27479:
	s_add_u32 s14, s14, (.LBB2_26288-.Lpost_getpc27479)&4294967295
	s_addc_u32 s15, s15, (.LBB2_26288-.Lpost_getpc27479)>>32
	s_setpc_b64 s[14:15]
.LBB2_11950:
	s_or_b64 exec, exec, s[6:7]
	s_and_saveexec_b64 s[6:7], s[4:5]
	s_cbranch_execz .LBB2_11952
.LBB2_11951:
	v_bfe_u32 v12, v3, 8, 3
	v_ffbh_u32_e32 v14, v12
	v_min_u32_e32 v14, 32, v14
	v_lshrrev_b16_e32 v13, 3, v6
	v_subrev_u32_e32 v15, 28, v14
	v_and_b32_e32 v13, 15, v13
	v_lshlrev_b32_e32 v6, v15, v6
	v_sub_u32_e32 v14, 29, v14
	v_and_b32_e32 v6, 7, v6
	v_cmp_eq_u16_e32 vcc, 0, v13
	v_cndmask_b32_e32 v6, v12, v6, vcc
	v_cndmask_b32_e32 v12, v13, v14, vcc
	v_lshlrev_b32_e32 v13, 16, v3
	v_mov_b32_e32 v14, 0x3b800000
	v_lshlrev_b32_e32 v6, 20, v6
	v_and_b32_e32 v13, 0x80000000, v13
	v_lshl_add_u32 v12, v12, 23, v14
	v_or3_b32 v12, v13, v12, v6
.LBB2_11952:
	s_or_b64 exec, exec, s[6:7]
	s_nop 0
	v_mfma_f32_16x16x4f32 a[0:3], v2, v12, a[0:3]
	s_movk_i32 s4, 0xff
	v_and_b32_sdwa v6, v7, s4 dst_sel:DWORD dst_unused:UNUSED_PAD src0_sel:WORD_1 src1_sel:DWORD
	s_movk_i32 s4, 0x7f
	v_cmp_lt_i16_e32 vcc, s4, v6
	s_mov_b64 s[4:5], 0
                                        ; implicit-def: $sgpr10
	s_and_saveexec_b64 s[6:7], vcc
	s_xor_b64 s[6:7], exec, s[6:7]
	s_cbranch_execz .LBB2_11953
; %bb.47793:
	s_getpc_b64 s[14:15]
.Lpost_getpc27480:
	s_add_u32 s14, s14, (.LBB2_26289-.Lpost_getpc27480)&4294967295
	s_addc_u32 s15, s15, (.LBB2_26289-.Lpost_getpc27480)>>32
	s_setpc_b64 s[14:15]
.LBB2_11953:
	s_or_saveexec_b64 s[6:7], s[6:7]
	v_mov_b32_e32 v2, s10
	s_xor_b64 exec, exec, s[6:7]
	s_cbranch_execz .LBB2_11954
; %bb.47795:
	s_getpc_b64 s[14:15]
.Lpost_getpc27481:
	s_add_u32 s14, s14, (.LBB2_26292-.Lpost_getpc27481)&4294967295
	s_addc_u32 s15, s15, (.LBB2_26292-.Lpost_getpc27481)>>32
	s_setpc_b64 s[14:15]
.LBB2_11954:
	s_or_b64 exec, exec, s[6:7]
	s_and_saveexec_b64 s[6:7], s[4:5]
	s_cbranch_execz .LBB2_11956
.LBB2_11955:
	v_bfe_u32 v2, v7, 16, 3
	v_ffbh_u32_e32 v13, v2
	v_min_u32_e32 v13, 32, v13
	v_lshrrev_b32_e32 v6, 19, v7
	v_subrev_u32_e32 v14, 28, v13
	v_and_b32_e32 v6, 15, v6
	v_lshlrev_b32_sdwa v14, v14, v7 dst_sel:DWORD dst_unused:UNUSED_PAD src0_sel:DWORD src1_sel:WORD_1
	v_bfe_u32 v12, v7, 19, 4
	v_sub_u32_e32 v13, 29, v13
	v_and_b32_e32 v14, 7, v14
	v_cmp_eq_u16_e32 vcc, 0, v6
	v_cndmask_b32_e32 v2, v2, v14, vcc
	v_cndmask_b32_e32 v6, v12, v13, vcc
	v_lshlrev_b32_e32 v12, 8, v7
	v_mov_b32_e32 v13, 0x3b800000
	v_lshlrev_b32_e32 v2, 20, v2
	v_and_b32_e32 v12, 0x80000000, v12
	v_lshl_add_u32 v6, v6, 23, v13
	v_or3_b32 v2, v12, v6, v2
.LBB2_11956:
	s_or_b64 exec, exec, s[6:7]
	s_movk_i32 s4, 0xff
	v_and_b32_sdwa v6, v3, s4 dst_sel:DWORD dst_unused:UNUSED_PAD src0_sel:WORD_1 src1_sel:DWORD
	s_movk_i32 s4, 0x7f
	v_cmp_lt_i16_e32 vcc, s4, v6
	s_mov_b64 s[4:5], 0
                                        ; implicit-def: $sgpr10
	s_and_saveexec_b64 s[6:7], vcc
	s_xor_b64 s[6:7], exec, s[6:7]
	s_cbranch_execz .LBB2_11957
; %bb.47797:
	s_getpc_b64 s[14:15]
.Lpost_getpc27482:
	s_add_u32 s14, s14, (.LBB2_26293-.Lpost_getpc27482)&4294967295
	s_addc_u32 s15, s15, (.LBB2_26293-.Lpost_getpc27482)>>32
	s_setpc_b64 s[14:15]
.LBB2_11957:
	s_or_saveexec_b64 s[6:7], s[6:7]
	v_mov_b32_e32 v12, s10
	s_xor_b64 exec, exec, s[6:7]
	s_cbranch_execz .LBB2_11958
; %bb.47799:
	s_getpc_b64 s[14:15]
.Lpost_getpc27483:
	s_add_u32 s14, s14, (.LBB2_26296-.Lpost_getpc27483)&4294967295
	s_addc_u32 s15, s15, (.LBB2_26296-.Lpost_getpc27483)>>32
	s_setpc_b64 s[14:15]
.LBB2_11958:
	s_or_b64 exec, exec, s[6:7]
	s_and_saveexec_b64 s[6:7], s[4:5]
	s_cbranch_execz .LBB2_11960
.LBB2_11959:
	v_bfe_u32 v6, v3, 16, 3
	v_ffbh_u32_e32 v14, v6
	v_min_u32_e32 v14, 32, v14
	v_lshrrev_b32_e32 v12, 19, v3
	v_subrev_u32_e32 v15, 28, v14
	v_and_b32_e32 v12, 15, v12
	v_lshlrev_b32_sdwa v15, v15, v3 dst_sel:DWORD dst_unused:UNUSED_PAD src0_sel:DWORD src1_sel:WORD_1
	v_bfe_u32 v13, v3, 19, 4
	v_sub_u32_e32 v14, 29, v14
	v_and_b32_e32 v15, 7, v15
	v_cmp_eq_u16_e32 vcc, 0, v12
	v_cndmask_b32_e32 v6, v6, v15, vcc
	v_cndmask_b32_e32 v12, v13, v14, vcc
	v_lshlrev_b32_e32 v13, 8, v3
	v_mov_b32_e32 v14, 0x3b800000
	v_lshlrev_b32_e32 v6, 20, v6
	v_and_b32_e32 v13, 0x80000000, v13
	v_lshl_add_u32 v12, v12, 23, v14
	v_or3_b32 v12, v13, v12, v6
.LBB2_11960:
	s_or_b64 exec, exec, s[6:7]
	s_nop 0
	v_mfma_f32_16x16x4f32 a[0:3], v2, v12, a[0:3]
	s_movk_i32 s4, 0x7f
	v_cmp_gt_i16_sdwa s[6:7], v7, s4 src0_sel:BYTE_3 src1_sel:DWORD
	s_mov_b64 s[4:5], 0
                                        ; implicit-def: $sgpr10
	s_and_saveexec_b64 s[8:9], s[6:7]
	s_xor_b64 s[6:7], exec, s[8:9]
	s_cbranch_execz .LBB2_11961
; %bb.47801:
	s_getpc_b64 s[14:15]
.Lpost_getpc27484:
	s_add_u32 s14, s14, (.LBB2_26297-.Lpost_getpc27484)&4294967295
	s_addc_u32 s15, s15, (.LBB2_26297-.Lpost_getpc27484)>>32
	s_setpc_b64 s[14:15]
.LBB2_11961:
	s_or_saveexec_b64 s[6:7], s[6:7]
	v_mov_b32_e32 v2, s10
	s_xor_b64 exec, exec, s[6:7]
	s_cbranch_execz .LBB2_11962
; %bb.47803:
	s_getpc_b64 s[14:15]
.Lpost_getpc27485:
	s_add_u32 s14, s14, (.LBB2_26300-.Lpost_getpc27485)&4294967295
	s_addc_u32 s15, s15, (.LBB2_26300-.Lpost_getpc27485)>>32
	s_setpc_b64 s[14:15]
.LBB2_11962:
	s_or_b64 exec, exec, s[6:7]
	s_and_saveexec_b64 s[6:7], s[4:5]
	s_cbranch_execz .LBB2_11964
.LBB2_11963:
	v_bfe_u32 v2, v7, 24, 3
	v_ffbh_u32_e32 v14, v2
	v_min_u32_e32 v14, 32, v14
	v_lshrrev_b32_e32 v12, 27, v7
	v_subrev_u32_e32 v15, 28, v14
	v_and_b32_e32 v6, 0x80000000, v7
	v_and_b32_e32 v12, 15, v12
	v_bfe_u32 v13, v7, 27, 4
	v_lshlrev_b32_sdwa v7, v15, v7 dst_sel:DWORD dst_unused:UNUSED_PAD src0_sel:DWORD src1_sel:BYTE_3
	v_sub_u32_e32 v14, 29, v14
	v_and_b32_e32 v7, 7, v7
	v_cmp_eq_u16_e32 vcc, 0, v12
	v_cndmask_b32_e32 v2, v2, v7, vcc
	v_cndmask_b32_e32 v7, v13, v14, vcc
	v_mov_b32_e32 v12, 0x3b800000
	v_lshlrev_b32_e32 v2, 20, v2
	v_lshl_add_u32 v7, v7, 23, v12
	v_or3_b32 v2, v6, v7, v2
.LBB2_11964:
	s_or_b64 exec, exec, s[6:7]
	s_movk_i32 s4, 0x7f
	v_cmp_gt_i16_sdwa s[6:7], v3, s4 src0_sel:BYTE_3 src1_sel:DWORD
	s_mov_b64 s[4:5], 0
                                        ; implicit-def: $sgpr10
	s_and_saveexec_b64 s[8:9], s[6:7]
	s_xor_b64 s[6:7], exec, s[8:9]
	s_cbranch_execz .LBB2_11965
; %bb.47805:
	s_getpc_b64 s[14:15]
.Lpost_getpc27486:
	s_add_u32 s14, s14, (.LBB2_26301-.Lpost_getpc27486)&4294967295
	s_addc_u32 s15, s15, (.LBB2_26301-.Lpost_getpc27486)>>32
	s_setpc_b64 s[14:15]
.LBB2_11965:
	s_or_saveexec_b64 s[6:7], s[6:7]
	v_mov_b32_e32 v6, s10
	s_xor_b64 exec, exec, s[6:7]
	s_cbranch_execz .LBB2_11966
; %bb.47807:
	s_getpc_b64 s[14:15]
.Lpost_getpc27487:
	s_add_u32 s14, s14, (.LBB2_26304-.Lpost_getpc27487)&4294967295
	s_addc_u32 s15, s15, (.LBB2_26304-.Lpost_getpc27487)>>32
	s_setpc_b64 s[14:15]
.LBB2_11966:
	s_or_b64 exec, exec, s[6:7]
	s_and_saveexec_b64 s[6:7], s[4:5]
	s_cbranch_execz .LBB2_11968
.LBB2_11967:
	v_bfe_u32 v6, v3, 24, 3
	v_ffbh_u32_e32 v14, v6
	v_min_u32_e32 v14, 32, v14
	v_lshrrev_b32_e32 v12, 27, v3
	v_subrev_u32_e32 v15, 28, v14
	v_and_b32_e32 v7, 0x80000000, v3
	v_and_b32_e32 v12, 15, v12
	v_bfe_u32 v13, v3, 27, 4
	v_lshlrev_b32_sdwa v3, v15, v3 dst_sel:DWORD dst_unused:UNUSED_PAD src0_sel:DWORD src1_sel:BYTE_3
	v_sub_u32_e32 v14, 29, v14
	v_and_b32_e32 v3, 7, v3
	v_cmp_eq_u16_e32 vcc, 0, v12
	v_cndmask_b32_e32 v3, v6, v3, vcc
	v_cndmask_b32_e32 v6, v13, v14, vcc
	v_mov_b32_e32 v12, 0x3b800000
	v_lshlrev_b32_e32 v3, 20, v3
	v_lshl_add_u32 v6, v6, 23, v12
	v_or3_b32 v6, v7, v6, v3
.LBB2_11968:
	s_or_b64 exec, exec, s[6:7]
	s_nop 0
	v_mfma_f32_16x16x4f32 a[0:3], v2, v6, a[0:3]
	s_movk_i32 s4, 0x7f
	v_cmp_gt_i16_sdwa s[6:7], v8, s4 src0_sel:BYTE_0 src1_sel:DWORD
	s_mov_b64 s[4:5], 0
                                        ; implicit-def: $sgpr10
	s_and_saveexec_b64 s[8:9], s[6:7]
	s_xor_b64 s[6:7], exec, s[8:9]
	s_cbranch_execz .LBB2_11969
; %bb.47809:
	s_getpc_b64 s[14:15]
.Lpost_getpc27488:
	s_add_u32 s14, s14, (.LBB2_26305-.Lpost_getpc27488)&4294967295
	s_addc_u32 s15, s15, (.LBB2_26305-.Lpost_getpc27488)>>32
	s_setpc_b64 s[14:15]
.LBB2_11969:
	s_or_saveexec_b64 s[6:7], s[6:7]
	v_mov_b32_e32 v2, s10
	s_xor_b64 exec, exec, s[6:7]
	s_cbranch_execz .LBB2_11970
; %bb.47811:
	s_getpc_b64 s[14:15]
.Lpost_getpc27489:
	s_add_u32 s14, s14, (.LBB2_26308-.Lpost_getpc27489)&4294967295
	s_addc_u32 s15, s15, (.LBB2_26308-.Lpost_getpc27489)>>32
	s_setpc_b64 s[14:15]
.LBB2_11970:
	s_or_b64 exec, exec, s[6:7]
	s_and_saveexec_b64 s[6:7], s[4:5]
	s_cbranch_execz .LBB2_11972
.LBB2_11971:
	v_and_b32_e32 v2, 7, v8
	v_ffbh_u32_e32 v6, v2
	v_min_u32_e32 v6, 32, v6
	v_lshrrev_b16_e32 v3, 3, v8
	v_subrev_u32_e32 v7, 28, v6
	v_and_b32_e32 v3, 15, v3
	v_lshlrev_b32_e32 v7, v7, v8
	v_sub_u32_e32 v6, 29, v6
	v_and_b32_e32 v7, 7, v7
	v_cmp_eq_u16_e32 vcc, 0, v3
	v_cndmask_b32_e32 v2, v2, v7, vcc
	v_cndmask_b32_e32 v3, v3, v6, vcc
	v_lshlrev_b32_e32 v6, 24, v8
	v_mov_b32_e32 v7, 0x3b800000
	v_lshlrev_b32_e32 v2, 20, v2
	v_and_b32_e32 v6, 0x80000000, v6
	v_lshl_add_u32 v3, v3, 23, v7
	v_or3_b32 v2, v6, v3, v2
.LBB2_11972:
	s_or_b64 exec, exec, s[6:7]
	s_movk_i32 s4, 0x7f
	v_cmp_gt_i16_sdwa s[6:7], v4, s4 src0_sel:BYTE_0 src1_sel:DWORD
	s_mov_b64 s[4:5], 0
                                        ; implicit-def: $sgpr10
	s_and_saveexec_b64 s[8:9], s[6:7]
	s_xor_b64 s[6:7], exec, s[8:9]
	s_cbranch_execz .LBB2_11973
; %bb.47813:
	s_getpc_b64 s[14:15]
.Lpost_getpc27490:
	s_add_u32 s14, s14, (.LBB2_26309-.Lpost_getpc27490)&4294967295
	s_addc_u32 s15, s15, (.LBB2_26309-.Lpost_getpc27490)>>32
	s_setpc_b64 s[14:15]
.LBB2_11973:
	s_or_saveexec_b64 s[6:7], s[6:7]
	v_mov_b32_e32 v3, s10
	s_xor_b64 exec, exec, s[6:7]
	s_cbranch_execz .LBB2_11974
; %bb.47815:
	s_getpc_b64 s[14:15]
.Lpost_getpc27491:
	s_add_u32 s14, s14, (.LBB2_26312-.Lpost_getpc27491)&4294967295
	s_addc_u32 s15, s15, (.LBB2_26312-.Lpost_getpc27491)>>32
	s_setpc_b64 s[14:15]
.LBB2_11974:
	s_or_b64 exec, exec, s[6:7]
	s_and_saveexec_b64 s[6:7], s[4:5]
	s_cbranch_execz .LBB2_11976
.LBB2_11975:
	v_and_b32_e32 v3, 7, v4
	v_ffbh_u32_e32 v7, v3
	v_min_u32_e32 v7, 32, v7
	v_lshrrev_b16_e32 v6, 3, v4
	v_subrev_u32_e32 v12, 28, v7
	v_and_b32_e32 v6, 15, v6
	v_lshlrev_b32_e32 v12, v12, v4
	v_sub_u32_e32 v7, 29, v7
	v_and_b32_e32 v12, 7, v12
	v_cmp_eq_u16_e32 vcc, 0, v6
	v_cndmask_b32_e32 v3, v3, v12, vcc
	v_cndmask_b32_e32 v6, v6, v7, vcc
	v_lshlrev_b32_e32 v7, 24, v4
	v_mov_b32_e32 v12, 0x3b800000
	v_lshlrev_b32_e32 v3, 20, v3
	v_and_b32_e32 v7, 0x80000000, v7
	v_lshl_add_u32 v6, v6, 23, v12
	v_or3_b32 v3, v7, v6, v3
.LBB2_11976:
	s_or_b64 exec, exec, s[6:7]
	s_nop 0
	v_mfma_f32_16x16x4f32 a[0:3], v2, v3, a[0:3]
	v_lshrrev_b32_e32 v3, 8, v8
	s_movk_i32 s4, 0x7f
	v_cmp_gt_i16_sdwa s[6:7], v3, s4 src0_sel:BYTE_0 src1_sel:DWORD
	s_mov_b64 s[4:5], 0
                                        ; implicit-def: $sgpr10
	s_and_saveexec_b64 s[8:9], s[6:7]
	s_xor_b64 s[6:7], exec, s[8:9]
	s_cbranch_execz .LBB2_11977
; %bb.47817:
	s_getpc_b64 s[14:15]
.Lpost_getpc27492:
	s_add_u32 s14, s14, (.LBB2_26313-.Lpost_getpc27492)&4294967295
	s_addc_u32 s15, s15, (.LBB2_26313-.Lpost_getpc27492)>>32
	s_setpc_b64 s[14:15]
.LBB2_11977:
	s_or_saveexec_b64 s[6:7], s[6:7]
	v_mov_b32_e32 v2, s10
	s_xor_b64 exec, exec, s[6:7]
	s_cbranch_execz .LBB2_11978
; %bb.47819:
	s_getpc_b64 s[14:15]
.Lpost_getpc27493:
	s_add_u32 s14, s14, (.LBB2_26316-.Lpost_getpc27493)&4294967295
	s_addc_u32 s15, s15, (.LBB2_26316-.Lpost_getpc27493)>>32
	s_setpc_b64 s[14:15]
.LBB2_11978:
	s_or_b64 exec, exec, s[6:7]
	s_and_saveexec_b64 s[6:7], s[4:5]
	s_cbranch_execz .LBB2_11980
.LBB2_11979:
	v_bfe_u32 v2, v8, 8, 3
	v_ffbh_u32_e32 v7, v2
	v_min_u32_e32 v7, 32, v7
	v_lshrrev_b16_e32 v6, 3, v3
	v_subrev_u32_e32 v12, 28, v7
	v_and_b32_e32 v6, 15, v6
	v_lshlrev_b32_e32 v3, v12, v3
	v_sub_u32_e32 v7, 29, v7
	v_and_b32_e32 v3, 7, v3
	v_cmp_eq_u16_e32 vcc, 0, v6
	v_cndmask_b32_e32 v2, v2, v3, vcc
	v_cndmask_b32_e32 v3, v6, v7, vcc
	v_lshlrev_b32_e32 v6, 16, v8
	v_mov_b32_e32 v7, 0x3b800000
	v_lshlrev_b32_e32 v2, 20, v2
	v_and_b32_e32 v6, 0x80000000, v6
	v_lshl_add_u32 v3, v3, 23, v7
	v_or3_b32 v2, v6, v3, v2
.LBB2_11980:
	s_or_b64 exec, exec, s[6:7]
	v_lshrrev_b32_e32 v3, 8, v4
	s_movk_i32 s4, 0x7f
	v_cmp_gt_i16_sdwa s[6:7], v3, s4 src0_sel:BYTE_0 src1_sel:DWORD
	s_mov_b64 s[4:5], 0
                                        ; implicit-def: $sgpr10
	s_and_saveexec_b64 s[8:9], s[6:7]
	s_xor_b64 s[6:7], exec, s[8:9]
	s_cbranch_execz .LBB2_11981
; %bb.47821:
	s_getpc_b64 s[14:15]
.Lpost_getpc27494:
	s_add_u32 s14, s14, (.LBB2_26317-.Lpost_getpc27494)&4294967295
	s_addc_u32 s15, s15, (.LBB2_26317-.Lpost_getpc27494)>>32
	s_setpc_b64 s[14:15]
.LBB2_11981:
	s_or_saveexec_b64 s[6:7], s[6:7]
	v_mov_b32_e32 v6, s10
	s_xor_b64 exec, exec, s[6:7]
	s_cbranch_execz .LBB2_11982
; %bb.47823:
	s_getpc_b64 s[14:15]
.Lpost_getpc27495:
	s_add_u32 s14, s14, (.LBB2_26320-.Lpost_getpc27495)&4294967295
	s_addc_u32 s15, s15, (.LBB2_26320-.Lpost_getpc27495)>>32
	s_setpc_b64 s[14:15]
.LBB2_11982:
	s_or_b64 exec, exec, s[6:7]
	s_and_saveexec_b64 s[6:7], s[4:5]
	s_cbranch_execz .LBB2_11984
.LBB2_11983:
	v_bfe_u32 v6, v4, 8, 3
	v_ffbh_u32_e32 v12, v6
	v_min_u32_e32 v12, 32, v12
	v_lshrrev_b16_e32 v7, 3, v3
	v_subrev_u32_e32 v13, 28, v12
	v_and_b32_e32 v7, 15, v7
	v_lshlrev_b32_e32 v3, v13, v3
	v_sub_u32_e32 v12, 29, v12
	v_and_b32_e32 v3, 7, v3
	v_cmp_eq_u16_e32 vcc, 0, v7
	v_cndmask_b32_e32 v3, v6, v3, vcc
	v_cndmask_b32_e32 v6, v7, v12, vcc
	v_lshlrev_b32_e32 v7, 16, v4
	v_mov_b32_e32 v12, 0x3b800000
	v_lshlrev_b32_e32 v3, 20, v3
	v_and_b32_e32 v7, 0x80000000, v7
	v_lshl_add_u32 v6, v6, 23, v12
	v_or3_b32 v6, v7, v6, v3
.LBB2_11984:
	s_or_b64 exec, exec, s[6:7]
	s_nop 0
	v_mfma_f32_16x16x4f32 a[0:3], v2, v6, a[0:3]
	s_movk_i32 s4, 0xff
	v_and_b32_sdwa v3, v8, s4 dst_sel:DWORD dst_unused:UNUSED_PAD src0_sel:WORD_1 src1_sel:DWORD
	s_movk_i32 s4, 0x7f
	v_cmp_lt_i16_e32 vcc, s4, v3
	s_mov_b64 s[4:5], 0
                                        ; implicit-def: $sgpr10
	s_and_saveexec_b64 s[6:7], vcc
	s_xor_b64 s[6:7], exec, s[6:7]
	s_cbranch_execz .LBB2_11985
; %bb.47825:
	s_getpc_b64 s[14:15]
.Lpost_getpc27496:
	s_add_u32 s14, s14, (.LBB2_26321-.Lpost_getpc27496)&4294967295
	s_addc_u32 s15, s15, (.LBB2_26321-.Lpost_getpc27496)>>32
	s_setpc_b64 s[14:15]
.LBB2_11985:
	s_or_saveexec_b64 s[6:7], s[6:7]
	v_mov_b32_e32 v2, s10
	s_xor_b64 exec, exec, s[6:7]
	s_cbranch_execz .LBB2_11986
; %bb.47827:
	s_getpc_b64 s[14:15]
.Lpost_getpc27497:
	s_add_u32 s14, s14, (.LBB2_26324-.Lpost_getpc27497)&4294967295
	s_addc_u32 s15, s15, (.LBB2_26324-.Lpost_getpc27497)>>32
	s_setpc_b64 s[14:15]
.LBB2_11986:
	s_or_b64 exec, exec, s[6:7]
	s_and_saveexec_b64 s[6:7], s[4:5]
	s_cbranch_execz .LBB2_11988
.LBB2_11987:
	v_bfe_u32 v2, v8, 16, 3
	v_ffbh_u32_e32 v7, v2
	v_min_u32_e32 v7, 32, v7
	v_lshrrev_b32_e32 v3, 19, v8
	v_subrev_u32_e32 v12, 28, v7
	v_and_b32_e32 v3, 15, v3
	v_lshlrev_b32_sdwa v12, v12, v8 dst_sel:DWORD dst_unused:UNUSED_PAD src0_sel:DWORD src1_sel:WORD_1
	v_bfe_u32 v6, v8, 19, 4
	v_sub_u32_e32 v7, 29, v7
	v_and_b32_e32 v12, 7, v12
	v_cmp_eq_u16_e32 vcc, 0, v3
	v_cndmask_b32_e32 v2, v2, v12, vcc
	v_cndmask_b32_e32 v3, v6, v7, vcc
	v_lshlrev_b32_e32 v6, 8, v8
	v_mov_b32_e32 v7, 0x3b800000
	v_lshlrev_b32_e32 v2, 20, v2
	v_and_b32_e32 v6, 0x80000000, v6
	v_lshl_add_u32 v3, v3, 23, v7
	v_or3_b32 v2, v6, v3, v2
.LBB2_11988:
	s_or_b64 exec, exec, s[6:7]
	s_movk_i32 s4, 0xff
	v_and_b32_sdwa v3, v4, s4 dst_sel:DWORD dst_unused:UNUSED_PAD src0_sel:WORD_1 src1_sel:DWORD
	s_movk_i32 s4, 0x7f
	v_cmp_lt_i16_e32 vcc, s4, v3
	s_mov_b64 s[4:5], 0
                                        ; implicit-def: $sgpr10
	s_and_saveexec_b64 s[6:7], vcc
	s_xor_b64 s[6:7], exec, s[6:7]
	s_cbranch_execz .LBB2_11989
; %bb.47829:
	s_getpc_b64 s[14:15]
.Lpost_getpc27498:
	s_add_u32 s14, s14, (.LBB2_26325-.Lpost_getpc27498)&4294967295
	s_addc_u32 s15, s15, (.LBB2_26325-.Lpost_getpc27498)>>32
	s_setpc_b64 s[14:15]
.LBB2_11989:
	s_or_saveexec_b64 s[6:7], s[6:7]
	v_mov_b32_e32 v6, s10
	s_xor_b64 exec, exec, s[6:7]
	s_cbranch_execz .LBB2_11990
; %bb.47831:
	s_getpc_b64 s[14:15]
.Lpost_getpc27499:
	s_add_u32 s14, s14, (.LBB2_26328-.Lpost_getpc27499)&4294967295
	s_addc_u32 s15, s15, (.LBB2_26328-.Lpost_getpc27499)>>32
	s_setpc_b64 s[14:15]
.LBB2_11990:
	s_or_b64 exec, exec, s[6:7]
	s_and_saveexec_b64 s[6:7], s[4:5]
	s_cbranch_execz .LBB2_11992
.LBB2_11991:
	v_bfe_u32 v3, v4, 16, 3
	v_ffbh_u32_e32 v12, v3
	v_min_u32_e32 v12, 32, v12
	v_lshrrev_b32_e32 v6, 19, v4
	v_subrev_u32_e32 v13, 28, v12
	v_and_b32_e32 v6, 15, v6
	v_lshlrev_b32_sdwa v13, v13, v4 dst_sel:DWORD dst_unused:UNUSED_PAD src0_sel:DWORD src1_sel:WORD_1
	v_bfe_u32 v7, v4, 19, 4
	v_sub_u32_e32 v12, 29, v12
	v_and_b32_e32 v13, 7, v13
	v_cmp_eq_u16_e32 vcc, 0, v6
	v_cndmask_b32_e32 v3, v3, v13, vcc
	v_cndmask_b32_e32 v6, v7, v12, vcc
	v_lshlrev_b32_e32 v7, 8, v4
	v_mov_b32_e32 v12, 0x3b800000
	v_lshlrev_b32_e32 v3, 20, v3
	v_and_b32_e32 v7, 0x80000000, v7
	v_lshl_add_u32 v6, v6, 23, v12
	v_or3_b32 v6, v7, v6, v3
.LBB2_11992:
	s_or_b64 exec, exec, s[6:7]
	s_nop 0
	v_mfma_f32_16x16x4f32 a[0:3], v2, v6, a[0:3]
	s_movk_i32 s4, 0x7f
	v_cmp_gt_i16_sdwa s[6:7], v8, s4 src0_sel:BYTE_3 src1_sel:DWORD
	s_mov_b64 s[4:5], 0
                                        ; implicit-def: $sgpr10
	s_and_saveexec_b64 s[8:9], s[6:7]
	s_xor_b64 s[6:7], exec, s[8:9]
	s_cbranch_execz .LBB2_11993
; %bb.47833:
	s_getpc_b64 s[14:15]
.Lpost_getpc27500:
	s_add_u32 s14, s14, (.LBB2_26329-.Lpost_getpc27500)&4294967295
	s_addc_u32 s15, s15, (.LBB2_26329-.Lpost_getpc27500)>>32
	s_setpc_b64 s[14:15]
.LBB2_11993:
	s_or_saveexec_b64 s[6:7], s[6:7]
	v_mov_b32_e32 v2, s10
	s_xor_b64 exec, exec, s[6:7]
	s_cbranch_execz .LBB2_11994
; %bb.47835:
	s_getpc_b64 s[14:15]
.Lpost_getpc27501:
	s_add_u32 s14, s14, (.LBB2_26332-.Lpost_getpc27501)&4294967295
	s_addc_u32 s15, s15, (.LBB2_26332-.Lpost_getpc27501)>>32
	s_setpc_b64 s[14:15]
.LBB2_11994:
	s_or_b64 exec, exec, s[6:7]
	s_and_saveexec_b64 s[6:7], s[4:5]
	s_cbranch_execz .LBB2_11996
.LBB2_11995:
	v_bfe_u32 v2, v8, 24, 3
	v_ffbh_u32_e32 v12, v2
	v_min_u32_e32 v12, 32, v12
	v_lshrrev_b32_e32 v6, 27, v8
	v_subrev_u32_e32 v13, 28, v12
	v_and_b32_e32 v3, 0x80000000, v8
	v_and_b32_e32 v6, 15, v6
	v_bfe_u32 v7, v8, 27, 4
	v_lshlrev_b32_sdwa v8, v13, v8 dst_sel:DWORD dst_unused:UNUSED_PAD src0_sel:DWORD src1_sel:BYTE_3
	v_sub_u32_e32 v12, 29, v12
	v_and_b32_e32 v8, 7, v8
	v_cmp_eq_u16_e32 vcc, 0, v6
	v_cndmask_b32_e32 v2, v2, v8, vcc
	v_cndmask_b32_e32 v6, v7, v12, vcc
	v_mov_b32_e32 v7, 0x3b800000
	v_lshlrev_b32_e32 v2, 20, v2
	v_lshl_add_u32 v6, v6, 23, v7
	v_or3_b32 v2, v3, v6, v2
.LBB2_11996:
	s_or_b64 exec, exec, s[6:7]
	s_movk_i32 s4, 0x7f
	v_cmp_gt_i16_sdwa s[6:7], v4, s4 src0_sel:BYTE_3 src1_sel:DWORD
	s_mov_b64 s[4:5], 0
                                        ; implicit-def: $sgpr10
	s_and_saveexec_b64 s[8:9], s[6:7]
	s_xor_b64 s[6:7], exec, s[8:9]
	s_cbranch_execz .LBB2_11997
; %bb.47837:
	s_getpc_b64 s[14:15]
.Lpost_getpc27502:
	s_add_u32 s14, s14, (.LBB2_26333-.Lpost_getpc27502)&4294967295
	s_addc_u32 s15, s15, (.LBB2_26333-.Lpost_getpc27502)>>32
	s_setpc_b64 s[14:15]
.LBB2_11997:
	s_or_saveexec_b64 s[6:7], s[6:7]
	v_mov_b32_e32 v3, s10
	s_xor_b64 exec, exec, s[6:7]
	s_cbranch_execz .LBB2_11998
; %bb.47839:
	s_getpc_b64 s[14:15]
.Lpost_getpc27503:
	s_add_u32 s14, s14, (.LBB2_26336-.Lpost_getpc27503)&4294967295
	s_addc_u32 s15, s15, (.LBB2_26336-.Lpost_getpc27503)>>32
	s_setpc_b64 s[14:15]
.LBB2_11998:
	s_or_b64 exec, exec, s[6:7]
	s_and_saveexec_b64 s[6:7], s[4:5]
	s_cbranch_execz .LBB2_12000
.LBB2_11999:
	v_bfe_u32 v3, v4, 24, 3
	v_ffbh_u32_e32 v12, v3
	v_min_u32_e32 v12, 32, v12
	v_lshrrev_b32_e32 v7, 27, v4
	v_subrev_u32_e32 v13, 28, v12
	v_and_b32_e32 v6, 0x80000000, v4
	v_and_b32_e32 v7, 15, v7
	v_bfe_u32 v8, v4, 27, 4
	v_lshlrev_b32_sdwa v4, v13, v4 dst_sel:DWORD dst_unused:UNUSED_PAD src0_sel:DWORD src1_sel:BYTE_3
	v_sub_u32_e32 v12, 29, v12
	v_and_b32_e32 v4, 7, v4
	v_cmp_eq_u16_e32 vcc, 0, v7
	v_cndmask_b32_e32 v3, v3, v4, vcc
	v_cndmask_b32_e32 v4, v8, v12, vcc
	v_mov_b32_e32 v7, 0x3b800000
	v_lshlrev_b32_e32 v3, 20, v3
	v_lshl_add_u32 v4, v4, 23, v7
	v_or3_b32 v3, v6, v4, v3
.LBB2_12000:
	s_or_b64 exec, exec, s[6:7]
	s_nop 0
	v_mfma_f32_16x16x4f32 a[0:3], v2, v3, a[0:3]
	s_movk_i32 s4, 0x7f
	v_cmp_gt_i16_sdwa s[6:7], v9, s4 src0_sel:BYTE_0 src1_sel:DWORD
	s_mov_b64 s[4:5], 0
                                        ; implicit-def: $sgpr10
	s_and_saveexec_b64 s[8:9], s[6:7]
	s_xor_b64 s[6:7], exec, s[8:9]
	s_cbranch_execz .LBB2_12001
; %bb.47841:
	s_getpc_b64 s[14:15]
.Lpost_getpc27504:
	s_add_u32 s14, s14, (.LBB2_26337-.Lpost_getpc27504)&4294967295
	s_addc_u32 s15, s15, (.LBB2_26337-.Lpost_getpc27504)>>32
	s_setpc_b64 s[14:15]
.LBB2_12001:
	s_or_saveexec_b64 s[6:7], s[6:7]
	v_mov_b32_e32 v2, s10
	s_xor_b64 exec, exec, s[6:7]
	s_cbranch_execz .LBB2_12002
; %bb.47843:
	s_getpc_b64 s[14:15]
.Lpost_getpc27505:
	s_add_u32 s14, s14, (.LBB2_26340-.Lpost_getpc27505)&4294967295
	s_addc_u32 s15, s15, (.LBB2_26340-.Lpost_getpc27505)>>32
	s_setpc_b64 s[14:15]
.LBB2_12002:
	s_or_b64 exec, exec, s[6:7]
	s_and_saveexec_b64 s[6:7], s[4:5]
	s_cbranch_execz .LBB2_12004
.LBB2_12003:
	v_mov_b32_e32 v2, 8
	v_and_b32_e32 v3, 7, v9
	v_lshrrev_b32_sdwa v2, v2, v9 dst_sel:BYTE_1 dst_unused:UNUSED_PAD src0_sel:DWORD src1_sel:DWORD
	v_ffbh_u32_e32 v4, v3
	v_or_b32_sdwa v2, v9, v2 dst_sel:DWORD dst_unused:UNUSED_PAD src0_sel:BYTE_0 src1_sel:DWORD
	v_min_u32_e32 v4, 32, v4
	v_lshrrev_b16_e32 v2, 3, v2
	v_subrev_u32_e32 v6, 28, v4
	v_and_b32_e32 v2, 15, v2
	v_lshlrev_b32_e32 v6, v6, v9
	v_sub_u32_e32 v4, 29, v4
	v_and_b32_e32 v6, 7, v6
	v_cmp_eq_u16_e32 vcc, 0, v2
	v_cndmask_b32_e32 v3, v3, v6, vcc
	v_cndmask_b32_e32 v2, v2, v4, vcc
	v_lshlrev_b32_e32 v4, 24, v9
	v_mov_b32_e32 v6, 0x3b800000
	v_lshlrev_b32_e32 v3, 20, v3
	v_and_b32_e32 v4, 0x80000000, v4
	v_lshl_add_u32 v2, v2, 23, v6
	v_or3_b32 v2, v4, v2, v3
.LBB2_12004:
	s_or_b64 exec, exec, s[6:7]
	s_movk_i32 s4, 0x7f
	v_cmp_gt_i16_sdwa s[6:7], v5, s4 src0_sel:BYTE_0 src1_sel:DWORD
	s_mov_b64 s[4:5], 0
                                        ; implicit-def: $sgpr10
	s_and_saveexec_b64 s[8:9], s[6:7]
	s_xor_b64 s[6:7], exec, s[8:9]
	s_cbranch_execz .LBB2_12005
; %bb.47845:
	s_getpc_b64 s[14:15]
.Lpost_getpc27506:
	s_add_u32 s14, s14, (.LBB2_26341-.Lpost_getpc27506)&4294967295
	s_addc_u32 s15, s15, (.LBB2_26341-.Lpost_getpc27506)>>32
	s_setpc_b64 s[14:15]
.LBB2_12005:
	s_or_saveexec_b64 s[6:7], s[6:7]
	v_mov_b32_e32 v3, s10
	s_xor_b64 exec, exec, s[6:7]
	s_cbranch_execz .LBB2_12006
; %bb.47847:
	s_getpc_b64 s[14:15]
.Lpost_getpc27507:
	s_add_u32 s14, s14, (.LBB2_26344-.Lpost_getpc27507)&4294967295
	s_addc_u32 s15, s15, (.LBB2_26344-.Lpost_getpc27507)>>32
	s_setpc_b64 s[14:15]
.LBB2_12006:
	s_or_b64 exec, exec, s[6:7]
	s_and_saveexec_b64 s[6:7], s[4:5]
	s_cbranch_execz .LBB2_12008
.LBB2_12007:
	v_mov_b32_e32 v3, 8
	v_and_b32_e32 v4, 7, v5
	v_lshrrev_b32_sdwa v3, v3, v5 dst_sel:BYTE_1 dst_unused:UNUSED_PAD src0_sel:DWORD src1_sel:DWORD
	v_ffbh_u32_e32 v6, v4
	v_or_b32_sdwa v3, v5, v3 dst_sel:DWORD dst_unused:UNUSED_PAD src0_sel:BYTE_0 src1_sel:DWORD
	v_min_u32_e32 v6, 32, v6
	v_lshrrev_b16_e32 v3, 3, v3
	v_subrev_u32_e32 v7, 28, v6
	v_and_b32_e32 v3, 15, v3
	v_lshlrev_b32_e32 v7, v7, v5
	v_sub_u32_e32 v6, 29, v6
	v_and_b32_e32 v7, 7, v7
	v_cmp_eq_u16_e32 vcc, 0, v3
	v_cndmask_b32_e32 v4, v4, v7, vcc
	v_cndmask_b32_e32 v3, v3, v6, vcc
	v_lshlrev_b32_e32 v6, 24, v5
	v_mov_b32_e32 v7, 0x3b800000
	v_lshlrev_b32_e32 v4, 20, v4
	v_and_b32_e32 v6, 0x80000000, v6
	v_lshl_add_u32 v3, v3, 23, v7
	v_or3_b32 v3, v6, v3, v4
.LBB2_12008:
	s_or_b64 exec, exec, s[6:7]
	s_nop 0
	v_mfma_f32_16x16x4f32 a[0:3], v2, v3, a[0:3]
	v_lshrrev_b32_e32 v3, 8, v9
	s_movk_i32 s4, 0x7f
	v_cmp_gt_i16_sdwa s[6:7], v3, s4 src0_sel:BYTE_0 src1_sel:DWORD
	s_mov_b64 s[4:5], 0
                                        ; implicit-def: $sgpr10
	s_and_saveexec_b64 s[8:9], s[6:7]
	s_xor_b64 s[6:7], exec, s[8:9]
	s_cbranch_execz .LBB2_12009
; %bb.47849:
	s_getpc_b64 s[14:15]
.Lpost_getpc27508:
	s_add_u32 s14, s14, (.LBB2_26345-.Lpost_getpc27508)&4294967295
	s_addc_u32 s15, s15, (.LBB2_26345-.Lpost_getpc27508)>>32
	s_setpc_b64 s[14:15]
.LBB2_12009:
	s_or_saveexec_b64 s[6:7], s[6:7]
	v_mov_b32_e32 v2, s10
	s_xor_b64 exec, exec, s[6:7]
	s_cbranch_execz .LBB2_12010
; %bb.47851:
	s_getpc_b64 s[14:15]
.Lpost_getpc27509:
	s_add_u32 s14, s14, (.LBB2_26348-.Lpost_getpc27509)&4294967295
	s_addc_u32 s15, s15, (.LBB2_26348-.Lpost_getpc27509)>>32
	s_setpc_b64 s[14:15]
.LBB2_12010:
	s_or_b64 exec, exec, s[6:7]
	s_and_saveexec_b64 s[6:7], s[4:5]
	s_cbranch_execz .LBB2_12012
.LBB2_12011:
	v_bfe_u32 v2, v9, 8, 3
	v_ffbh_u32_e32 v6, v2
	v_min_u32_e32 v6, 32, v6
	v_lshrrev_b16_e32 v4, 3, v3
	v_subrev_u32_e32 v7, 28, v6
	v_and_b32_e32 v4, 15, v4
	v_lshlrev_b32_e32 v3, v7, v3
	v_sub_u32_e32 v6, 29, v6
	v_and_b32_e32 v3, 7, v3
	v_cmp_eq_u16_e32 vcc, 0, v4
	v_cndmask_b32_e32 v2, v2, v3, vcc
	v_cndmask_b32_e32 v3, v4, v6, vcc
	v_lshlrev_b32_e32 v4, 16, v9
	v_mov_b32_e32 v6, 0x3b800000
	v_lshlrev_b32_e32 v2, 20, v2
	v_and_b32_e32 v4, 0x80000000, v4
	v_lshl_add_u32 v3, v3, 23, v6
	v_or3_b32 v2, v4, v3, v2
.LBB2_12012:
	s_or_b64 exec, exec, s[6:7]
	v_lshrrev_b32_e32 v3, 8, v5
	s_movk_i32 s4, 0x7f
	v_cmp_gt_i16_sdwa s[6:7], v3, s4 src0_sel:BYTE_0 src1_sel:DWORD
	s_mov_b64 s[4:5], 0
                                        ; implicit-def: $sgpr10
	s_and_saveexec_b64 s[8:9], s[6:7]
	s_xor_b64 s[6:7], exec, s[8:9]
	s_cbranch_execz .LBB2_12013
; %bb.47853:
	s_getpc_b64 s[14:15]
.Lpost_getpc27510:
	s_add_u32 s14, s14, (.LBB2_26349-.Lpost_getpc27510)&4294967295
	s_addc_u32 s15, s15, (.LBB2_26349-.Lpost_getpc27510)>>32
	s_setpc_b64 s[14:15]
.LBB2_12013:
	s_or_saveexec_b64 s[6:7], s[6:7]
	v_mov_b32_e32 v4, s10
	s_xor_b64 exec, exec, s[6:7]
	s_cbranch_execz .LBB2_12014
; %bb.47855:
	s_getpc_b64 s[14:15]
.Lpost_getpc27511:
	s_add_u32 s14, s14, (.LBB2_26352-.Lpost_getpc27511)&4294967295
	s_addc_u32 s15, s15, (.LBB2_26352-.Lpost_getpc27511)>>32
	s_setpc_b64 s[14:15]
.LBB2_12014:
	s_or_b64 exec, exec, s[6:7]
	s_and_saveexec_b64 s[6:7], s[4:5]
	s_cbranch_execz .LBB2_12016
.LBB2_12015:
	v_bfe_u32 v4, v5, 8, 3
	v_ffbh_u32_e32 v7, v4
	v_min_u32_e32 v7, 32, v7
	v_lshrrev_b16_e32 v6, 3, v3
	v_subrev_u32_e32 v8, 28, v7
	v_and_b32_e32 v6, 15, v6
	v_lshlrev_b32_e32 v3, v8, v3
	v_sub_u32_e32 v7, 29, v7
	v_and_b32_e32 v3, 7, v3
	v_cmp_eq_u16_e32 vcc, 0, v6
	v_cndmask_b32_e32 v3, v4, v3, vcc
	v_cndmask_b32_e32 v4, v6, v7, vcc
	v_lshlrev_b32_e32 v6, 16, v5
	v_mov_b32_e32 v7, 0x3b800000
	v_lshlrev_b32_e32 v3, 20, v3
	v_and_b32_e32 v6, 0x80000000, v6
	v_lshl_add_u32 v4, v4, 23, v7
	v_or3_b32 v4, v6, v4, v3
.LBB2_12016:
	s_or_b64 exec, exec, s[6:7]
	s_nop 0
	v_mfma_f32_16x16x4f32 a[0:3], v2, v4, a[0:3]
	s_movk_i32 s4, 0xff
	v_and_b32_sdwa v3, v9, s4 dst_sel:DWORD dst_unused:UNUSED_PAD src0_sel:WORD_1 src1_sel:DWORD
	s_movk_i32 s4, 0x7f
	v_cmp_lt_i16_e32 vcc, s4, v3
	s_mov_b64 s[4:5], 0
                                        ; implicit-def: $sgpr10
	s_and_saveexec_b64 s[6:7], vcc
	s_xor_b64 s[6:7], exec, s[6:7]
	s_cbranch_execz .LBB2_12017
; %bb.47857:
	s_getpc_b64 s[14:15]
.Lpost_getpc27512:
	s_add_u32 s14, s14, (.LBB2_26353-.Lpost_getpc27512)&4294967295
	s_addc_u32 s15, s15, (.LBB2_26353-.Lpost_getpc27512)>>32
	s_setpc_b64 s[14:15]
.LBB2_12017:
	s_or_saveexec_b64 s[6:7], s[6:7]
	v_mov_b32_e32 v2, s10
	s_xor_b64 exec, exec, s[6:7]
	s_cbranch_execz .LBB2_12018
; %bb.47859:
	s_getpc_b64 s[14:15]
.Lpost_getpc27513:
	s_add_u32 s14, s14, (.LBB2_26356-.Lpost_getpc27513)&4294967295
	s_addc_u32 s15, s15, (.LBB2_26356-.Lpost_getpc27513)>>32
	s_setpc_b64 s[14:15]
.LBB2_12018:
	s_or_b64 exec, exec, s[6:7]
	s_and_saveexec_b64 s[6:7], s[4:5]
	s_cbranch_execz .LBB2_12020
.LBB2_12019:
	v_bfe_u32 v2, v9, 16, 3
	v_ffbh_u32_e32 v6, v2
	v_min_u32_e32 v6, 32, v6
	v_lshrrev_b32_e32 v3, 19, v9
	v_subrev_u32_e32 v7, 28, v6
	v_and_b32_e32 v3, 15, v3
	v_lshlrev_b32_sdwa v7, v7, v9 dst_sel:DWORD dst_unused:UNUSED_PAD src0_sel:DWORD src1_sel:WORD_1
	v_bfe_u32 v4, v9, 19, 4
	v_sub_u32_e32 v6, 29, v6
	v_and_b32_e32 v7, 7, v7
	v_cmp_eq_u16_e32 vcc, 0, v3
	v_cndmask_b32_e32 v2, v2, v7, vcc
	v_cndmask_b32_e32 v3, v4, v6, vcc
	v_lshlrev_b32_e32 v4, 8, v9
	v_mov_b32_e32 v6, 0x3b800000
	v_lshlrev_b32_e32 v2, 20, v2
	v_and_b32_e32 v4, 0x80000000, v4
	v_lshl_add_u32 v3, v3, 23, v6
	v_or3_b32 v2, v4, v3, v2
.LBB2_12020:
	s_or_b64 exec, exec, s[6:7]
	s_movk_i32 s4, 0xff
	v_and_b32_sdwa v3, v5, s4 dst_sel:DWORD dst_unused:UNUSED_PAD src0_sel:WORD_1 src1_sel:DWORD
	s_movk_i32 s4, 0x7f
	v_cmp_lt_i16_e32 vcc, s4, v3
	s_mov_b64 s[4:5], 0
                                        ; implicit-def: $sgpr10
	s_and_saveexec_b64 s[6:7], vcc
	s_xor_b64 s[6:7], exec, s[6:7]
	s_cbranch_execz .LBB2_12021
; %bb.47861:
	s_getpc_b64 s[14:15]
.Lpost_getpc27514:
	s_add_u32 s14, s14, (.LBB2_26357-.Lpost_getpc27514)&4294967295
	s_addc_u32 s15, s15, (.LBB2_26357-.Lpost_getpc27514)>>32
	s_setpc_b64 s[14:15]
.LBB2_12021:
	s_or_saveexec_b64 s[6:7], s[6:7]
	v_mov_b32_e32 v4, s10
	s_xor_b64 exec, exec, s[6:7]
	s_cbranch_execz .LBB2_12022
; %bb.47863:
	s_getpc_b64 s[14:15]
.Lpost_getpc27515:
	s_add_u32 s14, s14, (.LBB2_26360-.Lpost_getpc27515)&4294967295
	s_addc_u32 s15, s15, (.LBB2_26360-.Lpost_getpc27515)>>32
	s_setpc_b64 s[14:15]
.LBB2_12022:
	s_or_b64 exec, exec, s[6:7]
	s_and_saveexec_b64 s[6:7], s[4:5]
	s_cbranch_execz .LBB2_12024
.LBB2_12023:
	v_bfe_u32 v3, v5, 16, 3
	v_ffbh_u32_e32 v7, v3
	v_min_u32_e32 v7, 32, v7
	v_lshrrev_b32_e32 v4, 19, v5
	v_subrev_u32_e32 v8, 28, v7
	v_and_b32_e32 v4, 15, v4
	v_lshlrev_b32_sdwa v8, v8, v5 dst_sel:DWORD dst_unused:UNUSED_PAD src0_sel:DWORD src1_sel:WORD_1
	v_bfe_u32 v6, v5, 19, 4
	v_sub_u32_e32 v7, 29, v7
	v_and_b32_e32 v8, 7, v8
	v_cmp_eq_u16_e32 vcc, 0, v4
	v_cndmask_b32_e32 v3, v3, v8, vcc
	v_cndmask_b32_e32 v4, v6, v7, vcc
	v_lshlrev_b32_e32 v6, 8, v5
	v_mov_b32_e32 v7, 0x3b800000
	v_lshlrev_b32_e32 v3, 20, v3
	v_and_b32_e32 v6, 0x80000000, v6
	v_lshl_add_u32 v4, v4, 23, v7
	v_or3_b32 v4, v6, v4, v3
.LBB2_12024:
	s_or_b64 exec, exec, s[6:7]
	s_nop 0
	v_mfma_f32_16x16x4f32 a[0:3], v2, v4, a[0:3]
	s_movk_i32 s4, 0x7f
	v_cmp_gt_i16_sdwa s[6:7], v9, s4 src0_sel:BYTE_3 src1_sel:DWORD
	s_mov_b64 s[4:5], 0
                                        ; implicit-def: $sgpr10
	s_and_saveexec_b64 s[8:9], s[6:7]
	s_xor_b64 s[6:7], exec, s[8:9]
	s_cbranch_execz .LBB2_12025
; %bb.47865:
	s_getpc_b64 s[14:15]
.Lpost_getpc27516:
	s_add_u32 s14, s14, (.LBB2_26361-.Lpost_getpc27516)&4294967295
	s_addc_u32 s15, s15, (.LBB2_26361-.Lpost_getpc27516)>>32
	s_setpc_b64 s[14:15]
.LBB2_12025:
	s_or_saveexec_b64 s[6:7], s[6:7]
	v_mov_b32_e32 v2, s10
	s_xor_b64 exec, exec, s[6:7]
	s_cbranch_execz .LBB2_12026
; %bb.47867:
	s_getpc_b64 s[14:15]
.Lpost_getpc27517:
	s_add_u32 s14, s14, (.LBB2_26364-.Lpost_getpc27517)&4294967295
	s_addc_u32 s15, s15, (.LBB2_26364-.Lpost_getpc27517)>>32
	s_setpc_b64 s[14:15]
.LBB2_12026:
	s_or_b64 exec, exec, s[6:7]
	s_and_saveexec_b64 s[6:7], s[4:5]
	s_cbranch_execz .LBB2_12028
.LBB2_12027:
	v_bfe_u32 v2, v9, 24, 3
	v_ffbh_u32_e32 v7, v2
	v_min_u32_e32 v7, 32, v7
	v_lshrrev_b32_e32 v4, 27, v9
	v_subrev_u32_e32 v8, 28, v7
	v_and_b32_e32 v4, 15, v4
	v_lshlrev_b32_sdwa v8, v8, v9 dst_sel:DWORD dst_unused:UNUSED_PAD src0_sel:DWORD src1_sel:BYTE_3
	v_bfe_u32 v6, v9, 27, 4
	v_sub_u32_e32 v7, 29, v7
	v_and_b32_e32 v8, 7, v8
	v_cmp_eq_u16_e32 vcc, 0, v4
	v_cndmask_b32_e32 v2, v2, v8, vcc
	v_cndmask_b32_e32 v4, v6, v7, vcc
	v_mov_b32_e32 v6, 0x3b800000
	v_and_b32_e32 v3, 0x80000000, v9
	v_lshlrev_b32_e32 v2, 20, v2
	v_lshl_add_u32 v4, v4, 23, v6
	v_or3_b32 v2, v3, v4, v2
.LBB2_12028:
	s_or_b64 exec, exec, s[6:7]
	s_movk_i32 s4, 0x7f
	v_cmp_gt_i16_sdwa s[6:7], v5, s4 src0_sel:BYTE_3 src1_sel:DWORD
	s_mov_b64 s[4:5], 0
                                        ; implicit-def: $sgpr10
	s_and_saveexec_b64 s[8:9], s[6:7]
	s_xor_b64 s[6:7], exec, s[8:9]
	s_cbranch_execz .LBB2_12029
; %bb.47869:
	s_getpc_b64 s[14:15]
.Lpost_getpc27518:
	s_add_u32 s14, s14, (.LBB2_26365-.Lpost_getpc27518)&4294967295
	s_addc_u32 s15, s15, (.LBB2_26365-.Lpost_getpc27518)>>32
	s_setpc_b64 s[14:15]
.LBB2_12029:
	s_or_saveexec_b64 s[6:7], s[6:7]
	v_mov_b32_e32 v3, s10
	s_xor_b64 exec, exec, s[6:7]
	s_cbranch_execz .LBB2_12030
; %bb.47871:
	s_getpc_b64 s[14:15]
.Lpost_getpc27519:
	s_add_u32 s14, s14, (.LBB2_26368-.Lpost_getpc27519)&4294967295
	s_addc_u32 s15, s15, (.LBB2_26368-.Lpost_getpc27519)>>32
	s_setpc_b64 s[14:15]
.LBB2_12030:
	s_or_b64 exec, exec, s[6:7]
	s_and_saveexec_b64 s[6:7], s[4:5]
	s_cbranch_execz .LBB2_12032
.LBB2_12031:
	v_bfe_u32 v3, v5, 24, 3
	v_ffbh_u32_e32 v8, v3
	v_min_u32_e32 v8, 32, v8
	v_lshrrev_b32_e32 v6, 27, v5
	v_subrev_u32_e32 v9, 28, v8
	v_and_b32_e32 v4, 0x80000000, v5
	v_and_b32_e32 v6, 15, v6
	v_bfe_u32 v7, v5, 27, 4
	v_lshlrev_b32_sdwa v5, v9, v5 dst_sel:DWORD dst_unused:UNUSED_PAD src0_sel:DWORD src1_sel:BYTE_3
	v_sub_u32_e32 v8, 29, v8
	v_and_b32_e32 v5, 7, v5
	v_cmp_eq_u16_e32 vcc, 0, v6
	v_cndmask_b32_e32 v3, v3, v5, vcc
	v_cndmask_b32_e32 v5, v7, v8, vcc
	v_mov_b32_e32 v6, 0x3b800000
	v_lshlrev_b32_e32 v3, 20, v3
	v_lshl_add_u32 v5, v5, 23, v6
	v_or3_b32 v3, v4, v5, v3
.LBB2_12032:
	s_or_b64 exec, exec, s[6:7]
	s_nop 0
	v_mfma_f32_16x16x4f32 a[0:3], v2, v3, a[0:3]
	s_movk_i32 s4, 0x7f
                                        ; implicit-def: $sgpr10
	s_nop 7
	s_nop 1
	flat_store_dwordx4 v[10:11], a[0:3] offset:592
	flat_load_dwordx4 v[12:15], v[0:1]
	s_nop 0
	flat_load_dwordx2 v[10:11], v[0:1] offset:16
	s_waitcnt vmcnt(0) lgkmcnt(0)
	flat_load_dwordx4 v[6:9], v[12:13] offset:176
	flat_load_dwordx4 v[2:5], v[14:15] offset:224
	s_waitcnt vmcnt(0) lgkmcnt(0)
	v_cmp_gt_i16_sdwa s[6:7], v6, s4 src0_sel:BYTE_0 src1_sel:DWORD
	s_mov_b64 s[4:5], 0
	s_and_saveexec_b64 s[8:9], s[6:7]
	s_xor_b64 s[6:7], exec, s[8:9]
	s_cbranch_execz .LBB2_12033
; %bb.47873:
	s_getpc_b64 s[14:15]
.Lpost_getpc27520:
	s_add_u32 s14, s14, (.LBB2_26369-.Lpost_getpc27520)&4294967295
	s_addc_u32 s15, s15, (.LBB2_26369-.Lpost_getpc27520)>>32
	s_setpc_b64 s[14:15]
.LBB2_12033:
	s_or_saveexec_b64 s[6:7], s[6:7]
	v_mov_b32_e32 v12, s10
	s_xor_b64 exec, exec, s[6:7]
	s_cbranch_execz .LBB2_12034
; %bb.47875:
	s_getpc_b64 s[14:15]
.Lpost_getpc27521:
	s_add_u32 s14, s14, (.LBB2_26372-.Lpost_getpc27521)&4294967295
	s_addc_u32 s15, s15, (.LBB2_26372-.Lpost_getpc27521)>>32
	s_setpc_b64 s[14:15]
.LBB2_12034:
	s_or_b64 exec, exec, s[6:7]
	s_and_saveexec_b64 s[6:7], s[4:5]
	s_cbranch_execz .LBB2_12036
.LBB2_12035:
	v_and_b32_e32 v12, 7, v6
	v_ffbh_u32_e32 v14, v12
	v_min_u32_e32 v14, 32, v14
	v_lshrrev_b16_e32 v13, 3, v6
	v_subrev_u32_e32 v15, 28, v14
	v_and_b32_e32 v13, 15, v13
	v_lshlrev_b32_e32 v15, v15, v6
	v_sub_u32_e32 v14, 29, v14
	v_and_b32_e32 v15, 7, v15
	v_cmp_eq_u16_e32 vcc, 0, v13
	v_cndmask_b32_e32 v12, v12, v15, vcc
	v_cndmask_b32_e32 v13, v13, v14, vcc
	v_lshlrev_b32_e32 v14, 24, v6
	v_mov_b32_e32 v15, 0x3b800000
	v_lshlrev_b32_e32 v12, 20, v12
	v_and_b32_e32 v14, 0x80000000, v14
	v_lshl_add_u32 v13, v13, 23, v15
	v_or3_b32 v12, v14, v13, v12
.LBB2_12036:
	s_or_b64 exec, exec, s[6:7]
	s_movk_i32 s4, 0x7f
	v_cmp_gt_i16_sdwa s[6:7], v2, s4 src0_sel:BYTE_0 src1_sel:DWORD
	s_mov_b64 s[4:5], 0
                                        ; implicit-def: $sgpr10
	s_and_saveexec_b64 s[8:9], s[6:7]
	s_xor_b64 s[6:7], exec, s[8:9]
	s_cbranch_execz .LBB2_12037
; %bb.47877:
	s_getpc_b64 s[14:15]
.Lpost_getpc27522:
	s_add_u32 s14, s14, (.LBB2_26373-.Lpost_getpc27522)&4294967295
	s_addc_u32 s15, s15, (.LBB2_26373-.Lpost_getpc27522)>>32
	s_setpc_b64 s[14:15]
.LBB2_12037:
	s_or_saveexec_b64 s[6:7], s[6:7]
	v_mov_b32_e32 v13, s10
	s_xor_b64 exec, exec, s[6:7]
	s_cbranch_execz .LBB2_12038
; %bb.47879:
	s_getpc_b64 s[14:15]
.Lpost_getpc27523:
	s_add_u32 s14, s14, (.LBB2_26376-.Lpost_getpc27523)&4294967295
	s_addc_u32 s15, s15, (.LBB2_26376-.Lpost_getpc27523)>>32
	s_setpc_b64 s[14:15]
.LBB2_12038:
	s_or_b64 exec, exec, s[6:7]
	s_and_saveexec_b64 s[6:7], s[4:5]
	s_cbranch_execz .LBB2_12040
.LBB2_12039:
	v_and_b32_e32 v13, 7, v2
	v_ffbh_u32_e32 v15, v13
	v_min_u32_e32 v15, 32, v15
	v_lshrrev_b16_e32 v14, 3, v2
	v_subrev_u32_e32 v16, 28, v15
	v_and_b32_e32 v14, 15, v14
	v_lshlrev_b32_e32 v16, v16, v2
	v_sub_u32_e32 v15, 29, v15
	v_and_b32_e32 v16, 7, v16
	v_cmp_eq_u16_e32 vcc, 0, v14
	v_cndmask_b32_e32 v13, v13, v16, vcc
	v_cndmask_b32_e32 v14, v14, v15, vcc
	v_lshlrev_b32_e32 v15, 24, v2
	v_mov_b32_e32 v16, 0x3b800000
	v_lshlrev_b32_e32 v13, 20, v13
	v_and_b32_e32 v15, 0x80000000, v15
	v_lshl_add_u32 v14, v14, 23, v16
	v_or3_b32 v13, v15, v14, v13
.LBB2_12040:
	s_or_b64 exec, exec, s[6:7]
	flat_load_dwordx4 a[0:3], v[10:11] offset:608
	s_movk_i32 s4, 0x7f
                                        ; implicit-def: $sgpr10
	s_waitcnt vmcnt(0) lgkmcnt(0)
	v_mfma_f32_16x16x4f32 a[0:3], v12, v13, a[0:3]
	v_lshrrev_b32_e32 v13, 8, v6
	v_cmp_gt_i16_sdwa s[6:7], v13, s4 src0_sel:BYTE_0 src1_sel:DWORD
	s_mov_b64 s[4:5], 0
	s_and_saveexec_b64 s[8:9], s[6:7]
	s_xor_b64 s[6:7], exec, s[8:9]
	s_cbranch_execz .LBB2_12041
; %bb.47881:
	s_getpc_b64 s[14:15]
.Lpost_getpc27524:
	s_add_u32 s14, s14, (.LBB2_26377-.Lpost_getpc27524)&4294967295
	s_addc_u32 s15, s15, (.LBB2_26377-.Lpost_getpc27524)>>32
	s_setpc_b64 s[14:15]
.LBB2_12041:
	s_or_saveexec_b64 s[6:7], s[6:7]
	v_mov_b32_e32 v12, s10
	s_xor_b64 exec, exec, s[6:7]
	s_cbranch_execz .LBB2_12042
; %bb.47883:
	s_getpc_b64 s[14:15]
.Lpost_getpc27525:
	s_add_u32 s14, s14, (.LBB2_26380-.Lpost_getpc27525)&4294967295
	s_addc_u32 s15, s15, (.LBB2_26380-.Lpost_getpc27525)>>32
	s_setpc_b64 s[14:15]
.LBB2_12042:
	s_or_b64 exec, exec, s[6:7]
	s_and_saveexec_b64 s[6:7], s[4:5]
	s_cbranch_execz .LBB2_12044
.LBB2_12043:
	v_bfe_u32 v12, v6, 8, 3
	v_ffbh_u32_e32 v15, v12
	v_min_u32_e32 v15, 32, v15
	v_lshrrev_b16_e32 v14, 3, v13
	v_subrev_u32_e32 v16, 28, v15
	v_and_b32_e32 v14, 15, v14
	v_lshlrev_b32_e32 v13, v16, v13
	v_sub_u32_e32 v15, 29, v15
	v_and_b32_e32 v13, 7, v13
	v_cmp_eq_u16_e32 vcc, 0, v14
	v_cndmask_b32_e32 v12, v12, v13, vcc
	v_cndmask_b32_e32 v13, v14, v15, vcc
	v_lshlrev_b32_e32 v14, 16, v6
	v_mov_b32_e32 v15, 0x3b800000
	v_lshlrev_b32_e32 v12, 20, v12
	v_and_b32_e32 v14, 0x80000000, v14
	v_lshl_add_u32 v13, v13, 23, v15
	v_or3_b32 v12, v14, v13, v12
.LBB2_12044:
	s_or_b64 exec, exec, s[6:7]
	v_lshrrev_b32_e32 v13, 8, v2
	s_movk_i32 s4, 0x7f
	v_cmp_gt_i16_sdwa s[6:7], v13, s4 src0_sel:BYTE_0 src1_sel:DWORD
	s_mov_b64 s[4:5], 0
                                        ; implicit-def: $sgpr10
	s_and_saveexec_b64 s[8:9], s[6:7]
	s_xor_b64 s[6:7], exec, s[8:9]
	s_cbranch_execz .LBB2_12045
; %bb.47885:
	s_getpc_b64 s[14:15]
.Lpost_getpc27526:
	s_add_u32 s14, s14, (.LBB2_26381-.Lpost_getpc27526)&4294967295
	s_addc_u32 s15, s15, (.LBB2_26381-.Lpost_getpc27526)>>32
	s_setpc_b64 s[14:15]
.LBB2_12045:
	s_or_saveexec_b64 s[6:7], s[6:7]
	v_mov_b32_e32 v14, s10
	s_xor_b64 exec, exec, s[6:7]
	s_cbranch_execz .LBB2_12046
; %bb.47887:
	s_getpc_b64 s[14:15]
.Lpost_getpc27527:
	s_add_u32 s14, s14, (.LBB2_26384-.Lpost_getpc27527)&4294967295
	s_addc_u32 s15, s15, (.LBB2_26384-.Lpost_getpc27527)>>32
	s_setpc_b64 s[14:15]
.LBB2_12046:
	s_or_b64 exec, exec, s[6:7]
	s_and_saveexec_b64 s[6:7], s[4:5]
	s_cbranch_execz .LBB2_12048
.LBB2_12047:
	v_bfe_u32 v14, v2, 8, 3
	v_ffbh_u32_e32 v16, v14
	v_min_u32_e32 v16, 32, v16
	v_lshrrev_b16_e32 v15, 3, v13
	v_subrev_u32_e32 v17, 28, v16
	v_and_b32_e32 v15, 15, v15
	v_lshlrev_b32_e32 v13, v17, v13
	v_sub_u32_e32 v16, 29, v16
	v_and_b32_e32 v13, 7, v13
	v_cmp_eq_u16_e32 vcc, 0, v15
	v_cndmask_b32_e32 v13, v14, v13, vcc
	v_cndmask_b32_e32 v14, v15, v16, vcc
	v_lshlrev_b32_e32 v15, 16, v2
	v_mov_b32_e32 v16, 0x3b800000
	v_lshlrev_b32_e32 v13, 20, v13
	v_and_b32_e32 v15, 0x80000000, v15
	v_lshl_add_u32 v14, v14, 23, v16
	v_or3_b32 v14, v15, v14, v13
.LBB2_12048:
	s_or_b64 exec, exec, s[6:7]
	s_nop 0
	v_mfma_f32_16x16x4f32 a[0:3], v12, v14, a[0:3]
	s_movk_i32 s4, 0xff
	v_and_b32_sdwa v13, v6, s4 dst_sel:DWORD dst_unused:UNUSED_PAD src0_sel:WORD_1 src1_sel:DWORD
	s_movk_i32 s4, 0x7f
	v_cmp_lt_i16_e32 vcc, s4, v13
	s_mov_b64 s[4:5], 0
                                        ; implicit-def: $sgpr10
	s_and_saveexec_b64 s[6:7], vcc
	s_xor_b64 s[6:7], exec, s[6:7]
	s_cbranch_execz .LBB2_12049
; %bb.47889:
	s_getpc_b64 s[14:15]
.Lpost_getpc27528:
	s_add_u32 s14, s14, (.LBB2_26385-.Lpost_getpc27528)&4294967295
	s_addc_u32 s15, s15, (.LBB2_26385-.Lpost_getpc27528)>>32
	s_setpc_b64 s[14:15]
.LBB2_12049:
	s_or_saveexec_b64 s[6:7], s[6:7]
	v_mov_b32_e32 v12, s10
	s_xor_b64 exec, exec, s[6:7]
	s_cbranch_execz .LBB2_12050
; %bb.47891:
	s_getpc_b64 s[14:15]
.Lpost_getpc27529:
	s_add_u32 s14, s14, (.LBB2_26388-.Lpost_getpc27529)&4294967295
	s_addc_u32 s15, s15, (.LBB2_26388-.Lpost_getpc27529)>>32
	s_setpc_b64 s[14:15]
.LBB2_12050:
	s_or_b64 exec, exec, s[6:7]
	s_and_saveexec_b64 s[6:7], s[4:5]
	s_cbranch_execz .LBB2_12052
.LBB2_12051:
	v_bfe_u32 v12, v6, 16, 3
	v_ffbh_u32_e32 v15, v12
	v_min_u32_e32 v15, 32, v15
	v_lshrrev_b32_e32 v13, 19, v6
	v_subrev_u32_e32 v16, 28, v15
	v_and_b32_e32 v13, 15, v13
	v_lshlrev_b32_sdwa v16, v16, v6 dst_sel:DWORD dst_unused:UNUSED_PAD src0_sel:DWORD src1_sel:WORD_1
	v_bfe_u32 v14, v6, 19, 4
	v_sub_u32_e32 v15, 29, v15
	v_and_b32_e32 v16, 7, v16
	v_cmp_eq_u16_e32 vcc, 0, v13
	v_cndmask_b32_e32 v12, v12, v16, vcc
	v_cndmask_b32_e32 v13, v14, v15, vcc
	v_lshlrev_b32_e32 v14, 8, v6
	v_mov_b32_e32 v15, 0x3b800000
	v_lshlrev_b32_e32 v12, 20, v12
	v_and_b32_e32 v14, 0x80000000, v14
	v_lshl_add_u32 v13, v13, 23, v15
	v_or3_b32 v12, v14, v13, v12
.LBB2_12052:
	s_or_b64 exec, exec, s[6:7]
	s_movk_i32 s4, 0xff
	v_and_b32_sdwa v13, v2, s4 dst_sel:DWORD dst_unused:UNUSED_PAD src0_sel:WORD_1 src1_sel:DWORD
	s_movk_i32 s4, 0x7f
	v_cmp_lt_i16_e32 vcc, s4, v13
	s_mov_b64 s[4:5], 0
                                        ; implicit-def: $sgpr10
	s_and_saveexec_b64 s[6:7], vcc
	s_xor_b64 s[6:7], exec, s[6:7]
	s_cbranch_execz .LBB2_12053
; %bb.47893:
	s_getpc_b64 s[14:15]
.Lpost_getpc27530:
	s_add_u32 s14, s14, (.LBB2_26389-.Lpost_getpc27530)&4294967295
	s_addc_u32 s15, s15, (.LBB2_26389-.Lpost_getpc27530)>>32
	s_setpc_b64 s[14:15]
.LBB2_12053:
	s_or_saveexec_b64 s[6:7], s[6:7]
	v_mov_b32_e32 v14, s10
	s_xor_b64 exec, exec, s[6:7]
	s_cbranch_execz .LBB2_12054
; %bb.47895:
	s_getpc_b64 s[14:15]
.Lpost_getpc27531:
	s_add_u32 s14, s14, (.LBB2_26392-.Lpost_getpc27531)&4294967295
	s_addc_u32 s15, s15, (.LBB2_26392-.Lpost_getpc27531)>>32
	s_setpc_b64 s[14:15]
.LBB2_12054:
	s_or_b64 exec, exec, s[6:7]
	s_and_saveexec_b64 s[6:7], s[4:5]
	s_cbranch_execz .LBB2_12056
.LBB2_12055:
	v_bfe_u32 v13, v2, 16, 3
	v_ffbh_u32_e32 v16, v13
	v_min_u32_e32 v16, 32, v16
	v_lshrrev_b32_e32 v14, 19, v2
	v_subrev_u32_e32 v17, 28, v16
	v_and_b32_e32 v14, 15, v14
	v_lshlrev_b32_sdwa v17, v17, v2 dst_sel:DWORD dst_unused:UNUSED_PAD src0_sel:DWORD src1_sel:WORD_1
	v_bfe_u32 v15, v2, 19, 4
	v_sub_u32_e32 v16, 29, v16
	v_and_b32_e32 v17, 7, v17
	v_cmp_eq_u16_e32 vcc, 0, v14
	v_cndmask_b32_e32 v13, v13, v17, vcc
	v_cndmask_b32_e32 v14, v15, v16, vcc
	v_lshlrev_b32_e32 v15, 8, v2
	v_mov_b32_e32 v16, 0x3b800000
	v_lshlrev_b32_e32 v13, 20, v13
	v_and_b32_e32 v15, 0x80000000, v15
	v_lshl_add_u32 v14, v14, 23, v16
	v_or3_b32 v14, v15, v14, v13
.LBB2_12056:
	s_or_b64 exec, exec, s[6:7]
	s_nop 0
	v_mfma_f32_16x16x4f32 a[0:3], v12, v14, a[0:3]
	s_movk_i32 s4, 0x7f
	v_cmp_gt_i16_sdwa s[6:7], v6, s4 src0_sel:BYTE_3 src1_sel:DWORD
	s_mov_b64 s[4:5], 0
                                        ; implicit-def: $sgpr10
	s_and_saveexec_b64 s[8:9], s[6:7]
	s_xor_b64 s[6:7], exec, s[8:9]
	s_cbranch_execz .LBB2_12057
; %bb.47897:
	s_getpc_b64 s[14:15]
.Lpost_getpc27532:
	s_add_u32 s14, s14, (.LBB2_26393-.Lpost_getpc27532)&4294967295
	s_addc_u32 s15, s15, (.LBB2_26393-.Lpost_getpc27532)>>32
	s_setpc_b64 s[14:15]
.LBB2_12057:
	s_or_saveexec_b64 s[6:7], s[6:7]
	v_mov_b32_e32 v12, s10
	s_xor_b64 exec, exec, s[6:7]
	s_cbranch_execz .LBB2_12058
; %bb.47899:
	s_getpc_b64 s[14:15]
.Lpost_getpc27533:
	s_add_u32 s14, s14, (.LBB2_26396-.Lpost_getpc27533)&4294967295
	s_addc_u32 s15, s15, (.LBB2_26396-.Lpost_getpc27533)>>32
	s_setpc_b64 s[14:15]
.LBB2_12058:
	s_or_b64 exec, exec, s[6:7]
	s_and_saveexec_b64 s[6:7], s[4:5]
	s_cbranch_execz .LBB2_12060
.LBB2_12059:
	v_bfe_u32 v12, v6, 24, 3
	v_ffbh_u32_e32 v16, v12
	v_min_u32_e32 v16, 32, v16
	v_lshrrev_b32_e32 v14, 27, v6
	v_subrev_u32_e32 v17, 28, v16
	v_and_b32_e32 v13, 0x80000000, v6
	v_and_b32_e32 v14, 15, v14
	v_bfe_u32 v15, v6, 27, 4
	v_lshlrev_b32_sdwa v6, v17, v6 dst_sel:DWORD dst_unused:UNUSED_PAD src0_sel:DWORD src1_sel:BYTE_3
	v_sub_u32_e32 v16, 29, v16
	v_and_b32_e32 v6, 7, v6
	v_cmp_eq_u16_e32 vcc, 0, v14
	v_cndmask_b32_e32 v6, v12, v6, vcc
	v_cndmask_b32_e32 v12, v15, v16, vcc
	v_mov_b32_e32 v14, 0x3b800000
	v_lshlrev_b32_e32 v6, 20, v6
	v_lshl_add_u32 v12, v12, 23, v14
	v_or3_b32 v12, v13, v12, v6
.LBB2_12060:
	s_or_b64 exec, exec, s[6:7]
	s_movk_i32 s4, 0x7f
	v_cmp_gt_i16_sdwa s[6:7], v2, s4 src0_sel:BYTE_3 src1_sel:DWORD
	s_mov_b64 s[4:5], 0
                                        ; implicit-def: $sgpr10
	s_and_saveexec_b64 s[8:9], s[6:7]
	s_xor_b64 s[6:7], exec, s[8:9]
	s_cbranch_execz .LBB2_12061
; %bb.47901:
	s_getpc_b64 s[14:15]
.Lpost_getpc27534:
	s_add_u32 s14, s14, (.LBB2_26397-.Lpost_getpc27534)&4294967295
	s_addc_u32 s15, s15, (.LBB2_26397-.Lpost_getpc27534)>>32
	s_setpc_b64 s[14:15]
.LBB2_12061:
	s_or_saveexec_b64 s[6:7], s[6:7]
	v_mov_b32_e32 v6, s10
	s_xor_b64 exec, exec, s[6:7]
	s_cbranch_execz .LBB2_12062
; %bb.47903:
	s_getpc_b64 s[14:15]
.Lpost_getpc27535:
	s_add_u32 s14, s14, (.LBB2_26400-.Lpost_getpc27535)&4294967295
	s_addc_u32 s15, s15, (.LBB2_26400-.Lpost_getpc27535)>>32
	s_setpc_b64 s[14:15]
.LBB2_12062:
	s_or_b64 exec, exec, s[6:7]
	s_and_saveexec_b64 s[6:7], s[4:5]
	s_cbranch_execz .LBB2_12064
.LBB2_12063:
	v_bfe_u32 v6, v2, 24, 3
	v_ffbh_u32_e32 v16, v6
	v_min_u32_e32 v16, 32, v16
	v_lshrrev_b32_e32 v14, 27, v2
	v_subrev_u32_e32 v17, 28, v16
	v_and_b32_e32 v13, 0x80000000, v2
	v_and_b32_e32 v14, 15, v14
	v_bfe_u32 v15, v2, 27, 4
	v_lshlrev_b32_sdwa v2, v17, v2 dst_sel:DWORD dst_unused:UNUSED_PAD src0_sel:DWORD src1_sel:BYTE_3
	v_sub_u32_e32 v16, 29, v16
	v_and_b32_e32 v2, 7, v2
	v_cmp_eq_u16_e32 vcc, 0, v14
	v_cndmask_b32_e32 v2, v6, v2, vcc
	v_cndmask_b32_e32 v6, v15, v16, vcc
	v_mov_b32_e32 v14, 0x3b800000
	v_lshlrev_b32_e32 v2, 20, v2
	v_lshl_add_u32 v6, v6, 23, v14
	v_or3_b32 v6, v13, v6, v2
.LBB2_12064:
	s_or_b64 exec, exec, s[6:7]
	s_nop 0
	v_mfma_f32_16x16x4f32 a[0:3], v12, v6, a[0:3]
	s_movk_i32 s4, 0x7f
	v_cmp_gt_i16_sdwa s[6:7], v7, s4 src0_sel:BYTE_0 src1_sel:DWORD
	s_mov_b64 s[4:5], 0
                                        ; implicit-def: $sgpr10
	s_and_saveexec_b64 s[8:9], s[6:7]
	s_xor_b64 s[6:7], exec, s[8:9]
	s_cbranch_execz .LBB2_12065
; %bb.47905:
	s_getpc_b64 s[14:15]
.Lpost_getpc27536:
	s_add_u32 s14, s14, (.LBB2_26401-.Lpost_getpc27536)&4294967295
	s_addc_u32 s15, s15, (.LBB2_26401-.Lpost_getpc27536)>>32
	s_setpc_b64 s[14:15]
.LBB2_12065:
	s_or_saveexec_b64 s[6:7], s[6:7]
	v_mov_b32_e32 v2, s10
	s_xor_b64 exec, exec, s[6:7]
	s_cbranch_execz .LBB2_12066
; %bb.47907:
	s_getpc_b64 s[14:15]
.Lpost_getpc27537:
	s_add_u32 s14, s14, (.LBB2_26404-.Lpost_getpc27537)&4294967295
	s_addc_u32 s15, s15, (.LBB2_26404-.Lpost_getpc27537)>>32
	s_setpc_b64 s[14:15]
.LBB2_12066:
	s_or_b64 exec, exec, s[6:7]
	s_and_saveexec_b64 s[6:7], s[4:5]
	s_cbranch_execz .LBB2_12068
.LBB2_12067:
	v_and_b32_e32 v2, 7, v7
	v_ffbh_u32_e32 v12, v2
	v_min_u32_e32 v12, 32, v12
	v_lshrrev_b16_e32 v6, 3, v7
	v_subrev_u32_e32 v13, 28, v12
	v_and_b32_e32 v6, 15, v6
	v_lshlrev_b32_e32 v13, v13, v7
	v_sub_u32_e32 v12, 29, v12
	v_and_b32_e32 v13, 7, v13
	v_cmp_eq_u16_e32 vcc, 0, v6
	v_cndmask_b32_e32 v2, v2, v13, vcc
	v_cndmask_b32_e32 v6, v6, v12, vcc
	v_lshlrev_b32_e32 v12, 24, v7
	v_mov_b32_e32 v13, 0x3b800000
	v_lshlrev_b32_e32 v2, 20, v2
	v_and_b32_e32 v12, 0x80000000, v12
	v_lshl_add_u32 v6, v6, 23, v13
	v_or3_b32 v2, v12, v6, v2
.LBB2_12068:
	s_or_b64 exec, exec, s[6:7]
	s_movk_i32 s4, 0x7f
	v_cmp_gt_i16_sdwa s[6:7], v3, s4 src0_sel:BYTE_0 src1_sel:DWORD
	s_mov_b64 s[4:5], 0
                                        ; implicit-def: $sgpr10
	s_and_saveexec_b64 s[8:9], s[6:7]
	s_xor_b64 s[6:7], exec, s[8:9]
	s_cbranch_execz .LBB2_12069
; %bb.47909:
	s_getpc_b64 s[14:15]
.Lpost_getpc27538:
	s_add_u32 s14, s14, (.LBB2_26405-.Lpost_getpc27538)&4294967295
	s_addc_u32 s15, s15, (.LBB2_26405-.Lpost_getpc27538)>>32
	s_setpc_b64 s[14:15]
.LBB2_12069:
	s_or_saveexec_b64 s[6:7], s[6:7]
	v_mov_b32_e32 v6, s10
	s_xor_b64 exec, exec, s[6:7]
	s_cbranch_execz .LBB2_12070
; %bb.47911:
	s_getpc_b64 s[14:15]
.Lpost_getpc27539:
	s_add_u32 s14, s14, (.LBB2_26408-.Lpost_getpc27539)&4294967295
	s_addc_u32 s15, s15, (.LBB2_26408-.Lpost_getpc27539)>>32
	s_setpc_b64 s[14:15]
.LBB2_12070:
	s_or_b64 exec, exec, s[6:7]
	s_and_saveexec_b64 s[6:7], s[4:5]
	s_cbranch_execz .LBB2_12072
.LBB2_12071:
	v_and_b32_e32 v6, 7, v3
	v_ffbh_u32_e32 v13, v6
	v_min_u32_e32 v13, 32, v13
	v_lshrrev_b16_e32 v12, 3, v3
	v_subrev_u32_e32 v14, 28, v13
	v_and_b32_e32 v12, 15, v12
	v_lshlrev_b32_e32 v14, v14, v3
	v_sub_u32_e32 v13, 29, v13
	v_and_b32_e32 v14, 7, v14
	v_cmp_eq_u16_e32 vcc, 0, v12
	v_cndmask_b32_e32 v6, v6, v14, vcc
	v_cndmask_b32_e32 v12, v12, v13, vcc
	v_lshlrev_b32_e32 v13, 24, v3
	v_mov_b32_e32 v14, 0x3b800000
	v_lshlrev_b32_e32 v6, 20, v6
	v_and_b32_e32 v13, 0x80000000, v13
	v_lshl_add_u32 v12, v12, 23, v14
	v_or3_b32 v6, v13, v12, v6
.LBB2_12072:
	s_or_b64 exec, exec, s[6:7]
	s_nop 0
	v_mfma_f32_16x16x4f32 a[0:3], v2, v6, a[0:3]
	v_lshrrev_b32_e32 v6, 8, v7
	s_movk_i32 s4, 0x7f
	v_cmp_gt_i16_sdwa s[6:7], v6, s4 src0_sel:BYTE_0 src1_sel:DWORD
	s_mov_b64 s[4:5], 0
                                        ; implicit-def: $sgpr10
	s_and_saveexec_b64 s[8:9], s[6:7]
	s_xor_b64 s[6:7], exec, s[8:9]
	s_cbranch_execz .LBB2_12073
; %bb.47913:
	s_getpc_b64 s[14:15]
.Lpost_getpc27540:
	s_add_u32 s14, s14, (.LBB2_26409-.Lpost_getpc27540)&4294967295
	s_addc_u32 s15, s15, (.LBB2_26409-.Lpost_getpc27540)>>32
	s_setpc_b64 s[14:15]
.LBB2_12073:
	s_or_saveexec_b64 s[6:7], s[6:7]
	v_mov_b32_e32 v2, s10
	s_xor_b64 exec, exec, s[6:7]
	s_cbranch_execz .LBB2_12074
; %bb.47915:
	s_getpc_b64 s[14:15]
.Lpost_getpc27541:
	s_add_u32 s14, s14, (.LBB2_26412-.Lpost_getpc27541)&4294967295
	s_addc_u32 s15, s15, (.LBB2_26412-.Lpost_getpc27541)>>32
	s_setpc_b64 s[14:15]
.LBB2_12074:
	s_or_b64 exec, exec, s[6:7]
	s_and_saveexec_b64 s[6:7], s[4:5]
	s_cbranch_execz .LBB2_12076
.LBB2_12075:
	v_bfe_u32 v2, v7, 8, 3
	v_ffbh_u32_e32 v13, v2
	v_min_u32_e32 v13, 32, v13
	v_lshrrev_b16_e32 v12, 3, v6
	v_subrev_u32_e32 v14, 28, v13
	v_and_b32_e32 v12, 15, v12
	v_lshlrev_b32_e32 v6, v14, v6
	v_sub_u32_e32 v13, 29, v13
	v_and_b32_e32 v6, 7, v6
	v_cmp_eq_u16_e32 vcc, 0, v12
	v_cndmask_b32_e32 v2, v2, v6, vcc
	v_cndmask_b32_e32 v6, v12, v13, vcc
	v_lshlrev_b32_e32 v12, 16, v7
	v_mov_b32_e32 v13, 0x3b800000
	v_lshlrev_b32_e32 v2, 20, v2
	v_and_b32_e32 v12, 0x80000000, v12
	v_lshl_add_u32 v6, v6, 23, v13
	v_or3_b32 v2, v12, v6, v2
.LBB2_12076:
	s_or_b64 exec, exec, s[6:7]
	v_lshrrev_b32_e32 v6, 8, v3
	s_movk_i32 s4, 0x7f
	v_cmp_gt_i16_sdwa s[6:7], v6, s4 src0_sel:BYTE_0 src1_sel:DWORD
	s_mov_b64 s[4:5], 0
                                        ; implicit-def: $sgpr10
	s_and_saveexec_b64 s[8:9], s[6:7]
	s_xor_b64 s[6:7], exec, s[8:9]
	s_cbranch_execz .LBB2_12077
; %bb.47917:
	s_getpc_b64 s[14:15]
.Lpost_getpc27542:
	s_add_u32 s14, s14, (.LBB2_26413-.Lpost_getpc27542)&4294967295
	s_addc_u32 s15, s15, (.LBB2_26413-.Lpost_getpc27542)>>32
	s_setpc_b64 s[14:15]
.LBB2_12077:
	s_or_saveexec_b64 s[6:7], s[6:7]
	v_mov_b32_e32 v12, s10
	s_xor_b64 exec, exec, s[6:7]
	s_cbranch_execz .LBB2_12078
; %bb.47919:
	s_getpc_b64 s[14:15]
.Lpost_getpc27543:
	s_add_u32 s14, s14, (.LBB2_26416-.Lpost_getpc27543)&4294967295
	s_addc_u32 s15, s15, (.LBB2_26416-.Lpost_getpc27543)>>32
	s_setpc_b64 s[14:15]
.LBB2_12078:
	s_or_b64 exec, exec, s[6:7]
	s_and_saveexec_b64 s[6:7], s[4:5]
	s_cbranch_execz .LBB2_12080
.LBB2_12079:
	v_bfe_u32 v12, v3, 8, 3
	v_ffbh_u32_e32 v14, v12
	v_min_u32_e32 v14, 32, v14
	v_lshrrev_b16_e32 v13, 3, v6
	v_subrev_u32_e32 v15, 28, v14
	v_and_b32_e32 v13, 15, v13
	v_lshlrev_b32_e32 v6, v15, v6
	v_sub_u32_e32 v14, 29, v14
	v_and_b32_e32 v6, 7, v6
	v_cmp_eq_u16_e32 vcc, 0, v13
	v_cndmask_b32_e32 v6, v12, v6, vcc
	v_cndmask_b32_e32 v12, v13, v14, vcc
	v_lshlrev_b32_e32 v13, 16, v3
	v_mov_b32_e32 v14, 0x3b800000
	v_lshlrev_b32_e32 v6, 20, v6
	v_and_b32_e32 v13, 0x80000000, v13
	v_lshl_add_u32 v12, v12, 23, v14
	v_or3_b32 v12, v13, v12, v6
.LBB2_12080:
	s_or_b64 exec, exec, s[6:7]
	s_nop 0
	v_mfma_f32_16x16x4f32 a[0:3], v2, v12, a[0:3]
	s_movk_i32 s4, 0xff
	v_and_b32_sdwa v6, v7, s4 dst_sel:DWORD dst_unused:UNUSED_PAD src0_sel:WORD_1 src1_sel:DWORD
	s_movk_i32 s4, 0x7f
	v_cmp_lt_i16_e32 vcc, s4, v6
	s_mov_b64 s[4:5], 0
                                        ; implicit-def: $sgpr10
	s_and_saveexec_b64 s[6:7], vcc
	s_xor_b64 s[6:7], exec, s[6:7]
	s_cbranch_execz .LBB2_12081
; %bb.47921:
	s_getpc_b64 s[14:15]
.Lpost_getpc27544:
	s_add_u32 s14, s14, (.LBB2_26417-.Lpost_getpc27544)&4294967295
	s_addc_u32 s15, s15, (.LBB2_26417-.Lpost_getpc27544)>>32
	s_setpc_b64 s[14:15]
.LBB2_12081:
	s_or_saveexec_b64 s[6:7], s[6:7]
	v_mov_b32_e32 v2, s10
	s_xor_b64 exec, exec, s[6:7]
	s_cbranch_execz .LBB2_12082
; %bb.47923:
	s_getpc_b64 s[14:15]
.Lpost_getpc27545:
	s_add_u32 s14, s14, (.LBB2_26420-.Lpost_getpc27545)&4294967295
	s_addc_u32 s15, s15, (.LBB2_26420-.Lpost_getpc27545)>>32
	s_setpc_b64 s[14:15]
.LBB2_12082:
	s_or_b64 exec, exec, s[6:7]
	s_and_saveexec_b64 s[6:7], s[4:5]
	s_cbranch_execz .LBB2_12084
.LBB2_12083:
	v_bfe_u32 v2, v7, 16, 3
	v_ffbh_u32_e32 v13, v2
	v_min_u32_e32 v13, 32, v13
	v_lshrrev_b32_e32 v6, 19, v7
	v_subrev_u32_e32 v14, 28, v13
	v_and_b32_e32 v6, 15, v6
	v_lshlrev_b32_sdwa v14, v14, v7 dst_sel:DWORD dst_unused:UNUSED_PAD src0_sel:DWORD src1_sel:WORD_1
	v_bfe_u32 v12, v7, 19, 4
	v_sub_u32_e32 v13, 29, v13
	v_and_b32_e32 v14, 7, v14
	v_cmp_eq_u16_e32 vcc, 0, v6
	v_cndmask_b32_e32 v2, v2, v14, vcc
	v_cndmask_b32_e32 v6, v12, v13, vcc
	v_lshlrev_b32_e32 v12, 8, v7
	v_mov_b32_e32 v13, 0x3b800000
	v_lshlrev_b32_e32 v2, 20, v2
	v_and_b32_e32 v12, 0x80000000, v12
	v_lshl_add_u32 v6, v6, 23, v13
	v_or3_b32 v2, v12, v6, v2
.LBB2_12084:
	s_or_b64 exec, exec, s[6:7]
	s_movk_i32 s4, 0xff
	v_and_b32_sdwa v6, v3, s4 dst_sel:DWORD dst_unused:UNUSED_PAD src0_sel:WORD_1 src1_sel:DWORD
	s_movk_i32 s4, 0x7f
	v_cmp_lt_i16_e32 vcc, s4, v6
	s_mov_b64 s[4:5], 0
                                        ; implicit-def: $sgpr10
	s_and_saveexec_b64 s[6:7], vcc
	s_xor_b64 s[6:7], exec, s[6:7]
	s_cbranch_execz .LBB2_12085
; %bb.47925:
	s_getpc_b64 s[14:15]
.Lpost_getpc27546:
	s_add_u32 s14, s14, (.LBB2_26421-.Lpost_getpc27546)&4294967295
	s_addc_u32 s15, s15, (.LBB2_26421-.Lpost_getpc27546)>>32
	s_setpc_b64 s[14:15]
.LBB2_12085:
	s_or_saveexec_b64 s[6:7], s[6:7]
	v_mov_b32_e32 v12, s10
	s_xor_b64 exec, exec, s[6:7]
	s_cbranch_execz .LBB2_12086
; %bb.47927:
	s_getpc_b64 s[14:15]
.Lpost_getpc27547:
	s_add_u32 s14, s14, (.LBB2_26424-.Lpost_getpc27547)&4294967295
	s_addc_u32 s15, s15, (.LBB2_26424-.Lpost_getpc27547)>>32
	s_setpc_b64 s[14:15]
.LBB2_12086:
	s_or_b64 exec, exec, s[6:7]
	s_and_saveexec_b64 s[6:7], s[4:5]
	s_cbranch_execz .LBB2_12088
.LBB2_12087:
	v_bfe_u32 v6, v3, 16, 3
	v_ffbh_u32_e32 v14, v6
	v_min_u32_e32 v14, 32, v14
	v_lshrrev_b32_e32 v12, 19, v3
	v_subrev_u32_e32 v15, 28, v14
	v_and_b32_e32 v12, 15, v12
	v_lshlrev_b32_sdwa v15, v15, v3 dst_sel:DWORD dst_unused:UNUSED_PAD src0_sel:DWORD src1_sel:WORD_1
	v_bfe_u32 v13, v3, 19, 4
	v_sub_u32_e32 v14, 29, v14
	v_and_b32_e32 v15, 7, v15
	v_cmp_eq_u16_e32 vcc, 0, v12
	v_cndmask_b32_e32 v6, v6, v15, vcc
	v_cndmask_b32_e32 v12, v13, v14, vcc
	v_lshlrev_b32_e32 v13, 8, v3
	v_mov_b32_e32 v14, 0x3b800000
	v_lshlrev_b32_e32 v6, 20, v6
	v_and_b32_e32 v13, 0x80000000, v13
	v_lshl_add_u32 v12, v12, 23, v14
	v_or3_b32 v12, v13, v12, v6
.LBB2_12088:
	s_or_b64 exec, exec, s[6:7]
	s_nop 0
	v_mfma_f32_16x16x4f32 a[0:3], v2, v12, a[0:3]
	s_movk_i32 s4, 0x7f
	v_cmp_gt_i16_sdwa s[6:7], v7, s4 src0_sel:BYTE_3 src1_sel:DWORD
	s_mov_b64 s[4:5], 0
                                        ; implicit-def: $sgpr10
	s_and_saveexec_b64 s[8:9], s[6:7]
	s_xor_b64 s[6:7], exec, s[8:9]
	s_cbranch_execz .LBB2_12089
; %bb.47929:
	s_getpc_b64 s[14:15]
.Lpost_getpc27548:
	s_add_u32 s14, s14, (.LBB2_26425-.Lpost_getpc27548)&4294967295
	s_addc_u32 s15, s15, (.LBB2_26425-.Lpost_getpc27548)>>32
	s_setpc_b64 s[14:15]
.LBB2_12089:
	s_or_saveexec_b64 s[6:7], s[6:7]
	v_mov_b32_e32 v2, s10
	s_xor_b64 exec, exec, s[6:7]
	s_cbranch_execz .LBB2_12090
; %bb.47931:
	s_getpc_b64 s[14:15]
.Lpost_getpc27549:
	s_add_u32 s14, s14, (.LBB2_26428-.Lpost_getpc27549)&4294967295
	s_addc_u32 s15, s15, (.LBB2_26428-.Lpost_getpc27549)>>32
	s_setpc_b64 s[14:15]
.LBB2_12090:
	s_or_b64 exec, exec, s[6:7]
	s_and_saveexec_b64 s[6:7], s[4:5]
	s_cbranch_execz .LBB2_12092
.LBB2_12091:
	v_bfe_u32 v2, v7, 24, 3
	v_ffbh_u32_e32 v14, v2
	v_min_u32_e32 v14, 32, v14
	v_lshrrev_b32_e32 v12, 27, v7
	v_subrev_u32_e32 v15, 28, v14
	v_and_b32_e32 v6, 0x80000000, v7
	v_and_b32_e32 v12, 15, v12
	v_bfe_u32 v13, v7, 27, 4
	v_lshlrev_b32_sdwa v7, v15, v7 dst_sel:DWORD dst_unused:UNUSED_PAD src0_sel:DWORD src1_sel:BYTE_3
	v_sub_u32_e32 v14, 29, v14
	v_and_b32_e32 v7, 7, v7
	v_cmp_eq_u16_e32 vcc, 0, v12
	v_cndmask_b32_e32 v2, v2, v7, vcc
	v_cndmask_b32_e32 v7, v13, v14, vcc
	v_mov_b32_e32 v12, 0x3b800000
	v_lshlrev_b32_e32 v2, 20, v2
	v_lshl_add_u32 v7, v7, 23, v12
	v_or3_b32 v2, v6, v7, v2
.LBB2_12092:
	s_or_b64 exec, exec, s[6:7]
	s_movk_i32 s4, 0x7f
	v_cmp_gt_i16_sdwa s[6:7], v3, s4 src0_sel:BYTE_3 src1_sel:DWORD
	s_mov_b64 s[4:5], 0
                                        ; implicit-def: $sgpr10
	s_and_saveexec_b64 s[8:9], s[6:7]
	s_xor_b64 s[6:7], exec, s[8:9]
	s_cbranch_execz .LBB2_12093
; %bb.47933:
	s_getpc_b64 s[14:15]
.Lpost_getpc27550:
	s_add_u32 s14, s14, (.LBB2_26429-.Lpost_getpc27550)&4294967295
	s_addc_u32 s15, s15, (.LBB2_26429-.Lpost_getpc27550)>>32
	s_setpc_b64 s[14:15]
.LBB2_12093:
	s_or_saveexec_b64 s[6:7], s[6:7]
	v_mov_b32_e32 v6, s10
	s_xor_b64 exec, exec, s[6:7]
	s_cbranch_execz .LBB2_12094
; %bb.47935:
	s_getpc_b64 s[14:15]
.Lpost_getpc27551:
	s_add_u32 s14, s14, (.LBB2_26432-.Lpost_getpc27551)&4294967295
	s_addc_u32 s15, s15, (.LBB2_26432-.Lpost_getpc27551)>>32
	s_setpc_b64 s[14:15]
.LBB2_12094:
	s_or_b64 exec, exec, s[6:7]
	s_and_saveexec_b64 s[6:7], s[4:5]
	s_cbranch_execz .LBB2_12096
.LBB2_12095:
	v_bfe_u32 v6, v3, 24, 3
	v_ffbh_u32_e32 v14, v6
	v_min_u32_e32 v14, 32, v14
	v_lshrrev_b32_e32 v12, 27, v3
	v_subrev_u32_e32 v15, 28, v14
	v_and_b32_e32 v7, 0x80000000, v3
	v_and_b32_e32 v12, 15, v12
	v_bfe_u32 v13, v3, 27, 4
	v_lshlrev_b32_sdwa v3, v15, v3 dst_sel:DWORD dst_unused:UNUSED_PAD src0_sel:DWORD src1_sel:BYTE_3
	v_sub_u32_e32 v14, 29, v14
	v_and_b32_e32 v3, 7, v3
	v_cmp_eq_u16_e32 vcc, 0, v12
	v_cndmask_b32_e32 v3, v6, v3, vcc
	v_cndmask_b32_e32 v6, v13, v14, vcc
	v_mov_b32_e32 v12, 0x3b800000
	v_lshlrev_b32_e32 v3, 20, v3
	v_lshl_add_u32 v6, v6, 23, v12
	v_or3_b32 v6, v7, v6, v3
.LBB2_12096:
	s_or_b64 exec, exec, s[6:7]
	s_nop 0
	v_mfma_f32_16x16x4f32 a[0:3], v2, v6, a[0:3]
	s_movk_i32 s4, 0x7f
	v_cmp_gt_i16_sdwa s[6:7], v8, s4 src0_sel:BYTE_0 src1_sel:DWORD
	s_mov_b64 s[4:5], 0
                                        ; implicit-def: $sgpr10
	s_and_saveexec_b64 s[8:9], s[6:7]
	s_xor_b64 s[6:7], exec, s[8:9]
	s_cbranch_execz .LBB2_12097
; %bb.47937:
	s_getpc_b64 s[14:15]
.Lpost_getpc27552:
	s_add_u32 s14, s14, (.LBB2_26433-.Lpost_getpc27552)&4294967295
	s_addc_u32 s15, s15, (.LBB2_26433-.Lpost_getpc27552)>>32
	s_setpc_b64 s[14:15]
.LBB2_12097:
	s_or_saveexec_b64 s[6:7], s[6:7]
	v_mov_b32_e32 v2, s10
	s_xor_b64 exec, exec, s[6:7]
	s_cbranch_execz .LBB2_12098
; %bb.47939:
	s_getpc_b64 s[14:15]
.Lpost_getpc27553:
	s_add_u32 s14, s14, (.LBB2_26436-.Lpost_getpc27553)&4294967295
	s_addc_u32 s15, s15, (.LBB2_26436-.Lpost_getpc27553)>>32
	s_setpc_b64 s[14:15]
.LBB2_12098:
	s_or_b64 exec, exec, s[6:7]
	s_and_saveexec_b64 s[6:7], s[4:5]
	s_cbranch_execz .LBB2_12100
.LBB2_12099:
	v_and_b32_e32 v2, 7, v8
	v_ffbh_u32_e32 v6, v2
	v_min_u32_e32 v6, 32, v6
	v_lshrrev_b16_e32 v3, 3, v8
	v_subrev_u32_e32 v7, 28, v6
	v_and_b32_e32 v3, 15, v3
	v_lshlrev_b32_e32 v7, v7, v8
	v_sub_u32_e32 v6, 29, v6
	v_and_b32_e32 v7, 7, v7
	v_cmp_eq_u16_e32 vcc, 0, v3
	v_cndmask_b32_e32 v2, v2, v7, vcc
	v_cndmask_b32_e32 v3, v3, v6, vcc
	v_lshlrev_b32_e32 v6, 24, v8
	v_mov_b32_e32 v7, 0x3b800000
	v_lshlrev_b32_e32 v2, 20, v2
	v_and_b32_e32 v6, 0x80000000, v6
	v_lshl_add_u32 v3, v3, 23, v7
	v_or3_b32 v2, v6, v3, v2
.LBB2_12100:
	s_or_b64 exec, exec, s[6:7]
	s_movk_i32 s4, 0x7f
	v_cmp_gt_i16_sdwa s[6:7], v4, s4 src0_sel:BYTE_0 src1_sel:DWORD
	s_mov_b64 s[4:5], 0
                                        ; implicit-def: $sgpr10
	s_and_saveexec_b64 s[8:9], s[6:7]
	s_xor_b64 s[6:7], exec, s[8:9]
	s_cbranch_execz .LBB2_12101
; %bb.47941:
	s_getpc_b64 s[14:15]
.Lpost_getpc27554:
	s_add_u32 s14, s14, (.LBB2_26437-.Lpost_getpc27554)&4294967295
	s_addc_u32 s15, s15, (.LBB2_26437-.Lpost_getpc27554)>>32
	s_setpc_b64 s[14:15]
.LBB2_12101:
	s_or_saveexec_b64 s[6:7], s[6:7]
	v_mov_b32_e32 v3, s10
	s_xor_b64 exec, exec, s[6:7]
	s_cbranch_execz .LBB2_12102
; %bb.47943:
	s_getpc_b64 s[14:15]
.Lpost_getpc27555:
	s_add_u32 s14, s14, (.LBB2_26440-.Lpost_getpc27555)&4294967295
	s_addc_u32 s15, s15, (.LBB2_26440-.Lpost_getpc27555)>>32
	s_setpc_b64 s[14:15]
.LBB2_12102:
	s_or_b64 exec, exec, s[6:7]
	s_and_saveexec_b64 s[6:7], s[4:5]
	s_cbranch_execz .LBB2_12104
.LBB2_12103:
	v_and_b32_e32 v3, 7, v4
	v_ffbh_u32_e32 v7, v3
	v_min_u32_e32 v7, 32, v7
	v_lshrrev_b16_e32 v6, 3, v4
	v_subrev_u32_e32 v12, 28, v7
	v_and_b32_e32 v6, 15, v6
	v_lshlrev_b32_e32 v12, v12, v4
	v_sub_u32_e32 v7, 29, v7
	v_and_b32_e32 v12, 7, v12
	v_cmp_eq_u16_e32 vcc, 0, v6
	v_cndmask_b32_e32 v3, v3, v12, vcc
	v_cndmask_b32_e32 v6, v6, v7, vcc
	v_lshlrev_b32_e32 v7, 24, v4
	v_mov_b32_e32 v12, 0x3b800000
	v_lshlrev_b32_e32 v3, 20, v3
	v_and_b32_e32 v7, 0x80000000, v7
	v_lshl_add_u32 v6, v6, 23, v12
	v_or3_b32 v3, v7, v6, v3
.LBB2_12104:
	s_or_b64 exec, exec, s[6:7]
	s_nop 0
	v_mfma_f32_16x16x4f32 a[0:3], v2, v3, a[0:3]
	v_lshrrev_b32_e32 v3, 8, v8
	s_movk_i32 s4, 0x7f
	v_cmp_gt_i16_sdwa s[6:7], v3, s4 src0_sel:BYTE_0 src1_sel:DWORD
	s_mov_b64 s[4:5], 0
                                        ; implicit-def: $sgpr10
	s_and_saveexec_b64 s[8:9], s[6:7]
	s_xor_b64 s[6:7], exec, s[8:9]
	s_cbranch_execz .LBB2_12105
; %bb.47945:
	s_getpc_b64 s[14:15]
.Lpost_getpc27556:
	s_add_u32 s14, s14, (.LBB2_26441-.Lpost_getpc27556)&4294967295
	s_addc_u32 s15, s15, (.LBB2_26441-.Lpost_getpc27556)>>32
	s_setpc_b64 s[14:15]
.LBB2_12105:
	s_or_saveexec_b64 s[6:7], s[6:7]
	v_mov_b32_e32 v2, s10
	s_xor_b64 exec, exec, s[6:7]
	s_cbranch_execz .LBB2_12106
; %bb.47947:
	s_getpc_b64 s[14:15]
.Lpost_getpc27557:
	s_add_u32 s14, s14, (.LBB2_26444-.Lpost_getpc27557)&4294967295
	s_addc_u32 s15, s15, (.LBB2_26444-.Lpost_getpc27557)>>32
	s_setpc_b64 s[14:15]
.LBB2_12106:
	s_or_b64 exec, exec, s[6:7]
	s_and_saveexec_b64 s[6:7], s[4:5]
	s_cbranch_execz .LBB2_12108
.LBB2_12107:
	v_bfe_u32 v2, v8, 8, 3
	v_ffbh_u32_e32 v7, v2
	v_min_u32_e32 v7, 32, v7
	v_lshrrev_b16_e32 v6, 3, v3
	v_subrev_u32_e32 v12, 28, v7
	v_and_b32_e32 v6, 15, v6
	v_lshlrev_b32_e32 v3, v12, v3
	v_sub_u32_e32 v7, 29, v7
	v_and_b32_e32 v3, 7, v3
	v_cmp_eq_u16_e32 vcc, 0, v6
	v_cndmask_b32_e32 v2, v2, v3, vcc
	v_cndmask_b32_e32 v3, v6, v7, vcc
	v_lshlrev_b32_e32 v6, 16, v8
	v_mov_b32_e32 v7, 0x3b800000
	v_lshlrev_b32_e32 v2, 20, v2
	v_and_b32_e32 v6, 0x80000000, v6
	v_lshl_add_u32 v3, v3, 23, v7
	v_or3_b32 v2, v6, v3, v2
.LBB2_12108:
	s_or_b64 exec, exec, s[6:7]
	v_lshrrev_b32_e32 v3, 8, v4
	s_movk_i32 s4, 0x7f
	v_cmp_gt_i16_sdwa s[6:7], v3, s4 src0_sel:BYTE_0 src1_sel:DWORD
	s_mov_b64 s[4:5], 0
                                        ; implicit-def: $sgpr10
	s_and_saveexec_b64 s[8:9], s[6:7]
	s_xor_b64 s[6:7], exec, s[8:9]
	s_cbranch_execz .LBB2_12109
; %bb.47949:
	s_getpc_b64 s[14:15]
.Lpost_getpc27558:
	s_add_u32 s14, s14, (.LBB2_26445-.Lpost_getpc27558)&4294967295
	s_addc_u32 s15, s15, (.LBB2_26445-.Lpost_getpc27558)>>32
	s_setpc_b64 s[14:15]
.LBB2_12109:
	s_or_saveexec_b64 s[6:7], s[6:7]
	v_mov_b32_e32 v6, s10
	s_xor_b64 exec, exec, s[6:7]
	s_cbranch_execz .LBB2_12110
; %bb.47951:
	s_getpc_b64 s[14:15]
.Lpost_getpc27559:
	s_add_u32 s14, s14, (.LBB2_26448-.Lpost_getpc27559)&4294967295
	s_addc_u32 s15, s15, (.LBB2_26448-.Lpost_getpc27559)>>32
	s_setpc_b64 s[14:15]
.LBB2_12110:
	s_or_b64 exec, exec, s[6:7]
	s_and_saveexec_b64 s[6:7], s[4:5]
	s_cbranch_execz .LBB2_12112
.LBB2_12111:
	v_bfe_u32 v6, v4, 8, 3
	v_ffbh_u32_e32 v12, v6
	v_min_u32_e32 v12, 32, v12
	v_lshrrev_b16_e32 v7, 3, v3
	v_subrev_u32_e32 v13, 28, v12
	v_and_b32_e32 v7, 15, v7
	v_lshlrev_b32_e32 v3, v13, v3
	v_sub_u32_e32 v12, 29, v12
	v_and_b32_e32 v3, 7, v3
	v_cmp_eq_u16_e32 vcc, 0, v7
	v_cndmask_b32_e32 v3, v6, v3, vcc
	v_cndmask_b32_e32 v6, v7, v12, vcc
	v_lshlrev_b32_e32 v7, 16, v4
	v_mov_b32_e32 v12, 0x3b800000
	v_lshlrev_b32_e32 v3, 20, v3
	v_and_b32_e32 v7, 0x80000000, v7
	v_lshl_add_u32 v6, v6, 23, v12
	v_or3_b32 v6, v7, v6, v3
.LBB2_12112:
	s_or_b64 exec, exec, s[6:7]
	s_nop 0
	v_mfma_f32_16x16x4f32 a[0:3], v2, v6, a[0:3]
	s_movk_i32 s4, 0xff
	v_and_b32_sdwa v3, v8, s4 dst_sel:DWORD dst_unused:UNUSED_PAD src0_sel:WORD_1 src1_sel:DWORD
	s_movk_i32 s4, 0x7f
	v_cmp_lt_i16_e32 vcc, s4, v3
	s_mov_b64 s[4:5], 0
                                        ; implicit-def: $sgpr10
	s_and_saveexec_b64 s[6:7], vcc
	s_xor_b64 s[6:7], exec, s[6:7]
	s_cbranch_execz .LBB2_12113
; %bb.47953:
	s_getpc_b64 s[14:15]
.Lpost_getpc27560:
	s_add_u32 s14, s14, (.LBB2_26449-.Lpost_getpc27560)&4294967295
	s_addc_u32 s15, s15, (.LBB2_26449-.Lpost_getpc27560)>>32
	s_setpc_b64 s[14:15]
.LBB2_12113:
	s_or_saveexec_b64 s[6:7], s[6:7]
	v_mov_b32_e32 v2, s10
	s_xor_b64 exec, exec, s[6:7]
	s_cbranch_execz .LBB2_12114
; %bb.47955:
	s_getpc_b64 s[14:15]
.Lpost_getpc27561:
	s_add_u32 s14, s14, (.LBB2_26452-.Lpost_getpc27561)&4294967295
	s_addc_u32 s15, s15, (.LBB2_26452-.Lpost_getpc27561)>>32
	s_setpc_b64 s[14:15]
.LBB2_12114:
	s_or_b64 exec, exec, s[6:7]
	s_and_saveexec_b64 s[6:7], s[4:5]
	s_cbranch_execz .LBB2_12116
.LBB2_12115:
	v_bfe_u32 v2, v8, 16, 3
	v_ffbh_u32_e32 v7, v2
	v_min_u32_e32 v7, 32, v7
	v_lshrrev_b32_e32 v3, 19, v8
	v_subrev_u32_e32 v12, 28, v7
	v_and_b32_e32 v3, 15, v3
	v_lshlrev_b32_sdwa v12, v12, v8 dst_sel:DWORD dst_unused:UNUSED_PAD src0_sel:DWORD src1_sel:WORD_1
	v_bfe_u32 v6, v8, 19, 4
	v_sub_u32_e32 v7, 29, v7
	v_and_b32_e32 v12, 7, v12
	v_cmp_eq_u16_e32 vcc, 0, v3
	v_cndmask_b32_e32 v2, v2, v12, vcc
	v_cndmask_b32_e32 v3, v6, v7, vcc
	v_lshlrev_b32_e32 v6, 8, v8
	v_mov_b32_e32 v7, 0x3b800000
	v_lshlrev_b32_e32 v2, 20, v2
	v_and_b32_e32 v6, 0x80000000, v6
	v_lshl_add_u32 v3, v3, 23, v7
	v_or3_b32 v2, v6, v3, v2
.LBB2_12116:
	s_or_b64 exec, exec, s[6:7]
	s_movk_i32 s4, 0xff
	v_and_b32_sdwa v3, v4, s4 dst_sel:DWORD dst_unused:UNUSED_PAD src0_sel:WORD_1 src1_sel:DWORD
	s_movk_i32 s4, 0x7f
	v_cmp_lt_i16_e32 vcc, s4, v3
	s_mov_b64 s[4:5], 0
                                        ; implicit-def: $sgpr10
	s_and_saveexec_b64 s[6:7], vcc
	s_xor_b64 s[6:7], exec, s[6:7]
	s_cbranch_execz .LBB2_12117
; %bb.47957:
	s_getpc_b64 s[14:15]
.Lpost_getpc27562:
	s_add_u32 s14, s14, (.LBB2_26453-.Lpost_getpc27562)&4294967295
	s_addc_u32 s15, s15, (.LBB2_26453-.Lpost_getpc27562)>>32
	s_setpc_b64 s[14:15]
.LBB2_12117:
	s_or_saveexec_b64 s[6:7], s[6:7]
	v_mov_b32_e32 v6, s10
	s_xor_b64 exec, exec, s[6:7]
	s_cbranch_execz .LBB2_12118
; %bb.47959:
	s_getpc_b64 s[14:15]
.Lpost_getpc27563:
	s_add_u32 s14, s14, (.LBB2_26456-.Lpost_getpc27563)&4294967295
	s_addc_u32 s15, s15, (.LBB2_26456-.Lpost_getpc27563)>>32
	s_setpc_b64 s[14:15]
.LBB2_12118:
	s_or_b64 exec, exec, s[6:7]
	s_and_saveexec_b64 s[6:7], s[4:5]
	s_cbranch_execz .LBB2_12120
.LBB2_12119:
	v_bfe_u32 v3, v4, 16, 3
	v_ffbh_u32_e32 v12, v3
	v_min_u32_e32 v12, 32, v12
	v_lshrrev_b32_e32 v6, 19, v4
	v_subrev_u32_e32 v13, 28, v12
	v_and_b32_e32 v6, 15, v6
	v_lshlrev_b32_sdwa v13, v13, v4 dst_sel:DWORD dst_unused:UNUSED_PAD src0_sel:DWORD src1_sel:WORD_1
	v_bfe_u32 v7, v4, 19, 4
	v_sub_u32_e32 v12, 29, v12
	v_and_b32_e32 v13, 7, v13
	v_cmp_eq_u16_e32 vcc, 0, v6
	v_cndmask_b32_e32 v3, v3, v13, vcc
	v_cndmask_b32_e32 v6, v7, v12, vcc
	v_lshlrev_b32_e32 v7, 8, v4
	v_mov_b32_e32 v12, 0x3b800000
	v_lshlrev_b32_e32 v3, 20, v3
	v_and_b32_e32 v7, 0x80000000, v7
	v_lshl_add_u32 v6, v6, 23, v12
	v_or3_b32 v6, v7, v6, v3
.LBB2_12120:
	s_or_b64 exec, exec, s[6:7]
	s_nop 0
	v_mfma_f32_16x16x4f32 a[0:3], v2, v6, a[0:3]
	s_movk_i32 s4, 0x7f
	v_cmp_gt_i16_sdwa s[6:7], v8, s4 src0_sel:BYTE_3 src1_sel:DWORD
	s_mov_b64 s[4:5], 0
                                        ; implicit-def: $sgpr10
	s_and_saveexec_b64 s[8:9], s[6:7]
	s_xor_b64 s[6:7], exec, s[8:9]
	s_cbranch_execz .LBB2_12121
; %bb.47961:
	s_getpc_b64 s[14:15]
.Lpost_getpc27564:
	s_add_u32 s14, s14, (.LBB2_26457-.Lpost_getpc27564)&4294967295
	s_addc_u32 s15, s15, (.LBB2_26457-.Lpost_getpc27564)>>32
	s_setpc_b64 s[14:15]
.LBB2_12121:
	s_or_saveexec_b64 s[6:7], s[6:7]
	v_mov_b32_e32 v2, s10
	s_xor_b64 exec, exec, s[6:7]
	s_cbranch_execz .LBB2_12122
; %bb.47963:
	s_getpc_b64 s[14:15]
.Lpost_getpc27565:
	s_add_u32 s14, s14, (.LBB2_26460-.Lpost_getpc27565)&4294967295
	s_addc_u32 s15, s15, (.LBB2_26460-.Lpost_getpc27565)>>32
	s_setpc_b64 s[14:15]
.LBB2_12122:
	s_or_b64 exec, exec, s[6:7]
	s_and_saveexec_b64 s[6:7], s[4:5]
	s_cbranch_execz .LBB2_12124
.LBB2_12123:
	v_bfe_u32 v2, v8, 24, 3
	v_ffbh_u32_e32 v12, v2
	v_min_u32_e32 v12, 32, v12
	v_lshrrev_b32_e32 v6, 27, v8
	v_subrev_u32_e32 v13, 28, v12
	v_and_b32_e32 v3, 0x80000000, v8
	v_and_b32_e32 v6, 15, v6
	v_bfe_u32 v7, v8, 27, 4
	v_lshlrev_b32_sdwa v8, v13, v8 dst_sel:DWORD dst_unused:UNUSED_PAD src0_sel:DWORD src1_sel:BYTE_3
	v_sub_u32_e32 v12, 29, v12
	v_and_b32_e32 v8, 7, v8
	v_cmp_eq_u16_e32 vcc, 0, v6
	v_cndmask_b32_e32 v2, v2, v8, vcc
	v_cndmask_b32_e32 v6, v7, v12, vcc
	v_mov_b32_e32 v7, 0x3b800000
	v_lshlrev_b32_e32 v2, 20, v2
	v_lshl_add_u32 v6, v6, 23, v7
	v_or3_b32 v2, v3, v6, v2
.LBB2_12124:
	s_or_b64 exec, exec, s[6:7]
	s_movk_i32 s4, 0x7f
	v_cmp_gt_i16_sdwa s[6:7], v4, s4 src0_sel:BYTE_3 src1_sel:DWORD
	s_mov_b64 s[4:5], 0
                                        ; implicit-def: $sgpr10
	s_and_saveexec_b64 s[8:9], s[6:7]
	s_xor_b64 s[6:7], exec, s[8:9]
	s_cbranch_execz .LBB2_12125
; %bb.47965:
	s_getpc_b64 s[14:15]
.Lpost_getpc27566:
	s_add_u32 s14, s14, (.LBB2_26461-.Lpost_getpc27566)&4294967295
	s_addc_u32 s15, s15, (.LBB2_26461-.Lpost_getpc27566)>>32
	s_setpc_b64 s[14:15]
.LBB2_12125:
	s_or_saveexec_b64 s[6:7], s[6:7]
	v_mov_b32_e32 v3, s10
	s_xor_b64 exec, exec, s[6:7]
	s_cbranch_execz .LBB2_12126
; %bb.47967:
	s_getpc_b64 s[14:15]
.Lpost_getpc27567:
	s_add_u32 s14, s14, (.LBB2_26464-.Lpost_getpc27567)&4294967295
	s_addc_u32 s15, s15, (.LBB2_26464-.Lpost_getpc27567)>>32
	s_setpc_b64 s[14:15]
.LBB2_12126:
	s_or_b64 exec, exec, s[6:7]
	s_and_saveexec_b64 s[6:7], s[4:5]
	s_cbranch_execz .LBB2_12128
.LBB2_12127:
	v_bfe_u32 v3, v4, 24, 3
	v_ffbh_u32_e32 v12, v3
	v_min_u32_e32 v12, 32, v12
	v_lshrrev_b32_e32 v7, 27, v4
	v_subrev_u32_e32 v13, 28, v12
	v_and_b32_e32 v6, 0x80000000, v4
	v_and_b32_e32 v7, 15, v7
	v_bfe_u32 v8, v4, 27, 4
	v_lshlrev_b32_sdwa v4, v13, v4 dst_sel:DWORD dst_unused:UNUSED_PAD src0_sel:DWORD src1_sel:BYTE_3
	v_sub_u32_e32 v12, 29, v12
	v_and_b32_e32 v4, 7, v4
	v_cmp_eq_u16_e32 vcc, 0, v7
	v_cndmask_b32_e32 v3, v3, v4, vcc
	v_cndmask_b32_e32 v4, v8, v12, vcc
	v_mov_b32_e32 v7, 0x3b800000
	v_lshlrev_b32_e32 v3, 20, v3
	v_lshl_add_u32 v4, v4, 23, v7
	v_or3_b32 v3, v6, v4, v3
.LBB2_12128:
	s_or_b64 exec, exec, s[6:7]
	s_nop 0
	v_mfma_f32_16x16x4f32 a[0:3], v2, v3, a[0:3]
	s_movk_i32 s4, 0x7f
	v_cmp_gt_i16_sdwa s[6:7], v9, s4 src0_sel:BYTE_0 src1_sel:DWORD
	s_mov_b64 s[4:5], 0
                                        ; implicit-def: $sgpr10
	s_and_saveexec_b64 s[8:9], s[6:7]
	s_xor_b64 s[6:7], exec, s[8:9]
	s_cbranch_execz .LBB2_12129
; %bb.47969:
	s_getpc_b64 s[14:15]
.Lpost_getpc27568:
	s_add_u32 s14, s14, (.LBB2_26465-.Lpost_getpc27568)&4294967295
	s_addc_u32 s15, s15, (.LBB2_26465-.Lpost_getpc27568)>>32
	s_setpc_b64 s[14:15]
.LBB2_12129:
	s_or_saveexec_b64 s[6:7], s[6:7]
	v_mov_b32_e32 v2, s10
	s_xor_b64 exec, exec, s[6:7]
	s_cbranch_execz .LBB2_12130
; %bb.47971:
	s_getpc_b64 s[14:15]
.Lpost_getpc27569:
	s_add_u32 s14, s14, (.LBB2_26468-.Lpost_getpc27569)&4294967295
	s_addc_u32 s15, s15, (.LBB2_26468-.Lpost_getpc27569)>>32
	s_setpc_b64 s[14:15]
.LBB2_12130:
	s_or_b64 exec, exec, s[6:7]
	s_and_saveexec_b64 s[6:7], s[4:5]
	s_cbranch_execz .LBB2_12132
.LBB2_12131:
	v_mov_b32_e32 v2, 8
	v_and_b32_e32 v3, 7, v9
	v_lshrrev_b32_sdwa v2, v2, v9 dst_sel:BYTE_1 dst_unused:UNUSED_PAD src0_sel:DWORD src1_sel:DWORD
	v_ffbh_u32_e32 v4, v3
	v_or_b32_sdwa v2, v9, v2 dst_sel:DWORD dst_unused:UNUSED_PAD src0_sel:BYTE_0 src1_sel:DWORD
	v_min_u32_e32 v4, 32, v4
	v_lshrrev_b16_e32 v2, 3, v2
	v_subrev_u32_e32 v6, 28, v4
	v_and_b32_e32 v2, 15, v2
	v_lshlrev_b32_e32 v6, v6, v9
	v_sub_u32_e32 v4, 29, v4
	v_and_b32_e32 v6, 7, v6
	v_cmp_eq_u16_e32 vcc, 0, v2
	v_cndmask_b32_e32 v3, v3, v6, vcc
	v_cndmask_b32_e32 v2, v2, v4, vcc
	v_lshlrev_b32_e32 v4, 24, v9
	v_mov_b32_e32 v6, 0x3b800000
	v_lshlrev_b32_e32 v3, 20, v3
	v_and_b32_e32 v4, 0x80000000, v4
	v_lshl_add_u32 v2, v2, 23, v6
	v_or3_b32 v2, v4, v2, v3
.LBB2_12132:
	s_or_b64 exec, exec, s[6:7]
	s_movk_i32 s4, 0x7f
	v_cmp_gt_i16_sdwa s[6:7], v5, s4 src0_sel:BYTE_0 src1_sel:DWORD
	s_mov_b64 s[4:5], 0
                                        ; implicit-def: $sgpr10
	s_and_saveexec_b64 s[8:9], s[6:7]
	s_xor_b64 s[6:7], exec, s[8:9]
	s_cbranch_execz .LBB2_12133
; %bb.47973:
	s_getpc_b64 s[14:15]
.Lpost_getpc27570:
	s_add_u32 s14, s14, (.LBB2_26469-.Lpost_getpc27570)&4294967295
	s_addc_u32 s15, s15, (.LBB2_26469-.Lpost_getpc27570)>>32
	s_setpc_b64 s[14:15]
.LBB2_12133:
	s_or_saveexec_b64 s[6:7], s[6:7]
	v_mov_b32_e32 v3, s10
	s_xor_b64 exec, exec, s[6:7]
	s_cbranch_execz .LBB2_12134
; %bb.47975:
	s_getpc_b64 s[14:15]
.Lpost_getpc27571:
	s_add_u32 s14, s14, (.LBB2_26472-.Lpost_getpc27571)&4294967295
	s_addc_u32 s15, s15, (.LBB2_26472-.Lpost_getpc27571)>>32
	s_setpc_b64 s[14:15]
.LBB2_12134:
	s_or_b64 exec, exec, s[6:7]
	s_and_saveexec_b64 s[6:7], s[4:5]
	s_cbranch_execz .LBB2_12136
.LBB2_12135:
	v_mov_b32_e32 v3, 8
	v_and_b32_e32 v4, 7, v5
	v_lshrrev_b32_sdwa v3, v3, v5 dst_sel:BYTE_1 dst_unused:UNUSED_PAD src0_sel:DWORD src1_sel:DWORD
	v_ffbh_u32_e32 v6, v4
	v_or_b32_sdwa v3, v5, v3 dst_sel:DWORD dst_unused:UNUSED_PAD src0_sel:BYTE_0 src1_sel:DWORD
	v_min_u32_e32 v6, 32, v6
	v_lshrrev_b16_e32 v3, 3, v3
	v_subrev_u32_e32 v7, 28, v6
	v_and_b32_e32 v3, 15, v3
	v_lshlrev_b32_e32 v7, v7, v5
	v_sub_u32_e32 v6, 29, v6
	v_and_b32_e32 v7, 7, v7
	v_cmp_eq_u16_e32 vcc, 0, v3
	v_cndmask_b32_e32 v4, v4, v7, vcc
	v_cndmask_b32_e32 v3, v3, v6, vcc
	v_lshlrev_b32_e32 v6, 24, v5
	v_mov_b32_e32 v7, 0x3b800000
	v_lshlrev_b32_e32 v4, 20, v4
	v_and_b32_e32 v6, 0x80000000, v6
	v_lshl_add_u32 v3, v3, 23, v7
	v_or3_b32 v3, v6, v3, v4
.LBB2_12136:
	s_or_b64 exec, exec, s[6:7]
	s_nop 0
	v_mfma_f32_16x16x4f32 a[0:3], v2, v3, a[0:3]
	v_lshrrev_b32_e32 v3, 8, v9
	s_movk_i32 s4, 0x7f
	v_cmp_gt_i16_sdwa s[6:7], v3, s4 src0_sel:BYTE_0 src1_sel:DWORD
	s_mov_b64 s[4:5], 0
                                        ; implicit-def: $sgpr10
	s_and_saveexec_b64 s[8:9], s[6:7]
	s_xor_b64 s[6:7], exec, s[8:9]
	s_cbranch_execz .LBB2_12137
; %bb.47977:
	s_getpc_b64 s[14:15]
.Lpost_getpc27572:
	s_add_u32 s14, s14, (.LBB2_26473-.Lpost_getpc27572)&4294967295
	s_addc_u32 s15, s15, (.LBB2_26473-.Lpost_getpc27572)>>32
	s_setpc_b64 s[14:15]
.LBB2_12137:
	s_or_saveexec_b64 s[6:7], s[6:7]
	v_mov_b32_e32 v2, s10
	s_xor_b64 exec, exec, s[6:7]
	s_cbranch_execz .LBB2_12138
; %bb.47979:
	s_getpc_b64 s[14:15]
.Lpost_getpc27573:
	s_add_u32 s14, s14, (.LBB2_26476-.Lpost_getpc27573)&4294967295
	s_addc_u32 s15, s15, (.LBB2_26476-.Lpost_getpc27573)>>32
	s_setpc_b64 s[14:15]
.LBB2_12138:
	s_or_b64 exec, exec, s[6:7]
	s_and_saveexec_b64 s[6:7], s[4:5]
	s_cbranch_execz .LBB2_12140
.LBB2_12139:
	v_bfe_u32 v2, v9, 8, 3
	v_ffbh_u32_e32 v6, v2
	v_min_u32_e32 v6, 32, v6
	v_lshrrev_b16_e32 v4, 3, v3
	v_subrev_u32_e32 v7, 28, v6
	v_and_b32_e32 v4, 15, v4
	v_lshlrev_b32_e32 v3, v7, v3
	v_sub_u32_e32 v6, 29, v6
	v_and_b32_e32 v3, 7, v3
	v_cmp_eq_u16_e32 vcc, 0, v4
	v_cndmask_b32_e32 v2, v2, v3, vcc
	v_cndmask_b32_e32 v3, v4, v6, vcc
	v_lshlrev_b32_e32 v4, 16, v9
	v_mov_b32_e32 v6, 0x3b800000
	v_lshlrev_b32_e32 v2, 20, v2
	v_and_b32_e32 v4, 0x80000000, v4
	v_lshl_add_u32 v3, v3, 23, v6
	v_or3_b32 v2, v4, v3, v2
.LBB2_12140:
	s_or_b64 exec, exec, s[6:7]
	v_lshrrev_b32_e32 v3, 8, v5
	s_movk_i32 s4, 0x7f
	v_cmp_gt_i16_sdwa s[6:7], v3, s4 src0_sel:BYTE_0 src1_sel:DWORD
	s_mov_b64 s[4:5], 0
                                        ; implicit-def: $sgpr10
	s_and_saveexec_b64 s[8:9], s[6:7]
	s_xor_b64 s[6:7], exec, s[8:9]
	s_cbranch_execz .LBB2_12141
; %bb.47981:
	s_getpc_b64 s[14:15]
.Lpost_getpc27574:
	s_add_u32 s14, s14, (.LBB2_26477-.Lpost_getpc27574)&4294967295
	s_addc_u32 s15, s15, (.LBB2_26477-.Lpost_getpc27574)>>32
	s_setpc_b64 s[14:15]
.LBB2_12141:
	s_or_saveexec_b64 s[6:7], s[6:7]
	v_mov_b32_e32 v4, s10
	s_xor_b64 exec, exec, s[6:7]
	s_cbranch_execz .LBB2_12142
; %bb.47983:
	s_getpc_b64 s[14:15]
.Lpost_getpc27575:
	s_add_u32 s14, s14, (.LBB2_26480-.Lpost_getpc27575)&4294967295
	s_addc_u32 s15, s15, (.LBB2_26480-.Lpost_getpc27575)>>32
	s_setpc_b64 s[14:15]
.LBB2_12142:
	s_or_b64 exec, exec, s[6:7]
	s_and_saveexec_b64 s[6:7], s[4:5]
	s_cbranch_execz .LBB2_12144
.LBB2_12143:
	v_bfe_u32 v4, v5, 8, 3
	v_ffbh_u32_e32 v7, v4
	v_min_u32_e32 v7, 32, v7
	v_lshrrev_b16_e32 v6, 3, v3
	v_subrev_u32_e32 v8, 28, v7
	v_and_b32_e32 v6, 15, v6
	v_lshlrev_b32_e32 v3, v8, v3
	v_sub_u32_e32 v7, 29, v7
	v_and_b32_e32 v3, 7, v3
	v_cmp_eq_u16_e32 vcc, 0, v6
	v_cndmask_b32_e32 v3, v4, v3, vcc
	v_cndmask_b32_e32 v4, v6, v7, vcc
	v_lshlrev_b32_e32 v6, 16, v5
	v_mov_b32_e32 v7, 0x3b800000
	v_lshlrev_b32_e32 v3, 20, v3
	v_and_b32_e32 v6, 0x80000000, v6
	v_lshl_add_u32 v4, v4, 23, v7
	v_or3_b32 v4, v6, v4, v3
.LBB2_12144:
	s_or_b64 exec, exec, s[6:7]
	s_nop 0
	v_mfma_f32_16x16x4f32 a[0:3], v2, v4, a[0:3]
	s_movk_i32 s4, 0xff
	v_and_b32_sdwa v3, v9, s4 dst_sel:DWORD dst_unused:UNUSED_PAD src0_sel:WORD_1 src1_sel:DWORD
	s_movk_i32 s4, 0x7f
	v_cmp_lt_i16_e32 vcc, s4, v3
	s_mov_b64 s[4:5], 0
                                        ; implicit-def: $sgpr10
	s_and_saveexec_b64 s[6:7], vcc
	s_xor_b64 s[6:7], exec, s[6:7]
	s_cbranch_execz .LBB2_12145
; %bb.47985:
	s_getpc_b64 s[14:15]
.Lpost_getpc27576:
	s_add_u32 s14, s14, (.LBB2_26481-.Lpost_getpc27576)&4294967295
	s_addc_u32 s15, s15, (.LBB2_26481-.Lpost_getpc27576)>>32
	s_setpc_b64 s[14:15]
.LBB2_12145:
	s_or_saveexec_b64 s[6:7], s[6:7]
	v_mov_b32_e32 v2, s10
	s_xor_b64 exec, exec, s[6:7]
	s_cbranch_execz .LBB2_12146
; %bb.47987:
	s_getpc_b64 s[14:15]
.Lpost_getpc27577:
	s_add_u32 s14, s14, (.LBB2_26484-.Lpost_getpc27577)&4294967295
	s_addc_u32 s15, s15, (.LBB2_26484-.Lpost_getpc27577)>>32
	s_setpc_b64 s[14:15]
.LBB2_12146:
	s_or_b64 exec, exec, s[6:7]
	s_and_saveexec_b64 s[6:7], s[4:5]
	s_cbranch_execz .LBB2_12148
.LBB2_12147:
	v_bfe_u32 v2, v9, 16, 3
	v_ffbh_u32_e32 v6, v2
	v_min_u32_e32 v6, 32, v6
	v_lshrrev_b32_e32 v3, 19, v9
	v_subrev_u32_e32 v7, 28, v6
	v_and_b32_e32 v3, 15, v3
	v_lshlrev_b32_sdwa v7, v7, v9 dst_sel:DWORD dst_unused:UNUSED_PAD src0_sel:DWORD src1_sel:WORD_1
	v_bfe_u32 v4, v9, 19, 4
	v_sub_u32_e32 v6, 29, v6
	v_and_b32_e32 v7, 7, v7
	v_cmp_eq_u16_e32 vcc, 0, v3
	v_cndmask_b32_e32 v2, v2, v7, vcc
	v_cndmask_b32_e32 v3, v4, v6, vcc
	v_lshlrev_b32_e32 v4, 8, v9
	v_mov_b32_e32 v6, 0x3b800000
	v_lshlrev_b32_e32 v2, 20, v2
	v_and_b32_e32 v4, 0x80000000, v4
	v_lshl_add_u32 v3, v3, 23, v6
	v_or3_b32 v2, v4, v3, v2
.LBB2_12148:
	s_or_b64 exec, exec, s[6:7]
	s_movk_i32 s4, 0xff
	v_and_b32_sdwa v3, v5, s4 dst_sel:DWORD dst_unused:UNUSED_PAD src0_sel:WORD_1 src1_sel:DWORD
	s_movk_i32 s4, 0x7f
	v_cmp_lt_i16_e32 vcc, s4, v3
	s_mov_b64 s[4:5], 0
                                        ; implicit-def: $sgpr10
	s_and_saveexec_b64 s[6:7], vcc
	s_xor_b64 s[6:7], exec, s[6:7]
	s_cbranch_execz .LBB2_12149
; %bb.47989:
	s_getpc_b64 s[14:15]
.Lpost_getpc27578:
	s_add_u32 s14, s14, (.LBB2_26485-.Lpost_getpc27578)&4294967295
	s_addc_u32 s15, s15, (.LBB2_26485-.Lpost_getpc27578)>>32
	s_setpc_b64 s[14:15]
.LBB2_12149:
	s_or_saveexec_b64 s[6:7], s[6:7]
	v_mov_b32_e32 v4, s10
	s_xor_b64 exec, exec, s[6:7]
	s_cbranch_execz .LBB2_12150
; %bb.47991:
	s_getpc_b64 s[14:15]
.Lpost_getpc27579:
	s_add_u32 s14, s14, (.LBB2_26488-.Lpost_getpc27579)&4294967295
	s_addc_u32 s15, s15, (.LBB2_26488-.Lpost_getpc27579)>>32
	s_setpc_b64 s[14:15]
.LBB2_12150:
	s_or_b64 exec, exec, s[6:7]
	s_and_saveexec_b64 s[6:7], s[4:5]
	s_cbranch_execz .LBB2_12152
.LBB2_12151:
	v_bfe_u32 v3, v5, 16, 3
	v_ffbh_u32_e32 v7, v3
	v_min_u32_e32 v7, 32, v7
	v_lshrrev_b32_e32 v4, 19, v5
	v_subrev_u32_e32 v8, 28, v7
	v_and_b32_e32 v4, 15, v4
	v_lshlrev_b32_sdwa v8, v8, v5 dst_sel:DWORD dst_unused:UNUSED_PAD src0_sel:DWORD src1_sel:WORD_1
	v_bfe_u32 v6, v5, 19, 4
	v_sub_u32_e32 v7, 29, v7
	v_and_b32_e32 v8, 7, v8
	v_cmp_eq_u16_e32 vcc, 0, v4
	v_cndmask_b32_e32 v3, v3, v8, vcc
	v_cndmask_b32_e32 v4, v6, v7, vcc
	v_lshlrev_b32_e32 v6, 8, v5
	v_mov_b32_e32 v7, 0x3b800000
	v_lshlrev_b32_e32 v3, 20, v3
	v_and_b32_e32 v6, 0x80000000, v6
	v_lshl_add_u32 v4, v4, 23, v7
	v_or3_b32 v4, v6, v4, v3
.LBB2_12152:
	s_or_b64 exec, exec, s[6:7]
	s_nop 0
	v_mfma_f32_16x16x4f32 a[0:3], v2, v4, a[0:3]
	s_movk_i32 s4, 0x7f
	v_cmp_gt_i16_sdwa s[6:7], v9, s4 src0_sel:BYTE_3 src1_sel:DWORD
	s_mov_b64 s[4:5], 0
                                        ; implicit-def: $sgpr10
	s_and_saveexec_b64 s[8:9], s[6:7]
	s_xor_b64 s[6:7], exec, s[8:9]
	s_cbranch_execz .LBB2_12153
; %bb.47993:
	s_getpc_b64 s[14:15]
.Lpost_getpc27580:
	s_add_u32 s14, s14, (.LBB2_26489-.Lpost_getpc27580)&4294967295
	s_addc_u32 s15, s15, (.LBB2_26489-.Lpost_getpc27580)>>32
	s_setpc_b64 s[14:15]
.LBB2_12153:
	s_or_saveexec_b64 s[6:7], s[6:7]
	v_mov_b32_e32 v2, s10
	s_xor_b64 exec, exec, s[6:7]
	s_cbranch_execz .LBB2_12154
; %bb.47995:
	s_getpc_b64 s[14:15]
.Lpost_getpc27581:
	s_add_u32 s14, s14, (.LBB2_26492-.Lpost_getpc27581)&4294967295
	s_addc_u32 s15, s15, (.LBB2_26492-.Lpost_getpc27581)>>32
	s_setpc_b64 s[14:15]
.LBB2_12154:
	s_or_b64 exec, exec, s[6:7]
	s_and_saveexec_b64 s[6:7], s[4:5]
	s_cbranch_execz .LBB2_12156
.LBB2_12155:
	v_bfe_u32 v2, v9, 24, 3
	v_ffbh_u32_e32 v7, v2
	v_min_u32_e32 v7, 32, v7
	v_lshrrev_b32_e32 v4, 27, v9
	v_subrev_u32_e32 v8, 28, v7
	v_and_b32_e32 v4, 15, v4
	v_lshlrev_b32_sdwa v8, v8, v9 dst_sel:DWORD dst_unused:UNUSED_PAD src0_sel:DWORD src1_sel:BYTE_3
	v_bfe_u32 v6, v9, 27, 4
	v_sub_u32_e32 v7, 29, v7
	v_and_b32_e32 v8, 7, v8
	v_cmp_eq_u16_e32 vcc, 0, v4
	v_cndmask_b32_e32 v2, v2, v8, vcc
	v_cndmask_b32_e32 v4, v6, v7, vcc
	v_mov_b32_e32 v6, 0x3b800000
	v_and_b32_e32 v3, 0x80000000, v9
	v_lshlrev_b32_e32 v2, 20, v2
	v_lshl_add_u32 v4, v4, 23, v6
	v_or3_b32 v2, v3, v4, v2
.LBB2_12156:
	s_or_b64 exec, exec, s[6:7]
	s_movk_i32 s4, 0x7f
	v_cmp_gt_i16_sdwa s[6:7], v5, s4 src0_sel:BYTE_3 src1_sel:DWORD
	s_mov_b64 s[4:5], 0
                                        ; implicit-def: $sgpr10
	s_and_saveexec_b64 s[8:9], s[6:7]
	s_xor_b64 s[6:7], exec, s[8:9]
	s_cbranch_execz .LBB2_12157
; %bb.47997:
	s_getpc_b64 s[14:15]
.Lpost_getpc27582:
	s_add_u32 s14, s14, (.LBB2_26493-.Lpost_getpc27582)&4294967295
	s_addc_u32 s15, s15, (.LBB2_26493-.Lpost_getpc27582)>>32
	s_setpc_b64 s[14:15]
.LBB2_12157:
	s_or_saveexec_b64 s[6:7], s[6:7]
	v_mov_b32_e32 v3, s10
	s_xor_b64 exec, exec, s[6:7]
	s_cbranch_execz .LBB2_12158
; %bb.47999:
	s_getpc_b64 s[14:15]
.Lpost_getpc27583:
	s_add_u32 s14, s14, (.LBB2_26496-.Lpost_getpc27583)&4294967295
	s_addc_u32 s15, s15, (.LBB2_26496-.Lpost_getpc27583)>>32
	s_setpc_b64 s[14:15]
.LBB2_12158:
	s_or_b64 exec, exec, s[6:7]
	s_and_saveexec_b64 s[6:7], s[4:5]
	s_cbranch_execz .LBB2_12160
.LBB2_12159:
	v_bfe_u32 v3, v5, 24, 3
	v_ffbh_u32_e32 v8, v3
	v_min_u32_e32 v8, 32, v8
	v_lshrrev_b32_e32 v6, 27, v5
	v_subrev_u32_e32 v9, 28, v8
	v_and_b32_e32 v4, 0x80000000, v5
	v_and_b32_e32 v6, 15, v6
	v_bfe_u32 v7, v5, 27, 4
	v_lshlrev_b32_sdwa v5, v9, v5 dst_sel:DWORD dst_unused:UNUSED_PAD src0_sel:DWORD src1_sel:BYTE_3
	v_sub_u32_e32 v8, 29, v8
	v_and_b32_e32 v5, 7, v5
	v_cmp_eq_u16_e32 vcc, 0, v6
	v_cndmask_b32_e32 v3, v3, v5, vcc
	v_cndmask_b32_e32 v5, v7, v8, vcc
	v_mov_b32_e32 v6, 0x3b800000
	v_lshlrev_b32_e32 v3, 20, v3
	v_lshl_add_u32 v5, v5, 23, v6
	v_or3_b32 v3, v4, v5, v3
.LBB2_12160:
	s_or_b64 exec, exec, s[6:7]
	s_nop 0
	v_mfma_f32_16x16x4f32 a[0:3], v2, v3, a[0:3]
	s_movk_i32 s4, 0x7f
                                        ; implicit-def: $sgpr10
	s_nop 7
	s_nop 1
	flat_store_dwordx4 v[10:11], a[0:3] offset:608
	flat_load_dwordx4 v[12:15], v[0:1]
	s_nop 0
	flat_load_dwordx2 v[10:11], v[0:1] offset:16
	s_waitcnt vmcnt(0) lgkmcnt(0)
	flat_load_dwordx4 v[6:9], v[12:13] offset:176
	flat_load_dwordx4 v[2:5], v[14:15] offset:240
	s_waitcnt vmcnt(0) lgkmcnt(0)
	v_cmp_gt_i16_sdwa s[6:7], v6, s4 src0_sel:BYTE_0 src1_sel:DWORD
	s_mov_b64 s[4:5], 0
	s_and_saveexec_b64 s[8:9], s[6:7]
	s_xor_b64 s[6:7], exec, s[8:9]
	s_cbranch_execz .LBB2_12161
; %bb.48001:
	s_getpc_b64 s[14:15]
.Lpost_getpc27584:
	s_add_u32 s14, s14, (.LBB2_26497-.Lpost_getpc27584)&4294967295
	s_addc_u32 s15, s15, (.LBB2_26497-.Lpost_getpc27584)>>32
	s_setpc_b64 s[14:15]
.LBB2_12161:
	s_or_saveexec_b64 s[6:7], s[6:7]
	v_mov_b32_e32 v12, s10
	s_xor_b64 exec, exec, s[6:7]
	s_cbranch_execz .LBB2_12162
; %bb.48003:
	s_getpc_b64 s[14:15]
.Lpost_getpc27585:
	s_add_u32 s14, s14, (.LBB2_26500-.Lpost_getpc27585)&4294967295
	s_addc_u32 s15, s15, (.LBB2_26500-.Lpost_getpc27585)>>32
	s_setpc_b64 s[14:15]
.LBB2_12162:
	s_or_b64 exec, exec, s[6:7]
	s_and_saveexec_b64 s[6:7], s[4:5]
	s_cbranch_execz .LBB2_12164
.LBB2_12163:
	v_and_b32_e32 v12, 7, v6
	v_ffbh_u32_e32 v14, v12
	v_min_u32_e32 v14, 32, v14
	v_lshrrev_b16_e32 v13, 3, v6
	v_subrev_u32_e32 v15, 28, v14
	v_and_b32_e32 v13, 15, v13
	v_lshlrev_b32_e32 v15, v15, v6
	v_sub_u32_e32 v14, 29, v14
	v_and_b32_e32 v15, 7, v15
	v_cmp_eq_u16_e32 vcc, 0, v13
	v_cndmask_b32_e32 v12, v12, v15, vcc
	v_cndmask_b32_e32 v13, v13, v14, vcc
	v_lshlrev_b32_e32 v14, 24, v6
	v_mov_b32_e32 v15, 0x3b800000
	v_lshlrev_b32_e32 v12, 20, v12
	v_and_b32_e32 v14, 0x80000000, v14
	v_lshl_add_u32 v13, v13, 23, v15
	v_or3_b32 v12, v14, v13, v12
.LBB2_12164:
	s_or_b64 exec, exec, s[6:7]
	s_movk_i32 s4, 0x7f
	v_cmp_gt_i16_sdwa s[6:7], v2, s4 src0_sel:BYTE_0 src1_sel:DWORD
	s_mov_b64 s[4:5], 0
                                        ; implicit-def: $sgpr10
	s_and_saveexec_b64 s[8:9], s[6:7]
	s_xor_b64 s[6:7], exec, s[8:9]
	s_cbranch_execz .LBB2_12165
; %bb.48005:
	s_getpc_b64 s[14:15]
.Lpost_getpc27586:
	s_add_u32 s14, s14, (.LBB2_26501-.Lpost_getpc27586)&4294967295
	s_addc_u32 s15, s15, (.LBB2_26501-.Lpost_getpc27586)>>32
	s_setpc_b64 s[14:15]
.LBB2_12165:
	s_or_saveexec_b64 s[6:7], s[6:7]
	v_mov_b32_e32 v13, s10
	s_xor_b64 exec, exec, s[6:7]
	s_cbranch_execz .LBB2_12166
; %bb.48007:
	s_getpc_b64 s[14:15]
.Lpost_getpc27587:
	s_add_u32 s14, s14, (.LBB2_26504-.Lpost_getpc27587)&4294967295
	s_addc_u32 s15, s15, (.LBB2_26504-.Lpost_getpc27587)>>32
	s_setpc_b64 s[14:15]
.LBB2_12166:
	s_or_b64 exec, exec, s[6:7]
	s_and_saveexec_b64 s[6:7], s[4:5]
	s_cbranch_execz .LBB2_12168
.LBB2_12167:
	v_and_b32_e32 v13, 7, v2
	v_ffbh_u32_e32 v15, v13
	v_min_u32_e32 v15, 32, v15
	v_lshrrev_b16_e32 v14, 3, v2
	v_subrev_u32_e32 v16, 28, v15
	v_and_b32_e32 v14, 15, v14
	v_lshlrev_b32_e32 v16, v16, v2
	v_sub_u32_e32 v15, 29, v15
	v_and_b32_e32 v16, 7, v16
	v_cmp_eq_u16_e32 vcc, 0, v14
	v_cndmask_b32_e32 v13, v13, v16, vcc
	v_cndmask_b32_e32 v14, v14, v15, vcc
	v_lshlrev_b32_e32 v15, 24, v2
	v_mov_b32_e32 v16, 0x3b800000
	v_lshlrev_b32_e32 v13, 20, v13
	v_and_b32_e32 v15, 0x80000000, v15
	v_lshl_add_u32 v14, v14, 23, v16
	v_or3_b32 v13, v15, v14, v13
.LBB2_12168:
	s_or_b64 exec, exec, s[6:7]
	flat_load_dwordx4 a[0:3], v[10:11] offset:624
	s_movk_i32 s4, 0x7f
                                        ; implicit-def: $sgpr10
	s_waitcnt vmcnt(0) lgkmcnt(0)
	v_mfma_f32_16x16x4f32 a[0:3], v12, v13, a[0:3]
	v_lshrrev_b32_e32 v13, 8, v6
	v_cmp_gt_i16_sdwa s[6:7], v13, s4 src0_sel:BYTE_0 src1_sel:DWORD
	s_mov_b64 s[4:5], 0
	s_and_saveexec_b64 s[8:9], s[6:7]
	s_xor_b64 s[6:7], exec, s[8:9]
	s_cbranch_execz .LBB2_12169
; %bb.48009:
	s_getpc_b64 s[14:15]
.Lpost_getpc27588:
	s_add_u32 s14, s14, (.LBB2_26505-.Lpost_getpc27588)&4294967295
	s_addc_u32 s15, s15, (.LBB2_26505-.Lpost_getpc27588)>>32
	s_setpc_b64 s[14:15]
.LBB2_12169:
	s_or_saveexec_b64 s[6:7], s[6:7]
	v_mov_b32_e32 v12, s10
	s_xor_b64 exec, exec, s[6:7]
	s_cbranch_execz .LBB2_12170
; %bb.48011:
	s_getpc_b64 s[14:15]
.Lpost_getpc27589:
	s_add_u32 s14, s14, (.LBB2_26508-.Lpost_getpc27589)&4294967295
	s_addc_u32 s15, s15, (.LBB2_26508-.Lpost_getpc27589)>>32
	s_setpc_b64 s[14:15]
.LBB2_12170:
	s_or_b64 exec, exec, s[6:7]
	s_and_saveexec_b64 s[6:7], s[4:5]
	s_cbranch_execz .LBB2_12172
.LBB2_12171:
	v_bfe_u32 v12, v6, 8, 3
	v_ffbh_u32_e32 v15, v12
	v_min_u32_e32 v15, 32, v15
	v_lshrrev_b16_e32 v14, 3, v13
	v_subrev_u32_e32 v16, 28, v15
	v_and_b32_e32 v14, 15, v14
	v_lshlrev_b32_e32 v13, v16, v13
	v_sub_u32_e32 v15, 29, v15
	v_and_b32_e32 v13, 7, v13
	v_cmp_eq_u16_e32 vcc, 0, v14
	v_cndmask_b32_e32 v12, v12, v13, vcc
	v_cndmask_b32_e32 v13, v14, v15, vcc
	v_lshlrev_b32_e32 v14, 16, v6
	v_mov_b32_e32 v15, 0x3b800000
	v_lshlrev_b32_e32 v12, 20, v12
	v_and_b32_e32 v14, 0x80000000, v14
	v_lshl_add_u32 v13, v13, 23, v15
	v_or3_b32 v12, v14, v13, v12
.LBB2_12172:
	s_or_b64 exec, exec, s[6:7]
	v_lshrrev_b32_e32 v13, 8, v2
	s_movk_i32 s4, 0x7f
	v_cmp_gt_i16_sdwa s[6:7], v13, s4 src0_sel:BYTE_0 src1_sel:DWORD
	s_mov_b64 s[4:5], 0
                                        ; implicit-def: $sgpr10
	s_and_saveexec_b64 s[8:9], s[6:7]
	s_xor_b64 s[6:7], exec, s[8:9]
	s_cbranch_execz .LBB2_12173
; %bb.48013:
	s_getpc_b64 s[14:15]
.Lpost_getpc27590:
	s_add_u32 s14, s14, (.LBB2_26509-.Lpost_getpc27590)&4294967295
	s_addc_u32 s15, s15, (.LBB2_26509-.Lpost_getpc27590)>>32
	s_setpc_b64 s[14:15]
.LBB2_12173:
	s_or_saveexec_b64 s[6:7], s[6:7]
	v_mov_b32_e32 v14, s10
	s_xor_b64 exec, exec, s[6:7]
	s_cbranch_execz .LBB2_12174
; %bb.48015:
	s_getpc_b64 s[14:15]
.Lpost_getpc27591:
	s_add_u32 s14, s14, (.LBB2_26512-.Lpost_getpc27591)&4294967295
	s_addc_u32 s15, s15, (.LBB2_26512-.Lpost_getpc27591)>>32
	s_setpc_b64 s[14:15]
.LBB2_12174:
	s_or_b64 exec, exec, s[6:7]
	s_and_saveexec_b64 s[6:7], s[4:5]
	s_cbranch_execz .LBB2_12176
.LBB2_12175:
	v_bfe_u32 v14, v2, 8, 3
	v_ffbh_u32_e32 v16, v14
	v_min_u32_e32 v16, 32, v16
	v_lshrrev_b16_e32 v15, 3, v13
	v_subrev_u32_e32 v17, 28, v16
	v_and_b32_e32 v15, 15, v15
	v_lshlrev_b32_e32 v13, v17, v13
	v_sub_u32_e32 v16, 29, v16
	v_and_b32_e32 v13, 7, v13
	v_cmp_eq_u16_e32 vcc, 0, v15
	v_cndmask_b32_e32 v13, v14, v13, vcc
	v_cndmask_b32_e32 v14, v15, v16, vcc
	v_lshlrev_b32_e32 v15, 16, v2
	v_mov_b32_e32 v16, 0x3b800000
	v_lshlrev_b32_e32 v13, 20, v13
	v_and_b32_e32 v15, 0x80000000, v15
	v_lshl_add_u32 v14, v14, 23, v16
	v_or3_b32 v14, v15, v14, v13
.LBB2_12176:
	s_or_b64 exec, exec, s[6:7]
	s_nop 0
	v_mfma_f32_16x16x4f32 a[0:3], v12, v14, a[0:3]
	s_movk_i32 s4, 0xff
	v_and_b32_sdwa v13, v6, s4 dst_sel:DWORD dst_unused:UNUSED_PAD src0_sel:WORD_1 src1_sel:DWORD
	s_movk_i32 s4, 0x7f
	v_cmp_lt_i16_e32 vcc, s4, v13
	s_mov_b64 s[4:5], 0
                                        ; implicit-def: $sgpr10
	s_and_saveexec_b64 s[6:7], vcc
	s_xor_b64 s[6:7], exec, s[6:7]
	s_cbranch_execz .LBB2_12177
; %bb.48017:
	s_getpc_b64 s[14:15]
.Lpost_getpc27592:
	s_add_u32 s14, s14, (.LBB2_26513-.Lpost_getpc27592)&4294967295
	s_addc_u32 s15, s15, (.LBB2_26513-.Lpost_getpc27592)>>32
	s_setpc_b64 s[14:15]
.LBB2_12177:
	s_or_saveexec_b64 s[6:7], s[6:7]
	v_mov_b32_e32 v12, s10
	s_xor_b64 exec, exec, s[6:7]
	s_cbranch_execz .LBB2_12178
; %bb.48019:
	s_getpc_b64 s[14:15]
.Lpost_getpc27593:
	s_add_u32 s14, s14, (.LBB2_26516-.Lpost_getpc27593)&4294967295
	s_addc_u32 s15, s15, (.LBB2_26516-.Lpost_getpc27593)>>32
	s_setpc_b64 s[14:15]
.LBB2_12178:
	s_or_b64 exec, exec, s[6:7]
	s_and_saveexec_b64 s[6:7], s[4:5]
	s_cbranch_execz .LBB2_12180
.LBB2_12179:
	v_bfe_u32 v12, v6, 16, 3
	v_ffbh_u32_e32 v15, v12
	v_min_u32_e32 v15, 32, v15
	v_lshrrev_b32_e32 v13, 19, v6
	v_subrev_u32_e32 v16, 28, v15
	v_and_b32_e32 v13, 15, v13
	v_lshlrev_b32_sdwa v16, v16, v6 dst_sel:DWORD dst_unused:UNUSED_PAD src0_sel:DWORD src1_sel:WORD_1
	v_bfe_u32 v14, v6, 19, 4
	v_sub_u32_e32 v15, 29, v15
	v_and_b32_e32 v16, 7, v16
	v_cmp_eq_u16_e32 vcc, 0, v13
	v_cndmask_b32_e32 v12, v12, v16, vcc
	v_cndmask_b32_e32 v13, v14, v15, vcc
	v_lshlrev_b32_e32 v14, 8, v6
	v_mov_b32_e32 v15, 0x3b800000
	v_lshlrev_b32_e32 v12, 20, v12
	v_and_b32_e32 v14, 0x80000000, v14
	v_lshl_add_u32 v13, v13, 23, v15
	v_or3_b32 v12, v14, v13, v12
.LBB2_12180:
	s_or_b64 exec, exec, s[6:7]
	s_movk_i32 s4, 0xff
	v_and_b32_sdwa v13, v2, s4 dst_sel:DWORD dst_unused:UNUSED_PAD src0_sel:WORD_1 src1_sel:DWORD
	s_movk_i32 s4, 0x7f
	v_cmp_lt_i16_e32 vcc, s4, v13
	s_mov_b64 s[4:5], 0
                                        ; implicit-def: $sgpr10
	s_and_saveexec_b64 s[6:7], vcc
	s_xor_b64 s[6:7], exec, s[6:7]
	s_cbranch_execz .LBB2_12181
; %bb.48021:
	s_getpc_b64 s[14:15]
.Lpost_getpc27594:
	s_add_u32 s14, s14, (.LBB2_26517-.Lpost_getpc27594)&4294967295
	s_addc_u32 s15, s15, (.LBB2_26517-.Lpost_getpc27594)>>32
	s_setpc_b64 s[14:15]
.LBB2_12181:
	s_or_saveexec_b64 s[6:7], s[6:7]
	v_mov_b32_e32 v14, s10
	s_xor_b64 exec, exec, s[6:7]
	s_cbranch_execz .LBB2_12182
; %bb.48023:
	s_getpc_b64 s[14:15]
.Lpost_getpc27595:
	s_add_u32 s14, s14, (.LBB2_26520-.Lpost_getpc27595)&4294967295
	s_addc_u32 s15, s15, (.LBB2_26520-.Lpost_getpc27595)>>32
	s_setpc_b64 s[14:15]
.LBB2_12182:
	s_or_b64 exec, exec, s[6:7]
	s_and_saveexec_b64 s[6:7], s[4:5]
	s_cbranch_execz .LBB2_12184
.LBB2_12183:
	v_bfe_u32 v13, v2, 16, 3
	v_ffbh_u32_e32 v16, v13
	v_min_u32_e32 v16, 32, v16
	v_lshrrev_b32_e32 v14, 19, v2
	v_subrev_u32_e32 v17, 28, v16
	v_and_b32_e32 v14, 15, v14
	v_lshlrev_b32_sdwa v17, v17, v2 dst_sel:DWORD dst_unused:UNUSED_PAD src0_sel:DWORD src1_sel:WORD_1
	v_bfe_u32 v15, v2, 19, 4
	v_sub_u32_e32 v16, 29, v16
	v_and_b32_e32 v17, 7, v17
	v_cmp_eq_u16_e32 vcc, 0, v14
	v_cndmask_b32_e32 v13, v13, v17, vcc
	v_cndmask_b32_e32 v14, v15, v16, vcc
	v_lshlrev_b32_e32 v15, 8, v2
	v_mov_b32_e32 v16, 0x3b800000
	v_lshlrev_b32_e32 v13, 20, v13
	v_and_b32_e32 v15, 0x80000000, v15
	v_lshl_add_u32 v14, v14, 23, v16
	v_or3_b32 v14, v15, v14, v13
.LBB2_12184:
	s_or_b64 exec, exec, s[6:7]
	s_nop 0
	v_mfma_f32_16x16x4f32 a[0:3], v12, v14, a[0:3]
	s_movk_i32 s4, 0x7f
	v_cmp_gt_i16_sdwa s[6:7], v6, s4 src0_sel:BYTE_3 src1_sel:DWORD
	s_mov_b64 s[4:5], 0
                                        ; implicit-def: $sgpr10
	s_and_saveexec_b64 s[8:9], s[6:7]
	s_xor_b64 s[6:7], exec, s[8:9]
	s_cbranch_execz .LBB2_12185
; %bb.48025:
	s_getpc_b64 s[14:15]
.Lpost_getpc27596:
	s_add_u32 s14, s14, (.LBB2_26521-.Lpost_getpc27596)&4294967295
	s_addc_u32 s15, s15, (.LBB2_26521-.Lpost_getpc27596)>>32
	s_setpc_b64 s[14:15]
.LBB2_12185:
	s_or_saveexec_b64 s[6:7], s[6:7]
	v_mov_b32_e32 v12, s10
	s_xor_b64 exec, exec, s[6:7]
	s_cbranch_execz .LBB2_12186
; %bb.48027:
	s_getpc_b64 s[14:15]
.Lpost_getpc27597:
	s_add_u32 s14, s14, (.LBB2_26524-.Lpost_getpc27597)&4294967295
	s_addc_u32 s15, s15, (.LBB2_26524-.Lpost_getpc27597)>>32
	s_setpc_b64 s[14:15]
.LBB2_12186:
	s_or_b64 exec, exec, s[6:7]
	s_and_saveexec_b64 s[6:7], s[4:5]
	s_cbranch_execz .LBB2_12188
.LBB2_12187:
	v_bfe_u32 v12, v6, 24, 3
	v_ffbh_u32_e32 v16, v12
	v_min_u32_e32 v16, 32, v16
	v_lshrrev_b32_e32 v14, 27, v6
	v_subrev_u32_e32 v17, 28, v16
	v_and_b32_e32 v13, 0x80000000, v6
	v_and_b32_e32 v14, 15, v14
	v_bfe_u32 v15, v6, 27, 4
	v_lshlrev_b32_sdwa v6, v17, v6 dst_sel:DWORD dst_unused:UNUSED_PAD src0_sel:DWORD src1_sel:BYTE_3
	v_sub_u32_e32 v16, 29, v16
	v_and_b32_e32 v6, 7, v6
	v_cmp_eq_u16_e32 vcc, 0, v14
	v_cndmask_b32_e32 v6, v12, v6, vcc
	v_cndmask_b32_e32 v12, v15, v16, vcc
	v_mov_b32_e32 v14, 0x3b800000
	v_lshlrev_b32_e32 v6, 20, v6
	v_lshl_add_u32 v12, v12, 23, v14
	v_or3_b32 v12, v13, v12, v6
.LBB2_12188:
	s_or_b64 exec, exec, s[6:7]
	s_movk_i32 s4, 0x7f
	v_cmp_gt_i16_sdwa s[6:7], v2, s4 src0_sel:BYTE_3 src1_sel:DWORD
	s_mov_b64 s[4:5], 0
                                        ; implicit-def: $sgpr10
	s_and_saveexec_b64 s[8:9], s[6:7]
	s_xor_b64 s[6:7], exec, s[8:9]
	s_cbranch_execz .LBB2_12189
; %bb.48029:
	s_getpc_b64 s[14:15]
.Lpost_getpc27598:
	s_add_u32 s14, s14, (.LBB2_26525-.Lpost_getpc27598)&4294967295
	s_addc_u32 s15, s15, (.LBB2_26525-.Lpost_getpc27598)>>32
	s_setpc_b64 s[14:15]
.LBB2_12189:
	s_or_saveexec_b64 s[6:7], s[6:7]
	v_mov_b32_e32 v6, s10
	s_xor_b64 exec, exec, s[6:7]
	s_cbranch_execz .LBB2_12190
; %bb.48031:
	s_getpc_b64 s[14:15]
.Lpost_getpc27599:
	s_add_u32 s14, s14, (.LBB2_26528-.Lpost_getpc27599)&4294967295
	s_addc_u32 s15, s15, (.LBB2_26528-.Lpost_getpc27599)>>32
	s_setpc_b64 s[14:15]
.LBB2_12190:
	s_or_b64 exec, exec, s[6:7]
	s_and_saveexec_b64 s[6:7], s[4:5]
	s_cbranch_execz .LBB2_12192
.LBB2_12191:
	v_bfe_u32 v6, v2, 24, 3
	v_ffbh_u32_e32 v16, v6
	v_min_u32_e32 v16, 32, v16
	v_lshrrev_b32_e32 v14, 27, v2
	v_subrev_u32_e32 v17, 28, v16
	v_and_b32_e32 v13, 0x80000000, v2
	v_and_b32_e32 v14, 15, v14
	v_bfe_u32 v15, v2, 27, 4
	v_lshlrev_b32_sdwa v2, v17, v2 dst_sel:DWORD dst_unused:UNUSED_PAD src0_sel:DWORD src1_sel:BYTE_3
	v_sub_u32_e32 v16, 29, v16
	v_and_b32_e32 v2, 7, v2
	v_cmp_eq_u16_e32 vcc, 0, v14
	v_cndmask_b32_e32 v2, v6, v2, vcc
	v_cndmask_b32_e32 v6, v15, v16, vcc
	v_mov_b32_e32 v14, 0x3b800000
	v_lshlrev_b32_e32 v2, 20, v2
	v_lshl_add_u32 v6, v6, 23, v14
	v_or3_b32 v6, v13, v6, v2
.LBB2_12192:
	s_or_b64 exec, exec, s[6:7]
	s_nop 0
	v_mfma_f32_16x16x4f32 a[0:3], v12, v6, a[0:3]
	s_movk_i32 s4, 0x7f
	v_cmp_gt_i16_sdwa s[6:7], v7, s4 src0_sel:BYTE_0 src1_sel:DWORD
	s_mov_b64 s[4:5], 0
                                        ; implicit-def: $sgpr10
	s_and_saveexec_b64 s[8:9], s[6:7]
	s_xor_b64 s[6:7], exec, s[8:9]
	s_cbranch_execz .LBB2_12193
; %bb.48033:
	s_getpc_b64 s[14:15]
.Lpost_getpc27600:
	s_add_u32 s14, s14, (.LBB2_26529-.Lpost_getpc27600)&4294967295
	s_addc_u32 s15, s15, (.LBB2_26529-.Lpost_getpc27600)>>32
	s_setpc_b64 s[14:15]
.LBB2_12193:
	s_or_saveexec_b64 s[6:7], s[6:7]
	v_mov_b32_e32 v2, s10
	s_xor_b64 exec, exec, s[6:7]
	s_cbranch_execz .LBB2_12194
; %bb.48035:
	s_getpc_b64 s[14:15]
.Lpost_getpc27601:
	s_add_u32 s14, s14, (.LBB2_26532-.Lpost_getpc27601)&4294967295
	s_addc_u32 s15, s15, (.LBB2_26532-.Lpost_getpc27601)>>32
	s_setpc_b64 s[14:15]
.LBB2_12194:
	s_or_b64 exec, exec, s[6:7]
	s_and_saveexec_b64 s[6:7], s[4:5]
	s_cbranch_execz .LBB2_12196
.LBB2_12195:
	v_and_b32_e32 v2, 7, v7
	v_ffbh_u32_e32 v12, v2
	v_min_u32_e32 v12, 32, v12
	v_lshrrev_b16_e32 v6, 3, v7
	v_subrev_u32_e32 v13, 28, v12
	v_and_b32_e32 v6, 15, v6
	v_lshlrev_b32_e32 v13, v13, v7
	v_sub_u32_e32 v12, 29, v12
	v_and_b32_e32 v13, 7, v13
	v_cmp_eq_u16_e32 vcc, 0, v6
	v_cndmask_b32_e32 v2, v2, v13, vcc
	v_cndmask_b32_e32 v6, v6, v12, vcc
	v_lshlrev_b32_e32 v12, 24, v7
	v_mov_b32_e32 v13, 0x3b800000
	v_lshlrev_b32_e32 v2, 20, v2
	v_and_b32_e32 v12, 0x80000000, v12
	v_lshl_add_u32 v6, v6, 23, v13
	v_or3_b32 v2, v12, v6, v2
.LBB2_12196:
	s_or_b64 exec, exec, s[6:7]
	s_movk_i32 s4, 0x7f
	v_cmp_gt_i16_sdwa s[6:7], v3, s4 src0_sel:BYTE_0 src1_sel:DWORD
	s_mov_b64 s[4:5], 0
                                        ; implicit-def: $sgpr10
	s_and_saveexec_b64 s[8:9], s[6:7]
	s_xor_b64 s[6:7], exec, s[8:9]
	s_cbranch_execz .LBB2_12197
; %bb.48037:
	s_getpc_b64 s[14:15]
.Lpost_getpc27602:
	s_add_u32 s14, s14, (.LBB2_26533-.Lpost_getpc27602)&4294967295
	s_addc_u32 s15, s15, (.LBB2_26533-.Lpost_getpc27602)>>32
	s_setpc_b64 s[14:15]
.LBB2_12197:
	s_or_saveexec_b64 s[6:7], s[6:7]
	v_mov_b32_e32 v6, s10
	s_xor_b64 exec, exec, s[6:7]
	s_cbranch_execz .LBB2_12198
; %bb.48039:
	s_getpc_b64 s[14:15]
.Lpost_getpc27603:
	s_add_u32 s14, s14, (.LBB2_26536-.Lpost_getpc27603)&4294967295
	s_addc_u32 s15, s15, (.LBB2_26536-.Lpost_getpc27603)>>32
	s_setpc_b64 s[14:15]
.LBB2_12198:
	s_or_b64 exec, exec, s[6:7]
	s_and_saveexec_b64 s[6:7], s[4:5]
	s_cbranch_execz .LBB2_12200
.LBB2_12199:
	v_and_b32_e32 v6, 7, v3
	v_ffbh_u32_e32 v13, v6
	v_min_u32_e32 v13, 32, v13
	v_lshrrev_b16_e32 v12, 3, v3
	v_subrev_u32_e32 v14, 28, v13
	v_and_b32_e32 v12, 15, v12
	v_lshlrev_b32_e32 v14, v14, v3
	v_sub_u32_e32 v13, 29, v13
	v_and_b32_e32 v14, 7, v14
	v_cmp_eq_u16_e32 vcc, 0, v12
	v_cndmask_b32_e32 v6, v6, v14, vcc
	v_cndmask_b32_e32 v12, v12, v13, vcc
	v_lshlrev_b32_e32 v13, 24, v3
	v_mov_b32_e32 v14, 0x3b800000
	v_lshlrev_b32_e32 v6, 20, v6
	v_and_b32_e32 v13, 0x80000000, v13
	v_lshl_add_u32 v12, v12, 23, v14
	v_or3_b32 v6, v13, v12, v6
.LBB2_12200:
	s_or_b64 exec, exec, s[6:7]
	s_nop 0
	v_mfma_f32_16x16x4f32 a[0:3], v2, v6, a[0:3]
	v_lshrrev_b32_e32 v6, 8, v7
	s_movk_i32 s4, 0x7f
	v_cmp_gt_i16_sdwa s[6:7], v6, s4 src0_sel:BYTE_0 src1_sel:DWORD
	s_mov_b64 s[4:5], 0
                                        ; implicit-def: $sgpr10
	s_and_saveexec_b64 s[8:9], s[6:7]
	s_xor_b64 s[6:7], exec, s[8:9]
	s_cbranch_execz .LBB2_12201
; %bb.48041:
	s_getpc_b64 s[14:15]
.Lpost_getpc27604:
	s_add_u32 s14, s14, (.LBB2_26537-.Lpost_getpc27604)&4294967295
	s_addc_u32 s15, s15, (.LBB2_26537-.Lpost_getpc27604)>>32
	s_setpc_b64 s[14:15]
.LBB2_12201:
	s_or_saveexec_b64 s[6:7], s[6:7]
	v_mov_b32_e32 v2, s10
	s_xor_b64 exec, exec, s[6:7]
	s_cbranch_execz .LBB2_12202
; %bb.48043:
	s_getpc_b64 s[14:15]
.Lpost_getpc27605:
	s_add_u32 s14, s14, (.LBB2_26540-.Lpost_getpc27605)&4294967295
	s_addc_u32 s15, s15, (.LBB2_26540-.Lpost_getpc27605)>>32
	s_setpc_b64 s[14:15]
.LBB2_12202:
	s_or_b64 exec, exec, s[6:7]
	s_and_saveexec_b64 s[6:7], s[4:5]
	s_cbranch_execz .LBB2_12204
.LBB2_12203:
	v_bfe_u32 v2, v7, 8, 3
	v_ffbh_u32_e32 v13, v2
	v_min_u32_e32 v13, 32, v13
	v_lshrrev_b16_e32 v12, 3, v6
	v_subrev_u32_e32 v14, 28, v13
	v_and_b32_e32 v12, 15, v12
	v_lshlrev_b32_e32 v6, v14, v6
	v_sub_u32_e32 v13, 29, v13
	v_and_b32_e32 v6, 7, v6
	v_cmp_eq_u16_e32 vcc, 0, v12
	v_cndmask_b32_e32 v2, v2, v6, vcc
	v_cndmask_b32_e32 v6, v12, v13, vcc
	v_lshlrev_b32_e32 v12, 16, v7
	v_mov_b32_e32 v13, 0x3b800000
	v_lshlrev_b32_e32 v2, 20, v2
	v_and_b32_e32 v12, 0x80000000, v12
	v_lshl_add_u32 v6, v6, 23, v13
	v_or3_b32 v2, v12, v6, v2
.LBB2_12204:
	s_or_b64 exec, exec, s[6:7]
	v_lshrrev_b32_e32 v6, 8, v3
	s_movk_i32 s4, 0x7f
	v_cmp_gt_i16_sdwa s[6:7], v6, s4 src0_sel:BYTE_0 src1_sel:DWORD
	s_mov_b64 s[4:5], 0
                                        ; implicit-def: $sgpr10
	s_and_saveexec_b64 s[8:9], s[6:7]
	s_xor_b64 s[6:7], exec, s[8:9]
	s_cbranch_execz .LBB2_12205
; %bb.48045:
	s_getpc_b64 s[14:15]
.Lpost_getpc27606:
	s_add_u32 s14, s14, (.LBB2_26541-.Lpost_getpc27606)&4294967295
	s_addc_u32 s15, s15, (.LBB2_26541-.Lpost_getpc27606)>>32
	s_setpc_b64 s[14:15]
.LBB2_12205:
	s_or_saveexec_b64 s[6:7], s[6:7]
	v_mov_b32_e32 v12, s10
	s_xor_b64 exec, exec, s[6:7]
	s_cbranch_execz .LBB2_12206
; %bb.48047:
	s_getpc_b64 s[14:15]
.Lpost_getpc27607:
	s_add_u32 s14, s14, (.LBB2_26544-.Lpost_getpc27607)&4294967295
	s_addc_u32 s15, s15, (.LBB2_26544-.Lpost_getpc27607)>>32
	s_setpc_b64 s[14:15]
.LBB2_12206:
	s_or_b64 exec, exec, s[6:7]
	s_and_saveexec_b64 s[6:7], s[4:5]
	s_cbranch_execz .LBB2_12208
.LBB2_12207:
	v_bfe_u32 v12, v3, 8, 3
	v_ffbh_u32_e32 v14, v12
	v_min_u32_e32 v14, 32, v14
	v_lshrrev_b16_e32 v13, 3, v6
	v_subrev_u32_e32 v15, 28, v14
	v_and_b32_e32 v13, 15, v13
	v_lshlrev_b32_e32 v6, v15, v6
	v_sub_u32_e32 v14, 29, v14
	v_and_b32_e32 v6, 7, v6
	v_cmp_eq_u16_e32 vcc, 0, v13
	v_cndmask_b32_e32 v6, v12, v6, vcc
	v_cndmask_b32_e32 v12, v13, v14, vcc
	v_lshlrev_b32_e32 v13, 16, v3
	v_mov_b32_e32 v14, 0x3b800000
	v_lshlrev_b32_e32 v6, 20, v6
	v_and_b32_e32 v13, 0x80000000, v13
	v_lshl_add_u32 v12, v12, 23, v14
	v_or3_b32 v12, v13, v12, v6
.LBB2_12208:
	s_or_b64 exec, exec, s[6:7]
	s_nop 0
	v_mfma_f32_16x16x4f32 a[0:3], v2, v12, a[0:3]
	s_movk_i32 s4, 0xff
	v_and_b32_sdwa v6, v7, s4 dst_sel:DWORD dst_unused:UNUSED_PAD src0_sel:WORD_1 src1_sel:DWORD
	s_movk_i32 s4, 0x7f
	v_cmp_lt_i16_e32 vcc, s4, v6
	s_mov_b64 s[4:5], 0
                                        ; implicit-def: $sgpr10
	s_and_saveexec_b64 s[6:7], vcc
	s_xor_b64 s[6:7], exec, s[6:7]
	s_cbranch_execz .LBB2_12209
; %bb.48049:
	s_getpc_b64 s[14:15]
.Lpost_getpc27608:
	s_add_u32 s14, s14, (.LBB2_26545-.Lpost_getpc27608)&4294967295
	s_addc_u32 s15, s15, (.LBB2_26545-.Lpost_getpc27608)>>32
	s_setpc_b64 s[14:15]
.LBB2_12209:
	s_or_saveexec_b64 s[6:7], s[6:7]
	v_mov_b32_e32 v2, s10
	s_xor_b64 exec, exec, s[6:7]
	s_cbranch_execz .LBB2_12210
; %bb.48051:
	s_getpc_b64 s[14:15]
.Lpost_getpc27609:
	s_add_u32 s14, s14, (.LBB2_26548-.Lpost_getpc27609)&4294967295
	s_addc_u32 s15, s15, (.LBB2_26548-.Lpost_getpc27609)>>32
	s_setpc_b64 s[14:15]
.LBB2_12210:
	s_or_b64 exec, exec, s[6:7]
	s_and_saveexec_b64 s[6:7], s[4:5]
	s_cbranch_execz .LBB2_12212
.LBB2_12211:
	v_bfe_u32 v2, v7, 16, 3
	v_ffbh_u32_e32 v13, v2
	v_min_u32_e32 v13, 32, v13
	v_lshrrev_b32_e32 v6, 19, v7
	v_subrev_u32_e32 v14, 28, v13
	v_and_b32_e32 v6, 15, v6
	v_lshlrev_b32_sdwa v14, v14, v7 dst_sel:DWORD dst_unused:UNUSED_PAD src0_sel:DWORD src1_sel:WORD_1
	v_bfe_u32 v12, v7, 19, 4
	v_sub_u32_e32 v13, 29, v13
	v_and_b32_e32 v14, 7, v14
	v_cmp_eq_u16_e32 vcc, 0, v6
	v_cndmask_b32_e32 v2, v2, v14, vcc
	v_cndmask_b32_e32 v6, v12, v13, vcc
	v_lshlrev_b32_e32 v12, 8, v7
	v_mov_b32_e32 v13, 0x3b800000
	v_lshlrev_b32_e32 v2, 20, v2
	v_and_b32_e32 v12, 0x80000000, v12
	v_lshl_add_u32 v6, v6, 23, v13
	v_or3_b32 v2, v12, v6, v2
.LBB2_12212:
	s_or_b64 exec, exec, s[6:7]
	s_movk_i32 s4, 0xff
	v_and_b32_sdwa v6, v3, s4 dst_sel:DWORD dst_unused:UNUSED_PAD src0_sel:WORD_1 src1_sel:DWORD
	s_movk_i32 s4, 0x7f
	v_cmp_lt_i16_e32 vcc, s4, v6
	s_mov_b64 s[4:5], 0
                                        ; implicit-def: $sgpr10
	s_and_saveexec_b64 s[6:7], vcc
	s_xor_b64 s[6:7], exec, s[6:7]
	s_cbranch_execz .LBB2_12213
; %bb.48053:
	s_getpc_b64 s[14:15]
.Lpost_getpc27610:
	s_add_u32 s14, s14, (.LBB2_26549-.Lpost_getpc27610)&4294967295
	s_addc_u32 s15, s15, (.LBB2_26549-.Lpost_getpc27610)>>32
	s_setpc_b64 s[14:15]
.LBB2_12213:
	s_or_saveexec_b64 s[6:7], s[6:7]
	v_mov_b32_e32 v12, s10
	s_xor_b64 exec, exec, s[6:7]
	s_cbranch_execz .LBB2_12214
; %bb.48055:
	s_getpc_b64 s[14:15]
.Lpost_getpc27611:
	s_add_u32 s14, s14, (.LBB2_26552-.Lpost_getpc27611)&4294967295
	s_addc_u32 s15, s15, (.LBB2_26552-.Lpost_getpc27611)>>32
	s_setpc_b64 s[14:15]
.LBB2_12214:
	s_or_b64 exec, exec, s[6:7]
	s_and_saveexec_b64 s[6:7], s[4:5]
	s_cbranch_execz .LBB2_12216
.LBB2_12215:
	v_bfe_u32 v6, v3, 16, 3
	v_ffbh_u32_e32 v14, v6
	v_min_u32_e32 v14, 32, v14
	v_lshrrev_b32_e32 v12, 19, v3
	v_subrev_u32_e32 v15, 28, v14
	v_and_b32_e32 v12, 15, v12
	v_lshlrev_b32_sdwa v15, v15, v3 dst_sel:DWORD dst_unused:UNUSED_PAD src0_sel:DWORD src1_sel:WORD_1
	v_bfe_u32 v13, v3, 19, 4
	v_sub_u32_e32 v14, 29, v14
	v_and_b32_e32 v15, 7, v15
	v_cmp_eq_u16_e32 vcc, 0, v12
	v_cndmask_b32_e32 v6, v6, v15, vcc
	v_cndmask_b32_e32 v12, v13, v14, vcc
	v_lshlrev_b32_e32 v13, 8, v3
	v_mov_b32_e32 v14, 0x3b800000
	v_lshlrev_b32_e32 v6, 20, v6
	v_and_b32_e32 v13, 0x80000000, v13
	v_lshl_add_u32 v12, v12, 23, v14
	v_or3_b32 v12, v13, v12, v6
.LBB2_12216:
	s_or_b64 exec, exec, s[6:7]
	s_nop 0
	v_mfma_f32_16x16x4f32 a[0:3], v2, v12, a[0:3]
	s_movk_i32 s4, 0x7f
	v_cmp_gt_i16_sdwa s[6:7], v7, s4 src0_sel:BYTE_3 src1_sel:DWORD
	s_mov_b64 s[4:5], 0
                                        ; implicit-def: $sgpr10
	s_and_saveexec_b64 s[8:9], s[6:7]
	s_xor_b64 s[6:7], exec, s[8:9]
	s_cbranch_execz .LBB2_12217
; %bb.48057:
	s_getpc_b64 s[14:15]
.Lpost_getpc27612:
	s_add_u32 s14, s14, (.LBB2_26553-.Lpost_getpc27612)&4294967295
	s_addc_u32 s15, s15, (.LBB2_26553-.Lpost_getpc27612)>>32
	s_setpc_b64 s[14:15]
.LBB2_12217:
	s_or_saveexec_b64 s[6:7], s[6:7]
	v_mov_b32_e32 v2, s10
	s_xor_b64 exec, exec, s[6:7]
	s_cbranch_execz .LBB2_12218
; %bb.48059:
	s_getpc_b64 s[14:15]
.Lpost_getpc27613:
	s_add_u32 s14, s14, (.LBB2_26556-.Lpost_getpc27613)&4294967295
	s_addc_u32 s15, s15, (.LBB2_26556-.Lpost_getpc27613)>>32
	s_setpc_b64 s[14:15]
.LBB2_12218:
	s_or_b64 exec, exec, s[6:7]
	s_and_saveexec_b64 s[6:7], s[4:5]
	s_cbranch_execz .LBB2_12220
.LBB2_12219:
	v_bfe_u32 v2, v7, 24, 3
	v_ffbh_u32_e32 v14, v2
	v_min_u32_e32 v14, 32, v14
	v_lshrrev_b32_e32 v12, 27, v7
	v_subrev_u32_e32 v15, 28, v14
	v_and_b32_e32 v6, 0x80000000, v7
	v_and_b32_e32 v12, 15, v12
	v_bfe_u32 v13, v7, 27, 4
	v_lshlrev_b32_sdwa v7, v15, v7 dst_sel:DWORD dst_unused:UNUSED_PAD src0_sel:DWORD src1_sel:BYTE_3
	v_sub_u32_e32 v14, 29, v14
	v_and_b32_e32 v7, 7, v7
	v_cmp_eq_u16_e32 vcc, 0, v12
	v_cndmask_b32_e32 v2, v2, v7, vcc
	v_cndmask_b32_e32 v7, v13, v14, vcc
	v_mov_b32_e32 v12, 0x3b800000
	v_lshlrev_b32_e32 v2, 20, v2
	v_lshl_add_u32 v7, v7, 23, v12
	v_or3_b32 v2, v6, v7, v2
.LBB2_12220:
	s_or_b64 exec, exec, s[6:7]
	s_movk_i32 s4, 0x7f
	v_cmp_gt_i16_sdwa s[6:7], v3, s4 src0_sel:BYTE_3 src1_sel:DWORD
	s_mov_b64 s[4:5], 0
                                        ; implicit-def: $sgpr10
	s_and_saveexec_b64 s[8:9], s[6:7]
	s_xor_b64 s[6:7], exec, s[8:9]
	s_cbranch_execz .LBB2_12221
; %bb.48061:
	s_getpc_b64 s[14:15]
.Lpost_getpc27614:
	s_add_u32 s14, s14, (.LBB2_26557-.Lpost_getpc27614)&4294967295
	s_addc_u32 s15, s15, (.LBB2_26557-.Lpost_getpc27614)>>32
	s_setpc_b64 s[14:15]
.LBB2_12221:
	s_or_saveexec_b64 s[6:7], s[6:7]
	v_mov_b32_e32 v6, s10
	s_xor_b64 exec, exec, s[6:7]
	s_cbranch_execz .LBB2_12222
; %bb.48063:
	s_getpc_b64 s[14:15]
.Lpost_getpc27615:
	s_add_u32 s14, s14, (.LBB2_26560-.Lpost_getpc27615)&4294967295
	s_addc_u32 s15, s15, (.LBB2_26560-.Lpost_getpc27615)>>32
	s_setpc_b64 s[14:15]
.LBB2_12222:
	s_or_b64 exec, exec, s[6:7]
	s_and_saveexec_b64 s[6:7], s[4:5]
	s_cbranch_execz .LBB2_12224
.LBB2_12223:
	v_bfe_u32 v6, v3, 24, 3
	v_ffbh_u32_e32 v14, v6
	v_min_u32_e32 v14, 32, v14
	v_lshrrev_b32_e32 v12, 27, v3
	v_subrev_u32_e32 v15, 28, v14
	v_and_b32_e32 v7, 0x80000000, v3
	v_and_b32_e32 v12, 15, v12
	v_bfe_u32 v13, v3, 27, 4
	v_lshlrev_b32_sdwa v3, v15, v3 dst_sel:DWORD dst_unused:UNUSED_PAD src0_sel:DWORD src1_sel:BYTE_3
	v_sub_u32_e32 v14, 29, v14
	v_and_b32_e32 v3, 7, v3
	v_cmp_eq_u16_e32 vcc, 0, v12
	v_cndmask_b32_e32 v3, v6, v3, vcc
	v_cndmask_b32_e32 v6, v13, v14, vcc
	v_mov_b32_e32 v12, 0x3b800000
	v_lshlrev_b32_e32 v3, 20, v3
	v_lshl_add_u32 v6, v6, 23, v12
	v_or3_b32 v6, v7, v6, v3
.LBB2_12224:
	s_or_b64 exec, exec, s[6:7]
	s_nop 0
	v_mfma_f32_16x16x4f32 a[0:3], v2, v6, a[0:3]
	s_movk_i32 s4, 0x7f
	v_cmp_gt_i16_sdwa s[6:7], v8, s4 src0_sel:BYTE_0 src1_sel:DWORD
	s_mov_b64 s[4:5], 0
                                        ; implicit-def: $sgpr10
	s_and_saveexec_b64 s[8:9], s[6:7]
	s_xor_b64 s[6:7], exec, s[8:9]
	s_cbranch_execz .LBB2_12225
; %bb.48065:
	s_getpc_b64 s[14:15]
.Lpost_getpc27616:
	s_add_u32 s14, s14, (.LBB2_26561-.Lpost_getpc27616)&4294967295
	s_addc_u32 s15, s15, (.LBB2_26561-.Lpost_getpc27616)>>32
	s_setpc_b64 s[14:15]
.LBB2_12225:
	s_or_saveexec_b64 s[6:7], s[6:7]
	v_mov_b32_e32 v2, s10
	s_xor_b64 exec, exec, s[6:7]
	s_cbranch_execz .LBB2_12226
; %bb.48067:
	s_getpc_b64 s[14:15]
.Lpost_getpc27617:
	s_add_u32 s14, s14, (.LBB2_26564-.Lpost_getpc27617)&4294967295
	s_addc_u32 s15, s15, (.LBB2_26564-.Lpost_getpc27617)>>32
	s_setpc_b64 s[14:15]
.LBB2_12226:
	s_or_b64 exec, exec, s[6:7]
	s_and_saveexec_b64 s[6:7], s[4:5]
	s_cbranch_execz .LBB2_12228
.LBB2_12227:
	v_and_b32_e32 v2, 7, v8
	v_ffbh_u32_e32 v6, v2
	v_min_u32_e32 v6, 32, v6
	v_lshrrev_b16_e32 v3, 3, v8
	v_subrev_u32_e32 v7, 28, v6
	v_and_b32_e32 v3, 15, v3
	v_lshlrev_b32_e32 v7, v7, v8
	v_sub_u32_e32 v6, 29, v6
	v_and_b32_e32 v7, 7, v7
	v_cmp_eq_u16_e32 vcc, 0, v3
	v_cndmask_b32_e32 v2, v2, v7, vcc
	v_cndmask_b32_e32 v3, v3, v6, vcc
	v_lshlrev_b32_e32 v6, 24, v8
	v_mov_b32_e32 v7, 0x3b800000
	v_lshlrev_b32_e32 v2, 20, v2
	v_and_b32_e32 v6, 0x80000000, v6
	v_lshl_add_u32 v3, v3, 23, v7
	v_or3_b32 v2, v6, v3, v2
.LBB2_12228:
	s_or_b64 exec, exec, s[6:7]
	s_movk_i32 s4, 0x7f
	v_cmp_gt_i16_sdwa s[6:7], v4, s4 src0_sel:BYTE_0 src1_sel:DWORD
	s_mov_b64 s[4:5], 0
                                        ; implicit-def: $sgpr10
	s_and_saveexec_b64 s[8:9], s[6:7]
	s_xor_b64 s[6:7], exec, s[8:9]
	s_cbranch_execz .LBB2_12229
; %bb.48069:
	s_getpc_b64 s[14:15]
.Lpost_getpc27618:
	s_add_u32 s14, s14, (.LBB2_26565-.Lpost_getpc27618)&4294967295
	s_addc_u32 s15, s15, (.LBB2_26565-.Lpost_getpc27618)>>32
	s_setpc_b64 s[14:15]
.LBB2_12229:
	s_or_saveexec_b64 s[6:7], s[6:7]
	v_mov_b32_e32 v3, s10
	s_xor_b64 exec, exec, s[6:7]
	s_cbranch_execz .LBB2_12230
; %bb.48071:
	s_getpc_b64 s[14:15]
.Lpost_getpc27619:
	s_add_u32 s14, s14, (.LBB2_26568-.Lpost_getpc27619)&4294967295
	s_addc_u32 s15, s15, (.LBB2_26568-.Lpost_getpc27619)>>32
	s_setpc_b64 s[14:15]
.LBB2_12230:
	s_or_b64 exec, exec, s[6:7]
	s_and_saveexec_b64 s[6:7], s[4:5]
	s_cbranch_execz .LBB2_12232
.LBB2_12231:
	v_and_b32_e32 v3, 7, v4
	v_ffbh_u32_e32 v7, v3
	v_min_u32_e32 v7, 32, v7
	v_lshrrev_b16_e32 v6, 3, v4
	v_subrev_u32_e32 v12, 28, v7
	v_and_b32_e32 v6, 15, v6
	v_lshlrev_b32_e32 v12, v12, v4
	v_sub_u32_e32 v7, 29, v7
	v_and_b32_e32 v12, 7, v12
	v_cmp_eq_u16_e32 vcc, 0, v6
	v_cndmask_b32_e32 v3, v3, v12, vcc
	v_cndmask_b32_e32 v6, v6, v7, vcc
	v_lshlrev_b32_e32 v7, 24, v4
	v_mov_b32_e32 v12, 0x3b800000
	v_lshlrev_b32_e32 v3, 20, v3
	v_and_b32_e32 v7, 0x80000000, v7
	v_lshl_add_u32 v6, v6, 23, v12
	v_or3_b32 v3, v7, v6, v3
.LBB2_12232:
	s_or_b64 exec, exec, s[6:7]
	s_nop 0
	v_mfma_f32_16x16x4f32 a[0:3], v2, v3, a[0:3]
	v_lshrrev_b32_e32 v3, 8, v8
	s_movk_i32 s4, 0x7f
	v_cmp_gt_i16_sdwa s[6:7], v3, s4 src0_sel:BYTE_0 src1_sel:DWORD
	s_mov_b64 s[4:5], 0
                                        ; implicit-def: $sgpr10
	s_and_saveexec_b64 s[8:9], s[6:7]
	s_xor_b64 s[6:7], exec, s[8:9]
	s_cbranch_execz .LBB2_12233
; %bb.48073:
	s_getpc_b64 s[14:15]
.Lpost_getpc27620:
	s_add_u32 s14, s14, (.LBB2_26569-.Lpost_getpc27620)&4294967295
	s_addc_u32 s15, s15, (.LBB2_26569-.Lpost_getpc27620)>>32
	s_setpc_b64 s[14:15]
.LBB2_12233:
	s_or_saveexec_b64 s[6:7], s[6:7]
	v_mov_b32_e32 v2, s10
	s_xor_b64 exec, exec, s[6:7]
	s_cbranch_execz .LBB2_12234
; %bb.48075:
	s_getpc_b64 s[14:15]
.Lpost_getpc27621:
	s_add_u32 s14, s14, (.LBB2_26572-.Lpost_getpc27621)&4294967295
	s_addc_u32 s15, s15, (.LBB2_26572-.Lpost_getpc27621)>>32
	s_setpc_b64 s[14:15]
.LBB2_12234:
	s_or_b64 exec, exec, s[6:7]
	s_and_saveexec_b64 s[6:7], s[4:5]
	s_cbranch_execz .LBB2_12236
.LBB2_12235:
	v_bfe_u32 v2, v8, 8, 3
	v_ffbh_u32_e32 v7, v2
	v_min_u32_e32 v7, 32, v7
	v_lshrrev_b16_e32 v6, 3, v3
	v_subrev_u32_e32 v12, 28, v7
	v_and_b32_e32 v6, 15, v6
	v_lshlrev_b32_e32 v3, v12, v3
	v_sub_u32_e32 v7, 29, v7
	v_and_b32_e32 v3, 7, v3
	v_cmp_eq_u16_e32 vcc, 0, v6
	v_cndmask_b32_e32 v2, v2, v3, vcc
	v_cndmask_b32_e32 v3, v6, v7, vcc
	v_lshlrev_b32_e32 v6, 16, v8
	v_mov_b32_e32 v7, 0x3b800000
	v_lshlrev_b32_e32 v2, 20, v2
	v_and_b32_e32 v6, 0x80000000, v6
	v_lshl_add_u32 v3, v3, 23, v7
	v_or3_b32 v2, v6, v3, v2
.LBB2_12236:
	s_or_b64 exec, exec, s[6:7]
	v_lshrrev_b32_e32 v3, 8, v4
	s_movk_i32 s4, 0x7f
	v_cmp_gt_i16_sdwa s[6:7], v3, s4 src0_sel:BYTE_0 src1_sel:DWORD
	s_mov_b64 s[4:5], 0
                                        ; implicit-def: $sgpr10
	s_and_saveexec_b64 s[8:9], s[6:7]
	s_xor_b64 s[6:7], exec, s[8:9]
	s_cbranch_execz .LBB2_12237
; %bb.48077:
	s_getpc_b64 s[14:15]
.Lpost_getpc27622:
	s_add_u32 s14, s14, (.LBB2_26573-.Lpost_getpc27622)&4294967295
	s_addc_u32 s15, s15, (.LBB2_26573-.Lpost_getpc27622)>>32
	s_setpc_b64 s[14:15]
.LBB2_12237:
	s_or_saveexec_b64 s[6:7], s[6:7]
	v_mov_b32_e32 v6, s10
	s_xor_b64 exec, exec, s[6:7]
	s_cbranch_execz .LBB2_12238
; %bb.48079:
	s_getpc_b64 s[14:15]
.Lpost_getpc27623:
	s_add_u32 s14, s14, (.LBB2_26576-.Lpost_getpc27623)&4294967295
	s_addc_u32 s15, s15, (.LBB2_26576-.Lpost_getpc27623)>>32
	s_setpc_b64 s[14:15]
.LBB2_12238:
	s_or_b64 exec, exec, s[6:7]
	s_and_saveexec_b64 s[6:7], s[4:5]
	s_cbranch_execz .LBB2_12240
.LBB2_12239:
	v_bfe_u32 v6, v4, 8, 3
	v_ffbh_u32_e32 v12, v6
	v_min_u32_e32 v12, 32, v12
	v_lshrrev_b16_e32 v7, 3, v3
	v_subrev_u32_e32 v13, 28, v12
	v_and_b32_e32 v7, 15, v7
	v_lshlrev_b32_e32 v3, v13, v3
	v_sub_u32_e32 v12, 29, v12
	v_and_b32_e32 v3, 7, v3
	v_cmp_eq_u16_e32 vcc, 0, v7
	v_cndmask_b32_e32 v3, v6, v3, vcc
	v_cndmask_b32_e32 v6, v7, v12, vcc
	v_lshlrev_b32_e32 v7, 16, v4
	v_mov_b32_e32 v12, 0x3b800000
	v_lshlrev_b32_e32 v3, 20, v3
	v_and_b32_e32 v7, 0x80000000, v7
	v_lshl_add_u32 v6, v6, 23, v12
	v_or3_b32 v6, v7, v6, v3
.LBB2_12240:
	s_or_b64 exec, exec, s[6:7]
	s_nop 0
	v_mfma_f32_16x16x4f32 a[0:3], v2, v6, a[0:3]
	s_movk_i32 s4, 0xff
	v_and_b32_sdwa v3, v8, s4 dst_sel:DWORD dst_unused:UNUSED_PAD src0_sel:WORD_1 src1_sel:DWORD
	s_movk_i32 s4, 0x7f
	v_cmp_lt_i16_e32 vcc, s4, v3
	s_mov_b64 s[4:5], 0
                                        ; implicit-def: $sgpr10
	s_and_saveexec_b64 s[6:7], vcc
	s_xor_b64 s[6:7], exec, s[6:7]
	s_cbranch_execz .LBB2_12241
; %bb.48081:
	s_getpc_b64 s[14:15]
.Lpost_getpc27624:
	s_add_u32 s14, s14, (.LBB2_26577-.Lpost_getpc27624)&4294967295
	s_addc_u32 s15, s15, (.LBB2_26577-.Lpost_getpc27624)>>32
	s_setpc_b64 s[14:15]
.LBB2_12241:
	s_or_saveexec_b64 s[6:7], s[6:7]
	v_mov_b32_e32 v2, s10
	s_xor_b64 exec, exec, s[6:7]
	s_cbranch_execz .LBB2_12242
; %bb.48083:
	s_getpc_b64 s[14:15]
.Lpost_getpc27625:
	s_add_u32 s14, s14, (.LBB2_26580-.Lpost_getpc27625)&4294967295
	s_addc_u32 s15, s15, (.LBB2_26580-.Lpost_getpc27625)>>32
	s_setpc_b64 s[14:15]
.LBB2_12242:
	s_or_b64 exec, exec, s[6:7]
	s_and_saveexec_b64 s[6:7], s[4:5]
	s_cbranch_execz .LBB2_12244
.LBB2_12243:
	v_bfe_u32 v2, v8, 16, 3
	v_ffbh_u32_e32 v7, v2
	v_min_u32_e32 v7, 32, v7
	v_lshrrev_b32_e32 v3, 19, v8
	v_subrev_u32_e32 v12, 28, v7
	v_and_b32_e32 v3, 15, v3
	v_lshlrev_b32_sdwa v12, v12, v8 dst_sel:DWORD dst_unused:UNUSED_PAD src0_sel:DWORD src1_sel:WORD_1
	v_bfe_u32 v6, v8, 19, 4
	v_sub_u32_e32 v7, 29, v7
	v_and_b32_e32 v12, 7, v12
	v_cmp_eq_u16_e32 vcc, 0, v3
	v_cndmask_b32_e32 v2, v2, v12, vcc
	v_cndmask_b32_e32 v3, v6, v7, vcc
	v_lshlrev_b32_e32 v6, 8, v8
	v_mov_b32_e32 v7, 0x3b800000
	v_lshlrev_b32_e32 v2, 20, v2
	v_and_b32_e32 v6, 0x80000000, v6
	v_lshl_add_u32 v3, v3, 23, v7
	v_or3_b32 v2, v6, v3, v2
.LBB2_12244:
	s_or_b64 exec, exec, s[6:7]
	s_movk_i32 s4, 0xff
	v_and_b32_sdwa v3, v4, s4 dst_sel:DWORD dst_unused:UNUSED_PAD src0_sel:WORD_1 src1_sel:DWORD
	s_movk_i32 s4, 0x7f
	v_cmp_lt_i16_e32 vcc, s4, v3
	s_mov_b64 s[4:5], 0
                                        ; implicit-def: $sgpr10
	s_and_saveexec_b64 s[6:7], vcc
	s_xor_b64 s[6:7], exec, s[6:7]
	s_cbranch_execz .LBB2_12245
; %bb.48085:
	s_getpc_b64 s[14:15]
.Lpost_getpc27626:
	s_add_u32 s14, s14, (.LBB2_26581-.Lpost_getpc27626)&4294967295
	s_addc_u32 s15, s15, (.LBB2_26581-.Lpost_getpc27626)>>32
	s_setpc_b64 s[14:15]
.LBB2_12245:
	s_or_saveexec_b64 s[6:7], s[6:7]
	v_mov_b32_e32 v6, s10
	s_xor_b64 exec, exec, s[6:7]
	s_cbranch_execz .LBB2_12246
; %bb.48087:
	s_getpc_b64 s[14:15]
.Lpost_getpc27627:
	s_add_u32 s14, s14, (.LBB2_26584-.Lpost_getpc27627)&4294967295
	s_addc_u32 s15, s15, (.LBB2_26584-.Lpost_getpc27627)>>32
	s_setpc_b64 s[14:15]
.LBB2_12246:
	s_or_b64 exec, exec, s[6:7]
	s_and_saveexec_b64 s[6:7], s[4:5]
	s_cbranch_execz .LBB2_12248
.LBB2_12247:
	v_bfe_u32 v3, v4, 16, 3
	v_ffbh_u32_e32 v12, v3
	v_min_u32_e32 v12, 32, v12
	v_lshrrev_b32_e32 v6, 19, v4
	v_subrev_u32_e32 v13, 28, v12
	v_and_b32_e32 v6, 15, v6
	v_lshlrev_b32_sdwa v13, v13, v4 dst_sel:DWORD dst_unused:UNUSED_PAD src0_sel:DWORD src1_sel:WORD_1
	v_bfe_u32 v7, v4, 19, 4
	v_sub_u32_e32 v12, 29, v12
	v_and_b32_e32 v13, 7, v13
	v_cmp_eq_u16_e32 vcc, 0, v6
	v_cndmask_b32_e32 v3, v3, v13, vcc
	v_cndmask_b32_e32 v6, v7, v12, vcc
	v_lshlrev_b32_e32 v7, 8, v4
	v_mov_b32_e32 v12, 0x3b800000
	v_lshlrev_b32_e32 v3, 20, v3
	v_and_b32_e32 v7, 0x80000000, v7
	v_lshl_add_u32 v6, v6, 23, v12
	v_or3_b32 v6, v7, v6, v3
.LBB2_12248:
	s_or_b64 exec, exec, s[6:7]
	s_nop 0
	v_mfma_f32_16x16x4f32 a[0:3], v2, v6, a[0:3]
	s_movk_i32 s4, 0x7f
	v_cmp_gt_i16_sdwa s[6:7], v8, s4 src0_sel:BYTE_3 src1_sel:DWORD
	s_mov_b64 s[4:5], 0
                                        ; implicit-def: $sgpr10
	s_and_saveexec_b64 s[8:9], s[6:7]
	s_xor_b64 s[6:7], exec, s[8:9]
	s_cbranch_execz .LBB2_12249
; %bb.48089:
	s_getpc_b64 s[14:15]
.Lpost_getpc27628:
	s_add_u32 s14, s14, (.LBB2_26585-.Lpost_getpc27628)&4294967295
	s_addc_u32 s15, s15, (.LBB2_26585-.Lpost_getpc27628)>>32
	s_setpc_b64 s[14:15]
.LBB2_12249:
	s_or_saveexec_b64 s[6:7], s[6:7]
	v_mov_b32_e32 v2, s10
	s_xor_b64 exec, exec, s[6:7]
	s_cbranch_execz .LBB2_12250
; %bb.48091:
	s_getpc_b64 s[14:15]
.Lpost_getpc27629:
	s_add_u32 s14, s14, (.LBB2_26588-.Lpost_getpc27629)&4294967295
	s_addc_u32 s15, s15, (.LBB2_26588-.Lpost_getpc27629)>>32
	s_setpc_b64 s[14:15]
.LBB2_12250:
	s_or_b64 exec, exec, s[6:7]
	s_and_saveexec_b64 s[6:7], s[4:5]
	s_cbranch_execz .LBB2_12252
.LBB2_12251:
	v_bfe_u32 v2, v8, 24, 3
	v_ffbh_u32_e32 v12, v2
	v_min_u32_e32 v12, 32, v12
	v_lshrrev_b32_e32 v6, 27, v8
	v_subrev_u32_e32 v13, 28, v12
	v_and_b32_e32 v3, 0x80000000, v8
	v_and_b32_e32 v6, 15, v6
	v_bfe_u32 v7, v8, 27, 4
	v_lshlrev_b32_sdwa v8, v13, v8 dst_sel:DWORD dst_unused:UNUSED_PAD src0_sel:DWORD src1_sel:BYTE_3
	v_sub_u32_e32 v12, 29, v12
	v_and_b32_e32 v8, 7, v8
	v_cmp_eq_u16_e32 vcc, 0, v6
	v_cndmask_b32_e32 v2, v2, v8, vcc
	v_cndmask_b32_e32 v6, v7, v12, vcc
	v_mov_b32_e32 v7, 0x3b800000
	v_lshlrev_b32_e32 v2, 20, v2
	v_lshl_add_u32 v6, v6, 23, v7
	v_or3_b32 v2, v3, v6, v2
.LBB2_12252:
	s_or_b64 exec, exec, s[6:7]
	s_movk_i32 s4, 0x7f
	v_cmp_gt_i16_sdwa s[6:7], v4, s4 src0_sel:BYTE_3 src1_sel:DWORD
	s_mov_b64 s[4:5], 0
                                        ; implicit-def: $sgpr10
	s_and_saveexec_b64 s[8:9], s[6:7]
	s_xor_b64 s[6:7], exec, s[8:9]
	s_cbranch_execz .LBB2_12253
; %bb.48093:
	s_getpc_b64 s[14:15]
.Lpost_getpc27630:
	s_add_u32 s14, s14, (.LBB2_26589-.Lpost_getpc27630)&4294967295
	s_addc_u32 s15, s15, (.LBB2_26589-.Lpost_getpc27630)>>32
	s_setpc_b64 s[14:15]
.LBB2_12253:
	s_or_saveexec_b64 s[6:7], s[6:7]
	v_mov_b32_e32 v3, s10
	s_xor_b64 exec, exec, s[6:7]
	s_cbranch_execz .LBB2_12254
; %bb.48095:
	s_getpc_b64 s[14:15]
.Lpost_getpc27631:
	s_add_u32 s14, s14, (.LBB2_26592-.Lpost_getpc27631)&4294967295
	s_addc_u32 s15, s15, (.LBB2_26592-.Lpost_getpc27631)>>32
	s_setpc_b64 s[14:15]
.LBB2_12254:
	s_or_b64 exec, exec, s[6:7]
	s_and_saveexec_b64 s[6:7], s[4:5]
	s_cbranch_execz .LBB2_12256
.LBB2_12255:
	v_bfe_u32 v3, v4, 24, 3
	v_ffbh_u32_e32 v12, v3
	v_min_u32_e32 v12, 32, v12
	v_lshrrev_b32_e32 v7, 27, v4
	v_subrev_u32_e32 v13, 28, v12
	v_and_b32_e32 v6, 0x80000000, v4
	v_and_b32_e32 v7, 15, v7
	v_bfe_u32 v8, v4, 27, 4
	v_lshlrev_b32_sdwa v4, v13, v4 dst_sel:DWORD dst_unused:UNUSED_PAD src0_sel:DWORD src1_sel:BYTE_3
	v_sub_u32_e32 v12, 29, v12
	v_and_b32_e32 v4, 7, v4
	v_cmp_eq_u16_e32 vcc, 0, v7
	v_cndmask_b32_e32 v3, v3, v4, vcc
	v_cndmask_b32_e32 v4, v8, v12, vcc
	v_mov_b32_e32 v7, 0x3b800000
	v_lshlrev_b32_e32 v3, 20, v3
	v_lshl_add_u32 v4, v4, 23, v7
	v_or3_b32 v3, v6, v4, v3
.LBB2_12256:
	s_or_b64 exec, exec, s[6:7]
	s_nop 0
	v_mfma_f32_16x16x4f32 a[0:3], v2, v3, a[0:3]
	s_movk_i32 s4, 0x7f
	v_cmp_gt_i16_sdwa s[6:7], v9, s4 src0_sel:BYTE_0 src1_sel:DWORD
	s_mov_b64 s[4:5], 0
                                        ; implicit-def: $sgpr10
	s_and_saveexec_b64 s[8:9], s[6:7]
	s_xor_b64 s[6:7], exec, s[8:9]
	s_cbranch_execz .LBB2_12257
; %bb.48097:
	s_getpc_b64 s[14:15]
.Lpost_getpc27632:
	s_add_u32 s14, s14, (.LBB2_26593-.Lpost_getpc27632)&4294967295
	s_addc_u32 s15, s15, (.LBB2_26593-.Lpost_getpc27632)>>32
	s_setpc_b64 s[14:15]
.LBB2_12257:
	s_or_saveexec_b64 s[6:7], s[6:7]
	v_mov_b32_e32 v2, s10
	s_xor_b64 exec, exec, s[6:7]
	s_cbranch_execz .LBB2_12258
; %bb.48099:
	s_getpc_b64 s[14:15]
.Lpost_getpc27633:
	s_add_u32 s14, s14, (.LBB2_26596-.Lpost_getpc27633)&4294967295
	s_addc_u32 s15, s15, (.LBB2_26596-.Lpost_getpc27633)>>32
	s_setpc_b64 s[14:15]
.LBB2_12258:
	s_or_b64 exec, exec, s[6:7]
	s_and_saveexec_b64 s[6:7], s[4:5]
	s_cbranch_execz .LBB2_12260
.LBB2_12259:
	v_mov_b32_e32 v2, 8
	v_and_b32_e32 v3, 7, v9
	v_lshrrev_b32_sdwa v2, v2, v9 dst_sel:BYTE_1 dst_unused:UNUSED_PAD src0_sel:DWORD src1_sel:DWORD
	v_ffbh_u32_e32 v4, v3
	v_or_b32_sdwa v2, v9, v2 dst_sel:DWORD dst_unused:UNUSED_PAD src0_sel:BYTE_0 src1_sel:DWORD
	v_min_u32_e32 v4, 32, v4
	v_lshrrev_b16_e32 v2, 3, v2
	v_subrev_u32_e32 v6, 28, v4
	v_and_b32_e32 v2, 15, v2
	v_lshlrev_b32_e32 v6, v6, v9
	v_sub_u32_e32 v4, 29, v4
	v_and_b32_e32 v6, 7, v6
	v_cmp_eq_u16_e32 vcc, 0, v2
	v_cndmask_b32_e32 v3, v3, v6, vcc
	v_cndmask_b32_e32 v2, v2, v4, vcc
	v_lshlrev_b32_e32 v4, 24, v9
	v_mov_b32_e32 v6, 0x3b800000
	v_lshlrev_b32_e32 v3, 20, v3
	v_and_b32_e32 v4, 0x80000000, v4
	v_lshl_add_u32 v2, v2, 23, v6
	v_or3_b32 v2, v4, v2, v3
.LBB2_12260:
	s_or_b64 exec, exec, s[6:7]
	s_movk_i32 s4, 0x7f
	v_cmp_gt_i16_sdwa s[6:7], v5, s4 src0_sel:BYTE_0 src1_sel:DWORD
	s_mov_b64 s[4:5], 0
                                        ; implicit-def: $sgpr10
	s_and_saveexec_b64 s[8:9], s[6:7]
	s_xor_b64 s[6:7], exec, s[8:9]
	s_cbranch_execz .LBB2_12261
; %bb.48101:
	s_getpc_b64 s[14:15]
.Lpost_getpc27634:
	s_add_u32 s14, s14, (.LBB2_26597-.Lpost_getpc27634)&4294967295
	s_addc_u32 s15, s15, (.LBB2_26597-.Lpost_getpc27634)>>32
	s_setpc_b64 s[14:15]
.LBB2_12261:
	s_or_saveexec_b64 s[6:7], s[6:7]
	v_mov_b32_e32 v3, s10
	s_xor_b64 exec, exec, s[6:7]
	s_cbranch_execz .LBB2_12262
; %bb.48103:
	s_getpc_b64 s[14:15]
.Lpost_getpc27635:
	s_add_u32 s14, s14, (.LBB2_26600-.Lpost_getpc27635)&4294967295
	s_addc_u32 s15, s15, (.LBB2_26600-.Lpost_getpc27635)>>32
	s_setpc_b64 s[14:15]
.LBB2_12262:
	s_or_b64 exec, exec, s[6:7]
	s_and_saveexec_b64 s[6:7], s[4:5]
	s_cbranch_execz .LBB2_12264
.LBB2_12263:
	v_mov_b32_e32 v3, 8
	v_and_b32_e32 v4, 7, v5
	v_lshrrev_b32_sdwa v3, v3, v5 dst_sel:BYTE_1 dst_unused:UNUSED_PAD src0_sel:DWORD src1_sel:DWORD
	v_ffbh_u32_e32 v6, v4
	v_or_b32_sdwa v3, v5, v3 dst_sel:DWORD dst_unused:UNUSED_PAD src0_sel:BYTE_0 src1_sel:DWORD
	v_min_u32_e32 v6, 32, v6
	v_lshrrev_b16_e32 v3, 3, v3
	v_subrev_u32_e32 v7, 28, v6
	v_and_b32_e32 v3, 15, v3
	v_lshlrev_b32_e32 v7, v7, v5
	v_sub_u32_e32 v6, 29, v6
	v_and_b32_e32 v7, 7, v7
	v_cmp_eq_u16_e32 vcc, 0, v3
	v_cndmask_b32_e32 v4, v4, v7, vcc
	v_cndmask_b32_e32 v3, v3, v6, vcc
	v_lshlrev_b32_e32 v6, 24, v5
	v_mov_b32_e32 v7, 0x3b800000
	v_lshlrev_b32_e32 v4, 20, v4
	v_and_b32_e32 v6, 0x80000000, v6
	v_lshl_add_u32 v3, v3, 23, v7
	v_or3_b32 v3, v6, v3, v4
.LBB2_12264:
	s_or_b64 exec, exec, s[6:7]
	s_nop 0
	v_mfma_f32_16x16x4f32 a[0:3], v2, v3, a[0:3]
	v_lshrrev_b32_e32 v3, 8, v9
	s_movk_i32 s4, 0x7f
	v_cmp_gt_i16_sdwa s[6:7], v3, s4 src0_sel:BYTE_0 src1_sel:DWORD
	s_mov_b64 s[4:5], 0
                                        ; implicit-def: $sgpr10
	s_and_saveexec_b64 s[8:9], s[6:7]
	s_xor_b64 s[6:7], exec, s[8:9]
	s_cbranch_execz .LBB2_12265
; %bb.48105:
	s_getpc_b64 s[14:15]
.Lpost_getpc27636:
	s_add_u32 s14, s14, (.LBB2_26601-.Lpost_getpc27636)&4294967295
	s_addc_u32 s15, s15, (.LBB2_26601-.Lpost_getpc27636)>>32
	s_setpc_b64 s[14:15]
.LBB2_12265:
	s_or_saveexec_b64 s[6:7], s[6:7]
	v_mov_b32_e32 v2, s10
	s_xor_b64 exec, exec, s[6:7]
	s_cbranch_execz .LBB2_12266
; %bb.48107:
	s_getpc_b64 s[14:15]
.Lpost_getpc27637:
	s_add_u32 s14, s14, (.LBB2_26604-.Lpost_getpc27637)&4294967295
	s_addc_u32 s15, s15, (.LBB2_26604-.Lpost_getpc27637)>>32
	s_setpc_b64 s[14:15]
.LBB2_12266:
	s_or_b64 exec, exec, s[6:7]
	s_and_saveexec_b64 s[6:7], s[4:5]
	s_cbranch_execz .LBB2_12268
.LBB2_12267:
	v_bfe_u32 v2, v9, 8, 3
	v_ffbh_u32_e32 v6, v2
	v_min_u32_e32 v6, 32, v6
	v_lshrrev_b16_e32 v4, 3, v3
	v_subrev_u32_e32 v7, 28, v6
	v_and_b32_e32 v4, 15, v4
	v_lshlrev_b32_e32 v3, v7, v3
	v_sub_u32_e32 v6, 29, v6
	v_and_b32_e32 v3, 7, v3
	v_cmp_eq_u16_e32 vcc, 0, v4
	v_cndmask_b32_e32 v2, v2, v3, vcc
	v_cndmask_b32_e32 v3, v4, v6, vcc
	v_lshlrev_b32_e32 v4, 16, v9
	v_mov_b32_e32 v6, 0x3b800000
	v_lshlrev_b32_e32 v2, 20, v2
	v_and_b32_e32 v4, 0x80000000, v4
	v_lshl_add_u32 v3, v3, 23, v6
	v_or3_b32 v2, v4, v3, v2
.LBB2_12268:
	s_or_b64 exec, exec, s[6:7]
	v_lshrrev_b32_e32 v3, 8, v5
	s_movk_i32 s4, 0x7f
	v_cmp_gt_i16_sdwa s[6:7], v3, s4 src0_sel:BYTE_0 src1_sel:DWORD
	s_mov_b64 s[4:5], 0
                                        ; implicit-def: $sgpr10
	s_and_saveexec_b64 s[8:9], s[6:7]
	s_xor_b64 s[6:7], exec, s[8:9]
	s_cbranch_execz .LBB2_12269
; %bb.48109:
	s_getpc_b64 s[14:15]
.Lpost_getpc27638:
	s_add_u32 s14, s14, (.LBB2_26605-.Lpost_getpc27638)&4294967295
	s_addc_u32 s15, s15, (.LBB2_26605-.Lpost_getpc27638)>>32
	s_setpc_b64 s[14:15]
.LBB2_12269:
	s_or_saveexec_b64 s[6:7], s[6:7]
	v_mov_b32_e32 v4, s10
	s_xor_b64 exec, exec, s[6:7]
	s_cbranch_execz .LBB2_12270
; %bb.48111:
	s_getpc_b64 s[14:15]
.Lpost_getpc27639:
	s_add_u32 s14, s14, (.LBB2_26608-.Lpost_getpc27639)&4294967295
	s_addc_u32 s15, s15, (.LBB2_26608-.Lpost_getpc27639)>>32
	s_setpc_b64 s[14:15]
.LBB2_12270:
	s_or_b64 exec, exec, s[6:7]
	s_and_saveexec_b64 s[6:7], s[4:5]
	s_cbranch_execz .LBB2_12272
.LBB2_12271:
	v_bfe_u32 v4, v5, 8, 3
	v_ffbh_u32_e32 v7, v4
	v_min_u32_e32 v7, 32, v7
	v_lshrrev_b16_e32 v6, 3, v3
	v_subrev_u32_e32 v8, 28, v7
	v_and_b32_e32 v6, 15, v6
	v_lshlrev_b32_e32 v3, v8, v3
	v_sub_u32_e32 v7, 29, v7
	v_and_b32_e32 v3, 7, v3
	v_cmp_eq_u16_e32 vcc, 0, v6
	v_cndmask_b32_e32 v3, v4, v3, vcc
	v_cndmask_b32_e32 v4, v6, v7, vcc
	v_lshlrev_b32_e32 v6, 16, v5
	v_mov_b32_e32 v7, 0x3b800000
	v_lshlrev_b32_e32 v3, 20, v3
	v_and_b32_e32 v6, 0x80000000, v6
	v_lshl_add_u32 v4, v4, 23, v7
	v_or3_b32 v4, v6, v4, v3
.LBB2_12272:
	s_or_b64 exec, exec, s[6:7]
	s_nop 0
	v_mfma_f32_16x16x4f32 a[0:3], v2, v4, a[0:3]
	s_movk_i32 s4, 0xff
	v_and_b32_sdwa v3, v9, s4 dst_sel:DWORD dst_unused:UNUSED_PAD src0_sel:WORD_1 src1_sel:DWORD
	s_movk_i32 s4, 0x7f
	v_cmp_lt_i16_e32 vcc, s4, v3
	s_mov_b64 s[4:5], 0
                                        ; implicit-def: $sgpr10
	s_and_saveexec_b64 s[6:7], vcc
	s_xor_b64 s[6:7], exec, s[6:7]
	s_cbranch_execz .LBB2_12273
; %bb.48113:
	s_getpc_b64 s[14:15]
.Lpost_getpc27640:
	s_add_u32 s14, s14, (.LBB2_26609-.Lpost_getpc27640)&4294967295
	s_addc_u32 s15, s15, (.LBB2_26609-.Lpost_getpc27640)>>32
	s_setpc_b64 s[14:15]
.LBB2_12273:
	s_or_saveexec_b64 s[6:7], s[6:7]
	v_mov_b32_e32 v2, s10
	s_xor_b64 exec, exec, s[6:7]
	s_cbranch_execz .LBB2_12274
; %bb.48115:
	s_getpc_b64 s[14:15]
.Lpost_getpc27641:
	s_add_u32 s14, s14, (.LBB2_26612-.Lpost_getpc27641)&4294967295
	s_addc_u32 s15, s15, (.LBB2_26612-.Lpost_getpc27641)>>32
	s_setpc_b64 s[14:15]
.LBB2_12274:
	s_or_b64 exec, exec, s[6:7]
	s_and_saveexec_b64 s[6:7], s[4:5]
	s_cbranch_execz .LBB2_12276
.LBB2_12275:
	v_bfe_u32 v2, v9, 16, 3
	v_ffbh_u32_e32 v6, v2
	v_min_u32_e32 v6, 32, v6
	v_lshrrev_b32_e32 v3, 19, v9
	v_subrev_u32_e32 v7, 28, v6
	v_and_b32_e32 v3, 15, v3
	v_lshlrev_b32_sdwa v7, v7, v9 dst_sel:DWORD dst_unused:UNUSED_PAD src0_sel:DWORD src1_sel:WORD_1
	v_bfe_u32 v4, v9, 19, 4
	v_sub_u32_e32 v6, 29, v6
	v_and_b32_e32 v7, 7, v7
	v_cmp_eq_u16_e32 vcc, 0, v3
	v_cndmask_b32_e32 v2, v2, v7, vcc
	v_cndmask_b32_e32 v3, v4, v6, vcc
	v_lshlrev_b32_e32 v4, 8, v9
	v_mov_b32_e32 v6, 0x3b800000
	v_lshlrev_b32_e32 v2, 20, v2
	v_and_b32_e32 v4, 0x80000000, v4
	v_lshl_add_u32 v3, v3, 23, v6
	v_or3_b32 v2, v4, v3, v2
.LBB2_12276:
	s_or_b64 exec, exec, s[6:7]
	s_movk_i32 s4, 0xff
	v_and_b32_sdwa v3, v5, s4 dst_sel:DWORD dst_unused:UNUSED_PAD src0_sel:WORD_1 src1_sel:DWORD
	s_movk_i32 s4, 0x7f
	v_cmp_lt_i16_e32 vcc, s4, v3
	s_mov_b64 s[4:5], 0
                                        ; implicit-def: $sgpr10
	s_and_saveexec_b64 s[6:7], vcc
	s_xor_b64 s[6:7], exec, s[6:7]
	s_cbranch_execz .LBB2_12277
; %bb.48117:
	s_getpc_b64 s[14:15]
.Lpost_getpc27642:
	s_add_u32 s14, s14, (.LBB2_26613-.Lpost_getpc27642)&4294967295
	s_addc_u32 s15, s15, (.LBB2_26613-.Lpost_getpc27642)>>32
	s_setpc_b64 s[14:15]
.LBB2_12277:
	s_or_saveexec_b64 s[6:7], s[6:7]
	v_mov_b32_e32 v4, s10
	s_xor_b64 exec, exec, s[6:7]
	s_cbranch_execz .LBB2_12278
; %bb.48119:
	s_getpc_b64 s[14:15]
.Lpost_getpc27643:
	s_add_u32 s14, s14, (.LBB2_26616-.Lpost_getpc27643)&4294967295
	s_addc_u32 s15, s15, (.LBB2_26616-.Lpost_getpc27643)>>32
	s_setpc_b64 s[14:15]
.LBB2_12278:
	s_or_b64 exec, exec, s[6:7]
	s_and_saveexec_b64 s[6:7], s[4:5]
	s_cbranch_execz .LBB2_12280
.LBB2_12279:
	v_bfe_u32 v3, v5, 16, 3
	v_ffbh_u32_e32 v7, v3
	v_min_u32_e32 v7, 32, v7
	v_lshrrev_b32_e32 v4, 19, v5
	v_subrev_u32_e32 v8, 28, v7
	v_and_b32_e32 v4, 15, v4
	v_lshlrev_b32_sdwa v8, v8, v5 dst_sel:DWORD dst_unused:UNUSED_PAD src0_sel:DWORD src1_sel:WORD_1
	v_bfe_u32 v6, v5, 19, 4
	v_sub_u32_e32 v7, 29, v7
	v_and_b32_e32 v8, 7, v8
	v_cmp_eq_u16_e32 vcc, 0, v4
	v_cndmask_b32_e32 v3, v3, v8, vcc
	v_cndmask_b32_e32 v4, v6, v7, vcc
	v_lshlrev_b32_e32 v6, 8, v5
	v_mov_b32_e32 v7, 0x3b800000
	v_lshlrev_b32_e32 v3, 20, v3
	v_and_b32_e32 v6, 0x80000000, v6
	v_lshl_add_u32 v4, v4, 23, v7
	v_or3_b32 v4, v6, v4, v3
.LBB2_12280:
	s_or_b64 exec, exec, s[6:7]
	s_nop 0
	v_mfma_f32_16x16x4f32 a[0:3], v2, v4, a[0:3]
	s_movk_i32 s4, 0x7f
	v_cmp_gt_i16_sdwa s[6:7], v9, s4 src0_sel:BYTE_3 src1_sel:DWORD
	s_mov_b64 s[4:5], 0
                                        ; implicit-def: $sgpr10
	s_and_saveexec_b64 s[8:9], s[6:7]
	s_xor_b64 s[6:7], exec, s[8:9]
	s_cbranch_execz .LBB2_12281
; %bb.48121:
	s_getpc_b64 s[14:15]
.Lpost_getpc27644:
	s_add_u32 s14, s14, (.LBB2_26617-.Lpost_getpc27644)&4294967295
	s_addc_u32 s15, s15, (.LBB2_26617-.Lpost_getpc27644)>>32
	s_setpc_b64 s[14:15]
.LBB2_12281:
	s_or_saveexec_b64 s[6:7], s[6:7]
	v_mov_b32_e32 v2, s10
	s_xor_b64 exec, exec, s[6:7]
	s_cbranch_execz .LBB2_12282
; %bb.48123:
	s_getpc_b64 s[14:15]
.Lpost_getpc27645:
	s_add_u32 s14, s14, (.LBB2_26620-.Lpost_getpc27645)&4294967295
	s_addc_u32 s15, s15, (.LBB2_26620-.Lpost_getpc27645)>>32
	s_setpc_b64 s[14:15]
.LBB2_12282:
	s_or_b64 exec, exec, s[6:7]
	s_and_saveexec_b64 s[6:7], s[4:5]
	s_cbranch_execz .LBB2_12284
.LBB2_12283:
	v_bfe_u32 v2, v9, 24, 3
	v_ffbh_u32_e32 v7, v2
	v_min_u32_e32 v7, 32, v7
	v_lshrrev_b32_e32 v4, 27, v9
	v_subrev_u32_e32 v8, 28, v7
	v_and_b32_e32 v4, 15, v4
	v_lshlrev_b32_sdwa v8, v8, v9 dst_sel:DWORD dst_unused:UNUSED_PAD src0_sel:DWORD src1_sel:BYTE_3
	v_bfe_u32 v6, v9, 27, 4
	v_sub_u32_e32 v7, 29, v7
	v_and_b32_e32 v8, 7, v8
	v_cmp_eq_u16_e32 vcc, 0, v4
	v_cndmask_b32_e32 v2, v2, v8, vcc
	v_cndmask_b32_e32 v4, v6, v7, vcc
	v_mov_b32_e32 v6, 0x3b800000
	v_and_b32_e32 v3, 0x80000000, v9
	v_lshlrev_b32_e32 v2, 20, v2
	v_lshl_add_u32 v4, v4, 23, v6
	v_or3_b32 v2, v3, v4, v2
.LBB2_12284:
	s_or_b64 exec, exec, s[6:7]
	s_movk_i32 s4, 0x7f
	v_cmp_gt_i16_sdwa s[6:7], v5, s4 src0_sel:BYTE_3 src1_sel:DWORD
	s_mov_b64 s[4:5], 0
                                        ; implicit-def: $sgpr10
	s_and_saveexec_b64 s[8:9], s[6:7]
	s_xor_b64 s[6:7], exec, s[8:9]
	s_cbranch_execz .LBB2_12285
; %bb.48125:
	s_getpc_b64 s[14:15]
.Lpost_getpc27646:
	s_add_u32 s14, s14, (.LBB2_26621-.Lpost_getpc27646)&4294967295
	s_addc_u32 s15, s15, (.LBB2_26621-.Lpost_getpc27646)>>32
	s_setpc_b64 s[14:15]
.LBB2_12285:
	s_or_saveexec_b64 s[6:7], s[6:7]
	v_mov_b32_e32 v3, s10
	s_xor_b64 exec, exec, s[6:7]
	s_cbranch_execz .LBB2_12286
; %bb.48127:
	s_getpc_b64 s[14:15]
.Lpost_getpc27647:
	s_add_u32 s14, s14, (.LBB2_26624-.Lpost_getpc27647)&4294967295
	s_addc_u32 s15, s15, (.LBB2_26624-.Lpost_getpc27647)>>32
	s_setpc_b64 s[14:15]
.LBB2_12286:
	s_or_b64 exec, exec, s[6:7]
	s_and_saveexec_b64 s[6:7], s[4:5]
	s_cbranch_execz .LBB2_12288
.LBB2_12287:
	v_bfe_u32 v3, v5, 24, 3
	v_ffbh_u32_e32 v8, v3
	v_min_u32_e32 v8, 32, v8
	v_lshrrev_b32_e32 v6, 27, v5
	v_subrev_u32_e32 v9, 28, v8
	v_and_b32_e32 v4, 0x80000000, v5
	v_and_b32_e32 v6, 15, v6
	v_bfe_u32 v7, v5, 27, 4
	v_lshlrev_b32_sdwa v5, v9, v5 dst_sel:DWORD dst_unused:UNUSED_PAD src0_sel:DWORD src1_sel:BYTE_3
	v_sub_u32_e32 v8, 29, v8
	v_and_b32_e32 v5, 7, v5
	v_cmp_eq_u16_e32 vcc, 0, v6
	v_cndmask_b32_e32 v3, v3, v5, vcc
	v_cndmask_b32_e32 v5, v7, v8, vcc
	v_mov_b32_e32 v6, 0x3b800000
	v_lshlrev_b32_e32 v3, 20, v3
	v_lshl_add_u32 v5, v5, 23, v6
	v_or3_b32 v3, v4, v5, v3
.LBB2_12288:
	s_or_b64 exec, exec, s[6:7]
	s_nop 0
	v_mfma_f32_16x16x4f32 a[0:3], v2, v3, a[0:3]
	s_movk_i32 s4, 0x7f
                                        ; implicit-def: $sgpr10
	s_nop 7
	s_nop 1
	flat_store_dwordx4 v[10:11], a[0:3] offset:624
	flat_load_dwordx4 v[12:15], v[0:1]
	s_nop 0
	flat_load_dwordx2 v[10:11], v[0:1] offset:16
	s_waitcnt vmcnt(0) lgkmcnt(0)
	flat_load_dwordx4 v[6:9], v[12:13] offset:192
	flat_load_dwordx4 v[2:5], v[14:15] offset:128
	s_waitcnt vmcnt(0) lgkmcnt(0)
	v_cmp_gt_i16_sdwa s[6:7], v6, s4 src0_sel:BYTE_0 src1_sel:DWORD
	s_mov_b64 s[4:5], 0
	s_and_saveexec_b64 s[8:9], s[6:7]
	s_xor_b64 s[6:7], exec, s[8:9]
	s_cbranch_execz .LBB2_12289
; %bb.48129:
	s_getpc_b64 s[14:15]
.Lpost_getpc27648:
	s_add_u32 s14, s14, (.LBB2_26625-.Lpost_getpc27648)&4294967295
	s_addc_u32 s15, s15, (.LBB2_26625-.Lpost_getpc27648)>>32
	s_setpc_b64 s[14:15]
.LBB2_12289:
	s_or_saveexec_b64 s[6:7], s[6:7]
	v_mov_b32_e32 v12, s10
	s_xor_b64 exec, exec, s[6:7]
	s_cbranch_execz .LBB2_12290
; %bb.48131:
	s_getpc_b64 s[14:15]
.Lpost_getpc27649:
	s_add_u32 s14, s14, (.LBB2_26628-.Lpost_getpc27649)&4294967295
	s_addc_u32 s15, s15, (.LBB2_26628-.Lpost_getpc27649)>>32
	s_setpc_b64 s[14:15]
.LBB2_12290:
	s_or_b64 exec, exec, s[6:7]
	s_and_saveexec_b64 s[6:7], s[4:5]
	s_cbranch_execz .LBB2_12292
.LBB2_12291:
	v_and_b32_e32 v12, 7, v6
	v_ffbh_u32_e32 v14, v12
	v_min_u32_e32 v14, 32, v14
	v_lshrrev_b16_e32 v13, 3, v6
	v_subrev_u32_e32 v15, 28, v14
	v_and_b32_e32 v13, 15, v13
	v_lshlrev_b32_e32 v15, v15, v6
	v_sub_u32_e32 v14, 29, v14
	v_and_b32_e32 v15, 7, v15
	v_cmp_eq_u16_e32 vcc, 0, v13
	v_cndmask_b32_e32 v12, v12, v15, vcc
	v_cndmask_b32_e32 v13, v13, v14, vcc
	v_lshlrev_b32_e32 v14, 24, v6
	v_mov_b32_e32 v15, 0x3b800000
	v_lshlrev_b32_e32 v12, 20, v12
	v_and_b32_e32 v14, 0x80000000, v14
	v_lshl_add_u32 v13, v13, 23, v15
	v_or3_b32 v12, v14, v13, v12
.LBB2_12292:
	s_or_b64 exec, exec, s[6:7]
	s_movk_i32 s4, 0x7f
	v_cmp_gt_i16_sdwa s[6:7], v2, s4 src0_sel:BYTE_0 src1_sel:DWORD
	s_mov_b64 s[4:5], 0
                                        ; implicit-def: $sgpr10
	s_and_saveexec_b64 s[8:9], s[6:7]
	s_xor_b64 s[6:7], exec, s[8:9]
	s_cbranch_execz .LBB2_12293
; %bb.48133:
	s_getpc_b64 s[14:15]
.Lpost_getpc27650:
	s_add_u32 s14, s14, (.LBB2_26629-.Lpost_getpc27650)&4294967295
	s_addc_u32 s15, s15, (.LBB2_26629-.Lpost_getpc27650)>>32
	s_setpc_b64 s[14:15]
.LBB2_12293:
	s_or_saveexec_b64 s[6:7], s[6:7]
	v_mov_b32_e32 v13, s10
	s_xor_b64 exec, exec, s[6:7]
	s_cbranch_execz .LBB2_12294
; %bb.48135:
	s_getpc_b64 s[14:15]
.Lpost_getpc27651:
	s_add_u32 s14, s14, (.LBB2_26632-.Lpost_getpc27651)&4294967295
	s_addc_u32 s15, s15, (.LBB2_26632-.Lpost_getpc27651)>>32
	s_setpc_b64 s[14:15]
.LBB2_12294:
	s_or_b64 exec, exec, s[6:7]
	s_and_saveexec_b64 s[6:7], s[4:5]
	s_cbranch_execz .LBB2_12296
.LBB2_12295:
	v_and_b32_e32 v13, 7, v2
	v_ffbh_u32_e32 v15, v13
	v_min_u32_e32 v15, 32, v15
	v_lshrrev_b16_e32 v14, 3, v2
	v_subrev_u32_e32 v16, 28, v15
	v_and_b32_e32 v14, 15, v14
	v_lshlrev_b32_e32 v16, v16, v2
	v_sub_u32_e32 v15, 29, v15
	v_and_b32_e32 v16, 7, v16
	v_cmp_eq_u16_e32 vcc, 0, v14
	v_cndmask_b32_e32 v13, v13, v16, vcc
	v_cndmask_b32_e32 v14, v14, v15, vcc
	v_lshlrev_b32_e32 v15, 24, v2
	v_mov_b32_e32 v16, 0x3b800000
	v_lshlrev_b32_e32 v13, 20, v13
	v_and_b32_e32 v15, 0x80000000, v15
	v_lshl_add_u32 v14, v14, 23, v16
	v_or3_b32 v13, v15, v14, v13
.LBB2_12296:
	s_or_b64 exec, exec, s[6:7]
	flat_load_dwordx4 a[0:3], v[10:11] offset:640
	s_movk_i32 s4, 0x7f
                                        ; implicit-def: $sgpr10
	s_waitcnt vmcnt(0) lgkmcnt(0)
	v_mfma_f32_16x16x4f32 a[0:3], v12, v13, a[0:3]
	v_lshrrev_b32_e32 v13, 8, v6
	v_cmp_gt_i16_sdwa s[6:7], v13, s4 src0_sel:BYTE_0 src1_sel:DWORD
	s_mov_b64 s[4:5], 0
	s_and_saveexec_b64 s[8:9], s[6:7]
	s_xor_b64 s[6:7], exec, s[8:9]
	s_cbranch_execz .LBB2_12297
; %bb.48137:
	s_getpc_b64 s[14:15]
.Lpost_getpc27652:
	s_add_u32 s14, s14, (.LBB2_26633-.Lpost_getpc27652)&4294967295
	s_addc_u32 s15, s15, (.LBB2_26633-.Lpost_getpc27652)>>32
	s_setpc_b64 s[14:15]
.LBB2_12297:
	s_or_saveexec_b64 s[6:7], s[6:7]
	v_mov_b32_e32 v12, s10
	s_xor_b64 exec, exec, s[6:7]
	s_cbranch_execz .LBB2_12298
; %bb.48139:
	s_getpc_b64 s[14:15]
.Lpost_getpc27653:
	s_add_u32 s14, s14, (.LBB2_26636-.Lpost_getpc27653)&4294967295
	s_addc_u32 s15, s15, (.LBB2_26636-.Lpost_getpc27653)>>32
	s_setpc_b64 s[14:15]
.LBB2_12298:
	s_or_b64 exec, exec, s[6:7]
	s_and_saveexec_b64 s[6:7], s[4:5]
	s_cbranch_execz .LBB2_12300
.LBB2_12299:
	v_bfe_u32 v12, v6, 8, 3
	v_ffbh_u32_e32 v15, v12
	v_min_u32_e32 v15, 32, v15
	v_lshrrev_b16_e32 v14, 3, v13
	v_subrev_u32_e32 v16, 28, v15
	v_and_b32_e32 v14, 15, v14
	v_lshlrev_b32_e32 v13, v16, v13
	v_sub_u32_e32 v15, 29, v15
	v_and_b32_e32 v13, 7, v13
	v_cmp_eq_u16_e32 vcc, 0, v14
	v_cndmask_b32_e32 v12, v12, v13, vcc
	v_cndmask_b32_e32 v13, v14, v15, vcc
	v_lshlrev_b32_e32 v14, 16, v6
	v_mov_b32_e32 v15, 0x3b800000
	v_lshlrev_b32_e32 v12, 20, v12
	v_and_b32_e32 v14, 0x80000000, v14
	v_lshl_add_u32 v13, v13, 23, v15
	v_or3_b32 v12, v14, v13, v12
.LBB2_12300:
	s_or_b64 exec, exec, s[6:7]
	v_lshrrev_b32_e32 v13, 8, v2
	s_movk_i32 s4, 0x7f
	v_cmp_gt_i16_sdwa s[6:7], v13, s4 src0_sel:BYTE_0 src1_sel:DWORD
	s_mov_b64 s[4:5], 0
                                        ; implicit-def: $sgpr10
	s_and_saveexec_b64 s[8:9], s[6:7]
	s_xor_b64 s[6:7], exec, s[8:9]
	s_cbranch_execz .LBB2_12301
; %bb.48141:
	s_getpc_b64 s[14:15]
.Lpost_getpc27654:
	s_add_u32 s14, s14, (.LBB2_26637-.Lpost_getpc27654)&4294967295
	s_addc_u32 s15, s15, (.LBB2_26637-.Lpost_getpc27654)>>32
	s_setpc_b64 s[14:15]
.LBB2_12301:
	s_or_saveexec_b64 s[6:7], s[6:7]
	v_mov_b32_e32 v14, s10
	s_xor_b64 exec, exec, s[6:7]
	s_cbranch_execz .LBB2_12302
; %bb.48143:
	s_getpc_b64 s[14:15]
.Lpost_getpc27655:
	s_add_u32 s14, s14, (.LBB2_26640-.Lpost_getpc27655)&4294967295
	s_addc_u32 s15, s15, (.LBB2_26640-.Lpost_getpc27655)>>32
	s_setpc_b64 s[14:15]
.LBB2_12302:
	s_or_b64 exec, exec, s[6:7]
	s_and_saveexec_b64 s[6:7], s[4:5]
	s_cbranch_execz .LBB2_12304
.LBB2_12303:
	v_bfe_u32 v14, v2, 8, 3
	v_ffbh_u32_e32 v16, v14
	v_min_u32_e32 v16, 32, v16
	v_lshrrev_b16_e32 v15, 3, v13
	v_subrev_u32_e32 v17, 28, v16
	v_and_b32_e32 v15, 15, v15
	v_lshlrev_b32_e32 v13, v17, v13
	v_sub_u32_e32 v16, 29, v16
	v_and_b32_e32 v13, 7, v13
	v_cmp_eq_u16_e32 vcc, 0, v15
	v_cndmask_b32_e32 v13, v14, v13, vcc
	v_cndmask_b32_e32 v14, v15, v16, vcc
	v_lshlrev_b32_e32 v15, 16, v2
	v_mov_b32_e32 v16, 0x3b800000
	v_lshlrev_b32_e32 v13, 20, v13
	v_and_b32_e32 v15, 0x80000000, v15
	v_lshl_add_u32 v14, v14, 23, v16
	v_or3_b32 v14, v15, v14, v13
.LBB2_12304:
	s_or_b64 exec, exec, s[6:7]
	s_nop 0
	v_mfma_f32_16x16x4f32 a[0:3], v12, v14, a[0:3]
	s_movk_i32 s4, 0xff
	v_and_b32_sdwa v13, v6, s4 dst_sel:DWORD dst_unused:UNUSED_PAD src0_sel:WORD_1 src1_sel:DWORD
	s_movk_i32 s4, 0x7f
	v_cmp_lt_i16_e32 vcc, s4, v13
	s_mov_b64 s[4:5], 0
                                        ; implicit-def: $sgpr10
	s_and_saveexec_b64 s[6:7], vcc
	s_xor_b64 s[6:7], exec, s[6:7]
	s_cbranch_execz .LBB2_12305
; %bb.48145:
	s_getpc_b64 s[14:15]
.Lpost_getpc27656:
	s_add_u32 s14, s14, (.LBB2_26641-.Lpost_getpc27656)&4294967295
	s_addc_u32 s15, s15, (.LBB2_26641-.Lpost_getpc27656)>>32
	s_setpc_b64 s[14:15]
.LBB2_12305:
	s_or_saveexec_b64 s[6:7], s[6:7]
	v_mov_b32_e32 v12, s10
	s_xor_b64 exec, exec, s[6:7]
	s_cbranch_execz .LBB2_12306
; %bb.48147:
	s_getpc_b64 s[14:15]
.Lpost_getpc27657:
	s_add_u32 s14, s14, (.LBB2_26644-.Lpost_getpc27657)&4294967295
	s_addc_u32 s15, s15, (.LBB2_26644-.Lpost_getpc27657)>>32
	s_setpc_b64 s[14:15]
.LBB2_12306:
	s_or_b64 exec, exec, s[6:7]
	s_and_saveexec_b64 s[6:7], s[4:5]
	s_cbranch_execz .LBB2_12308
.LBB2_12307:
	v_bfe_u32 v12, v6, 16, 3
	v_ffbh_u32_e32 v15, v12
	v_min_u32_e32 v15, 32, v15
	v_lshrrev_b32_e32 v13, 19, v6
	v_subrev_u32_e32 v16, 28, v15
	v_and_b32_e32 v13, 15, v13
	v_lshlrev_b32_sdwa v16, v16, v6 dst_sel:DWORD dst_unused:UNUSED_PAD src0_sel:DWORD src1_sel:WORD_1
	v_bfe_u32 v14, v6, 19, 4
	v_sub_u32_e32 v15, 29, v15
	v_and_b32_e32 v16, 7, v16
	v_cmp_eq_u16_e32 vcc, 0, v13
	v_cndmask_b32_e32 v12, v12, v16, vcc
	v_cndmask_b32_e32 v13, v14, v15, vcc
	v_lshlrev_b32_e32 v14, 8, v6
	v_mov_b32_e32 v15, 0x3b800000
	v_lshlrev_b32_e32 v12, 20, v12
	v_and_b32_e32 v14, 0x80000000, v14
	v_lshl_add_u32 v13, v13, 23, v15
	v_or3_b32 v12, v14, v13, v12
.LBB2_12308:
	s_or_b64 exec, exec, s[6:7]
	s_movk_i32 s4, 0xff
	v_and_b32_sdwa v13, v2, s4 dst_sel:DWORD dst_unused:UNUSED_PAD src0_sel:WORD_1 src1_sel:DWORD
	s_movk_i32 s4, 0x7f
	v_cmp_lt_i16_e32 vcc, s4, v13
	s_mov_b64 s[4:5], 0
                                        ; implicit-def: $sgpr10
	s_and_saveexec_b64 s[6:7], vcc
	s_xor_b64 s[6:7], exec, s[6:7]
	s_cbranch_execz .LBB2_12309
; %bb.48149:
	s_getpc_b64 s[14:15]
.Lpost_getpc27658:
	s_add_u32 s14, s14, (.LBB2_26645-.Lpost_getpc27658)&4294967295
	s_addc_u32 s15, s15, (.LBB2_26645-.Lpost_getpc27658)>>32
	s_setpc_b64 s[14:15]
.LBB2_12309:
	s_or_saveexec_b64 s[6:7], s[6:7]
	v_mov_b32_e32 v14, s10
	s_xor_b64 exec, exec, s[6:7]
	s_cbranch_execz .LBB2_12310
; %bb.48151:
	s_getpc_b64 s[14:15]
.Lpost_getpc27659:
	s_add_u32 s14, s14, (.LBB2_26648-.Lpost_getpc27659)&4294967295
	s_addc_u32 s15, s15, (.LBB2_26648-.Lpost_getpc27659)>>32
	s_setpc_b64 s[14:15]
.LBB2_12310:
	s_or_b64 exec, exec, s[6:7]
	s_and_saveexec_b64 s[6:7], s[4:5]
	s_cbranch_execz .LBB2_12312
.LBB2_12311:
	v_bfe_u32 v13, v2, 16, 3
	v_ffbh_u32_e32 v16, v13
	v_min_u32_e32 v16, 32, v16
	v_lshrrev_b32_e32 v14, 19, v2
	v_subrev_u32_e32 v17, 28, v16
	v_and_b32_e32 v14, 15, v14
	v_lshlrev_b32_sdwa v17, v17, v2 dst_sel:DWORD dst_unused:UNUSED_PAD src0_sel:DWORD src1_sel:WORD_1
	v_bfe_u32 v15, v2, 19, 4
	v_sub_u32_e32 v16, 29, v16
	v_and_b32_e32 v17, 7, v17
	v_cmp_eq_u16_e32 vcc, 0, v14
	v_cndmask_b32_e32 v13, v13, v17, vcc
	v_cndmask_b32_e32 v14, v15, v16, vcc
	v_lshlrev_b32_e32 v15, 8, v2
	v_mov_b32_e32 v16, 0x3b800000
	v_lshlrev_b32_e32 v13, 20, v13
	v_and_b32_e32 v15, 0x80000000, v15
	v_lshl_add_u32 v14, v14, 23, v16
	v_or3_b32 v14, v15, v14, v13
.LBB2_12312:
	s_or_b64 exec, exec, s[6:7]
	s_nop 0
	v_mfma_f32_16x16x4f32 a[0:3], v12, v14, a[0:3]
	s_movk_i32 s4, 0x7f
	v_cmp_gt_i16_sdwa s[6:7], v6, s4 src0_sel:BYTE_3 src1_sel:DWORD
	s_mov_b64 s[4:5], 0
                                        ; implicit-def: $sgpr10
	s_and_saveexec_b64 s[8:9], s[6:7]
	s_xor_b64 s[6:7], exec, s[8:9]
	s_cbranch_execz .LBB2_12313
; %bb.48153:
	s_getpc_b64 s[14:15]
.Lpost_getpc27660:
	s_add_u32 s14, s14, (.LBB2_26649-.Lpost_getpc27660)&4294967295
	s_addc_u32 s15, s15, (.LBB2_26649-.Lpost_getpc27660)>>32
	s_setpc_b64 s[14:15]
.LBB2_12313:
	s_or_saveexec_b64 s[6:7], s[6:7]
	v_mov_b32_e32 v12, s10
	s_xor_b64 exec, exec, s[6:7]
	s_cbranch_execz .LBB2_12314
; %bb.48155:
	s_getpc_b64 s[14:15]
.Lpost_getpc27661:
	s_add_u32 s14, s14, (.LBB2_26652-.Lpost_getpc27661)&4294967295
	s_addc_u32 s15, s15, (.LBB2_26652-.Lpost_getpc27661)>>32
	s_setpc_b64 s[14:15]
.LBB2_12314:
	s_or_b64 exec, exec, s[6:7]
	s_and_saveexec_b64 s[6:7], s[4:5]
	s_cbranch_execz .LBB2_12316
.LBB2_12315:
	v_bfe_u32 v12, v6, 24, 3
	v_ffbh_u32_e32 v16, v12
	v_min_u32_e32 v16, 32, v16
	v_lshrrev_b32_e32 v14, 27, v6
	v_subrev_u32_e32 v17, 28, v16
	v_and_b32_e32 v13, 0x80000000, v6
	v_and_b32_e32 v14, 15, v14
	v_bfe_u32 v15, v6, 27, 4
	v_lshlrev_b32_sdwa v6, v17, v6 dst_sel:DWORD dst_unused:UNUSED_PAD src0_sel:DWORD src1_sel:BYTE_3
	v_sub_u32_e32 v16, 29, v16
	v_and_b32_e32 v6, 7, v6
	v_cmp_eq_u16_e32 vcc, 0, v14
	v_cndmask_b32_e32 v6, v12, v6, vcc
	v_cndmask_b32_e32 v12, v15, v16, vcc
	v_mov_b32_e32 v14, 0x3b800000
	v_lshlrev_b32_e32 v6, 20, v6
	v_lshl_add_u32 v12, v12, 23, v14
	v_or3_b32 v12, v13, v12, v6
.LBB2_12316:
	s_or_b64 exec, exec, s[6:7]
	s_movk_i32 s4, 0x7f
	v_cmp_gt_i16_sdwa s[6:7], v2, s4 src0_sel:BYTE_3 src1_sel:DWORD
	s_mov_b64 s[4:5], 0
                                        ; implicit-def: $sgpr10
	s_and_saveexec_b64 s[8:9], s[6:7]
	s_xor_b64 s[6:7], exec, s[8:9]
	s_cbranch_execz .LBB2_12317
; %bb.48157:
	s_getpc_b64 s[14:15]
.Lpost_getpc27662:
	s_add_u32 s14, s14, (.LBB2_26653-.Lpost_getpc27662)&4294967295
	s_addc_u32 s15, s15, (.LBB2_26653-.Lpost_getpc27662)>>32
	s_setpc_b64 s[14:15]
.LBB2_12317:
	s_or_saveexec_b64 s[6:7], s[6:7]
	v_mov_b32_e32 v6, s10
	s_xor_b64 exec, exec, s[6:7]
	s_cbranch_execz .LBB2_12318
; %bb.48159:
	s_getpc_b64 s[14:15]
.Lpost_getpc27663:
	s_add_u32 s14, s14, (.LBB2_26656-.Lpost_getpc27663)&4294967295
	s_addc_u32 s15, s15, (.LBB2_26656-.Lpost_getpc27663)>>32
	s_setpc_b64 s[14:15]
.LBB2_12318:
	s_or_b64 exec, exec, s[6:7]
	s_and_saveexec_b64 s[6:7], s[4:5]
	s_cbranch_execz .LBB2_12320
.LBB2_12319:
	v_bfe_u32 v6, v2, 24, 3
	v_ffbh_u32_e32 v16, v6
	v_min_u32_e32 v16, 32, v16
	v_lshrrev_b32_e32 v14, 27, v2
	v_subrev_u32_e32 v17, 28, v16
	v_and_b32_e32 v13, 0x80000000, v2
	v_and_b32_e32 v14, 15, v14
	v_bfe_u32 v15, v2, 27, 4
	v_lshlrev_b32_sdwa v2, v17, v2 dst_sel:DWORD dst_unused:UNUSED_PAD src0_sel:DWORD src1_sel:BYTE_3
	v_sub_u32_e32 v16, 29, v16
	v_and_b32_e32 v2, 7, v2
	v_cmp_eq_u16_e32 vcc, 0, v14
	v_cndmask_b32_e32 v2, v6, v2, vcc
	v_cndmask_b32_e32 v6, v15, v16, vcc
	v_mov_b32_e32 v14, 0x3b800000
	v_lshlrev_b32_e32 v2, 20, v2
	v_lshl_add_u32 v6, v6, 23, v14
	v_or3_b32 v6, v13, v6, v2
.LBB2_12320:
	s_or_b64 exec, exec, s[6:7]
	s_nop 0
	v_mfma_f32_16x16x4f32 a[0:3], v12, v6, a[0:3]
	s_movk_i32 s4, 0x7f
	v_cmp_gt_i16_sdwa s[6:7], v7, s4 src0_sel:BYTE_0 src1_sel:DWORD
	s_mov_b64 s[4:5], 0
                                        ; implicit-def: $sgpr10
	s_and_saveexec_b64 s[8:9], s[6:7]
	s_xor_b64 s[6:7], exec, s[8:9]
	s_cbranch_execz .LBB2_12321
; %bb.48161:
	s_getpc_b64 s[14:15]
.Lpost_getpc27664:
	s_add_u32 s14, s14, (.LBB2_26657-.Lpost_getpc27664)&4294967295
	s_addc_u32 s15, s15, (.LBB2_26657-.Lpost_getpc27664)>>32
	s_setpc_b64 s[14:15]
.LBB2_12321:
	s_or_saveexec_b64 s[6:7], s[6:7]
	v_mov_b32_e32 v2, s10
	s_xor_b64 exec, exec, s[6:7]
	s_cbranch_execz .LBB2_12322
; %bb.48163:
	s_getpc_b64 s[14:15]
.Lpost_getpc27665:
	s_add_u32 s14, s14, (.LBB2_26660-.Lpost_getpc27665)&4294967295
	s_addc_u32 s15, s15, (.LBB2_26660-.Lpost_getpc27665)>>32
	s_setpc_b64 s[14:15]
.LBB2_12322:
	s_or_b64 exec, exec, s[6:7]
	s_and_saveexec_b64 s[6:7], s[4:5]
	s_cbranch_execz .LBB2_12324
.LBB2_12323:
	v_and_b32_e32 v2, 7, v7
	v_ffbh_u32_e32 v12, v2
	v_min_u32_e32 v12, 32, v12
	v_lshrrev_b16_e32 v6, 3, v7
	v_subrev_u32_e32 v13, 28, v12
	v_and_b32_e32 v6, 15, v6
	v_lshlrev_b32_e32 v13, v13, v7
	v_sub_u32_e32 v12, 29, v12
	v_and_b32_e32 v13, 7, v13
	v_cmp_eq_u16_e32 vcc, 0, v6
	v_cndmask_b32_e32 v2, v2, v13, vcc
	v_cndmask_b32_e32 v6, v6, v12, vcc
	v_lshlrev_b32_e32 v12, 24, v7
	v_mov_b32_e32 v13, 0x3b800000
	v_lshlrev_b32_e32 v2, 20, v2
	v_and_b32_e32 v12, 0x80000000, v12
	v_lshl_add_u32 v6, v6, 23, v13
	v_or3_b32 v2, v12, v6, v2
.LBB2_12324:
	s_or_b64 exec, exec, s[6:7]
	s_movk_i32 s4, 0x7f
	v_cmp_gt_i16_sdwa s[6:7], v3, s4 src0_sel:BYTE_0 src1_sel:DWORD
	s_mov_b64 s[4:5], 0
                                        ; implicit-def: $sgpr10
	s_and_saveexec_b64 s[8:9], s[6:7]
	s_xor_b64 s[6:7], exec, s[8:9]
	s_cbranch_execz .LBB2_12325
; %bb.48165:
	s_getpc_b64 s[14:15]
.Lpost_getpc27666:
	s_add_u32 s14, s14, (.LBB2_26661-.Lpost_getpc27666)&4294967295
	s_addc_u32 s15, s15, (.LBB2_26661-.Lpost_getpc27666)>>32
	s_setpc_b64 s[14:15]
.LBB2_12325:
	s_or_saveexec_b64 s[6:7], s[6:7]
	v_mov_b32_e32 v6, s10
	s_xor_b64 exec, exec, s[6:7]
	s_cbranch_execz .LBB2_12326
; %bb.48167:
	s_getpc_b64 s[14:15]
.Lpost_getpc27667:
	s_add_u32 s14, s14, (.LBB2_26664-.Lpost_getpc27667)&4294967295
	s_addc_u32 s15, s15, (.LBB2_26664-.Lpost_getpc27667)>>32
	s_setpc_b64 s[14:15]
.LBB2_12326:
	s_or_b64 exec, exec, s[6:7]
	s_and_saveexec_b64 s[6:7], s[4:5]
	s_cbranch_execz .LBB2_12328
.LBB2_12327:
	v_and_b32_e32 v6, 7, v3
	v_ffbh_u32_e32 v13, v6
	v_min_u32_e32 v13, 32, v13
	v_lshrrev_b16_e32 v12, 3, v3
	v_subrev_u32_e32 v14, 28, v13
	v_and_b32_e32 v12, 15, v12
	v_lshlrev_b32_e32 v14, v14, v3
	v_sub_u32_e32 v13, 29, v13
	v_and_b32_e32 v14, 7, v14
	v_cmp_eq_u16_e32 vcc, 0, v12
	v_cndmask_b32_e32 v6, v6, v14, vcc
	v_cndmask_b32_e32 v12, v12, v13, vcc
	v_lshlrev_b32_e32 v13, 24, v3
	v_mov_b32_e32 v14, 0x3b800000
	v_lshlrev_b32_e32 v6, 20, v6
	v_and_b32_e32 v13, 0x80000000, v13
	v_lshl_add_u32 v12, v12, 23, v14
	v_or3_b32 v6, v13, v12, v6
.LBB2_12328:
	s_or_b64 exec, exec, s[6:7]
	s_nop 0
	v_mfma_f32_16x16x4f32 a[0:3], v2, v6, a[0:3]
	v_lshrrev_b32_e32 v6, 8, v7
	s_movk_i32 s4, 0x7f
	v_cmp_gt_i16_sdwa s[6:7], v6, s4 src0_sel:BYTE_0 src1_sel:DWORD
	s_mov_b64 s[4:5], 0
                                        ; implicit-def: $sgpr10
	s_and_saveexec_b64 s[8:9], s[6:7]
	s_xor_b64 s[6:7], exec, s[8:9]
	s_cbranch_execz .LBB2_12329
; %bb.48169:
	s_getpc_b64 s[14:15]
.Lpost_getpc27668:
	s_add_u32 s14, s14, (.LBB2_26665-.Lpost_getpc27668)&4294967295
	s_addc_u32 s15, s15, (.LBB2_26665-.Lpost_getpc27668)>>32
	s_setpc_b64 s[14:15]
.LBB2_12329:
	s_or_saveexec_b64 s[6:7], s[6:7]
	v_mov_b32_e32 v2, s10
	s_xor_b64 exec, exec, s[6:7]
	s_cbranch_execz .LBB2_12330
; %bb.48171:
	s_getpc_b64 s[14:15]
.Lpost_getpc27669:
	s_add_u32 s14, s14, (.LBB2_26668-.Lpost_getpc27669)&4294967295
	s_addc_u32 s15, s15, (.LBB2_26668-.Lpost_getpc27669)>>32
	s_setpc_b64 s[14:15]
.LBB2_12330:
	s_or_b64 exec, exec, s[6:7]
	s_and_saveexec_b64 s[6:7], s[4:5]
	s_cbranch_execz .LBB2_12332
.LBB2_12331:
	v_bfe_u32 v2, v7, 8, 3
	v_ffbh_u32_e32 v13, v2
	v_min_u32_e32 v13, 32, v13
	v_lshrrev_b16_e32 v12, 3, v6
	v_subrev_u32_e32 v14, 28, v13
	v_and_b32_e32 v12, 15, v12
	v_lshlrev_b32_e32 v6, v14, v6
	v_sub_u32_e32 v13, 29, v13
	v_and_b32_e32 v6, 7, v6
	v_cmp_eq_u16_e32 vcc, 0, v12
	v_cndmask_b32_e32 v2, v2, v6, vcc
	v_cndmask_b32_e32 v6, v12, v13, vcc
	v_lshlrev_b32_e32 v12, 16, v7
	v_mov_b32_e32 v13, 0x3b800000
	v_lshlrev_b32_e32 v2, 20, v2
	v_and_b32_e32 v12, 0x80000000, v12
	v_lshl_add_u32 v6, v6, 23, v13
	v_or3_b32 v2, v12, v6, v2
.LBB2_12332:
	s_or_b64 exec, exec, s[6:7]
	v_lshrrev_b32_e32 v6, 8, v3
	s_movk_i32 s4, 0x7f
	v_cmp_gt_i16_sdwa s[6:7], v6, s4 src0_sel:BYTE_0 src1_sel:DWORD
	s_mov_b64 s[4:5], 0
                                        ; implicit-def: $sgpr10
	s_and_saveexec_b64 s[8:9], s[6:7]
	s_xor_b64 s[6:7], exec, s[8:9]
	s_cbranch_execz .LBB2_12333
; %bb.48173:
	s_getpc_b64 s[14:15]
.Lpost_getpc27670:
	s_add_u32 s14, s14, (.LBB2_26669-.Lpost_getpc27670)&4294967295
	s_addc_u32 s15, s15, (.LBB2_26669-.Lpost_getpc27670)>>32
	s_setpc_b64 s[14:15]
.LBB2_12333:
	s_or_saveexec_b64 s[6:7], s[6:7]
	v_mov_b32_e32 v12, s10
	s_xor_b64 exec, exec, s[6:7]
	s_cbranch_execz .LBB2_12334
; %bb.48175:
	s_getpc_b64 s[14:15]
.Lpost_getpc27671:
	s_add_u32 s14, s14, (.LBB2_26672-.Lpost_getpc27671)&4294967295
	s_addc_u32 s15, s15, (.LBB2_26672-.Lpost_getpc27671)>>32
	s_setpc_b64 s[14:15]
.LBB2_12334:
	s_or_b64 exec, exec, s[6:7]
	s_and_saveexec_b64 s[6:7], s[4:5]
	s_cbranch_execz .LBB2_12336
.LBB2_12335:
	v_bfe_u32 v12, v3, 8, 3
	v_ffbh_u32_e32 v14, v12
	v_min_u32_e32 v14, 32, v14
	v_lshrrev_b16_e32 v13, 3, v6
	v_subrev_u32_e32 v15, 28, v14
	v_and_b32_e32 v13, 15, v13
	v_lshlrev_b32_e32 v6, v15, v6
	v_sub_u32_e32 v14, 29, v14
	v_and_b32_e32 v6, 7, v6
	v_cmp_eq_u16_e32 vcc, 0, v13
	v_cndmask_b32_e32 v6, v12, v6, vcc
	v_cndmask_b32_e32 v12, v13, v14, vcc
	v_lshlrev_b32_e32 v13, 16, v3
	v_mov_b32_e32 v14, 0x3b800000
	v_lshlrev_b32_e32 v6, 20, v6
	v_and_b32_e32 v13, 0x80000000, v13
	v_lshl_add_u32 v12, v12, 23, v14
	v_or3_b32 v12, v13, v12, v6
.LBB2_12336:
	s_or_b64 exec, exec, s[6:7]
	s_nop 0
	v_mfma_f32_16x16x4f32 a[0:3], v2, v12, a[0:3]
	s_movk_i32 s4, 0xff
	v_and_b32_sdwa v6, v7, s4 dst_sel:DWORD dst_unused:UNUSED_PAD src0_sel:WORD_1 src1_sel:DWORD
	s_movk_i32 s4, 0x7f
	v_cmp_lt_i16_e32 vcc, s4, v6
	s_mov_b64 s[4:5], 0
                                        ; implicit-def: $sgpr10
	s_and_saveexec_b64 s[6:7], vcc
	s_xor_b64 s[6:7], exec, s[6:7]
	s_cbranch_execz .LBB2_12337
; %bb.48177:
	s_getpc_b64 s[14:15]
.Lpost_getpc27672:
	s_add_u32 s14, s14, (.LBB2_26673-.Lpost_getpc27672)&4294967295
	s_addc_u32 s15, s15, (.LBB2_26673-.Lpost_getpc27672)>>32
	s_setpc_b64 s[14:15]
.LBB2_12337:
	s_or_saveexec_b64 s[6:7], s[6:7]
	v_mov_b32_e32 v2, s10
	s_xor_b64 exec, exec, s[6:7]
	s_cbranch_execz .LBB2_12338
; %bb.48179:
	s_getpc_b64 s[14:15]
.Lpost_getpc27673:
	s_add_u32 s14, s14, (.LBB2_26676-.Lpost_getpc27673)&4294967295
	s_addc_u32 s15, s15, (.LBB2_26676-.Lpost_getpc27673)>>32
	s_setpc_b64 s[14:15]
.LBB2_12338:
	s_or_b64 exec, exec, s[6:7]
	s_and_saveexec_b64 s[6:7], s[4:5]
	s_cbranch_execz .LBB2_12340
.LBB2_12339:
	v_bfe_u32 v2, v7, 16, 3
	v_ffbh_u32_e32 v13, v2
	v_min_u32_e32 v13, 32, v13
	v_lshrrev_b32_e32 v6, 19, v7
	v_subrev_u32_e32 v14, 28, v13
	v_and_b32_e32 v6, 15, v6
	v_lshlrev_b32_sdwa v14, v14, v7 dst_sel:DWORD dst_unused:UNUSED_PAD src0_sel:DWORD src1_sel:WORD_1
	v_bfe_u32 v12, v7, 19, 4
	v_sub_u32_e32 v13, 29, v13
	v_and_b32_e32 v14, 7, v14
	v_cmp_eq_u16_e32 vcc, 0, v6
	v_cndmask_b32_e32 v2, v2, v14, vcc
	v_cndmask_b32_e32 v6, v12, v13, vcc
	v_lshlrev_b32_e32 v12, 8, v7
	v_mov_b32_e32 v13, 0x3b800000
	v_lshlrev_b32_e32 v2, 20, v2
	v_and_b32_e32 v12, 0x80000000, v12
	v_lshl_add_u32 v6, v6, 23, v13
	v_or3_b32 v2, v12, v6, v2
.LBB2_12340:
	s_or_b64 exec, exec, s[6:7]
	s_movk_i32 s4, 0xff
	v_and_b32_sdwa v6, v3, s4 dst_sel:DWORD dst_unused:UNUSED_PAD src0_sel:WORD_1 src1_sel:DWORD
	s_movk_i32 s4, 0x7f
	v_cmp_lt_i16_e32 vcc, s4, v6
	s_mov_b64 s[4:5], 0
                                        ; implicit-def: $sgpr10
	s_and_saveexec_b64 s[6:7], vcc
	s_xor_b64 s[6:7], exec, s[6:7]
	s_cbranch_execz .LBB2_12341
; %bb.48181:
	s_getpc_b64 s[14:15]
.Lpost_getpc27674:
	s_add_u32 s14, s14, (.LBB2_26677-.Lpost_getpc27674)&4294967295
	s_addc_u32 s15, s15, (.LBB2_26677-.Lpost_getpc27674)>>32
	s_setpc_b64 s[14:15]
.LBB2_12341:
	s_or_saveexec_b64 s[6:7], s[6:7]
	v_mov_b32_e32 v12, s10
	s_xor_b64 exec, exec, s[6:7]
	s_cbranch_execz .LBB2_12342
; %bb.48183:
	s_getpc_b64 s[14:15]
.Lpost_getpc27675:
	s_add_u32 s14, s14, (.LBB2_26680-.Lpost_getpc27675)&4294967295
	s_addc_u32 s15, s15, (.LBB2_26680-.Lpost_getpc27675)>>32
	s_setpc_b64 s[14:15]
.LBB2_12342:
	s_or_b64 exec, exec, s[6:7]
	s_and_saveexec_b64 s[6:7], s[4:5]
	s_cbranch_execz .LBB2_12344
.LBB2_12343:
	v_bfe_u32 v6, v3, 16, 3
	v_ffbh_u32_e32 v14, v6
	v_min_u32_e32 v14, 32, v14
	v_lshrrev_b32_e32 v12, 19, v3
	v_subrev_u32_e32 v15, 28, v14
	v_and_b32_e32 v12, 15, v12
	v_lshlrev_b32_sdwa v15, v15, v3 dst_sel:DWORD dst_unused:UNUSED_PAD src0_sel:DWORD src1_sel:WORD_1
	v_bfe_u32 v13, v3, 19, 4
	v_sub_u32_e32 v14, 29, v14
	v_and_b32_e32 v15, 7, v15
	v_cmp_eq_u16_e32 vcc, 0, v12
	v_cndmask_b32_e32 v6, v6, v15, vcc
	v_cndmask_b32_e32 v12, v13, v14, vcc
	v_lshlrev_b32_e32 v13, 8, v3
	v_mov_b32_e32 v14, 0x3b800000
	v_lshlrev_b32_e32 v6, 20, v6
	v_and_b32_e32 v13, 0x80000000, v13
	v_lshl_add_u32 v12, v12, 23, v14
	v_or3_b32 v12, v13, v12, v6
.LBB2_12344:
	s_or_b64 exec, exec, s[6:7]
	s_nop 0
	v_mfma_f32_16x16x4f32 a[0:3], v2, v12, a[0:3]
	s_movk_i32 s4, 0x7f
	v_cmp_gt_i16_sdwa s[6:7], v7, s4 src0_sel:BYTE_3 src1_sel:DWORD
	s_mov_b64 s[4:5], 0
                                        ; implicit-def: $sgpr10
	s_and_saveexec_b64 s[8:9], s[6:7]
	s_xor_b64 s[6:7], exec, s[8:9]
	s_cbranch_execz .LBB2_12345
; %bb.48185:
	s_getpc_b64 s[14:15]
.Lpost_getpc27676:
	s_add_u32 s14, s14, (.LBB2_26681-.Lpost_getpc27676)&4294967295
	s_addc_u32 s15, s15, (.LBB2_26681-.Lpost_getpc27676)>>32
	s_setpc_b64 s[14:15]
.LBB2_12345:
	s_or_saveexec_b64 s[6:7], s[6:7]
	v_mov_b32_e32 v2, s10
	s_xor_b64 exec, exec, s[6:7]
	s_cbranch_execz .LBB2_12346
; %bb.48187:
	s_getpc_b64 s[14:15]
.Lpost_getpc27677:
	s_add_u32 s14, s14, (.LBB2_26684-.Lpost_getpc27677)&4294967295
	s_addc_u32 s15, s15, (.LBB2_26684-.Lpost_getpc27677)>>32
	s_setpc_b64 s[14:15]
.LBB2_12346:
	s_or_b64 exec, exec, s[6:7]
	s_and_saveexec_b64 s[6:7], s[4:5]
	s_cbranch_execz .LBB2_12348
.LBB2_12347:
	v_bfe_u32 v2, v7, 24, 3
	v_ffbh_u32_e32 v14, v2
	v_min_u32_e32 v14, 32, v14
	v_lshrrev_b32_e32 v12, 27, v7
	v_subrev_u32_e32 v15, 28, v14
	v_and_b32_e32 v6, 0x80000000, v7
	v_and_b32_e32 v12, 15, v12
	v_bfe_u32 v13, v7, 27, 4
	v_lshlrev_b32_sdwa v7, v15, v7 dst_sel:DWORD dst_unused:UNUSED_PAD src0_sel:DWORD src1_sel:BYTE_3
	v_sub_u32_e32 v14, 29, v14
	v_and_b32_e32 v7, 7, v7
	v_cmp_eq_u16_e32 vcc, 0, v12
	v_cndmask_b32_e32 v2, v2, v7, vcc
	v_cndmask_b32_e32 v7, v13, v14, vcc
	v_mov_b32_e32 v12, 0x3b800000
	v_lshlrev_b32_e32 v2, 20, v2
	v_lshl_add_u32 v7, v7, 23, v12
	v_or3_b32 v2, v6, v7, v2
.LBB2_12348:
	s_or_b64 exec, exec, s[6:7]
	s_movk_i32 s4, 0x7f
	v_cmp_gt_i16_sdwa s[6:7], v3, s4 src0_sel:BYTE_3 src1_sel:DWORD
	s_mov_b64 s[4:5], 0
                                        ; implicit-def: $sgpr10
	s_and_saveexec_b64 s[8:9], s[6:7]
	s_xor_b64 s[6:7], exec, s[8:9]
	s_cbranch_execz .LBB2_12349
; %bb.48189:
	s_getpc_b64 s[14:15]
.Lpost_getpc27678:
	s_add_u32 s14, s14, (.LBB2_26685-.Lpost_getpc27678)&4294967295
	s_addc_u32 s15, s15, (.LBB2_26685-.Lpost_getpc27678)>>32
	s_setpc_b64 s[14:15]
.LBB2_12349:
	s_or_saveexec_b64 s[6:7], s[6:7]
	v_mov_b32_e32 v6, s10
	s_xor_b64 exec, exec, s[6:7]
	s_cbranch_execz .LBB2_12350
; %bb.48191:
	s_getpc_b64 s[14:15]
.Lpost_getpc27679:
	s_add_u32 s14, s14, (.LBB2_26688-.Lpost_getpc27679)&4294967295
	s_addc_u32 s15, s15, (.LBB2_26688-.Lpost_getpc27679)>>32
	s_setpc_b64 s[14:15]
.LBB2_12350:
	s_or_b64 exec, exec, s[6:7]
	s_and_saveexec_b64 s[6:7], s[4:5]
	s_cbranch_execz .LBB2_12352
.LBB2_12351:
	v_bfe_u32 v6, v3, 24, 3
	v_ffbh_u32_e32 v14, v6
	v_min_u32_e32 v14, 32, v14
	v_lshrrev_b32_e32 v12, 27, v3
	v_subrev_u32_e32 v15, 28, v14
	v_and_b32_e32 v7, 0x80000000, v3
	v_and_b32_e32 v12, 15, v12
	v_bfe_u32 v13, v3, 27, 4
	v_lshlrev_b32_sdwa v3, v15, v3 dst_sel:DWORD dst_unused:UNUSED_PAD src0_sel:DWORD src1_sel:BYTE_3
	v_sub_u32_e32 v14, 29, v14
	v_and_b32_e32 v3, 7, v3
	v_cmp_eq_u16_e32 vcc, 0, v12
	v_cndmask_b32_e32 v3, v6, v3, vcc
	v_cndmask_b32_e32 v6, v13, v14, vcc
	v_mov_b32_e32 v12, 0x3b800000
	v_lshlrev_b32_e32 v3, 20, v3
	v_lshl_add_u32 v6, v6, 23, v12
	v_or3_b32 v6, v7, v6, v3
.LBB2_12352:
	s_or_b64 exec, exec, s[6:7]
	s_nop 0
	v_mfma_f32_16x16x4f32 a[0:3], v2, v6, a[0:3]
	s_movk_i32 s4, 0x7f
	v_cmp_gt_i16_sdwa s[6:7], v8, s4 src0_sel:BYTE_0 src1_sel:DWORD
	s_mov_b64 s[4:5], 0
                                        ; implicit-def: $sgpr10
	s_and_saveexec_b64 s[8:9], s[6:7]
	s_xor_b64 s[6:7], exec, s[8:9]
	s_cbranch_execz .LBB2_12353
; %bb.48193:
	s_getpc_b64 s[14:15]
.Lpost_getpc27680:
	s_add_u32 s14, s14, (.LBB2_26689-.Lpost_getpc27680)&4294967295
	s_addc_u32 s15, s15, (.LBB2_26689-.Lpost_getpc27680)>>32
	s_setpc_b64 s[14:15]
.LBB2_12353:
	s_or_saveexec_b64 s[6:7], s[6:7]
	v_mov_b32_e32 v2, s10
	s_xor_b64 exec, exec, s[6:7]
	s_cbranch_execz .LBB2_12354
; %bb.48195:
	s_getpc_b64 s[14:15]
.Lpost_getpc27681:
	s_add_u32 s14, s14, (.LBB2_26692-.Lpost_getpc27681)&4294967295
	s_addc_u32 s15, s15, (.LBB2_26692-.Lpost_getpc27681)>>32
	s_setpc_b64 s[14:15]
.LBB2_12354:
	s_or_b64 exec, exec, s[6:7]
	s_and_saveexec_b64 s[6:7], s[4:5]
	s_cbranch_execz .LBB2_12356
.LBB2_12355:
	v_and_b32_e32 v2, 7, v8
	v_ffbh_u32_e32 v6, v2
	v_min_u32_e32 v6, 32, v6
	v_lshrrev_b16_e32 v3, 3, v8
	v_subrev_u32_e32 v7, 28, v6
	v_and_b32_e32 v3, 15, v3
	v_lshlrev_b32_e32 v7, v7, v8
	v_sub_u32_e32 v6, 29, v6
	v_and_b32_e32 v7, 7, v7
	v_cmp_eq_u16_e32 vcc, 0, v3
	v_cndmask_b32_e32 v2, v2, v7, vcc
	v_cndmask_b32_e32 v3, v3, v6, vcc
	v_lshlrev_b32_e32 v6, 24, v8
	v_mov_b32_e32 v7, 0x3b800000
	v_lshlrev_b32_e32 v2, 20, v2
	v_and_b32_e32 v6, 0x80000000, v6
	v_lshl_add_u32 v3, v3, 23, v7
	v_or3_b32 v2, v6, v3, v2
.LBB2_12356:
	s_or_b64 exec, exec, s[6:7]
	s_movk_i32 s4, 0x7f
	v_cmp_gt_i16_sdwa s[6:7], v4, s4 src0_sel:BYTE_0 src1_sel:DWORD
	s_mov_b64 s[4:5], 0
                                        ; implicit-def: $sgpr10
	s_and_saveexec_b64 s[8:9], s[6:7]
	s_xor_b64 s[6:7], exec, s[8:9]
	s_cbranch_execz .LBB2_12357
; %bb.48197:
	s_getpc_b64 s[14:15]
.Lpost_getpc27682:
	s_add_u32 s14, s14, (.LBB2_26693-.Lpost_getpc27682)&4294967295
	s_addc_u32 s15, s15, (.LBB2_26693-.Lpost_getpc27682)>>32
	s_setpc_b64 s[14:15]
.LBB2_12357:
	s_or_saveexec_b64 s[6:7], s[6:7]
	v_mov_b32_e32 v3, s10
	s_xor_b64 exec, exec, s[6:7]
	s_cbranch_execz .LBB2_12358
; %bb.48199:
	s_getpc_b64 s[14:15]
.Lpost_getpc27683:
	s_add_u32 s14, s14, (.LBB2_26696-.Lpost_getpc27683)&4294967295
	s_addc_u32 s15, s15, (.LBB2_26696-.Lpost_getpc27683)>>32
	s_setpc_b64 s[14:15]
.LBB2_12358:
	s_or_b64 exec, exec, s[6:7]
	s_and_saveexec_b64 s[6:7], s[4:5]
	s_cbranch_execz .LBB2_12360
.LBB2_12359:
	v_and_b32_e32 v3, 7, v4
	v_ffbh_u32_e32 v7, v3
	v_min_u32_e32 v7, 32, v7
	v_lshrrev_b16_e32 v6, 3, v4
	v_subrev_u32_e32 v12, 28, v7
	v_and_b32_e32 v6, 15, v6
	v_lshlrev_b32_e32 v12, v12, v4
	v_sub_u32_e32 v7, 29, v7
	v_and_b32_e32 v12, 7, v12
	v_cmp_eq_u16_e32 vcc, 0, v6
	v_cndmask_b32_e32 v3, v3, v12, vcc
	v_cndmask_b32_e32 v6, v6, v7, vcc
	v_lshlrev_b32_e32 v7, 24, v4
	v_mov_b32_e32 v12, 0x3b800000
	v_lshlrev_b32_e32 v3, 20, v3
	v_and_b32_e32 v7, 0x80000000, v7
	v_lshl_add_u32 v6, v6, 23, v12
	v_or3_b32 v3, v7, v6, v3
.LBB2_12360:
	s_or_b64 exec, exec, s[6:7]
	s_nop 0
	v_mfma_f32_16x16x4f32 a[0:3], v2, v3, a[0:3]
	v_lshrrev_b32_e32 v3, 8, v8
	s_movk_i32 s4, 0x7f
	v_cmp_gt_i16_sdwa s[6:7], v3, s4 src0_sel:BYTE_0 src1_sel:DWORD
	s_mov_b64 s[4:5], 0
                                        ; implicit-def: $sgpr10
	s_and_saveexec_b64 s[8:9], s[6:7]
	s_xor_b64 s[6:7], exec, s[8:9]
	s_cbranch_execz .LBB2_12361
; %bb.48201:
	s_getpc_b64 s[14:15]
.Lpost_getpc27684:
	s_add_u32 s14, s14, (.LBB2_26697-.Lpost_getpc27684)&4294967295
	s_addc_u32 s15, s15, (.LBB2_26697-.Lpost_getpc27684)>>32
	s_setpc_b64 s[14:15]
.LBB2_12361:
	s_or_saveexec_b64 s[6:7], s[6:7]
	v_mov_b32_e32 v2, s10
	s_xor_b64 exec, exec, s[6:7]
	s_cbranch_execz .LBB2_12362
; %bb.48203:
	s_getpc_b64 s[14:15]
.Lpost_getpc27685:
	s_add_u32 s14, s14, (.LBB2_26700-.Lpost_getpc27685)&4294967295
	s_addc_u32 s15, s15, (.LBB2_26700-.Lpost_getpc27685)>>32
	s_setpc_b64 s[14:15]
.LBB2_12362:
	s_or_b64 exec, exec, s[6:7]
	s_and_saveexec_b64 s[6:7], s[4:5]
	s_cbranch_execz .LBB2_12364
.LBB2_12363:
	v_bfe_u32 v2, v8, 8, 3
	v_ffbh_u32_e32 v7, v2
	v_min_u32_e32 v7, 32, v7
	v_lshrrev_b16_e32 v6, 3, v3
	v_subrev_u32_e32 v12, 28, v7
	v_and_b32_e32 v6, 15, v6
	v_lshlrev_b32_e32 v3, v12, v3
	v_sub_u32_e32 v7, 29, v7
	v_and_b32_e32 v3, 7, v3
	v_cmp_eq_u16_e32 vcc, 0, v6
	v_cndmask_b32_e32 v2, v2, v3, vcc
	v_cndmask_b32_e32 v3, v6, v7, vcc
	v_lshlrev_b32_e32 v6, 16, v8
	v_mov_b32_e32 v7, 0x3b800000
	v_lshlrev_b32_e32 v2, 20, v2
	v_and_b32_e32 v6, 0x80000000, v6
	v_lshl_add_u32 v3, v3, 23, v7
	v_or3_b32 v2, v6, v3, v2
.LBB2_12364:
	s_or_b64 exec, exec, s[6:7]
	v_lshrrev_b32_e32 v3, 8, v4
	s_movk_i32 s4, 0x7f
	v_cmp_gt_i16_sdwa s[6:7], v3, s4 src0_sel:BYTE_0 src1_sel:DWORD
	s_mov_b64 s[4:5], 0
                                        ; implicit-def: $sgpr10
	s_and_saveexec_b64 s[8:9], s[6:7]
	s_xor_b64 s[6:7], exec, s[8:9]
	s_cbranch_execz .LBB2_12365
; %bb.48205:
	s_getpc_b64 s[14:15]
.Lpost_getpc27686:
	s_add_u32 s14, s14, (.LBB2_26701-.Lpost_getpc27686)&4294967295
	s_addc_u32 s15, s15, (.LBB2_26701-.Lpost_getpc27686)>>32
	s_setpc_b64 s[14:15]
.LBB2_12365:
	s_or_saveexec_b64 s[6:7], s[6:7]
	v_mov_b32_e32 v6, s10
	s_xor_b64 exec, exec, s[6:7]
	s_cbranch_execz .LBB2_12366
; %bb.48207:
	s_getpc_b64 s[14:15]
.Lpost_getpc27687:
	s_add_u32 s14, s14, (.LBB2_26704-.Lpost_getpc27687)&4294967295
	s_addc_u32 s15, s15, (.LBB2_26704-.Lpost_getpc27687)>>32
	s_setpc_b64 s[14:15]
.LBB2_12366:
	s_or_b64 exec, exec, s[6:7]
	s_and_saveexec_b64 s[6:7], s[4:5]
	s_cbranch_execz .LBB2_12368
.LBB2_12367:
	v_bfe_u32 v6, v4, 8, 3
	v_ffbh_u32_e32 v12, v6
	v_min_u32_e32 v12, 32, v12
	v_lshrrev_b16_e32 v7, 3, v3
	v_subrev_u32_e32 v13, 28, v12
	v_and_b32_e32 v7, 15, v7
	v_lshlrev_b32_e32 v3, v13, v3
	v_sub_u32_e32 v12, 29, v12
	v_and_b32_e32 v3, 7, v3
	v_cmp_eq_u16_e32 vcc, 0, v7
	v_cndmask_b32_e32 v3, v6, v3, vcc
	v_cndmask_b32_e32 v6, v7, v12, vcc
	v_lshlrev_b32_e32 v7, 16, v4
	v_mov_b32_e32 v12, 0x3b800000
	v_lshlrev_b32_e32 v3, 20, v3
	v_and_b32_e32 v7, 0x80000000, v7
	v_lshl_add_u32 v6, v6, 23, v12
	v_or3_b32 v6, v7, v6, v3
.LBB2_12368:
	s_or_b64 exec, exec, s[6:7]
	s_nop 0
	v_mfma_f32_16x16x4f32 a[0:3], v2, v6, a[0:3]
	s_movk_i32 s4, 0xff
	v_and_b32_sdwa v3, v8, s4 dst_sel:DWORD dst_unused:UNUSED_PAD src0_sel:WORD_1 src1_sel:DWORD
	s_movk_i32 s4, 0x7f
	v_cmp_lt_i16_e32 vcc, s4, v3
	s_mov_b64 s[4:5], 0
                                        ; implicit-def: $sgpr10
	s_and_saveexec_b64 s[6:7], vcc
	s_xor_b64 s[6:7], exec, s[6:7]
	s_cbranch_execz .LBB2_12369
; %bb.48209:
	s_getpc_b64 s[14:15]
.Lpost_getpc27688:
	s_add_u32 s14, s14, (.LBB2_26705-.Lpost_getpc27688)&4294967295
	s_addc_u32 s15, s15, (.LBB2_26705-.Lpost_getpc27688)>>32
	s_setpc_b64 s[14:15]
.LBB2_12369:
	s_or_saveexec_b64 s[6:7], s[6:7]
	v_mov_b32_e32 v2, s10
	s_xor_b64 exec, exec, s[6:7]
	s_cbranch_execz .LBB2_12370
; %bb.48211:
	s_getpc_b64 s[14:15]
.Lpost_getpc27689:
	s_add_u32 s14, s14, (.LBB2_26708-.Lpost_getpc27689)&4294967295
	s_addc_u32 s15, s15, (.LBB2_26708-.Lpost_getpc27689)>>32
	s_setpc_b64 s[14:15]
.LBB2_12370:
	s_or_b64 exec, exec, s[6:7]
	s_and_saveexec_b64 s[6:7], s[4:5]
	s_cbranch_execz .LBB2_12372
.LBB2_12371:
	v_bfe_u32 v2, v8, 16, 3
	v_ffbh_u32_e32 v7, v2
	v_min_u32_e32 v7, 32, v7
	v_lshrrev_b32_e32 v3, 19, v8
	v_subrev_u32_e32 v12, 28, v7
	v_and_b32_e32 v3, 15, v3
	v_lshlrev_b32_sdwa v12, v12, v8 dst_sel:DWORD dst_unused:UNUSED_PAD src0_sel:DWORD src1_sel:WORD_1
	v_bfe_u32 v6, v8, 19, 4
	v_sub_u32_e32 v7, 29, v7
	v_and_b32_e32 v12, 7, v12
	v_cmp_eq_u16_e32 vcc, 0, v3
	v_cndmask_b32_e32 v2, v2, v12, vcc
	v_cndmask_b32_e32 v3, v6, v7, vcc
	v_lshlrev_b32_e32 v6, 8, v8
	v_mov_b32_e32 v7, 0x3b800000
	v_lshlrev_b32_e32 v2, 20, v2
	v_and_b32_e32 v6, 0x80000000, v6
	v_lshl_add_u32 v3, v3, 23, v7
	v_or3_b32 v2, v6, v3, v2
.LBB2_12372:
	s_or_b64 exec, exec, s[6:7]
	s_movk_i32 s4, 0xff
	v_and_b32_sdwa v3, v4, s4 dst_sel:DWORD dst_unused:UNUSED_PAD src0_sel:WORD_1 src1_sel:DWORD
	s_movk_i32 s4, 0x7f
	v_cmp_lt_i16_e32 vcc, s4, v3
	s_mov_b64 s[4:5], 0
                                        ; implicit-def: $sgpr10
	s_and_saveexec_b64 s[6:7], vcc
	s_xor_b64 s[6:7], exec, s[6:7]
	s_cbranch_execz .LBB2_12373
; %bb.48213:
	s_getpc_b64 s[14:15]
.Lpost_getpc27690:
	s_add_u32 s14, s14, (.LBB2_26709-.Lpost_getpc27690)&4294967295
	s_addc_u32 s15, s15, (.LBB2_26709-.Lpost_getpc27690)>>32
	s_setpc_b64 s[14:15]
.LBB2_12373:
	s_or_saveexec_b64 s[6:7], s[6:7]
	v_mov_b32_e32 v6, s10
	s_xor_b64 exec, exec, s[6:7]
	s_cbranch_execz .LBB2_12374
; %bb.48215:
	s_getpc_b64 s[14:15]
.Lpost_getpc27691:
	s_add_u32 s14, s14, (.LBB2_26712-.Lpost_getpc27691)&4294967295
	s_addc_u32 s15, s15, (.LBB2_26712-.Lpost_getpc27691)>>32
	s_setpc_b64 s[14:15]
.LBB2_12374:
	s_or_b64 exec, exec, s[6:7]
	s_and_saveexec_b64 s[6:7], s[4:5]
	s_cbranch_execz .LBB2_12376
.LBB2_12375:
	v_bfe_u32 v3, v4, 16, 3
	v_ffbh_u32_e32 v12, v3
	v_min_u32_e32 v12, 32, v12
	v_lshrrev_b32_e32 v6, 19, v4
	v_subrev_u32_e32 v13, 28, v12
	v_and_b32_e32 v6, 15, v6
	v_lshlrev_b32_sdwa v13, v13, v4 dst_sel:DWORD dst_unused:UNUSED_PAD src0_sel:DWORD src1_sel:WORD_1
	v_bfe_u32 v7, v4, 19, 4
	v_sub_u32_e32 v12, 29, v12
	v_and_b32_e32 v13, 7, v13
	v_cmp_eq_u16_e32 vcc, 0, v6
	v_cndmask_b32_e32 v3, v3, v13, vcc
	v_cndmask_b32_e32 v6, v7, v12, vcc
	v_lshlrev_b32_e32 v7, 8, v4
	v_mov_b32_e32 v12, 0x3b800000
	v_lshlrev_b32_e32 v3, 20, v3
	v_and_b32_e32 v7, 0x80000000, v7
	v_lshl_add_u32 v6, v6, 23, v12
	v_or3_b32 v6, v7, v6, v3
.LBB2_12376:
	s_or_b64 exec, exec, s[6:7]
	s_nop 0
	v_mfma_f32_16x16x4f32 a[0:3], v2, v6, a[0:3]
	s_movk_i32 s4, 0x7f
	v_cmp_gt_i16_sdwa s[6:7], v8, s4 src0_sel:BYTE_3 src1_sel:DWORD
	s_mov_b64 s[4:5], 0
                                        ; implicit-def: $sgpr10
	s_and_saveexec_b64 s[8:9], s[6:7]
	s_xor_b64 s[6:7], exec, s[8:9]
	s_cbranch_execz .LBB2_12377
; %bb.48217:
	s_getpc_b64 s[14:15]
.Lpost_getpc27692:
	s_add_u32 s14, s14, (.LBB2_26713-.Lpost_getpc27692)&4294967295
	s_addc_u32 s15, s15, (.LBB2_26713-.Lpost_getpc27692)>>32
	s_setpc_b64 s[14:15]
.LBB2_12377:
	s_or_saveexec_b64 s[6:7], s[6:7]
	v_mov_b32_e32 v2, s10
	s_xor_b64 exec, exec, s[6:7]
	s_cbranch_execz .LBB2_12378
; %bb.48219:
	s_getpc_b64 s[14:15]
.Lpost_getpc27693:
	s_add_u32 s14, s14, (.LBB2_26716-.Lpost_getpc27693)&4294967295
	s_addc_u32 s15, s15, (.LBB2_26716-.Lpost_getpc27693)>>32
	s_setpc_b64 s[14:15]
.LBB2_12378:
	s_or_b64 exec, exec, s[6:7]
	s_and_saveexec_b64 s[6:7], s[4:5]
	s_cbranch_execz .LBB2_12380
.LBB2_12379:
	v_bfe_u32 v2, v8, 24, 3
	v_ffbh_u32_e32 v12, v2
	v_min_u32_e32 v12, 32, v12
	v_lshrrev_b32_e32 v6, 27, v8
	v_subrev_u32_e32 v13, 28, v12
	v_and_b32_e32 v3, 0x80000000, v8
	v_and_b32_e32 v6, 15, v6
	v_bfe_u32 v7, v8, 27, 4
	v_lshlrev_b32_sdwa v8, v13, v8 dst_sel:DWORD dst_unused:UNUSED_PAD src0_sel:DWORD src1_sel:BYTE_3
	v_sub_u32_e32 v12, 29, v12
	v_and_b32_e32 v8, 7, v8
	v_cmp_eq_u16_e32 vcc, 0, v6
	v_cndmask_b32_e32 v2, v2, v8, vcc
	v_cndmask_b32_e32 v6, v7, v12, vcc
	v_mov_b32_e32 v7, 0x3b800000
	v_lshlrev_b32_e32 v2, 20, v2
	v_lshl_add_u32 v6, v6, 23, v7
	v_or3_b32 v2, v3, v6, v2
.LBB2_12380:
	s_or_b64 exec, exec, s[6:7]
	s_movk_i32 s4, 0x7f
	v_cmp_gt_i16_sdwa s[6:7], v4, s4 src0_sel:BYTE_3 src1_sel:DWORD
	s_mov_b64 s[4:5], 0
                                        ; implicit-def: $sgpr10
	s_and_saveexec_b64 s[8:9], s[6:7]
	s_xor_b64 s[6:7], exec, s[8:9]
	s_cbranch_execz .LBB2_12381
; %bb.48221:
	s_getpc_b64 s[14:15]
.Lpost_getpc27694:
	s_add_u32 s14, s14, (.LBB2_26717-.Lpost_getpc27694)&4294967295
	s_addc_u32 s15, s15, (.LBB2_26717-.Lpost_getpc27694)>>32
	s_setpc_b64 s[14:15]
.LBB2_12381:
	s_or_saveexec_b64 s[6:7], s[6:7]
	v_mov_b32_e32 v3, s10
	s_xor_b64 exec, exec, s[6:7]
	s_cbranch_execz .LBB2_12382
; %bb.48223:
	s_getpc_b64 s[14:15]
.Lpost_getpc27695:
	s_add_u32 s14, s14, (.LBB2_26720-.Lpost_getpc27695)&4294967295
	s_addc_u32 s15, s15, (.LBB2_26720-.Lpost_getpc27695)>>32
	s_setpc_b64 s[14:15]
.LBB2_12382:
	s_or_b64 exec, exec, s[6:7]
	s_and_saveexec_b64 s[6:7], s[4:5]
	s_cbranch_execz .LBB2_12384
.LBB2_12383:
	v_bfe_u32 v3, v4, 24, 3
	v_ffbh_u32_e32 v12, v3
	v_min_u32_e32 v12, 32, v12
	v_lshrrev_b32_e32 v7, 27, v4
	v_subrev_u32_e32 v13, 28, v12
	v_and_b32_e32 v6, 0x80000000, v4
	v_and_b32_e32 v7, 15, v7
	v_bfe_u32 v8, v4, 27, 4
	v_lshlrev_b32_sdwa v4, v13, v4 dst_sel:DWORD dst_unused:UNUSED_PAD src0_sel:DWORD src1_sel:BYTE_3
	v_sub_u32_e32 v12, 29, v12
	v_and_b32_e32 v4, 7, v4
	v_cmp_eq_u16_e32 vcc, 0, v7
	v_cndmask_b32_e32 v3, v3, v4, vcc
	v_cndmask_b32_e32 v4, v8, v12, vcc
	v_mov_b32_e32 v7, 0x3b800000
	v_lshlrev_b32_e32 v3, 20, v3
	v_lshl_add_u32 v4, v4, 23, v7
	v_or3_b32 v3, v6, v4, v3
.LBB2_12384:
	s_or_b64 exec, exec, s[6:7]
	s_nop 0
	v_mfma_f32_16x16x4f32 a[0:3], v2, v3, a[0:3]
	s_movk_i32 s4, 0x7f
	v_cmp_gt_i16_sdwa s[6:7], v9, s4 src0_sel:BYTE_0 src1_sel:DWORD
	s_mov_b64 s[4:5], 0
                                        ; implicit-def: $sgpr10
	s_and_saveexec_b64 s[8:9], s[6:7]
	s_xor_b64 s[6:7], exec, s[8:9]
	s_cbranch_execz .LBB2_12385
; %bb.48225:
	s_getpc_b64 s[14:15]
.Lpost_getpc27696:
	s_add_u32 s14, s14, (.LBB2_26721-.Lpost_getpc27696)&4294967295
	s_addc_u32 s15, s15, (.LBB2_26721-.Lpost_getpc27696)>>32
	s_setpc_b64 s[14:15]
.LBB2_12385:
	s_or_saveexec_b64 s[6:7], s[6:7]
	v_mov_b32_e32 v2, s10
	s_xor_b64 exec, exec, s[6:7]
	s_cbranch_execz .LBB2_12386
; %bb.48227:
	s_getpc_b64 s[14:15]
.Lpost_getpc27697:
	s_add_u32 s14, s14, (.LBB2_26724-.Lpost_getpc27697)&4294967295
	s_addc_u32 s15, s15, (.LBB2_26724-.Lpost_getpc27697)>>32
	s_setpc_b64 s[14:15]
.LBB2_12386:
	s_or_b64 exec, exec, s[6:7]
	s_and_saveexec_b64 s[6:7], s[4:5]
	s_cbranch_execz .LBB2_12388
.LBB2_12387:
	v_mov_b32_e32 v2, 8
	v_and_b32_e32 v3, 7, v9
	v_lshrrev_b32_sdwa v2, v2, v9 dst_sel:BYTE_1 dst_unused:UNUSED_PAD src0_sel:DWORD src1_sel:DWORD
	v_ffbh_u32_e32 v4, v3
	v_or_b32_sdwa v2, v9, v2 dst_sel:DWORD dst_unused:UNUSED_PAD src0_sel:BYTE_0 src1_sel:DWORD
	v_min_u32_e32 v4, 32, v4
	v_lshrrev_b16_e32 v2, 3, v2
	v_subrev_u32_e32 v6, 28, v4
	v_and_b32_e32 v2, 15, v2
	v_lshlrev_b32_e32 v6, v6, v9
	v_sub_u32_e32 v4, 29, v4
	v_and_b32_e32 v6, 7, v6
	v_cmp_eq_u16_e32 vcc, 0, v2
	v_cndmask_b32_e32 v3, v3, v6, vcc
	v_cndmask_b32_e32 v2, v2, v4, vcc
	v_lshlrev_b32_e32 v4, 24, v9
	v_mov_b32_e32 v6, 0x3b800000
	v_lshlrev_b32_e32 v3, 20, v3
	v_and_b32_e32 v4, 0x80000000, v4
	v_lshl_add_u32 v2, v2, 23, v6
	v_or3_b32 v2, v4, v2, v3
.LBB2_12388:
	s_or_b64 exec, exec, s[6:7]
	s_movk_i32 s4, 0x7f
	v_cmp_gt_i16_sdwa s[6:7], v5, s4 src0_sel:BYTE_0 src1_sel:DWORD
	s_mov_b64 s[4:5], 0
                                        ; implicit-def: $sgpr10
	s_and_saveexec_b64 s[8:9], s[6:7]
	s_xor_b64 s[6:7], exec, s[8:9]
	s_cbranch_execz .LBB2_12389
; %bb.48229:
	s_getpc_b64 s[14:15]
.Lpost_getpc27698:
	s_add_u32 s14, s14, (.LBB2_26725-.Lpost_getpc27698)&4294967295
	s_addc_u32 s15, s15, (.LBB2_26725-.Lpost_getpc27698)>>32
	s_setpc_b64 s[14:15]
.LBB2_12389:
	s_or_saveexec_b64 s[6:7], s[6:7]
	v_mov_b32_e32 v3, s10
	s_xor_b64 exec, exec, s[6:7]
	s_cbranch_execz .LBB2_12390
; %bb.48231:
	s_getpc_b64 s[14:15]
.Lpost_getpc27699:
	s_add_u32 s14, s14, (.LBB2_26728-.Lpost_getpc27699)&4294967295
	s_addc_u32 s15, s15, (.LBB2_26728-.Lpost_getpc27699)>>32
	s_setpc_b64 s[14:15]
.LBB2_12390:
	s_or_b64 exec, exec, s[6:7]
	s_and_saveexec_b64 s[6:7], s[4:5]
	s_cbranch_execz .LBB2_12392
.LBB2_12391:
	v_mov_b32_e32 v3, 8
	v_and_b32_e32 v4, 7, v5
	v_lshrrev_b32_sdwa v3, v3, v5 dst_sel:BYTE_1 dst_unused:UNUSED_PAD src0_sel:DWORD src1_sel:DWORD
	v_ffbh_u32_e32 v6, v4
	v_or_b32_sdwa v3, v5, v3 dst_sel:DWORD dst_unused:UNUSED_PAD src0_sel:BYTE_0 src1_sel:DWORD
	v_min_u32_e32 v6, 32, v6
	v_lshrrev_b16_e32 v3, 3, v3
	v_subrev_u32_e32 v7, 28, v6
	v_and_b32_e32 v3, 15, v3
	v_lshlrev_b32_e32 v7, v7, v5
	v_sub_u32_e32 v6, 29, v6
	v_and_b32_e32 v7, 7, v7
	v_cmp_eq_u16_e32 vcc, 0, v3
	v_cndmask_b32_e32 v4, v4, v7, vcc
	v_cndmask_b32_e32 v3, v3, v6, vcc
	v_lshlrev_b32_e32 v6, 24, v5
	v_mov_b32_e32 v7, 0x3b800000
	v_lshlrev_b32_e32 v4, 20, v4
	v_and_b32_e32 v6, 0x80000000, v6
	v_lshl_add_u32 v3, v3, 23, v7
	v_or3_b32 v3, v6, v3, v4
.LBB2_12392:
	s_or_b64 exec, exec, s[6:7]
	s_nop 0
	v_mfma_f32_16x16x4f32 a[0:3], v2, v3, a[0:3]
	v_lshrrev_b32_e32 v3, 8, v9
	s_movk_i32 s4, 0x7f
	v_cmp_gt_i16_sdwa s[6:7], v3, s4 src0_sel:BYTE_0 src1_sel:DWORD
	s_mov_b64 s[4:5], 0
                                        ; implicit-def: $sgpr10
	s_and_saveexec_b64 s[8:9], s[6:7]
	s_xor_b64 s[6:7], exec, s[8:9]
	s_cbranch_execz .LBB2_12393
; %bb.48233:
	s_getpc_b64 s[14:15]
.Lpost_getpc27700:
	s_add_u32 s14, s14, (.LBB2_26729-.Lpost_getpc27700)&4294967295
	s_addc_u32 s15, s15, (.LBB2_26729-.Lpost_getpc27700)>>32
	s_setpc_b64 s[14:15]
.LBB2_12393:
	s_or_saveexec_b64 s[6:7], s[6:7]
	v_mov_b32_e32 v2, s10
	s_xor_b64 exec, exec, s[6:7]
	s_cbranch_execz .LBB2_12394
; %bb.48235:
	s_getpc_b64 s[14:15]
.Lpost_getpc27701:
	s_add_u32 s14, s14, (.LBB2_26732-.Lpost_getpc27701)&4294967295
	s_addc_u32 s15, s15, (.LBB2_26732-.Lpost_getpc27701)>>32
	s_setpc_b64 s[14:15]
.LBB2_12394:
	s_or_b64 exec, exec, s[6:7]
	s_and_saveexec_b64 s[6:7], s[4:5]
	s_cbranch_execz .LBB2_12396
.LBB2_12395:
	v_bfe_u32 v2, v9, 8, 3
	v_ffbh_u32_e32 v6, v2
	v_min_u32_e32 v6, 32, v6
	v_lshrrev_b16_e32 v4, 3, v3
	v_subrev_u32_e32 v7, 28, v6
	v_and_b32_e32 v4, 15, v4
	v_lshlrev_b32_e32 v3, v7, v3
	v_sub_u32_e32 v6, 29, v6
	v_and_b32_e32 v3, 7, v3
	v_cmp_eq_u16_e32 vcc, 0, v4
	v_cndmask_b32_e32 v2, v2, v3, vcc
	v_cndmask_b32_e32 v3, v4, v6, vcc
	v_lshlrev_b32_e32 v4, 16, v9
	v_mov_b32_e32 v6, 0x3b800000
	v_lshlrev_b32_e32 v2, 20, v2
	v_and_b32_e32 v4, 0x80000000, v4
	v_lshl_add_u32 v3, v3, 23, v6
	v_or3_b32 v2, v4, v3, v2
.LBB2_12396:
	s_or_b64 exec, exec, s[6:7]
	v_lshrrev_b32_e32 v3, 8, v5
	s_movk_i32 s4, 0x7f
	v_cmp_gt_i16_sdwa s[6:7], v3, s4 src0_sel:BYTE_0 src1_sel:DWORD
	s_mov_b64 s[4:5], 0
                                        ; implicit-def: $sgpr10
	s_and_saveexec_b64 s[8:9], s[6:7]
	s_xor_b64 s[6:7], exec, s[8:9]
	s_cbranch_execz .LBB2_12397
; %bb.48237:
	s_getpc_b64 s[14:15]
.Lpost_getpc27702:
	s_add_u32 s14, s14, (.LBB2_26733-.Lpost_getpc27702)&4294967295
	s_addc_u32 s15, s15, (.LBB2_26733-.Lpost_getpc27702)>>32
	s_setpc_b64 s[14:15]
.LBB2_12397:
	s_or_saveexec_b64 s[6:7], s[6:7]
	v_mov_b32_e32 v4, s10
	s_xor_b64 exec, exec, s[6:7]
	s_cbranch_execz .LBB2_12398
; %bb.48239:
	s_getpc_b64 s[14:15]
.Lpost_getpc27703:
	s_add_u32 s14, s14, (.LBB2_26736-.Lpost_getpc27703)&4294967295
	s_addc_u32 s15, s15, (.LBB2_26736-.Lpost_getpc27703)>>32
	s_setpc_b64 s[14:15]
.LBB2_12398:
	s_or_b64 exec, exec, s[6:7]
	s_and_saveexec_b64 s[6:7], s[4:5]
	s_cbranch_execz .LBB2_12400
.LBB2_12399:
	v_bfe_u32 v4, v5, 8, 3
	v_ffbh_u32_e32 v7, v4
	v_min_u32_e32 v7, 32, v7
	v_lshrrev_b16_e32 v6, 3, v3
	v_subrev_u32_e32 v8, 28, v7
	v_and_b32_e32 v6, 15, v6
	v_lshlrev_b32_e32 v3, v8, v3
	v_sub_u32_e32 v7, 29, v7
	v_and_b32_e32 v3, 7, v3
	v_cmp_eq_u16_e32 vcc, 0, v6
	v_cndmask_b32_e32 v3, v4, v3, vcc
	v_cndmask_b32_e32 v4, v6, v7, vcc
	v_lshlrev_b32_e32 v6, 16, v5
	v_mov_b32_e32 v7, 0x3b800000
	v_lshlrev_b32_e32 v3, 20, v3
	v_and_b32_e32 v6, 0x80000000, v6
	v_lshl_add_u32 v4, v4, 23, v7
	v_or3_b32 v4, v6, v4, v3
.LBB2_12400:
	s_or_b64 exec, exec, s[6:7]
	s_nop 0
	v_mfma_f32_16x16x4f32 a[0:3], v2, v4, a[0:3]
	s_movk_i32 s4, 0xff
	v_and_b32_sdwa v3, v9, s4 dst_sel:DWORD dst_unused:UNUSED_PAD src0_sel:WORD_1 src1_sel:DWORD
	s_movk_i32 s4, 0x7f
	v_cmp_lt_i16_e32 vcc, s4, v3
	s_mov_b64 s[4:5], 0
                                        ; implicit-def: $sgpr10
	s_and_saveexec_b64 s[6:7], vcc
	s_xor_b64 s[6:7], exec, s[6:7]
	s_cbranch_execz .LBB2_12401
; %bb.48241:
	s_getpc_b64 s[14:15]
.Lpost_getpc27704:
	s_add_u32 s14, s14, (.LBB2_26737-.Lpost_getpc27704)&4294967295
	s_addc_u32 s15, s15, (.LBB2_26737-.Lpost_getpc27704)>>32
	s_setpc_b64 s[14:15]
.LBB2_12401:
	s_or_saveexec_b64 s[6:7], s[6:7]
	v_mov_b32_e32 v2, s10
	s_xor_b64 exec, exec, s[6:7]
	s_cbranch_execz .LBB2_12402
; %bb.48243:
	s_getpc_b64 s[14:15]
.Lpost_getpc27705:
	s_add_u32 s14, s14, (.LBB2_26740-.Lpost_getpc27705)&4294967295
	s_addc_u32 s15, s15, (.LBB2_26740-.Lpost_getpc27705)>>32
	s_setpc_b64 s[14:15]
.LBB2_12402:
	s_or_b64 exec, exec, s[6:7]
	s_and_saveexec_b64 s[6:7], s[4:5]
	s_cbranch_execz .LBB2_12404
.LBB2_12403:
	v_bfe_u32 v2, v9, 16, 3
	v_ffbh_u32_e32 v6, v2
	v_min_u32_e32 v6, 32, v6
	v_lshrrev_b32_e32 v3, 19, v9
	v_subrev_u32_e32 v7, 28, v6
	v_and_b32_e32 v3, 15, v3
	v_lshlrev_b32_sdwa v7, v7, v9 dst_sel:DWORD dst_unused:UNUSED_PAD src0_sel:DWORD src1_sel:WORD_1
	v_bfe_u32 v4, v9, 19, 4
	v_sub_u32_e32 v6, 29, v6
	v_and_b32_e32 v7, 7, v7
	v_cmp_eq_u16_e32 vcc, 0, v3
	v_cndmask_b32_e32 v2, v2, v7, vcc
	v_cndmask_b32_e32 v3, v4, v6, vcc
	v_lshlrev_b32_e32 v4, 8, v9
	v_mov_b32_e32 v6, 0x3b800000
	v_lshlrev_b32_e32 v2, 20, v2
	v_and_b32_e32 v4, 0x80000000, v4
	v_lshl_add_u32 v3, v3, 23, v6
	v_or3_b32 v2, v4, v3, v2
.LBB2_12404:
	s_or_b64 exec, exec, s[6:7]
	s_movk_i32 s4, 0xff
	v_and_b32_sdwa v3, v5, s4 dst_sel:DWORD dst_unused:UNUSED_PAD src0_sel:WORD_1 src1_sel:DWORD
	s_movk_i32 s4, 0x7f
	v_cmp_lt_i16_e32 vcc, s4, v3
	s_mov_b64 s[4:5], 0
                                        ; implicit-def: $sgpr10
	s_and_saveexec_b64 s[6:7], vcc
	s_xor_b64 s[6:7], exec, s[6:7]
	s_cbranch_execz .LBB2_12405
; %bb.48245:
	s_getpc_b64 s[14:15]
.Lpost_getpc27706:
	s_add_u32 s14, s14, (.LBB2_26741-.Lpost_getpc27706)&4294967295
	s_addc_u32 s15, s15, (.LBB2_26741-.Lpost_getpc27706)>>32
	s_setpc_b64 s[14:15]
.LBB2_12405:
	s_or_saveexec_b64 s[6:7], s[6:7]
	v_mov_b32_e32 v4, s10
	s_xor_b64 exec, exec, s[6:7]
	s_cbranch_execz .LBB2_12406
; %bb.48247:
	s_getpc_b64 s[14:15]
.Lpost_getpc27707:
	s_add_u32 s14, s14, (.LBB2_26744-.Lpost_getpc27707)&4294967295
	s_addc_u32 s15, s15, (.LBB2_26744-.Lpost_getpc27707)>>32
	s_setpc_b64 s[14:15]
.LBB2_12406:
	s_or_b64 exec, exec, s[6:7]
	s_and_saveexec_b64 s[6:7], s[4:5]
	s_cbranch_execz .LBB2_12408
.LBB2_12407:
	v_bfe_u32 v3, v5, 16, 3
	v_ffbh_u32_e32 v7, v3
	v_min_u32_e32 v7, 32, v7
	v_lshrrev_b32_e32 v4, 19, v5
	v_subrev_u32_e32 v8, 28, v7
	v_and_b32_e32 v4, 15, v4
	v_lshlrev_b32_sdwa v8, v8, v5 dst_sel:DWORD dst_unused:UNUSED_PAD src0_sel:DWORD src1_sel:WORD_1
	v_bfe_u32 v6, v5, 19, 4
	v_sub_u32_e32 v7, 29, v7
	v_and_b32_e32 v8, 7, v8
	v_cmp_eq_u16_e32 vcc, 0, v4
	v_cndmask_b32_e32 v3, v3, v8, vcc
	v_cndmask_b32_e32 v4, v6, v7, vcc
	v_lshlrev_b32_e32 v6, 8, v5
	v_mov_b32_e32 v7, 0x3b800000
	v_lshlrev_b32_e32 v3, 20, v3
	v_and_b32_e32 v6, 0x80000000, v6
	v_lshl_add_u32 v4, v4, 23, v7
	v_or3_b32 v4, v6, v4, v3
.LBB2_12408:
	s_or_b64 exec, exec, s[6:7]
	s_nop 0
	v_mfma_f32_16x16x4f32 a[0:3], v2, v4, a[0:3]
	s_movk_i32 s4, 0x7f
	v_cmp_gt_i16_sdwa s[6:7], v9, s4 src0_sel:BYTE_3 src1_sel:DWORD
	s_mov_b64 s[4:5], 0
                                        ; implicit-def: $sgpr10
	s_and_saveexec_b64 s[8:9], s[6:7]
	s_xor_b64 s[6:7], exec, s[8:9]
	s_cbranch_execz .LBB2_12409
; %bb.48249:
	s_getpc_b64 s[14:15]
.Lpost_getpc27708:
	s_add_u32 s14, s14, (.LBB2_26745-.Lpost_getpc27708)&4294967295
	s_addc_u32 s15, s15, (.LBB2_26745-.Lpost_getpc27708)>>32
	s_setpc_b64 s[14:15]
.LBB2_12409:
	s_or_saveexec_b64 s[6:7], s[6:7]
	v_mov_b32_e32 v2, s10
	s_xor_b64 exec, exec, s[6:7]
	s_cbranch_execz .LBB2_12410
; %bb.48251:
	s_getpc_b64 s[14:15]
.Lpost_getpc27709:
	s_add_u32 s14, s14, (.LBB2_26748-.Lpost_getpc27709)&4294967295
	s_addc_u32 s15, s15, (.LBB2_26748-.Lpost_getpc27709)>>32
	s_setpc_b64 s[14:15]
.LBB2_12410:
	s_or_b64 exec, exec, s[6:7]
	s_and_saveexec_b64 s[6:7], s[4:5]
	s_cbranch_execz .LBB2_12412
.LBB2_12411:
	v_bfe_u32 v2, v9, 24, 3
	v_ffbh_u32_e32 v7, v2
	v_min_u32_e32 v7, 32, v7
	v_lshrrev_b32_e32 v4, 27, v9
	v_subrev_u32_e32 v8, 28, v7
	v_and_b32_e32 v4, 15, v4
	v_lshlrev_b32_sdwa v8, v8, v9 dst_sel:DWORD dst_unused:UNUSED_PAD src0_sel:DWORD src1_sel:BYTE_3
	v_bfe_u32 v6, v9, 27, 4
	v_sub_u32_e32 v7, 29, v7
	v_and_b32_e32 v8, 7, v8
	v_cmp_eq_u16_e32 vcc, 0, v4
	v_cndmask_b32_e32 v2, v2, v8, vcc
	v_cndmask_b32_e32 v4, v6, v7, vcc
	v_mov_b32_e32 v6, 0x3b800000
	v_and_b32_e32 v3, 0x80000000, v9
	v_lshlrev_b32_e32 v2, 20, v2
	v_lshl_add_u32 v4, v4, 23, v6
	v_or3_b32 v2, v3, v4, v2
.LBB2_12412:
	s_or_b64 exec, exec, s[6:7]
	s_movk_i32 s4, 0x7f
	v_cmp_gt_i16_sdwa s[6:7], v5, s4 src0_sel:BYTE_3 src1_sel:DWORD
	s_mov_b64 s[4:5], 0
                                        ; implicit-def: $sgpr10
	s_and_saveexec_b64 s[8:9], s[6:7]
	s_xor_b64 s[6:7], exec, s[8:9]
	s_cbranch_execz .LBB2_12413
; %bb.48253:
	s_getpc_b64 s[14:15]
.Lpost_getpc27710:
	s_add_u32 s14, s14, (.LBB2_26749-.Lpost_getpc27710)&4294967295
	s_addc_u32 s15, s15, (.LBB2_26749-.Lpost_getpc27710)>>32
	s_setpc_b64 s[14:15]
.LBB2_12413:
	s_or_saveexec_b64 s[6:7], s[6:7]
	v_mov_b32_e32 v3, s10
	s_xor_b64 exec, exec, s[6:7]
	s_cbranch_execz .LBB2_12414
; %bb.48255:
	s_getpc_b64 s[14:15]
.Lpost_getpc27711:
	s_add_u32 s14, s14, (.LBB2_26752-.Lpost_getpc27711)&4294967295
	s_addc_u32 s15, s15, (.LBB2_26752-.Lpost_getpc27711)>>32
	s_setpc_b64 s[14:15]
.LBB2_12414:
	s_or_b64 exec, exec, s[6:7]
	s_and_saveexec_b64 s[6:7], s[4:5]
	s_cbranch_execz .LBB2_12416
.LBB2_12415:
	v_bfe_u32 v3, v5, 24, 3
	v_ffbh_u32_e32 v8, v3
	v_min_u32_e32 v8, 32, v8
	v_lshrrev_b32_e32 v6, 27, v5
	v_subrev_u32_e32 v9, 28, v8
	v_and_b32_e32 v4, 0x80000000, v5
	v_and_b32_e32 v6, 15, v6
	v_bfe_u32 v7, v5, 27, 4
	v_lshlrev_b32_sdwa v5, v9, v5 dst_sel:DWORD dst_unused:UNUSED_PAD src0_sel:DWORD src1_sel:BYTE_3
	v_sub_u32_e32 v8, 29, v8
	v_and_b32_e32 v5, 7, v5
	v_cmp_eq_u16_e32 vcc, 0, v6
	v_cndmask_b32_e32 v3, v3, v5, vcc
	v_cndmask_b32_e32 v5, v7, v8, vcc
	v_mov_b32_e32 v6, 0x3b800000
	v_lshlrev_b32_e32 v3, 20, v3
	v_lshl_add_u32 v5, v5, 23, v6
	v_or3_b32 v3, v4, v5, v3
.LBB2_12416:
	s_or_b64 exec, exec, s[6:7]
	s_nop 0
	v_mfma_f32_16x16x4f32 a[0:3], v2, v3, a[0:3]
	s_movk_i32 s4, 0x7f
                                        ; implicit-def: $sgpr10
	s_nop 7
	s_nop 1
	flat_store_dwordx4 v[10:11], a[0:3] offset:640
	flat_load_dwordx4 v[12:15], v[0:1]
	s_nop 0
	flat_load_dwordx2 v[10:11], v[0:1] offset:16
	s_waitcnt vmcnt(0) lgkmcnt(0)
	flat_load_dwordx4 v[6:9], v[12:13] offset:192
	flat_load_dwordx4 v[2:5], v[14:15] offset:144
	s_waitcnt vmcnt(0) lgkmcnt(0)
	v_cmp_gt_i16_sdwa s[6:7], v6, s4 src0_sel:BYTE_0 src1_sel:DWORD
	s_mov_b64 s[4:5], 0
	s_and_saveexec_b64 s[8:9], s[6:7]
	s_xor_b64 s[6:7], exec, s[8:9]
	s_cbranch_execz .LBB2_12417
; %bb.48257:
	s_getpc_b64 s[14:15]
.Lpost_getpc27712:
	s_add_u32 s14, s14, (.LBB2_26753-.Lpost_getpc27712)&4294967295
	s_addc_u32 s15, s15, (.LBB2_26753-.Lpost_getpc27712)>>32
	s_setpc_b64 s[14:15]
.LBB2_12417:
	s_or_saveexec_b64 s[6:7], s[6:7]
	v_mov_b32_e32 v12, s10
	s_xor_b64 exec, exec, s[6:7]
	s_cbranch_execz .LBB2_12418
; %bb.48259:
	s_getpc_b64 s[14:15]
.Lpost_getpc27713:
	s_add_u32 s14, s14, (.LBB2_26756-.Lpost_getpc27713)&4294967295
	s_addc_u32 s15, s15, (.LBB2_26756-.Lpost_getpc27713)>>32
	s_setpc_b64 s[14:15]
.LBB2_12418:
	s_or_b64 exec, exec, s[6:7]
	s_and_saveexec_b64 s[6:7], s[4:5]
	s_cbranch_execz .LBB2_12420
.LBB2_12419:
	v_and_b32_e32 v12, 7, v6
	v_ffbh_u32_e32 v14, v12
	v_min_u32_e32 v14, 32, v14
	v_lshrrev_b16_e32 v13, 3, v6
	v_subrev_u32_e32 v15, 28, v14
	v_and_b32_e32 v13, 15, v13
	v_lshlrev_b32_e32 v15, v15, v6
	v_sub_u32_e32 v14, 29, v14
	v_and_b32_e32 v15, 7, v15
	v_cmp_eq_u16_e32 vcc, 0, v13
	v_cndmask_b32_e32 v12, v12, v15, vcc
	v_cndmask_b32_e32 v13, v13, v14, vcc
	v_lshlrev_b32_e32 v14, 24, v6
	v_mov_b32_e32 v15, 0x3b800000
	v_lshlrev_b32_e32 v12, 20, v12
	v_and_b32_e32 v14, 0x80000000, v14
	v_lshl_add_u32 v13, v13, 23, v15
	v_or3_b32 v12, v14, v13, v12
.LBB2_12420:
	s_or_b64 exec, exec, s[6:7]
	s_movk_i32 s4, 0x7f
	v_cmp_gt_i16_sdwa s[6:7], v2, s4 src0_sel:BYTE_0 src1_sel:DWORD
	s_mov_b64 s[4:5], 0
                                        ; implicit-def: $sgpr10
	s_and_saveexec_b64 s[8:9], s[6:7]
	s_xor_b64 s[6:7], exec, s[8:9]
	s_cbranch_execz .LBB2_12421
; %bb.48261:
	s_getpc_b64 s[14:15]
.Lpost_getpc27714:
	s_add_u32 s14, s14, (.LBB2_26757-.Lpost_getpc27714)&4294967295
	s_addc_u32 s15, s15, (.LBB2_26757-.Lpost_getpc27714)>>32
	s_setpc_b64 s[14:15]
.LBB2_12421:
	s_or_saveexec_b64 s[6:7], s[6:7]
	v_mov_b32_e32 v13, s10
	s_xor_b64 exec, exec, s[6:7]
	s_cbranch_execz .LBB2_12422
; %bb.48263:
	s_getpc_b64 s[14:15]
.Lpost_getpc27715:
	s_add_u32 s14, s14, (.LBB2_26760-.Lpost_getpc27715)&4294967295
	s_addc_u32 s15, s15, (.LBB2_26760-.Lpost_getpc27715)>>32
	s_setpc_b64 s[14:15]
.LBB2_12422:
	s_or_b64 exec, exec, s[6:7]
	s_and_saveexec_b64 s[6:7], s[4:5]
	s_cbranch_execz .LBB2_12424
.LBB2_12423:
	v_and_b32_e32 v13, 7, v2
	v_ffbh_u32_e32 v15, v13
	v_min_u32_e32 v15, 32, v15
	v_lshrrev_b16_e32 v14, 3, v2
	v_subrev_u32_e32 v16, 28, v15
	v_and_b32_e32 v14, 15, v14
	v_lshlrev_b32_e32 v16, v16, v2
	v_sub_u32_e32 v15, 29, v15
	v_and_b32_e32 v16, 7, v16
	v_cmp_eq_u16_e32 vcc, 0, v14
	v_cndmask_b32_e32 v13, v13, v16, vcc
	v_cndmask_b32_e32 v14, v14, v15, vcc
	v_lshlrev_b32_e32 v15, 24, v2
	v_mov_b32_e32 v16, 0x3b800000
	v_lshlrev_b32_e32 v13, 20, v13
	v_and_b32_e32 v15, 0x80000000, v15
	v_lshl_add_u32 v14, v14, 23, v16
	v_or3_b32 v13, v15, v14, v13
.LBB2_12424:
	s_or_b64 exec, exec, s[6:7]
	flat_load_dwordx4 a[0:3], v[10:11] offset:656
	s_movk_i32 s4, 0x7f
                                        ; implicit-def: $sgpr10
	s_waitcnt vmcnt(0) lgkmcnt(0)
	v_mfma_f32_16x16x4f32 a[0:3], v12, v13, a[0:3]
	v_lshrrev_b32_e32 v13, 8, v6
	v_cmp_gt_i16_sdwa s[6:7], v13, s4 src0_sel:BYTE_0 src1_sel:DWORD
	s_mov_b64 s[4:5], 0
	s_and_saveexec_b64 s[8:9], s[6:7]
	s_xor_b64 s[6:7], exec, s[8:9]
	s_cbranch_execz .LBB2_12425
; %bb.48265:
	s_getpc_b64 s[14:15]
.Lpost_getpc27716:
	s_add_u32 s14, s14, (.LBB2_26761-.Lpost_getpc27716)&4294967295
	s_addc_u32 s15, s15, (.LBB2_26761-.Lpost_getpc27716)>>32
	s_setpc_b64 s[14:15]
.LBB2_12425:
	s_or_saveexec_b64 s[6:7], s[6:7]
	v_mov_b32_e32 v12, s10
	s_xor_b64 exec, exec, s[6:7]
	s_cbranch_execz .LBB2_12426
; %bb.48267:
	s_getpc_b64 s[14:15]
.Lpost_getpc27717:
	s_add_u32 s14, s14, (.LBB2_26764-.Lpost_getpc27717)&4294967295
	s_addc_u32 s15, s15, (.LBB2_26764-.Lpost_getpc27717)>>32
	s_setpc_b64 s[14:15]
.LBB2_12426:
	s_or_b64 exec, exec, s[6:7]
	s_and_saveexec_b64 s[6:7], s[4:5]
	s_cbranch_execz .LBB2_12428
.LBB2_12427:
	v_bfe_u32 v12, v6, 8, 3
	v_ffbh_u32_e32 v15, v12
	v_min_u32_e32 v15, 32, v15
	v_lshrrev_b16_e32 v14, 3, v13
	v_subrev_u32_e32 v16, 28, v15
	v_and_b32_e32 v14, 15, v14
	v_lshlrev_b32_e32 v13, v16, v13
	v_sub_u32_e32 v15, 29, v15
	v_and_b32_e32 v13, 7, v13
	v_cmp_eq_u16_e32 vcc, 0, v14
	v_cndmask_b32_e32 v12, v12, v13, vcc
	v_cndmask_b32_e32 v13, v14, v15, vcc
	v_lshlrev_b32_e32 v14, 16, v6
	v_mov_b32_e32 v15, 0x3b800000
	v_lshlrev_b32_e32 v12, 20, v12
	v_and_b32_e32 v14, 0x80000000, v14
	v_lshl_add_u32 v13, v13, 23, v15
	v_or3_b32 v12, v14, v13, v12
.LBB2_12428:
	s_or_b64 exec, exec, s[6:7]
	v_lshrrev_b32_e32 v13, 8, v2
	s_movk_i32 s4, 0x7f
	v_cmp_gt_i16_sdwa s[6:7], v13, s4 src0_sel:BYTE_0 src1_sel:DWORD
	s_mov_b64 s[4:5], 0
                                        ; implicit-def: $sgpr10
	s_and_saveexec_b64 s[8:9], s[6:7]
	s_xor_b64 s[6:7], exec, s[8:9]
	s_cbranch_execz .LBB2_12429
; %bb.48269:
	s_getpc_b64 s[14:15]
.Lpost_getpc27718:
	s_add_u32 s14, s14, (.LBB2_26765-.Lpost_getpc27718)&4294967295
	s_addc_u32 s15, s15, (.LBB2_26765-.Lpost_getpc27718)>>32
	s_setpc_b64 s[14:15]
.LBB2_12429:
	s_or_saveexec_b64 s[6:7], s[6:7]
	v_mov_b32_e32 v14, s10
	s_xor_b64 exec, exec, s[6:7]
	s_cbranch_execz .LBB2_12430
; %bb.48271:
	s_getpc_b64 s[14:15]
.Lpost_getpc27719:
	s_add_u32 s14, s14, (.LBB2_26768-.Lpost_getpc27719)&4294967295
	s_addc_u32 s15, s15, (.LBB2_26768-.Lpost_getpc27719)>>32
	s_setpc_b64 s[14:15]
.LBB2_12430:
	s_or_b64 exec, exec, s[6:7]
	s_and_saveexec_b64 s[6:7], s[4:5]
	s_cbranch_execz .LBB2_12432
.LBB2_12431:
	v_bfe_u32 v14, v2, 8, 3
	v_ffbh_u32_e32 v16, v14
	v_min_u32_e32 v16, 32, v16
	v_lshrrev_b16_e32 v15, 3, v13
	v_subrev_u32_e32 v17, 28, v16
	v_and_b32_e32 v15, 15, v15
	v_lshlrev_b32_e32 v13, v17, v13
	v_sub_u32_e32 v16, 29, v16
	v_and_b32_e32 v13, 7, v13
	v_cmp_eq_u16_e32 vcc, 0, v15
	v_cndmask_b32_e32 v13, v14, v13, vcc
	v_cndmask_b32_e32 v14, v15, v16, vcc
	v_lshlrev_b32_e32 v15, 16, v2
	v_mov_b32_e32 v16, 0x3b800000
	v_lshlrev_b32_e32 v13, 20, v13
	v_and_b32_e32 v15, 0x80000000, v15
	v_lshl_add_u32 v14, v14, 23, v16
	v_or3_b32 v14, v15, v14, v13
.LBB2_12432:
	s_or_b64 exec, exec, s[6:7]
	s_nop 0
	v_mfma_f32_16x16x4f32 a[0:3], v12, v14, a[0:3]
	s_movk_i32 s4, 0xff
	v_and_b32_sdwa v13, v6, s4 dst_sel:DWORD dst_unused:UNUSED_PAD src0_sel:WORD_1 src1_sel:DWORD
	s_movk_i32 s4, 0x7f
	v_cmp_lt_i16_e32 vcc, s4, v13
	s_mov_b64 s[4:5], 0
                                        ; implicit-def: $sgpr10
	s_and_saveexec_b64 s[6:7], vcc
	s_xor_b64 s[6:7], exec, s[6:7]
	s_cbranch_execz .LBB2_12433
; %bb.48273:
	s_getpc_b64 s[14:15]
.Lpost_getpc27720:
	s_add_u32 s14, s14, (.LBB2_26769-.Lpost_getpc27720)&4294967295
	s_addc_u32 s15, s15, (.LBB2_26769-.Lpost_getpc27720)>>32
	s_setpc_b64 s[14:15]
.LBB2_12433:
	s_or_saveexec_b64 s[6:7], s[6:7]
	v_mov_b32_e32 v12, s10
	s_xor_b64 exec, exec, s[6:7]
	s_cbranch_execz .LBB2_12434
; %bb.48275:
	s_getpc_b64 s[14:15]
.Lpost_getpc27721:
	s_add_u32 s14, s14, (.LBB2_26772-.Lpost_getpc27721)&4294967295
	s_addc_u32 s15, s15, (.LBB2_26772-.Lpost_getpc27721)>>32
	s_setpc_b64 s[14:15]
.LBB2_12434:
	s_or_b64 exec, exec, s[6:7]
	s_and_saveexec_b64 s[6:7], s[4:5]
	s_cbranch_execz .LBB2_12436
.LBB2_12435:
	v_bfe_u32 v12, v6, 16, 3
	v_ffbh_u32_e32 v15, v12
	v_min_u32_e32 v15, 32, v15
	v_lshrrev_b32_e32 v13, 19, v6
	v_subrev_u32_e32 v16, 28, v15
	v_and_b32_e32 v13, 15, v13
	v_lshlrev_b32_sdwa v16, v16, v6 dst_sel:DWORD dst_unused:UNUSED_PAD src0_sel:DWORD src1_sel:WORD_1
	v_bfe_u32 v14, v6, 19, 4
	v_sub_u32_e32 v15, 29, v15
	v_and_b32_e32 v16, 7, v16
	v_cmp_eq_u16_e32 vcc, 0, v13
	v_cndmask_b32_e32 v12, v12, v16, vcc
	v_cndmask_b32_e32 v13, v14, v15, vcc
	v_lshlrev_b32_e32 v14, 8, v6
	v_mov_b32_e32 v15, 0x3b800000
	v_lshlrev_b32_e32 v12, 20, v12
	v_and_b32_e32 v14, 0x80000000, v14
	v_lshl_add_u32 v13, v13, 23, v15
	v_or3_b32 v12, v14, v13, v12
.LBB2_12436:
	s_or_b64 exec, exec, s[6:7]
	s_movk_i32 s4, 0xff
	v_and_b32_sdwa v13, v2, s4 dst_sel:DWORD dst_unused:UNUSED_PAD src0_sel:WORD_1 src1_sel:DWORD
	s_movk_i32 s4, 0x7f
	v_cmp_lt_i16_e32 vcc, s4, v13
	s_mov_b64 s[4:5], 0
                                        ; implicit-def: $sgpr10
	s_and_saveexec_b64 s[6:7], vcc
	s_xor_b64 s[6:7], exec, s[6:7]
	s_cbranch_execz .LBB2_12437
; %bb.48277:
	s_getpc_b64 s[14:15]
.Lpost_getpc27722:
	s_add_u32 s14, s14, (.LBB2_26773-.Lpost_getpc27722)&4294967295
	s_addc_u32 s15, s15, (.LBB2_26773-.Lpost_getpc27722)>>32
	s_setpc_b64 s[14:15]
.LBB2_12437:
	s_or_saveexec_b64 s[6:7], s[6:7]
	v_mov_b32_e32 v14, s10
	s_xor_b64 exec, exec, s[6:7]
	s_cbranch_execz .LBB2_12438
; %bb.48279:
	s_getpc_b64 s[14:15]
.Lpost_getpc27723:
	s_add_u32 s14, s14, (.LBB2_26776-.Lpost_getpc27723)&4294967295
	s_addc_u32 s15, s15, (.LBB2_26776-.Lpost_getpc27723)>>32
	s_setpc_b64 s[14:15]
.LBB2_12438:
	s_or_b64 exec, exec, s[6:7]
	s_and_saveexec_b64 s[6:7], s[4:5]
	s_cbranch_execz .LBB2_12440
.LBB2_12439:
	v_bfe_u32 v13, v2, 16, 3
	v_ffbh_u32_e32 v16, v13
	v_min_u32_e32 v16, 32, v16
	v_lshrrev_b32_e32 v14, 19, v2
	v_subrev_u32_e32 v17, 28, v16
	v_and_b32_e32 v14, 15, v14
	v_lshlrev_b32_sdwa v17, v17, v2 dst_sel:DWORD dst_unused:UNUSED_PAD src0_sel:DWORD src1_sel:WORD_1
	v_bfe_u32 v15, v2, 19, 4
	v_sub_u32_e32 v16, 29, v16
	v_and_b32_e32 v17, 7, v17
	v_cmp_eq_u16_e32 vcc, 0, v14
	v_cndmask_b32_e32 v13, v13, v17, vcc
	v_cndmask_b32_e32 v14, v15, v16, vcc
	v_lshlrev_b32_e32 v15, 8, v2
	v_mov_b32_e32 v16, 0x3b800000
	v_lshlrev_b32_e32 v13, 20, v13
	v_and_b32_e32 v15, 0x80000000, v15
	v_lshl_add_u32 v14, v14, 23, v16
	v_or3_b32 v14, v15, v14, v13
.LBB2_12440:
	s_or_b64 exec, exec, s[6:7]
	s_nop 0
	v_mfma_f32_16x16x4f32 a[0:3], v12, v14, a[0:3]
	s_movk_i32 s4, 0x7f
	v_cmp_gt_i16_sdwa s[6:7], v6, s4 src0_sel:BYTE_3 src1_sel:DWORD
	s_mov_b64 s[4:5], 0
                                        ; implicit-def: $sgpr10
	s_and_saveexec_b64 s[8:9], s[6:7]
	s_xor_b64 s[6:7], exec, s[8:9]
	s_cbranch_execz .LBB2_12441
; %bb.48281:
	s_getpc_b64 s[14:15]
.Lpost_getpc27724:
	s_add_u32 s14, s14, (.LBB2_26777-.Lpost_getpc27724)&4294967295
	s_addc_u32 s15, s15, (.LBB2_26777-.Lpost_getpc27724)>>32
	s_setpc_b64 s[14:15]
.LBB2_12441:
	s_or_saveexec_b64 s[6:7], s[6:7]
	v_mov_b32_e32 v12, s10
	s_xor_b64 exec, exec, s[6:7]
	s_cbranch_execz .LBB2_12442
; %bb.48283:
	s_getpc_b64 s[14:15]
.Lpost_getpc27725:
	s_add_u32 s14, s14, (.LBB2_26780-.Lpost_getpc27725)&4294967295
	s_addc_u32 s15, s15, (.LBB2_26780-.Lpost_getpc27725)>>32
	s_setpc_b64 s[14:15]
.LBB2_12442:
	s_or_b64 exec, exec, s[6:7]
	s_and_saveexec_b64 s[6:7], s[4:5]
	s_cbranch_execz .LBB2_12444
.LBB2_12443:
	v_bfe_u32 v12, v6, 24, 3
	v_ffbh_u32_e32 v16, v12
	v_min_u32_e32 v16, 32, v16
	v_lshrrev_b32_e32 v14, 27, v6
	v_subrev_u32_e32 v17, 28, v16
	v_and_b32_e32 v13, 0x80000000, v6
	v_and_b32_e32 v14, 15, v14
	v_bfe_u32 v15, v6, 27, 4
	v_lshlrev_b32_sdwa v6, v17, v6 dst_sel:DWORD dst_unused:UNUSED_PAD src0_sel:DWORD src1_sel:BYTE_3
	v_sub_u32_e32 v16, 29, v16
	v_and_b32_e32 v6, 7, v6
	v_cmp_eq_u16_e32 vcc, 0, v14
	v_cndmask_b32_e32 v6, v12, v6, vcc
	v_cndmask_b32_e32 v12, v15, v16, vcc
	v_mov_b32_e32 v14, 0x3b800000
	v_lshlrev_b32_e32 v6, 20, v6
	v_lshl_add_u32 v12, v12, 23, v14
	v_or3_b32 v12, v13, v12, v6
.LBB2_12444:
	s_or_b64 exec, exec, s[6:7]
	s_movk_i32 s4, 0x7f
	v_cmp_gt_i16_sdwa s[6:7], v2, s4 src0_sel:BYTE_3 src1_sel:DWORD
	s_mov_b64 s[4:5], 0
                                        ; implicit-def: $sgpr10
	s_and_saveexec_b64 s[8:9], s[6:7]
	s_xor_b64 s[6:7], exec, s[8:9]
	s_cbranch_execz .LBB2_12445
; %bb.48285:
	s_getpc_b64 s[14:15]
.Lpost_getpc27726:
	s_add_u32 s14, s14, (.LBB2_26781-.Lpost_getpc27726)&4294967295
	s_addc_u32 s15, s15, (.LBB2_26781-.Lpost_getpc27726)>>32
	s_setpc_b64 s[14:15]
.LBB2_12445:
	s_or_saveexec_b64 s[6:7], s[6:7]
	v_mov_b32_e32 v6, s10
	s_xor_b64 exec, exec, s[6:7]
	s_cbranch_execz .LBB2_12446
; %bb.48287:
	s_getpc_b64 s[14:15]
.Lpost_getpc27727:
	s_add_u32 s14, s14, (.LBB2_26784-.Lpost_getpc27727)&4294967295
	s_addc_u32 s15, s15, (.LBB2_26784-.Lpost_getpc27727)>>32
	s_setpc_b64 s[14:15]
.LBB2_12446:
	s_or_b64 exec, exec, s[6:7]
	s_and_saveexec_b64 s[6:7], s[4:5]
	s_cbranch_execz .LBB2_12448
.LBB2_12447:
	v_bfe_u32 v6, v2, 24, 3
	v_ffbh_u32_e32 v16, v6
	v_min_u32_e32 v16, 32, v16
	v_lshrrev_b32_e32 v14, 27, v2
	v_subrev_u32_e32 v17, 28, v16
	v_and_b32_e32 v13, 0x80000000, v2
	v_and_b32_e32 v14, 15, v14
	v_bfe_u32 v15, v2, 27, 4
	v_lshlrev_b32_sdwa v2, v17, v2 dst_sel:DWORD dst_unused:UNUSED_PAD src0_sel:DWORD src1_sel:BYTE_3
	v_sub_u32_e32 v16, 29, v16
	v_and_b32_e32 v2, 7, v2
	v_cmp_eq_u16_e32 vcc, 0, v14
	v_cndmask_b32_e32 v2, v6, v2, vcc
	v_cndmask_b32_e32 v6, v15, v16, vcc
	v_mov_b32_e32 v14, 0x3b800000
	v_lshlrev_b32_e32 v2, 20, v2
	v_lshl_add_u32 v6, v6, 23, v14
	v_or3_b32 v6, v13, v6, v2
.LBB2_12448:
	s_or_b64 exec, exec, s[6:7]
	s_nop 0
	v_mfma_f32_16x16x4f32 a[0:3], v12, v6, a[0:3]
	s_movk_i32 s4, 0x7f
	v_cmp_gt_i16_sdwa s[6:7], v7, s4 src0_sel:BYTE_0 src1_sel:DWORD
	s_mov_b64 s[4:5], 0
                                        ; implicit-def: $sgpr10
	s_and_saveexec_b64 s[8:9], s[6:7]
	s_xor_b64 s[6:7], exec, s[8:9]
	s_cbranch_execz .LBB2_12449
; %bb.48289:
	s_getpc_b64 s[14:15]
.Lpost_getpc27728:
	s_add_u32 s14, s14, (.LBB2_26785-.Lpost_getpc27728)&4294967295
	s_addc_u32 s15, s15, (.LBB2_26785-.Lpost_getpc27728)>>32
	s_setpc_b64 s[14:15]
.LBB2_12449:
	s_or_saveexec_b64 s[6:7], s[6:7]
	v_mov_b32_e32 v2, s10
	s_xor_b64 exec, exec, s[6:7]
	s_cbranch_execz .LBB2_12450
; %bb.48291:
	s_getpc_b64 s[14:15]
.Lpost_getpc27729:
	s_add_u32 s14, s14, (.LBB2_26788-.Lpost_getpc27729)&4294967295
	s_addc_u32 s15, s15, (.LBB2_26788-.Lpost_getpc27729)>>32
	s_setpc_b64 s[14:15]
.LBB2_12450:
	s_or_b64 exec, exec, s[6:7]
	s_and_saveexec_b64 s[6:7], s[4:5]
	s_cbranch_execz .LBB2_12452
.LBB2_12451:
	v_and_b32_e32 v2, 7, v7
	v_ffbh_u32_e32 v12, v2
	v_min_u32_e32 v12, 32, v12
	v_lshrrev_b16_e32 v6, 3, v7
	v_subrev_u32_e32 v13, 28, v12
	v_and_b32_e32 v6, 15, v6
	v_lshlrev_b32_e32 v13, v13, v7
	v_sub_u32_e32 v12, 29, v12
	v_and_b32_e32 v13, 7, v13
	v_cmp_eq_u16_e32 vcc, 0, v6
	v_cndmask_b32_e32 v2, v2, v13, vcc
	v_cndmask_b32_e32 v6, v6, v12, vcc
	v_lshlrev_b32_e32 v12, 24, v7
	v_mov_b32_e32 v13, 0x3b800000
	v_lshlrev_b32_e32 v2, 20, v2
	v_and_b32_e32 v12, 0x80000000, v12
	v_lshl_add_u32 v6, v6, 23, v13
	v_or3_b32 v2, v12, v6, v2
.LBB2_12452:
	s_or_b64 exec, exec, s[6:7]
	s_movk_i32 s4, 0x7f
	v_cmp_gt_i16_sdwa s[6:7], v3, s4 src0_sel:BYTE_0 src1_sel:DWORD
	s_mov_b64 s[4:5], 0
                                        ; implicit-def: $sgpr10
	s_and_saveexec_b64 s[8:9], s[6:7]
	s_xor_b64 s[6:7], exec, s[8:9]
	s_cbranch_execz .LBB2_12453
; %bb.48293:
	s_getpc_b64 s[14:15]
.Lpost_getpc27730:
	s_add_u32 s14, s14, (.LBB2_26789-.Lpost_getpc27730)&4294967295
	s_addc_u32 s15, s15, (.LBB2_26789-.Lpost_getpc27730)>>32
	s_setpc_b64 s[14:15]
.LBB2_12453:
	s_or_saveexec_b64 s[6:7], s[6:7]
	v_mov_b32_e32 v6, s10
	s_xor_b64 exec, exec, s[6:7]
	s_cbranch_execz .LBB2_12454
; %bb.48295:
	s_getpc_b64 s[14:15]
.Lpost_getpc27731:
	s_add_u32 s14, s14, (.LBB2_26792-.Lpost_getpc27731)&4294967295
	s_addc_u32 s15, s15, (.LBB2_26792-.Lpost_getpc27731)>>32
	s_setpc_b64 s[14:15]
.LBB2_12454:
	s_or_b64 exec, exec, s[6:7]
	s_and_saveexec_b64 s[6:7], s[4:5]
	s_cbranch_execz .LBB2_12456
.LBB2_12455:
	v_and_b32_e32 v6, 7, v3
	v_ffbh_u32_e32 v13, v6
	v_min_u32_e32 v13, 32, v13
	v_lshrrev_b16_e32 v12, 3, v3
	v_subrev_u32_e32 v14, 28, v13
	v_and_b32_e32 v12, 15, v12
	v_lshlrev_b32_e32 v14, v14, v3
	v_sub_u32_e32 v13, 29, v13
	v_and_b32_e32 v14, 7, v14
	v_cmp_eq_u16_e32 vcc, 0, v12
	v_cndmask_b32_e32 v6, v6, v14, vcc
	v_cndmask_b32_e32 v12, v12, v13, vcc
	v_lshlrev_b32_e32 v13, 24, v3
	v_mov_b32_e32 v14, 0x3b800000
	v_lshlrev_b32_e32 v6, 20, v6
	v_and_b32_e32 v13, 0x80000000, v13
	v_lshl_add_u32 v12, v12, 23, v14
	v_or3_b32 v6, v13, v12, v6
.LBB2_12456:
	s_or_b64 exec, exec, s[6:7]
	s_nop 0
	v_mfma_f32_16x16x4f32 a[0:3], v2, v6, a[0:3]
	v_lshrrev_b32_e32 v6, 8, v7
	s_movk_i32 s4, 0x7f
	v_cmp_gt_i16_sdwa s[6:7], v6, s4 src0_sel:BYTE_0 src1_sel:DWORD
	s_mov_b64 s[4:5], 0
                                        ; implicit-def: $sgpr10
	s_and_saveexec_b64 s[8:9], s[6:7]
	s_xor_b64 s[6:7], exec, s[8:9]
	s_cbranch_execz .LBB2_12457
; %bb.48297:
	s_getpc_b64 s[14:15]
.Lpost_getpc27732:
	s_add_u32 s14, s14, (.LBB2_26793-.Lpost_getpc27732)&4294967295
	s_addc_u32 s15, s15, (.LBB2_26793-.Lpost_getpc27732)>>32
	s_setpc_b64 s[14:15]
.LBB2_12457:
	s_or_saveexec_b64 s[6:7], s[6:7]
	v_mov_b32_e32 v2, s10
	s_xor_b64 exec, exec, s[6:7]
	s_cbranch_execz .LBB2_12458
; %bb.48299:
	s_getpc_b64 s[14:15]
.Lpost_getpc27733:
	s_add_u32 s14, s14, (.LBB2_26796-.Lpost_getpc27733)&4294967295
	s_addc_u32 s15, s15, (.LBB2_26796-.Lpost_getpc27733)>>32
	s_setpc_b64 s[14:15]
.LBB2_12458:
	s_or_b64 exec, exec, s[6:7]
	s_and_saveexec_b64 s[6:7], s[4:5]
	s_cbranch_execz .LBB2_12460
.LBB2_12459:
	v_bfe_u32 v2, v7, 8, 3
	v_ffbh_u32_e32 v13, v2
	v_min_u32_e32 v13, 32, v13
	v_lshrrev_b16_e32 v12, 3, v6
	v_subrev_u32_e32 v14, 28, v13
	v_and_b32_e32 v12, 15, v12
	v_lshlrev_b32_e32 v6, v14, v6
	v_sub_u32_e32 v13, 29, v13
	v_and_b32_e32 v6, 7, v6
	v_cmp_eq_u16_e32 vcc, 0, v12
	v_cndmask_b32_e32 v2, v2, v6, vcc
	v_cndmask_b32_e32 v6, v12, v13, vcc
	v_lshlrev_b32_e32 v12, 16, v7
	v_mov_b32_e32 v13, 0x3b800000
	v_lshlrev_b32_e32 v2, 20, v2
	v_and_b32_e32 v12, 0x80000000, v12
	v_lshl_add_u32 v6, v6, 23, v13
	v_or3_b32 v2, v12, v6, v2
.LBB2_12460:
	s_or_b64 exec, exec, s[6:7]
	v_lshrrev_b32_e32 v6, 8, v3
	s_movk_i32 s4, 0x7f
	v_cmp_gt_i16_sdwa s[6:7], v6, s4 src0_sel:BYTE_0 src1_sel:DWORD
	s_mov_b64 s[4:5], 0
                                        ; implicit-def: $sgpr10
	s_and_saveexec_b64 s[8:9], s[6:7]
	s_xor_b64 s[6:7], exec, s[8:9]
	s_cbranch_execz .LBB2_12461
; %bb.48301:
	s_getpc_b64 s[14:15]
.Lpost_getpc27734:
	s_add_u32 s14, s14, (.LBB2_26797-.Lpost_getpc27734)&4294967295
	s_addc_u32 s15, s15, (.LBB2_26797-.Lpost_getpc27734)>>32
	s_setpc_b64 s[14:15]
.LBB2_12461:
	s_or_saveexec_b64 s[6:7], s[6:7]
	v_mov_b32_e32 v12, s10
	s_xor_b64 exec, exec, s[6:7]
	s_cbranch_execz .LBB2_12462
; %bb.48303:
	s_getpc_b64 s[14:15]
.Lpost_getpc27735:
	s_add_u32 s14, s14, (.LBB2_26800-.Lpost_getpc27735)&4294967295
	s_addc_u32 s15, s15, (.LBB2_26800-.Lpost_getpc27735)>>32
	s_setpc_b64 s[14:15]
.LBB2_12462:
	s_or_b64 exec, exec, s[6:7]
	s_and_saveexec_b64 s[6:7], s[4:5]
	s_cbranch_execz .LBB2_12464
.LBB2_12463:
	v_bfe_u32 v12, v3, 8, 3
	v_ffbh_u32_e32 v14, v12
	v_min_u32_e32 v14, 32, v14
	v_lshrrev_b16_e32 v13, 3, v6
	v_subrev_u32_e32 v15, 28, v14
	v_and_b32_e32 v13, 15, v13
	v_lshlrev_b32_e32 v6, v15, v6
	v_sub_u32_e32 v14, 29, v14
	v_and_b32_e32 v6, 7, v6
	v_cmp_eq_u16_e32 vcc, 0, v13
	v_cndmask_b32_e32 v6, v12, v6, vcc
	v_cndmask_b32_e32 v12, v13, v14, vcc
	v_lshlrev_b32_e32 v13, 16, v3
	v_mov_b32_e32 v14, 0x3b800000
	v_lshlrev_b32_e32 v6, 20, v6
	v_and_b32_e32 v13, 0x80000000, v13
	v_lshl_add_u32 v12, v12, 23, v14
	v_or3_b32 v12, v13, v12, v6
.LBB2_12464:
	s_or_b64 exec, exec, s[6:7]
	s_nop 0
	v_mfma_f32_16x16x4f32 a[0:3], v2, v12, a[0:3]
	s_movk_i32 s4, 0xff
	v_and_b32_sdwa v6, v7, s4 dst_sel:DWORD dst_unused:UNUSED_PAD src0_sel:WORD_1 src1_sel:DWORD
	s_movk_i32 s4, 0x7f
	v_cmp_lt_i16_e32 vcc, s4, v6
	s_mov_b64 s[4:5], 0
                                        ; implicit-def: $sgpr10
	s_and_saveexec_b64 s[6:7], vcc
	s_xor_b64 s[6:7], exec, s[6:7]
	s_cbranch_execz .LBB2_12465
; %bb.48305:
	s_getpc_b64 s[14:15]
.Lpost_getpc27736:
	s_add_u32 s14, s14, (.LBB2_26801-.Lpost_getpc27736)&4294967295
	s_addc_u32 s15, s15, (.LBB2_26801-.Lpost_getpc27736)>>32
	s_setpc_b64 s[14:15]
.LBB2_12465:
	s_or_saveexec_b64 s[6:7], s[6:7]
	v_mov_b32_e32 v2, s10
	s_xor_b64 exec, exec, s[6:7]
	s_cbranch_execz .LBB2_12466
; %bb.48307:
	s_getpc_b64 s[14:15]
.Lpost_getpc27737:
	s_add_u32 s14, s14, (.LBB2_26804-.Lpost_getpc27737)&4294967295
	s_addc_u32 s15, s15, (.LBB2_26804-.Lpost_getpc27737)>>32
	s_setpc_b64 s[14:15]
.LBB2_12466:
	s_or_b64 exec, exec, s[6:7]
	s_and_saveexec_b64 s[6:7], s[4:5]
	s_cbranch_execz .LBB2_12468
.LBB2_12467:
	v_bfe_u32 v2, v7, 16, 3
	v_ffbh_u32_e32 v13, v2
	v_min_u32_e32 v13, 32, v13
	v_lshrrev_b32_e32 v6, 19, v7
	v_subrev_u32_e32 v14, 28, v13
	v_and_b32_e32 v6, 15, v6
	v_lshlrev_b32_sdwa v14, v14, v7 dst_sel:DWORD dst_unused:UNUSED_PAD src0_sel:DWORD src1_sel:WORD_1
	v_bfe_u32 v12, v7, 19, 4
	v_sub_u32_e32 v13, 29, v13
	v_and_b32_e32 v14, 7, v14
	v_cmp_eq_u16_e32 vcc, 0, v6
	v_cndmask_b32_e32 v2, v2, v14, vcc
	v_cndmask_b32_e32 v6, v12, v13, vcc
	v_lshlrev_b32_e32 v12, 8, v7
	v_mov_b32_e32 v13, 0x3b800000
	v_lshlrev_b32_e32 v2, 20, v2
	v_and_b32_e32 v12, 0x80000000, v12
	v_lshl_add_u32 v6, v6, 23, v13
	v_or3_b32 v2, v12, v6, v2
.LBB2_12468:
	s_or_b64 exec, exec, s[6:7]
	s_movk_i32 s4, 0xff
	v_and_b32_sdwa v6, v3, s4 dst_sel:DWORD dst_unused:UNUSED_PAD src0_sel:WORD_1 src1_sel:DWORD
	s_movk_i32 s4, 0x7f
	v_cmp_lt_i16_e32 vcc, s4, v6
	s_mov_b64 s[4:5], 0
                                        ; implicit-def: $sgpr10
	s_and_saveexec_b64 s[6:7], vcc
	s_xor_b64 s[6:7], exec, s[6:7]
	s_cbranch_execz .LBB2_12469
; %bb.48309:
	s_getpc_b64 s[14:15]
.Lpost_getpc27738:
	s_add_u32 s14, s14, (.LBB2_26805-.Lpost_getpc27738)&4294967295
	s_addc_u32 s15, s15, (.LBB2_26805-.Lpost_getpc27738)>>32
	s_setpc_b64 s[14:15]
.LBB2_12469:
	s_or_saveexec_b64 s[6:7], s[6:7]
	v_mov_b32_e32 v12, s10
	s_xor_b64 exec, exec, s[6:7]
	s_cbranch_execz .LBB2_12470
; %bb.48311:
	s_getpc_b64 s[14:15]
.Lpost_getpc27739:
	s_add_u32 s14, s14, (.LBB2_26808-.Lpost_getpc27739)&4294967295
	s_addc_u32 s15, s15, (.LBB2_26808-.Lpost_getpc27739)>>32
	s_setpc_b64 s[14:15]
.LBB2_12470:
	s_or_b64 exec, exec, s[6:7]
	s_and_saveexec_b64 s[6:7], s[4:5]
	s_cbranch_execz .LBB2_12472
.LBB2_12471:
	v_bfe_u32 v6, v3, 16, 3
	v_ffbh_u32_e32 v14, v6
	v_min_u32_e32 v14, 32, v14
	v_lshrrev_b32_e32 v12, 19, v3
	v_subrev_u32_e32 v15, 28, v14
	v_and_b32_e32 v12, 15, v12
	v_lshlrev_b32_sdwa v15, v15, v3 dst_sel:DWORD dst_unused:UNUSED_PAD src0_sel:DWORD src1_sel:WORD_1
	v_bfe_u32 v13, v3, 19, 4
	v_sub_u32_e32 v14, 29, v14
	v_and_b32_e32 v15, 7, v15
	v_cmp_eq_u16_e32 vcc, 0, v12
	v_cndmask_b32_e32 v6, v6, v15, vcc
	v_cndmask_b32_e32 v12, v13, v14, vcc
	v_lshlrev_b32_e32 v13, 8, v3
	v_mov_b32_e32 v14, 0x3b800000
	v_lshlrev_b32_e32 v6, 20, v6
	v_and_b32_e32 v13, 0x80000000, v13
	v_lshl_add_u32 v12, v12, 23, v14
	v_or3_b32 v12, v13, v12, v6
.LBB2_12472:
	s_or_b64 exec, exec, s[6:7]
	s_nop 0
	v_mfma_f32_16x16x4f32 a[0:3], v2, v12, a[0:3]
	s_movk_i32 s4, 0x7f
	v_cmp_gt_i16_sdwa s[6:7], v7, s4 src0_sel:BYTE_3 src1_sel:DWORD
	s_mov_b64 s[4:5], 0
                                        ; implicit-def: $sgpr10
	s_and_saveexec_b64 s[8:9], s[6:7]
	s_xor_b64 s[6:7], exec, s[8:9]
	s_cbranch_execz .LBB2_12473
; %bb.48313:
	s_getpc_b64 s[14:15]
.Lpost_getpc27740:
	s_add_u32 s14, s14, (.LBB2_26809-.Lpost_getpc27740)&4294967295
	s_addc_u32 s15, s15, (.LBB2_26809-.Lpost_getpc27740)>>32
	s_setpc_b64 s[14:15]
.LBB2_12473:
	s_or_saveexec_b64 s[6:7], s[6:7]
	v_mov_b32_e32 v2, s10
	s_xor_b64 exec, exec, s[6:7]
	s_cbranch_execz .LBB2_12474
; %bb.48315:
	s_getpc_b64 s[14:15]
.Lpost_getpc27741:
	s_add_u32 s14, s14, (.LBB2_26812-.Lpost_getpc27741)&4294967295
	s_addc_u32 s15, s15, (.LBB2_26812-.Lpost_getpc27741)>>32
	s_setpc_b64 s[14:15]
.LBB2_12474:
	s_or_b64 exec, exec, s[6:7]
	s_and_saveexec_b64 s[6:7], s[4:5]
	s_cbranch_execz .LBB2_12476
.LBB2_12475:
	v_bfe_u32 v2, v7, 24, 3
	v_ffbh_u32_e32 v14, v2
	v_min_u32_e32 v14, 32, v14
	v_lshrrev_b32_e32 v12, 27, v7
	v_subrev_u32_e32 v15, 28, v14
	v_and_b32_e32 v6, 0x80000000, v7
	v_and_b32_e32 v12, 15, v12
	v_bfe_u32 v13, v7, 27, 4
	v_lshlrev_b32_sdwa v7, v15, v7 dst_sel:DWORD dst_unused:UNUSED_PAD src0_sel:DWORD src1_sel:BYTE_3
	v_sub_u32_e32 v14, 29, v14
	v_and_b32_e32 v7, 7, v7
	v_cmp_eq_u16_e32 vcc, 0, v12
	v_cndmask_b32_e32 v2, v2, v7, vcc
	v_cndmask_b32_e32 v7, v13, v14, vcc
	v_mov_b32_e32 v12, 0x3b800000
	v_lshlrev_b32_e32 v2, 20, v2
	v_lshl_add_u32 v7, v7, 23, v12
	v_or3_b32 v2, v6, v7, v2
.LBB2_12476:
	s_or_b64 exec, exec, s[6:7]
	s_movk_i32 s4, 0x7f
	v_cmp_gt_i16_sdwa s[6:7], v3, s4 src0_sel:BYTE_3 src1_sel:DWORD
	s_mov_b64 s[4:5], 0
                                        ; implicit-def: $sgpr10
	s_and_saveexec_b64 s[8:9], s[6:7]
	s_xor_b64 s[6:7], exec, s[8:9]
	s_cbranch_execz .LBB2_12477
; %bb.48317:
	s_getpc_b64 s[14:15]
.Lpost_getpc27742:
	s_add_u32 s14, s14, (.LBB2_26813-.Lpost_getpc27742)&4294967295
	s_addc_u32 s15, s15, (.LBB2_26813-.Lpost_getpc27742)>>32
	s_setpc_b64 s[14:15]
.LBB2_12477:
	s_or_saveexec_b64 s[6:7], s[6:7]
	v_mov_b32_e32 v6, s10
	s_xor_b64 exec, exec, s[6:7]
	s_cbranch_execz .LBB2_12478
; %bb.48319:
	s_getpc_b64 s[14:15]
.Lpost_getpc27743:
	s_add_u32 s14, s14, (.LBB2_26816-.Lpost_getpc27743)&4294967295
	s_addc_u32 s15, s15, (.LBB2_26816-.Lpost_getpc27743)>>32
	s_setpc_b64 s[14:15]
.LBB2_12478:
	s_or_b64 exec, exec, s[6:7]
	s_and_saveexec_b64 s[6:7], s[4:5]
	s_cbranch_execz .LBB2_12480
.LBB2_12479:
	v_bfe_u32 v6, v3, 24, 3
	v_ffbh_u32_e32 v14, v6
	v_min_u32_e32 v14, 32, v14
	v_lshrrev_b32_e32 v12, 27, v3
	v_subrev_u32_e32 v15, 28, v14
	v_and_b32_e32 v7, 0x80000000, v3
	v_and_b32_e32 v12, 15, v12
	v_bfe_u32 v13, v3, 27, 4
	v_lshlrev_b32_sdwa v3, v15, v3 dst_sel:DWORD dst_unused:UNUSED_PAD src0_sel:DWORD src1_sel:BYTE_3
	v_sub_u32_e32 v14, 29, v14
	v_and_b32_e32 v3, 7, v3
	v_cmp_eq_u16_e32 vcc, 0, v12
	v_cndmask_b32_e32 v3, v6, v3, vcc
	v_cndmask_b32_e32 v6, v13, v14, vcc
	v_mov_b32_e32 v12, 0x3b800000
	v_lshlrev_b32_e32 v3, 20, v3
	v_lshl_add_u32 v6, v6, 23, v12
	v_or3_b32 v6, v7, v6, v3
.LBB2_12480:
	s_or_b64 exec, exec, s[6:7]
	s_nop 0
	v_mfma_f32_16x16x4f32 a[0:3], v2, v6, a[0:3]
	s_movk_i32 s4, 0x7f
	v_cmp_gt_i16_sdwa s[6:7], v8, s4 src0_sel:BYTE_0 src1_sel:DWORD
	s_mov_b64 s[4:5], 0
                                        ; implicit-def: $sgpr10
	s_and_saveexec_b64 s[8:9], s[6:7]
	s_xor_b64 s[6:7], exec, s[8:9]
	s_cbranch_execz .LBB2_12481
; %bb.48321:
	s_getpc_b64 s[14:15]
.Lpost_getpc27744:
	s_add_u32 s14, s14, (.LBB2_26817-.Lpost_getpc27744)&4294967295
	s_addc_u32 s15, s15, (.LBB2_26817-.Lpost_getpc27744)>>32
	s_setpc_b64 s[14:15]
.LBB2_12481:
	s_or_saveexec_b64 s[6:7], s[6:7]
	v_mov_b32_e32 v2, s10
	s_xor_b64 exec, exec, s[6:7]
	s_cbranch_execz .LBB2_12482
; %bb.48323:
	s_getpc_b64 s[14:15]
.Lpost_getpc27745:
	s_add_u32 s14, s14, (.LBB2_26820-.Lpost_getpc27745)&4294967295
	s_addc_u32 s15, s15, (.LBB2_26820-.Lpost_getpc27745)>>32
	s_setpc_b64 s[14:15]
.LBB2_12482:
	s_or_b64 exec, exec, s[6:7]
	s_and_saveexec_b64 s[6:7], s[4:5]
	s_cbranch_execz .LBB2_12484
.LBB2_12483:
	v_and_b32_e32 v2, 7, v8
	v_ffbh_u32_e32 v6, v2
	v_min_u32_e32 v6, 32, v6
	v_lshrrev_b16_e32 v3, 3, v8
	v_subrev_u32_e32 v7, 28, v6
	v_and_b32_e32 v3, 15, v3
	v_lshlrev_b32_e32 v7, v7, v8
	v_sub_u32_e32 v6, 29, v6
	v_and_b32_e32 v7, 7, v7
	v_cmp_eq_u16_e32 vcc, 0, v3
	v_cndmask_b32_e32 v2, v2, v7, vcc
	v_cndmask_b32_e32 v3, v3, v6, vcc
	v_lshlrev_b32_e32 v6, 24, v8
	v_mov_b32_e32 v7, 0x3b800000
	v_lshlrev_b32_e32 v2, 20, v2
	v_and_b32_e32 v6, 0x80000000, v6
	v_lshl_add_u32 v3, v3, 23, v7
	v_or3_b32 v2, v6, v3, v2
.LBB2_12484:
	s_or_b64 exec, exec, s[6:7]
	s_movk_i32 s4, 0x7f
	v_cmp_gt_i16_sdwa s[6:7], v4, s4 src0_sel:BYTE_0 src1_sel:DWORD
	s_mov_b64 s[4:5], 0
                                        ; implicit-def: $sgpr10
	s_and_saveexec_b64 s[8:9], s[6:7]
	s_xor_b64 s[6:7], exec, s[8:9]
	s_cbranch_execz .LBB2_12485
; %bb.48325:
	s_getpc_b64 s[14:15]
.Lpost_getpc27746:
	s_add_u32 s14, s14, (.LBB2_26821-.Lpost_getpc27746)&4294967295
	s_addc_u32 s15, s15, (.LBB2_26821-.Lpost_getpc27746)>>32
	s_setpc_b64 s[14:15]
.LBB2_12485:
	s_or_saveexec_b64 s[6:7], s[6:7]
	v_mov_b32_e32 v3, s10
	s_xor_b64 exec, exec, s[6:7]
	s_cbranch_execz .LBB2_12486
; %bb.48327:
	s_getpc_b64 s[14:15]
.Lpost_getpc27747:
	s_add_u32 s14, s14, (.LBB2_26824-.Lpost_getpc27747)&4294967295
	s_addc_u32 s15, s15, (.LBB2_26824-.Lpost_getpc27747)>>32
	s_setpc_b64 s[14:15]
.LBB2_12486:
	s_or_b64 exec, exec, s[6:7]
	s_and_saveexec_b64 s[6:7], s[4:5]
	s_cbranch_execz .LBB2_12488
.LBB2_12487:
	v_and_b32_e32 v3, 7, v4
	v_ffbh_u32_e32 v7, v3
	v_min_u32_e32 v7, 32, v7
	v_lshrrev_b16_e32 v6, 3, v4
	v_subrev_u32_e32 v12, 28, v7
	v_and_b32_e32 v6, 15, v6
	v_lshlrev_b32_e32 v12, v12, v4
	v_sub_u32_e32 v7, 29, v7
	v_and_b32_e32 v12, 7, v12
	v_cmp_eq_u16_e32 vcc, 0, v6
	v_cndmask_b32_e32 v3, v3, v12, vcc
	v_cndmask_b32_e32 v6, v6, v7, vcc
	v_lshlrev_b32_e32 v7, 24, v4
	v_mov_b32_e32 v12, 0x3b800000
	v_lshlrev_b32_e32 v3, 20, v3
	v_and_b32_e32 v7, 0x80000000, v7
	v_lshl_add_u32 v6, v6, 23, v12
	v_or3_b32 v3, v7, v6, v3
.LBB2_12488:
	s_or_b64 exec, exec, s[6:7]
	s_nop 0
	v_mfma_f32_16x16x4f32 a[0:3], v2, v3, a[0:3]
	v_lshrrev_b32_e32 v3, 8, v8
	s_movk_i32 s4, 0x7f
	v_cmp_gt_i16_sdwa s[6:7], v3, s4 src0_sel:BYTE_0 src1_sel:DWORD
	s_mov_b64 s[4:5], 0
                                        ; implicit-def: $sgpr10
	s_and_saveexec_b64 s[8:9], s[6:7]
	s_xor_b64 s[6:7], exec, s[8:9]
	s_cbranch_execz .LBB2_12489
; %bb.48329:
	s_getpc_b64 s[14:15]
.Lpost_getpc27748:
	s_add_u32 s14, s14, (.LBB2_26825-.Lpost_getpc27748)&4294967295
	s_addc_u32 s15, s15, (.LBB2_26825-.Lpost_getpc27748)>>32
	s_setpc_b64 s[14:15]
.LBB2_12489:
	s_or_saveexec_b64 s[6:7], s[6:7]
	v_mov_b32_e32 v2, s10
	s_xor_b64 exec, exec, s[6:7]
	s_cbranch_execz .LBB2_12490
; %bb.48331:
	s_getpc_b64 s[14:15]
.Lpost_getpc27749:
	s_add_u32 s14, s14, (.LBB2_26828-.Lpost_getpc27749)&4294967295
	s_addc_u32 s15, s15, (.LBB2_26828-.Lpost_getpc27749)>>32
	s_setpc_b64 s[14:15]
.LBB2_12490:
	s_or_b64 exec, exec, s[6:7]
	s_and_saveexec_b64 s[6:7], s[4:5]
	s_cbranch_execz .LBB2_12492
.LBB2_12491:
	v_bfe_u32 v2, v8, 8, 3
	v_ffbh_u32_e32 v7, v2
	v_min_u32_e32 v7, 32, v7
	v_lshrrev_b16_e32 v6, 3, v3
	v_subrev_u32_e32 v12, 28, v7
	v_and_b32_e32 v6, 15, v6
	v_lshlrev_b32_e32 v3, v12, v3
	v_sub_u32_e32 v7, 29, v7
	v_and_b32_e32 v3, 7, v3
	v_cmp_eq_u16_e32 vcc, 0, v6
	v_cndmask_b32_e32 v2, v2, v3, vcc
	v_cndmask_b32_e32 v3, v6, v7, vcc
	v_lshlrev_b32_e32 v6, 16, v8
	v_mov_b32_e32 v7, 0x3b800000
	v_lshlrev_b32_e32 v2, 20, v2
	v_and_b32_e32 v6, 0x80000000, v6
	v_lshl_add_u32 v3, v3, 23, v7
	v_or3_b32 v2, v6, v3, v2
.LBB2_12492:
	s_or_b64 exec, exec, s[6:7]
	v_lshrrev_b32_e32 v3, 8, v4
	s_movk_i32 s4, 0x7f
	v_cmp_gt_i16_sdwa s[6:7], v3, s4 src0_sel:BYTE_0 src1_sel:DWORD
	s_mov_b64 s[4:5], 0
                                        ; implicit-def: $sgpr10
	s_and_saveexec_b64 s[8:9], s[6:7]
	s_xor_b64 s[6:7], exec, s[8:9]
	s_cbranch_execz .LBB2_12493
; %bb.48333:
	s_getpc_b64 s[14:15]
.Lpost_getpc27750:
	s_add_u32 s14, s14, (.LBB2_26829-.Lpost_getpc27750)&4294967295
	s_addc_u32 s15, s15, (.LBB2_26829-.Lpost_getpc27750)>>32
	s_setpc_b64 s[14:15]
.LBB2_12493:
	s_or_saveexec_b64 s[6:7], s[6:7]
	v_mov_b32_e32 v6, s10
	s_xor_b64 exec, exec, s[6:7]
	s_cbranch_execz .LBB2_12494
; %bb.48335:
	s_getpc_b64 s[14:15]
.Lpost_getpc27751:
	s_add_u32 s14, s14, (.LBB2_26832-.Lpost_getpc27751)&4294967295
	s_addc_u32 s15, s15, (.LBB2_26832-.Lpost_getpc27751)>>32
	s_setpc_b64 s[14:15]
.LBB2_12494:
	s_or_b64 exec, exec, s[6:7]
	s_and_saveexec_b64 s[6:7], s[4:5]
	s_cbranch_execz .LBB2_12496
.LBB2_12495:
	v_bfe_u32 v6, v4, 8, 3
	v_ffbh_u32_e32 v12, v6
	v_min_u32_e32 v12, 32, v12
	v_lshrrev_b16_e32 v7, 3, v3
	v_subrev_u32_e32 v13, 28, v12
	v_and_b32_e32 v7, 15, v7
	v_lshlrev_b32_e32 v3, v13, v3
	v_sub_u32_e32 v12, 29, v12
	v_and_b32_e32 v3, 7, v3
	v_cmp_eq_u16_e32 vcc, 0, v7
	v_cndmask_b32_e32 v3, v6, v3, vcc
	v_cndmask_b32_e32 v6, v7, v12, vcc
	v_lshlrev_b32_e32 v7, 16, v4
	v_mov_b32_e32 v12, 0x3b800000
	v_lshlrev_b32_e32 v3, 20, v3
	v_and_b32_e32 v7, 0x80000000, v7
	v_lshl_add_u32 v6, v6, 23, v12
	v_or3_b32 v6, v7, v6, v3
.LBB2_12496:
	s_or_b64 exec, exec, s[6:7]
	s_nop 0
	v_mfma_f32_16x16x4f32 a[0:3], v2, v6, a[0:3]
	s_movk_i32 s4, 0xff
	v_and_b32_sdwa v3, v8, s4 dst_sel:DWORD dst_unused:UNUSED_PAD src0_sel:WORD_1 src1_sel:DWORD
	s_movk_i32 s4, 0x7f
	v_cmp_lt_i16_e32 vcc, s4, v3
	s_mov_b64 s[4:5], 0
                                        ; implicit-def: $sgpr10
	s_and_saveexec_b64 s[6:7], vcc
	s_xor_b64 s[6:7], exec, s[6:7]
	s_cbranch_execz .LBB2_12497
; %bb.48337:
	s_getpc_b64 s[14:15]
.Lpost_getpc27752:
	s_add_u32 s14, s14, (.LBB2_26833-.Lpost_getpc27752)&4294967295
	s_addc_u32 s15, s15, (.LBB2_26833-.Lpost_getpc27752)>>32
	s_setpc_b64 s[14:15]
.LBB2_12497:
	s_or_saveexec_b64 s[6:7], s[6:7]
	v_mov_b32_e32 v2, s10
	s_xor_b64 exec, exec, s[6:7]
	s_cbranch_execz .LBB2_12498
; %bb.48339:
	s_getpc_b64 s[14:15]
.Lpost_getpc27753:
	s_add_u32 s14, s14, (.LBB2_26836-.Lpost_getpc27753)&4294967295
	s_addc_u32 s15, s15, (.LBB2_26836-.Lpost_getpc27753)>>32
	s_setpc_b64 s[14:15]
.LBB2_12498:
	s_or_b64 exec, exec, s[6:7]
	s_and_saveexec_b64 s[6:7], s[4:5]
	s_cbranch_execz .LBB2_12500
.LBB2_12499:
	v_bfe_u32 v2, v8, 16, 3
	v_ffbh_u32_e32 v7, v2
	v_min_u32_e32 v7, 32, v7
	v_lshrrev_b32_e32 v3, 19, v8
	v_subrev_u32_e32 v12, 28, v7
	v_and_b32_e32 v3, 15, v3
	v_lshlrev_b32_sdwa v12, v12, v8 dst_sel:DWORD dst_unused:UNUSED_PAD src0_sel:DWORD src1_sel:WORD_1
	v_bfe_u32 v6, v8, 19, 4
	v_sub_u32_e32 v7, 29, v7
	v_and_b32_e32 v12, 7, v12
	v_cmp_eq_u16_e32 vcc, 0, v3
	v_cndmask_b32_e32 v2, v2, v12, vcc
	v_cndmask_b32_e32 v3, v6, v7, vcc
	v_lshlrev_b32_e32 v6, 8, v8
	v_mov_b32_e32 v7, 0x3b800000
	v_lshlrev_b32_e32 v2, 20, v2
	v_and_b32_e32 v6, 0x80000000, v6
	v_lshl_add_u32 v3, v3, 23, v7
	v_or3_b32 v2, v6, v3, v2
.LBB2_12500:
	s_or_b64 exec, exec, s[6:7]
	s_movk_i32 s4, 0xff
	v_and_b32_sdwa v3, v4, s4 dst_sel:DWORD dst_unused:UNUSED_PAD src0_sel:WORD_1 src1_sel:DWORD
	s_movk_i32 s4, 0x7f
	v_cmp_lt_i16_e32 vcc, s4, v3
	s_mov_b64 s[4:5], 0
                                        ; implicit-def: $sgpr10
	s_and_saveexec_b64 s[6:7], vcc
	s_xor_b64 s[6:7], exec, s[6:7]
	s_cbranch_execz .LBB2_12501
; %bb.48341:
	s_getpc_b64 s[14:15]
.Lpost_getpc27754:
	s_add_u32 s14, s14, (.LBB2_26837-.Lpost_getpc27754)&4294967295
	s_addc_u32 s15, s15, (.LBB2_26837-.Lpost_getpc27754)>>32
	s_setpc_b64 s[14:15]
.LBB2_12501:
	s_or_saveexec_b64 s[6:7], s[6:7]
	v_mov_b32_e32 v6, s10
	s_xor_b64 exec, exec, s[6:7]
	s_cbranch_execz .LBB2_12502
; %bb.48343:
	s_getpc_b64 s[14:15]
.Lpost_getpc27755:
	s_add_u32 s14, s14, (.LBB2_26840-.Lpost_getpc27755)&4294967295
	s_addc_u32 s15, s15, (.LBB2_26840-.Lpost_getpc27755)>>32
	s_setpc_b64 s[14:15]
.LBB2_12502:
	s_or_b64 exec, exec, s[6:7]
	s_and_saveexec_b64 s[6:7], s[4:5]
	s_cbranch_execz .LBB2_12504
.LBB2_12503:
	v_bfe_u32 v3, v4, 16, 3
	v_ffbh_u32_e32 v12, v3
	v_min_u32_e32 v12, 32, v12
	v_lshrrev_b32_e32 v6, 19, v4
	v_subrev_u32_e32 v13, 28, v12
	v_and_b32_e32 v6, 15, v6
	v_lshlrev_b32_sdwa v13, v13, v4 dst_sel:DWORD dst_unused:UNUSED_PAD src0_sel:DWORD src1_sel:WORD_1
	v_bfe_u32 v7, v4, 19, 4
	v_sub_u32_e32 v12, 29, v12
	v_and_b32_e32 v13, 7, v13
	v_cmp_eq_u16_e32 vcc, 0, v6
	v_cndmask_b32_e32 v3, v3, v13, vcc
	v_cndmask_b32_e32 v6, v7, v12, vcc
	v_lshlrev_b32_e32 v7, 8, v4
	v_mov_b32_e32 v12, 0x3b800000
	v_lshlrev_b32_e32 v3, 20, v3
	v_and_b32_e32 v7, 0x80000000, v7
	v_lshl_add_u32 v6, v6, 23, v12
	v_or3_b32 v6, v7, v6, v3
.LBB2_12504:
	s_or_b64 exec, exec, s[6:7]
	s_nop 0
	v_mfma_f32_16x16x4f32 a[0:3], v2, v6, a[0:3]
	s_movk_i32 s4, 0x7f
	v_cmp_gt_i16_sdwa s[6:7], v8, s4 src0_sel:BYTE_3 src1_sel:DWORD
	s_mov_b64 s[4:5], 0
                                        ; implicit-def: $sgpr10
	s_and_saveexec_b64 s[8:9], s[6:7]
	s_xor_b64 s[6:7], exec, s[8:9]
	s_cbranch_execz .LBB2_12505
; %bb.48345:
	s_getpc_b64 s[14:15]
.Lpost_getpc27756:
	s_add_u32 s14, s14, (.LBB2_26841-.Lpost_getpc27756)&4294967295
	s_addc_u32 s15, s15, (.LBB2_26841-.Lpost_getpc27756)>>32
	s_setpc_b64 s[14:15]
.LBB2_12505:
	s_or_saveexec_b64 s[6:7], s[6:7]
	v_mov_b32_e32 v2, s10
	s_xor_b64 exec, exec, s[6:7]
	s_cbranch_execz .LBB2_12506
; %bb.48347:
	s_getpc_b64 s[14:15]
.Lpost_getpc27757:
	s_add_u32 s14, s14, (.LBB2_26844-.Lpost_getpc27757)&4294967295
	s_addc_u32 s15, s15, (.LBB2_26844-.Lpost_getpc27757)>>32
	s_setpc_b64 s[14:15]
.LBB2_12506:
	s_or_b64 exec, exec, s[6:7]
	s_and_saveexec_b64 s[6:7], s[4:5]
	s_cbranch_execz .LBB2_12508
.LBB2_12507:
	v_bfe_u32 v2, v8, 24, 3
	v_ffbh_u32_e32 v12, v2
	v_min_u32_e32 v12, 32, v12
	v_lshrrev_b32_e32 v6, 27, v8
	v_subrev_u32_e32 v13, 28, v12
	v_and_b32_e32 v3, 0x80000000, v8
	v_and_b32_e32 v6, 15, v6
	v_bfe_u32 v7, v8, 27, 4
	v_lshlrev_b32_sdwa v8, v13, v8 dst_sel:DWORD dst_unused:UNUSED_PAD src0_sel:DWORD src1_sel:BYTE_3
	v_sub_u32_e32 v12, 29, v12
	v_and_b32_e32 v8, 7, v8
	v_cmp_eq_u16_e32 vcc, 0, v6
	v_cndmask_b32_e32 v2, v2, v8, vcc
	v_cndmask_b32_e32 v6, v7, v12, vcc
	v_mov_b32_e32 v7, 0x3b800000
	v_lshlrev_b32_e32 v2, 20, v2
	v_lshl_add_u32 v6, v6, 23, v7
	v_or3_b32 v2, v3, v6, v2
.LBB2_12508:
	s_or_b64 exec, exec, s[6:7]
	s_movk_i32 s4, 0x7f
	v_cmp_gt_i16_sdwa s[6:7], v4, s4 src0_sel:BYTE_3 src1_sel:DWORD
	s_mov_b64 s[4:5], 0
                                        ; implicit-def: $sgpr10
	s_and_saveexec_b64 s[8:9], s[6:7]
	s_xor_b64 s[6:7], exec, s[8:9]
	s_cbranch_execz .LBB2_12509
; %bb.48349:
	s_getpc_b64 s[14:15]
.Lpost_getpc27758:
	s_add_u32 s14, s14, (.LBB2_26845-.Lpost_getpc27758)&4294967295
	s_addc_u32 s15, s15, (.LBB2_26845-.Lpost_getpc27758)>>32
	s_setpc_b64 s[14:15]
.LBB2_12509:
	s_or_saveexec_b64 s[6:7], s[6:7]
	v_mov_b32_e32 v3, s10
	s_xor_b64 exec, exec, s[6:7]
	s_cbranch_execz .LBB2_12510
; %bb.48351:
	s_getpc_b64 s[14:15]
.Lpost_getpc27759:
	s_add_u32 s14, s14, (.LBB2_26848-.Lpost_getpc27759)&4294967295
	s_addc_u32 s15, s15, (.LBB2_26848-.Lpost_getpc27759)>>32
	s_setpc_b64 s[14:15]
.LBB2_12510:
	s_or_b64 exec, exec, s[6:7]
	s_and_saveexec_b64 s[6:7], s[4:5]
	s_cbranch_execz .LBB2_12512
.LBB2_12511:
	v_bfe_u32 v3, v4, 24, 3
	v_ffbh_u32_e32 v12, v3
	v_min_u32_e32 v12, 32, v12
	v_lshrrev_b32_e32 v7, 27, v4
	v_subrev_u32_e32 v13, 28, v12
	v_and_b32_e32 v6, 0x80000000, v4
	v_and_b32_e32 v7, 15, v7
	v_bfe_u32 v8, v4, 27, 4
	v_lshlrev_b32_sdwa v4, v13, v4 dst_sel:DWORD dst_unused:UNUSED_PAD src0_sel:DWORD src1_sel:BYTE_3
	v_sub_u32_e32 v12, 29, v12
	v_and_b32_e32 v4, 7, v4
	v_cmp_eq_u16_e32 vcc, 0, v7
	v_cndmask_b32_e32 v3, v3, v4, vcc
	v_cndmask_b32_e32 v4, v8, v12, vcc
	v_mov_b32_e32 v7, 0x3b800000
	v_lshlrev_b32_e32 v3, 20, v3
	v_lshl_add_u32 v4, v4, 23, v7
	v_or3_b32 v3, v6, v4, v3
.LBB2_12512:
	s_or_b64 exec, exec, s[6:7]
	s_nop 0
	v_mfma_f32_16x16x4f32 a[0:3], v2, v3, a[0:3]
	s_movk_i32 s4, 0x7f
	v_cmp_gt_i16_sdwa s[6:7], v9, s4 src0_sel:BYTE_0 src1_sel:DWORD
	s_mov_b64 s[4:5], 0
                                        ; implicit-def: $sgpr10
	s_and_saveexec_b64 s[8:9], s[6:7]
	s_xor_b64 s[6:7], exec, s[8:9]
	s_cbranch_execz .LBB2_12513
; %bb.48353:
	s_getpc_b64 s[14:15]
.Lpost_getpc27760:
	s_add_u32 s14, s14, (.LBB2_26849-.Lpost_getpc27760)&4294967295
	s_addc_u32 s15, s15, (.LBB2_26849-.Lpost_getpc27760)>>32
	s_setpc_b64 s[14:15]
.LBB2_12513:
	s_or_saveexec_b64 s[6:7], s[6:7]
	v_mov_b32_e32 v2, s10
	s_xor_b64 exec, exec, s[6:7]
	s_cbranch_execz .LBB2_12514
; %bb.48355:
	s_getpc_b64 s[14:15]
.Lpost_getpc27761:
	s_add_u32 s14, s14, (.LBB2_26852-.Lpost_getpc27761)&4294967295
	s_addc_u32 s15, s15, (.LBB2_26852-.Lpost_getpc27761)>>32
	s_setpc_b64 s[14:15]
.LBB2_12514:
	s_or_b64 exec, exec, s[6:7]
	s_and_saveexec_b64 s[6:7], s[4:5]
	s_cbranch_execz .LBB2_12516
.LBB2_12515:
	v_mov_b32_e32 v2, 8
	v_and_b32_e32 v3, 7, v9
	v_lshrrev_b32_sdwa v2, v2, v9 dst_sel:BYTE_1 dst_unused:UNUSED_PAD src0_sel:DWORD src1_sel:DWORD
	v_ffbh_u32_e32 v4, v3
	v_or_b32_sdwa v2, v9, v2 dst_sel:DWORD dst_unused:UNUSED_PAD src0_sel:BYTE_0 src1_sel:DWORD
	v_min_u32_e32 v4, 32, v4
	v_lshrrev_b16_e32 v2, 3, v2
	v_subrev_u32_e32 v6, 28, v4
	v_and_b32_e32 v2, 15, v2
	v_lshlrev_b32_e32 v6, v6, v9
	v_sub_u32_e32 v4, 29, v4
	v_and_b32_e32 v6, 7, v6
	v_cmp_eq_u16_e32 vcc, 0, v2
	v_cndmask_b32_e32 v3, v3, v6, vcc
	v_cndmask_b32_e32 v2, v2, v4, vcc
	v_lshlrev_b32_e32 v4, 24, v9
	v_mov_b32_e32 v6, 0x3b800000
	v_lshlrev_b32_e32 v3, 20, v3
	v_and_b32_e32 v4, 0x80000000, v4
	v_lshl_add_u32 v2, v2, 23, v6
	v_or3_b32 v2, v4, v2, v3
.LBB2_12516:
	s_or_b64 exec, exec, s[6:7]
	s_movk_i32 s4, 0x7f
	v_cmp_gt_i16_sdwa s[6:7], v5, s4 src0_sel:BYTE_0 src1_sel:DWORD
	s_mov_b64 s[4:5], 0
                                        ; implicit-def: $sgpr10
	s_and_saveexec_b64 s[8:9], s[6:7]
	s_xor_b64 s[6:7], exec, s[8:9]
	s_cbranch_execz .LBB2_12517
; %bb.48357:
	s_getpc_b64 s[14:15]
.Lpost_getpc27762:
	s_add_u32 s14, s14, (.LBB2_26853-.Lpost_getpc27762)&4294967295
	s_addc_u32 s15, s15, (.LBB2_26853-.Lpost_getpc27762)>>32
	s_setpc_b64 s[14:15]
.LBB2_12517:
	s_or_saveexec_b64 s[6:7], s[6:7]
	v_mov_b32_e32 v3, s10
	s_xor_b64 exec, exec, s[6:7]
	s_cbranch_execz .LBB2_12518
; %bb.48359:
	s_getpc_b64 s[14:15]
.Lpost_getpc27763:
	s_add_u32 s14, s14, (.LBB2_26856-.Lpost_getpc27763)&4294967295
	s_addc_u32 s15, s15, (.LBB2_26856-.Lpost_getpc27763)>>32
	s_setpc_b64 s[14:15]
.LBB2_12518:
	s_or_b64 exec, exec, s[6:7]
	s_and_saveexec_b64 s[6:7], s[4:5]
	s_cbranch_execz .LBB2_12520
.LBB2_12519:
	v_mov_b32_e32 v3, 8
	v_and_b32_e32 v4, 7, v5
	v_lshrrev_b32_sdwa v3, v3, v5 dst_sel:BYTE_1 dst_unused:UNUSED_PAD src0_sel:DWORD src1_sel:DWORD
	v_ffbh_u32_e32 v6, v4
	v_or_b32_sdwa v3, v5, v3 dst_sel:DWORD dst_unused:UNUSED_PAD src0_sel:BYTE_0 src1_sel:DWORD
	v_min_u32_e32 v6, 32, v6
	v_lshrrev_b16_e32 v3, 3, v3
	v_subrev_u32_e32 v7, 28, v6
	v_and_b32_e32 v3, 15, v3
	v_lshlrev_b32_e32 v7, v7, v5
	v_sub_u32_e32 v6, 29, v6
	v_and_b32_e32 v7, 7, v7
	v_cmp_eq_u16_e32 vcc, 0, v3
	v_cndmask_b32_e32 v4, v4, v7, vcc
	v_cndmask_b32_e32 v3, v3, v6, vcc
	v_lshlrev_b32_e32 v6, 24, v5
	v_mov_b32_e32 v7, 0x3b800000
	v_lshlrev_b32_e32 v4, 20, v4
	v_and_b32_e32 v6, 0x80000000, v6
	v_lshl_add_u32 v3, v3, 23, v7
	v_or3_b32 v3, v6, v3, v4
.LBB2_12520:
	s_or_b64 exec, exec, s[6:7]
	s_nop 0
	v_mfma_f32_16x16x4f32 a[0:3], v2, v3, a[0:3]
	v_lshrrev_b32_e32 v3, 8, v9
	s_movk_i32 s4, 0x7f
	v_cmp_gt_i16_sdwa s[6:7], v3, s4 src0_sel:BYTE_0 src1_sel:DWORD
	s_mov_b64 s[4:5], 0
                                        ; implicit-def: $sgpr10
	s_and_saveexec_b64 s[8:9], s[6:7]
	s_xor_b64 s[6:7], exec, s[8:9]
	s_cbranch_execz .LBB2_12521
; %bb.48361:
	s_getpc_b64 s[14:15]
.Lpost_getpc27764:
	s_add_u32 s14, s14, (.LBB2_26857-.Lpost_getpc27764)&4294967295
	s_addc_u32 s15, s15, (.LBB2_26857-.Lpost_getpc27764)>>32
	s_setpc_b64 s[14:15]
.LBB2_12521:
	s_or_saveexec_b64 s[6:7], s[6:7]
	v_mov_b32_e32 v2, s10
	s_xor_b64 exec, exec, s[6:7]
	s_cbranch_execz .LBB2_12522
; %bb.48363:
	s_getpc_b64 s[14:15]
.Lpost_getpc27765:
	s_add_u32 s14, s14, (.LBB2_26860-.Lpost_getpc27765)&4294967295
	s_addc_u32 s15, s15, (.LBB2_26860-.Lpost_getpc27765)>>32
	s_setpc_b64 s[14:15]
.LBB2_12522:
	s_or_b64 exec, exec, s[6:7]
	s_and_saveexec_b64 s[6:7], s[4:5]
	s_cbranch_execz .LBB2_12524
.LBB2_12523:
	v_bfe_u32 v2, v9, 8, 3
	v_ffbh_u32_e32 v6, v2
	v_min_u32_e32 v6, 32, v6
	v_lshrrev_b16_e32 v4, 3, v3
	v_subrev_u32_e32 v7, 28, v6
	v_and_b32_e32 v4, 15, v4
	v_lshlrev_b32_e32 v3, v7, v3
	v_sub_u32_e32 v6, 29, v6
	v_and_b32_e32 v3, 7, v3
	v_cmp_eq_u16_e32 vcc, 0, v4
	v_cndmask_b32_e32 v2, v2, v3, vcc
	v_cndmask_b32_e32 v3, v4, v6, vcc
	v_lshlrev_b32_e32 v4, 16, v9
	v_mov_b32_e32 v6, 0x3b800000
	v_lshlrev_b32_e32 v2, 20, v2
	v_and_b32_e32 v4, 0x80000000, v4
	v_lshl_add_u32 v3, v3, 23, v6
	v_or3_b32 v2, v4, v3, v2
.LBB2_12524:
	s_or_b64 exec, exec, s[6:7]
	v_lshrrev_b32_e32 v3, 8, v5
	s_movk_i32 s4, 0x7f
	v_cmp_gt_i16_sdwa s[6:7], v3, s4 src0_sel:BYTE_0 src1_sel:DWORD
	s_mov_b64 s[4:5], 0
                                        ; implicit-def: $sgpr10
	s_and_saveexec_b64 s[8:9], s[6:7]
	s_xor_b64 s[6:7], exec, s[8:9]
	s_cbranch_execz .LBB2_12525
; %bb.48365:
	s_getpc_b64 s[14:15]
.Lpost_getpc27766:
	s_add_u32 s14, s14, (.LBB2_26861-.Lpost_getpc27766)&4294967295
	s_addc_u32 s15, s15, (.LBB2_26861-.Lpost_getpc27766)>>32
	s_setpc_b64 s[14:15]
.LBB2_12525:
	s_or_saveexec_b64 s[6:7], s[6:7]
	v_mov_b32_e32 v4, s10
	s_xor_b64 exec, exec, s[6:7]
	s_cbranch_execz .LBB2_12526
; %bb.48367:
	s_getpc_b64 s[14:15]
.Lpost_getpc27767:
	s_add_u32 s14, s14, (.LBB2_26864-.Lpost_getpc27767)&4294967295
	s_addc_u32 s15, s15, (.LBB2_26864-.Lpost_getpc27767)>>32
	s_setpc_b64 s[14:15]
.LBB2_12526:
	s_or_b64 exec, exec, s[6:7]
	s_and_saveexec_b64 s[6:7], s[4:5]
	s_cbranch_execz .LBB2_12528
.LBB2_12527:
	v_bfe_u32 v4, v5, 8, 3
	v_ffbh_u32_e32 v7, v4
	v_min_u32_e32 v7, 32, v7
	v_lshrrev_b16_e32 v6, 3, v3
	v_subrev_u32_e32 v8, 28, v7
	v_and_b32_e32 v6, 15, v6
	v_lshlrev_b32_e32 v3, v8, v3
	v_sub_u32_e32 v7, 29, v7
	v_and_b32_e32 v3, 7, v3
	v_cmp_eq_u16_e32 vcc, 0, v6
	v_cndmask_b32_e32 v3, v4, v3, vcc
	v_cndmask_b32_e32 v4, v6, v7, vcc
	v_lshlrev_b32_e32 v6, 16, v5
	v_mov_b32_e32 v7, 0x3b800000
	v_lshlrev_b32_e32 v3, 20, v3
	v_and_b32_e32 v6, 0x80000000, v6
	v_lshl_add_u32 v4, v4, 23, v7
	v_or3_b32 v4, v6, v4, v3
.LBB2_12528:
	s_or_b64 exec, exec, s[6:7]
	s_nop 0
	v_mfma_f32_16x16x4f32 a[0:3], v2, v4, a[0:3]
	s_movk_i32 s4, 0xff
	v_and_b32_sdwa v3, v9, s4 dst_sel:DWORD dst_unused:UNUSED_PAD src0_sel:WORD_1 src1_sel:DWORD
	s_movk_i32 s4, 0x7f
	v_cmp_lt_i16_e32 vcc, s4, v3
	s_mov_b64 s[4:5], 0
                                        ; implicit-def: $sgpr10
	s_and_saveexec_b64 s[6:7], vcc
	s_xor_b64 s[6:7], exec, s[6:7]
	s_cbranch_execz .LBB2_12529
; %bb.48369:
	s_getpc_b64 s[14:15]
.Lpost_getpc27768:
	s_add_u32 s14, s14, (.LBB2_26865-.Lpost_getpc27768)&4294967295
	s_addc_u32 s15, s15, (.LBB2_26865-.Lpost_getpc27768)>>32
	s_setpc_b64 s[14:15]
.LBB2_12529:
	s_or_saveexec_b64 s[6:7], s[6:7]
	v_mov_b32_e32 v2, s10
	s_xor_b64 exec, exec, s[6:7]
	s_cbranch_execz .LBB2_12530
; %bb.48371:
	s_getpc_b64 s[14:15]
.Lpost_getpc27769:
	s_add_u32 s14, s14, (.LBB2_26868-.Lpost_getpc27769)&4294967295
	s_addc_u32 s15, s15, (.LBB2_26868-.Lpost_getpc27769)>>32
	s_setpc_b64 s[14:15]
.LBB2_12530:
	s_or_b64 exec, exec, s[6:7]
	s_and_saveexec_b64 s[6:7], s[4:5]
	s_cbranch_execz .LBB2_12532
.LBB2_12531:
	v_bfe_u32 v2, v9, 16, 3
	v_ffbh_u32_e32 v6, v2
	v_min_u32_e32 v6, 32, v6
	v_lshrrev_b32_e32 v3, 19, v9
	v_subrev_u32_e32 v7, 28, v6
	v_and_b32_e32 v3, 15, v3
	v_lshlrev_b32_sdwa v7, v7, v9 dst_sel:DWORD dst_unused:UNUSED_PAD src0_sel:DWORD src1_sel:WORD_1
	v_bfe_u32 v4, v9, 19, 4
	v_sub_u32_e32 v6, 29, v6
	v_and_b32_e32 v7, 7, v7
	v_cmp_eq_u16_e32 vcc, 0, v3
	v_cndmask_b32_e32 v2, v2, v7, vcc
	v_cndmask_b32_e32 v3, v4, v6, vcc
	v_lshlrev_b32_e32 v4, 8, v9
	v_mov_b32_e32 v6, 0x3b800000
	v_lshlrev_b32_e32 v2, 20, v2
	v_and_b32_e32 v4, 0x80000000, v4
	v_lshl_add_u32 v3, v3, 23, v6
	v_or3_b32 v2, v4, v3, v2
.LBB2_12532:
	s_or_b64 exec, exec, s[6:7]
	s_movk_i32 s4, 0xff
	v_and_b32_sdwa v3, v5, s4 dst_sel:DWORD dst_unused:UNUSED_PAD src0_sel:WORD_1 src1_sel:DWORD
	s_movk_i32 s4, 0x7f
	v_cmp_lt_i16_e32 vcc, s4, v3
	s_mov_b64 s[4:5], 0
                                        ; implicit-def: $sgpr10
	s_and_saveexec_b64 s[6:7], vcc
	s_xor_b64 s[6:7], exec, s[6:7]
	s_cbranch_execz .LBB2_12533
; %bb.48373:
	s_getpc_b64 s[14:15]
.Lpost_getpc27770:
	s_add_u32 s14, s14, (.LBB2_26869-.Lpost_getpc27770)&4294967295
	s_addc_u32 s15, s15, (.LBB2_26869-.Lpost_getpc27770)>>32
	s_setpc_b64 s[14:15]
.LBB2_12533:
	s_or_saveexec_b64 s[6:7], s[6:7]
	v_mov_b32_e32 v4, s10
	s_xor_b64 exec, exec, s[6:7]
	s_cbranch_execz .LBB2_12534
; %bb.48375:
	s_getpc_b64 s[14:15]
.Lpost_getpc27771:
	s_add_u32 s14, s14, (.LBB2_26872-.Lpost_getpc27771)&4294967295
	s_addc_u32 s15, s15, (.LBB2_26872-.Lpost_getpc27771)>>32
	s_setpc_b64 s[14:15]
.LBB2_12534:
	s_or_b64 exec, exec, s[6:7]
	s_and_saveexec_b64 s[6:7], s[4:5]
	s_cbranch_execz .LBB2_12536
.LBB2_12535:
	v_bfe_u32 v3, v5, 16, 3
	v_ffbh_u32_e32 v7, v3
	v_min_u32_e32 v7, 32, v7
	v_lshrrev_b32_e32 v4, 19, v5
	v_subrev_u32_e32 v8, 28, v7
	v_and_b32_e32 v4, 15, v4
	v_lshlrev_b32_sdwa v8, v8, v5 dst_sel:DWORD dst_unused:UNUSED_PAD src0_sel:DWORD src1_sel:WORD_1
	v_bfe_u32 v6, v5, 19, 4
	v_sub_u32_e32 v7, 29, v7
	v_and_b32_e32 v8, 7, v8
	v_cmp_eq_u16_e32 vcc, 0, v4
	v_cndmask_b32_e32 v3, v3, v8, vcc
	v_cndmask_b32_e32 v4, v6, v7, vcc
	v_lshlrev_b32_e32 v6, 8, v5
	v_mov_b32_e32 v7, 0x3b800000
	v_lshlrev_b32_e32 v3, 20, v3
	v_and_b32_e32 v6, 0x80000000, v6
	v_lshl_add_u32 v4, v4, 23, v7
	v_or3_b32 v4, v6, v4, v3
.LBB2_12536:
	s_or_b64 exec, exec, s[6:7]
	s_nop 0
	v_mfma_f32_16x16x4f32 a[0:3], v2, v4, a[0:3]
	s_movk_i32 s4, 0x7f
	v_cmp_gt_i16_sdwa s[6:7], v9, s4 src0_sel:BYTE_3 src1_sel:DWORD
	s_mov_b64 s[4:5], 0
                                        ; implicit-def: $sgpr10
	s_and_saveexec_b64 s[8:9], s[6:7]
	s_xor_b64 s[6:7], exec, s[8:9]
	s_cbranch_execz .LBB2_12537
; %bb.48377:
	s_getpc_b64 s[14:15]
.Lpost_getpc27772:
	s_add_u32 s14, s14, (.LBB2_26873-.Lpost_getpc27772)&4294967295
	s_addc_u32 s15, s15, (.LBB2_26873-.Lpost_getpc27772)>>32
	s_setpc_b64 s[14:15]
.LBB2_12537:
	s_or_saveexec_b64 s[6:7], s[6:7]
	v_mov_b32_e32 v2, s10
	s_xor_b64 exec, exec, s[6:7]
	s_cbranch_execz .LBB2_12538
; %bb.48379:
	s_getpc_b64 s[14:15]
.Lpost_getpc27773:
	s_add_u32 s14, s14, (.LBB2_26876-.Lpost_getpc27773)&4294967295
	s_addc_u32 s15, s15, (.LBB2_26876-.Lpost_getpc27773)>>32
	s_setpc_b64 s[14:15]
.LBB2_12538:
	s_or_b64 exec, exec, s[6:7]
	s_and_saveexec_b64 s[6:7], s[4:5]
	s_cbranch_execz .LBB2_12540
.LBB2_12539:
	v_bfe_u32 v2, v9, 24, 3
	v_ffbh_u32_e32 v7, v2
	v_min_u32_e32 v7, 32, v7
	v_lshrrev_b32_e32 v4, 27, v9
	v_subrev_u32_e32 v8, 28, v7
	v_and_b32_e32 v4, 15, v4
	v_lshlrev_b32_sdwa v8, v8, v9 dst_sel:DWORD dst_unused:UNUSED_PAD src0_sel:DWORD src1_sel:BYTE_3
	v_bfe_u32 v6, v9, 27, 4
	v_sub_u32_e32 v7, 29, v7
	v_and_b32_e32 v8, 7, v8
	v_cmp_eq_u16_e32 vcc, 0, v4
	v_cndmask_b32_e32 v2, v2, v8, vcc
	v_cndmask_b32_e32 v4, v6, v7, vcc
	v_mov_b32_e32 v6, 0x3b800000
	v_and_b32_e32 v3, 0x80000000, v9
	v_lshlrev_b32_e32 v2, 20, v2
	v_lshl_add_u32 v4, v4, 23, v6
	v_or3_b32 v2, v3, v4, v2
.LBB2_12540:
	s_or_b64 exec, exec, s[6:7]
	s_movk_i32 s4, 0x7f
	v_cmp_gt_i16_sdwa s[6:7], v5, s4 src0_sel:BYTE_3 src1_sel:DWORD
	s_mov_b64 s[4:5], 0
                                        ; implicit-def: $sgpr10
	s_and_saveexec_b64 s[8:9], s[6:7]
	s_xor_b64 s[6:7], exec, s[8:9]
	s_cbranch_execz .LBB2_12541
; %bb.48381:
	s_getpc_b64 s[14:15]
.Lpost_getpc27774:
	s_add_u32 s14, s14, (.LBB2_26877-.Lpost_getpc27774)&4294967295
	s_addc_u32 s15, s15, (.LBB2_26877-.Lpost_getpc27774)>>32
	s_setpc_b64 s[14:15]
.LBB2_12541:
	s_or_saveexec_b64 s[6:7], s[6:7]
	v_mov_b32_e32 v3, s10
	s_xor_b64 exec, exec, s[6:7]
	s_cbranch_execz .LBB2_12542
; %bb.48383:
	s_getpc_b64 s[14:15]
.Lpost_getpc27775:
	s_add_u32 s14, s14, (.LBB2_26880-.Lpost_getpc27775)&4294967295
	s_addc_u32 s15, s15, (.LBB2_26880-.Lpost_getpc27775)>>32
	s_setpc_b64 s[14:15]
.LBB2_12542:
	s_or_b64 exec, exec, s[6:7]
	s_and_saveexec_b64 s[6:7], s[4:5]
	s_cbranch_execz .LBB2_12544
.LBB2_12543:
	v_bfe_u32 v3, v5, 24, 3
	v_ffbh_u32_e32 v8, v3
	v_min_u32_e32 v8, 32, v8
	v_lshrrev_b32_e32 v6, 27, v5
	v_subrev_u32_e32 v9, 28, v8
	v_and_b32_e32 v4, 0x80000000, v5
	v_and_b32_e32 v6, 15, v6
	v_bfe_u32 v7, v5, 27, 4
	v_lshlrev_b32_sdwa v5, v9, v5 dst_sel:DWORD dst_unused:UNUSED_PAD src0_sel:DWORD src1_sel:BYTE_3
	v_sub_u32_e32 v8, 29, v8
	v_and_b32_e32 v5, 7, v5
	v_cmp_eq_u16_e32 vcc, 0, v6
	v_cndmask_b32_e32 v3, v3, v5, vcc
	v_cndmask_b32_e32 v5, v7, v8, vcc
	v_mov_b32_e32 v6, 0x3b800000
	v_lshlrev_b32_e32 v3, 20, v3
	v_lshl_add_u32 v5, v5, 23, v6
	v_or3_b32 v3, v4, v5, v3
.LBB2_12544:
	s_or_b64 exec, exec, s[6:7]
	s_nop 0
	v_mfma_f32_16x16x4f32 a[0:3], v2, v3, a[0:3]
	s_movk_i32 s4, 0x7f
                                        ; implicit-def: $sgpr10
	s_nop 7
	s_nop 1
	flat_store_dwordx4 v[10:11], a[0:3] offset:656
	flat_load_dwordx4 v[12:15], v[0:1]
	s_nop 0
	flat_load_dwordx2 v[10:11], v[0:1] offset:16
	s_waitcnt vmcnt(0) lgkmcnt(0)
	flat_load_dwordx4 v[6:9], v[12:13] offset:192
	flat_load_dwordx4 v[2:5], v[14:15] offset:160
	s_waitcnt vmcnt(0) lgkmcnt(0)
	v_cmp_gt_i16_sdwa s[6:7], v6, s4 src0_sel:BYTE_0 src1_sel:DWORD
	s_mov_b64 s[4:5], 0
	s_and_saveexec_b64 s[8:9], s[6:7]
	s_xor_b64 s[6:7], exec, s[8:9]
	s_cbranch_execz .LBB2_12545
; %bb.48385:
	s_getpc_b64 s[14:15]
.Lpost_getpc27776:
	s_add_u32 s14, s14, (.LBB2_26881-.Lpost_getpc27776)&4294967295
	s_addc_u32 s15, s15, (.LBB2_26881-.Lpost_getpc27776)>>32
	s_setpc_b64 s[14:15]
.LBB2_12545:
	s_or_saveexec_b64 s[6:7], s[6:7]
	v_mov_b32_e32 v12, s10
	s_xor_b64 exec, exec, s[6:7]
	s_cbranch_execz .LBB2_12546
; %bb.48387:
	s_getpc_b64 s[14:15]
.Lpost_getpc27777:
	s_add_u32 s14, s14, (.LBB2_26884-.Lpost_getpc27777)&4294967295
	s_addc_u32 s15, s15, (.LBB2_26884-.Lpost_getpc27777)>>32
	s_setpc_b64 s[14:15]
.LBB2_12546:
	s_or_b64 exec, exec, s[6:7]
	s_and_saveexec_b64 s[6:7], s[4:5]
	s_cbranch_execz .LBB2_12548
.LBB2_12547:
	v_and_b32_e32 v12, 7, v6
	v_ffbh_u32_e32 v14, v12
	v_min_u32_e32 v14, 32, v14
	v_lshrrev_b16_e32 v13, 3, v6
	v_subrev_u32_e32 v15, 28, v14
	v_and_b32_e32 v13, 15, v13
	v_lshlrev_b32_e32 v15, v15, v6
	v_sub_u32_e32 v14, 29, v14
	v_and_b32_e32 v15, 7, v15
	v_cmp_eq_u16_e32 vcc, 0, v13
	v_cndmask_b32_e32 v12, v12, v15, vcc
	v_cndmask_b32_e32 v13, v13, v14, vcc
	v_lshlrev_b32_e32 v14, 24, v6
	v_mov_b32_e32 v15, 0x3b800000
	v_lshlrev_b32_e32 v12, 20, v12
	v_and_b32_e32 v14, 0x80000000, v14
	v_lshl_add_u32 v13, v13, 23, v15
	v_or3_b32 v12, v14, v13, v12
.LBB2_12548:
	s_or_b64 exec, exec, s[6:7]
	s_movk_i32 s4, 0x7f
	v_cmp_gt_i16_sdwa s[6:7], v2, s4 src0_sel:BYTE_0 src1_sel:DWORD
	s_mov_b64 s[4:5], 0
                                        ; implicit-def: $sgpr10
	s_and_saveexec_b64 s[8:9], s[6:7]
	s_xor_b64 s[6:7], exec, s[8:9]
	s_cbranch_execz .LBB2_12549
; %bb.48389:
	s_getpc_b64 s[14:15]
.Lpost_getpc27778:
	s_add_u32 s14, s14, (.LBB2_26885-.Lpost_getpc27778)&4294967295
	s_addc_u32 s15, s15, (.LBB2_26885-.Lpost_getpc27778)>>32
	s_setpc_b64 s[14:15]
.LBB2_12549:
	s_or_saveexec_b64 s[6:7], s[6:7]
	v_mov_b32_e32 v13, s10
	s_xor_b64 exec, exec, s[6:7]
	s_cbranch_execz .LBB2_12550
; %bb.48391:
	s_getpc_b64 s[14:15]
.Lpost_getpc27779:
	s_add_u32 s14, s14, (.LBB2_26888-.Lpost_getpc27779)&4294967295
	s_addc_u32 s15, s15, (.LBB2_26888-.Lpost_getpc27779)>>32
	s_setpc_b64 s[14:15]
.LBB2_12550:
	s_or_b64 exec, exec, s[6:7]
	s_and_saveexec_b64 s[6:7], s[4:5]
	s_cbranch_execz .LBB2_12552
.LBB2_12551:
	v_and_b32_e32 v13, 7, v2
	v_ffbh_u32_e32 v15, v13
	v_min_u32_e32 v15, 32, v15
	v_lshrrev_b16_e32 v14, 3, v2
	v_subrev_u32_e32 v16, 28, v15
	v_and_b32_e32 v14, 15, v14
	v_lshlrev_b32_e32 v16, v16, v2
	v_sub_u32_e32 v15, 29, v15
	v_and_b32_e32 v16, 7, v16
	v_cmp_eq_u16_e32 vcc, 0, v14
	v_cndmask_b32_e32 v13, v13, v16, vcc
	v_cndmask_b32_e32 v14, v14, v15, vcc
	v_lshlrev_b32_e32 v15, 24, v2
	v_mov_b32_e32 v16, 0x3b800000
	v_lshlrev_b32_e32 v13, 20, v13
	v_and_b32_e32 v15, 0x80000000, v15
	v_lshl_add_u32 v14, v14, 23, v16
	v_or3_b32 v13, v15, v14, v13
.LBB2_12552:
	s_or_b64 exec, exec, s[6:7]
	flat_load_dwordx4 a[0:3], v[10:11] offset:672
	s_movk_i32 s4, 0x7f
                                        ; implicit-def: $sgpr10
	s_waitcnt vmcnt(0) lgkmcnt(0)
	v_mfma_f32_16x16x4f32 a[0:3], v12, v13, a[0:3]
	v_lshrrev_b32_e32 v13, 8, v6
	v_cmp_gt_i16_sdwa s[6:7], v13, s4 src0_sel:BYTE_0 src1_sel:DWORD
	s_mov_b64 s[4:5], 0
	s_and_saveexec_b64 s[8:9], s[6:7]
	s_xor_b64 s[6:7], exec, s[8:9]
	s_cbranch_execz .LBB2_12553
; %bb.48393:
	s_getpc_b64 s[14:15]
.Lpost_getpc27780:
	s_add_u32 s14, s14, (.LBB2_26889-.Lpost_getpc27780)&4294967295
	s_addc_u32 s15, s15, (.LBB2_26889-.Lpost_getpc27780)>>32
	s_setpc_b64 s[14:15]
.LBB2_12553:
	s_or_saveexec_b64 s[6:7], s[6:7]
	v_mov_b32_e32 v12, s10
	s_xor_b64 exec, exec, s[6:7]
	s_cbranch_execz .LBB2_12554
; %bb.48395:
	s_getpc_b64 s[14:15]
.Lpost_getpc27781:
	s_add_u32 s14, s14, (.LBB2_26892-.Lpost_getpc27781)&4294967295
	s_addc_u32 s15, s15, (.LBB2_26892-.Lpost_getpc27781)>>32
	s_setpc_b64 s[14:15]
.LBB2_12554:
	s_or_b64 exec, exec, s[6:7]
	s_and_saveexec_b64 s[6:7], s[4:5]
	s_cbranch_execz .LBB2_12556
.LBB2_12555:
	v_bfe_u32 v12, v6, 8, 3
	v_ffbh_u32_e32 v15, v12
	v_min_u32_e32 v15, 32, v15
	v_lshrrev_b16_e32 v14, 3, v13
	v_subrev_u32_e32 v16, 28, v15
	v_and_b32_e32 v14, 15, v14
	v_lshlrev_b32_e32 v13, v16, v13
	v_sub_u32_e32 v15, 29, v15
	v_and_b32_e32 v13, 7, v13
	v_cmp_eq_u16_e32 vcc, 0, v14
	v_cndmask_b32_e32 v12, v12, v13, vcc
	v_cndmask_b32_e32 v13, v14, v15, vcc
	v_lshlrev_b32_e32 v14, 16, v6
	v_mov_b32_e32 v15, 0x3b800000
	v_lshlrev_b32_e32 v12, 20, v12
	v_and_b32_e32 v14, 0x80000000, v14
	v_lshl_add_u32 v13, v13, 23, v15
	v_or3_b32 v12, v14, v13, v12
.LBB2_12556:
	s_or_b64 exec, exec, s[6:7]
	v_lshrrev_b32_e32 v13, 8, v2
	s_movk_i32 s4, 0x7f
	v_cmp_gt_i16_sdwa s[6:7], v13, s4 src0_sel:BYTE_0 src1_sel:DWORD
	s_mov_b64 s[4:5], 0
                                        ; implicit-def: $sgpr10
	s_and_saveexec_b64 s[8:9], s[6:7]
	s_xor_b64 s[6:7], exec, s[8:9]
	s_cbranch_execz .LBB2_12557
; %bb.48397:
	s_getpc_b64 s[14:15]
.Lpost_getpc27782:
	s_add_u32 s14, s14, (.LBB2_26893-.Lpost_getpc27782)&4294967295
	s_addc_u32 s15, s15, (.LBB2_26893-.Lpost_getpc27782)>>32
	s_setpc_b64 s[14:15]
.LBB2_12557:
	s_or_saveexec_b64 s[6:7], s[6:7]
	v_mov_b32_e32 v14, s10
	s_xor_b64 exec, exec, s[6:7]
	s_cbranch_execz .LBB2_12558
; %bb.48399:
	s_getpc_b64 s[14:15]
.Lpost_getpc27783:
	s_add_u32 s14, s14, (.LBB2_26896-.Lpost_getpc27783)&4294967295
	s_addc_u32 s15, s15, (.LBB2_26896-.Lpost_getpc27783)>>32
	s_setpc_b64 s[14:15]
.LBB2_12558:
	s_or_b64 exec, exec, s[6:7]
	s_and_saveexec_b64 s[6:7], s[4:5]
	s_cbranch_execz .LBB2_12560
.LBB2_12559:
	v_bfe_u32 v14, v2, 8, 3
	v_ffbh_u32_e32 v16, v14
	v_min_u32_e32 v16, 32, v16
	v_lshrrev_b16_e32 v15, 3, v13
	v_subrev_u32_e32 v17, 28, v16
	v_and_b32_e32 v15, 15, v15
	v_lshlrev_b32_e32 v13, v17, v13
	v_sub_u32_e32 v16, 29, v16
	v_and_b32_e32 v13, 7, v13
	v_cmp_eq_u16_e32 vcc, 0, v15
	v_cndmask_b32_e32 v13, v14, v13, vcc
	v_cndmask_b32_e32 v14, v15, v16, vcc
	v_lshlrev_b32_e32 v15, 16, v2
	v_mov_b32_e32 v16, 0x3b800000
	v_lshlrev_b32_e32 v13, 20, v13
	v_and_b32_e32 v15, 0x80000000, v15
	v_lshl_add_u32 v14, v14, 23, v16
	v_or3_b32 v14, v15, v14, v13
.LBB2_12560:
	s_or_b64 exec, exec, s[6:7]
	s_nop 0
	v_mfma_f32_16x16x4f32 a[0:3], v12, v14, a[0:3]
	s_movk_i32 s4, 0xff
	v_and_b32_sdwa v13, v6, s4 dst_sel:DWORD dst_unused:UNUSED_PAD src0_sel:WORD_1 src1_sel:DWORD
	s_movk_i32 s4, 0x7f
	v_cmp_lt_i16_e32 vcc, s4, v13
	s_mov_b64 s[4:5], 0
                                        ; implicit-def: $sgpr10
	s_and_saveexec_b64 s[6:7], vcc
	s_xor_b64 s[6:7], exec, s[6:7]
	s_cbranch_execz .LBB2_12561
; %bb.48401:
	s_getpc_b64 s[14:15]
.Lpost_getpc27784:
	s_add_u32 s14, s14, (.LBB2_26897-.Lpost_getpc27784)&4294967295
	s_addc_u32 s15, s15, (.LBB2_26897-.Lpost_getpc27784)>>32
	s_setpc_b64 s[14:15]
.LBB2_12561:
	s_or_saveexec_b64 s[6:7], s[6:7]
	v_mov_b32_e32 v12, s10
	s_xor_b64 exec, exec, s[6:7]
	s_cbranch_execz .LBB2_12562
; %bb.48403:
	s_getpc_b64 s[14:15]
.Lpost_getpc27785:
	s_add_u32 s14, s14, (.LBB2_26900-.Lpost_getpc27785)&4294967295
	s_addc_u32 s15, s15, (.LBB2_26900-.Lpost_getpc27785)>>32
	s_setpc_b64 s[14:15]
.LBB2_12562:
	s_or_b64 exec, exec, s[6:7]
	s_and_saveexec_b64 s[6:7], s[4:5]
	s_cbranch_execz .LBB2_12564
.LBB2_12563:
	v_bfe_u32 v12, v6, 16, 3
	v_ffbh_u32_e32 v15, v12
	v_min_u32_e32 v15, 32, v15
	v_lshrrev_b32_e32 v13, 19, v6
	v_subrev_u32_e32 v16, 28, v15
	v_and_b32_e32 v13, 15, v13
	v_lshlrev_b32_sdwa v16, v16, v6 dst_sel:DWORD dst_unused:UNUSED_PAD src0_sel:DWORD src1_sel:WORD_1
	v_bfe_u32 v14, v6, 19, 4
	v_sub_u32_e32 v15, 29, v15
	v_and_b32_e32 v16, 7, v16
	v_cmp_eq_u16_e32 vcc, 0, v13
	v_cndmask_b32_e32 v12, v12, v16, vcc
	v_cndmask_b32_e32 v13, v14, v15, vcc
	v_lshlrev_b32_e32 v14, 8, v6
	v_mov_b32_e32 v15, 0x3b800000
	v_lshlrev_b32_e32 v12, 20, v12
	v_and_b32_e32 v14, 0x80000000, v14
	v_lshl_add_u32 v13, v13, 23, v15
	v_or3_b32 v12, v14, v13, v12
.LBB2_12564:
	s_or_b64 exec, exec, s[6:7]
	s_movk_i32 s4, 0xff
	v_and_b32_sdwa v13, v2, s4 dst_sel:DWORD dst_unused:UNUSED_PAD src0_sel:WORD_1 src1_sel:DWORD
	s_movk_i32 s4, 0x7f
	v_cmp_lt_i16_e32 vcc, s4, v13
	s_mov_b64 s[4:5], 0
                                        ; implicit-def: $sgpr10
	s_and_saveexec_b64 s[6:7], vcc
	s_xor_b64 s[6:7], exec, s[6:7]
	s_cbranch_execz .LBB2_12565
; %bb.48405:
	s_getpc_b64 s[14:15]
.Lpost_getpc27786:
	s_add_u32 s14, s14, (.LBB2_26901-.Lpost_getpc27786)&4294967295
	s_addc_u32 s15, s15, (.LBB2_26901-.Lpost_getpc27786)>>32
	s_setpc_b64 s[14:15]
.LBB2_12565:
	s_or_saveexec_b64 s[6:7], s[6:7]
	v_mov_b32_e32 v14, s10
	s_xor_b64 exec, exec, s[6:7]
	s_cbranch_execz .LBB2_12566
; %bb.48407:
	s_getpc_b64 s[14:15]
.Lpost_getpc27787:
	s_add_u32 s14, s14, (.LBB2_26904-.Lpost_getpc27787)&4294967295
	s_addc_u32 s15, s15, (.LBB2_26904-.Lpost_getpc27787)>>32
	s_setpc_b64 s[14:15]
.LBB2_12566:
	s_or_b64 exec, exec, s[6:7]
	s_and_saveexec_b64 s[6:7], s[4:5]
	s_cbranch_execz .LBB2_12568
.LBB2_12567:
	v_bfe_u32 v13, v2, 16, 3
	v_ffbh_u32_e32 v16, v13
	v_min_u32_e32 v16, 32, v16
	v_lshrrev_b32_e32 v14, 19, v2
	v_subrev_u32_e32 v17, 28, v16
	v_and_b32_e32 v14, 15, v14
	v_lshlrev_b32_sdwa v17, v17, v2 dst_sel:DWORD dst_unused:UNUSED_PAD src0_sel:DWORD src1_sel:WORD_1
	v_bfe_u32 v15, v2, 19, 4
	v_sub_u32_e32 v16, 29, v16
	v_and_b32_e32 v17, 7, v17
	v_cmp_eq_u16_e32 vcc, 0, v14
	v_cndmask_b32_e32 v13, v13, v17, vcc
	v_cndmask_b32_e32 v14, v15, v16, vcc
	v_lshlrev_b32_e32 v15, 8, v2
	v_mov_b32_e32 v16, 0x3b800000
	v_lshlrev_b32_e32 v13, 20, v13
	v_and_b32_e32 v15, 0x80000000, v15
	v_lshl_add_u32 v14, v14, 23, v16
	v_or3_b32 v14, v15, v14, v13
.LBB2_12568:
	s_or_b64 exec, exec, s[6:7]
	s_nop 0
	v_mfma_f32_16x16x4f32 a[0:3], v12, v14, a[0:3]
	s_movk_i32 s4, 0x7f
	v_cmp_gt_i16_sdwa s[6:7], v6, s4 src0_sel:BYTE_3 src1_sel:DWORD
	s_mov_b64 s[4:5], 0
                                        ; implicit-def: $sgpr10
	s_and_saveexec_b64 s[8:9], s[6:7]
	s_xor_b64 s[6:7], exec, s[8:9]
	s_cbranch_execz .LBB2_12569
; %bb.48409:
	s_getpc_b64 s[14:15]
.Lpost_getpc27788:
	s_add_u32 s14, s14, (.LBB2_26905-.Lpost_getpc27788)&4294967295
	s_addc_u32 s15, s15, (.LBB2_26905-.Lpost_getpc27788)>>32
	s_setpc_b64 s[14:15]
.LBB2_12569:
	s_or_saveexec_b64 s[6:7], s[6:7]
	v_mov_b32_e32 v12, s10
	s_xor_b64 exec, exec, s[6:7]
	s_cbranch_execz .LBB2_12570
; %bb.48411:
	s_getpc_b64 s[14:15]
.Lpost_getpc27789:
	s_add_u32 s14, s14, (.LBB2_26908-.Lpost_getpc27789)&4294967295
	s_addc_u32 s15, s15, (.LBB2_26908-.Lpost_getpc27789)>>32
	s_setpc_b64 s[14:15]
.LBB2_12570:
	s_or_b64 exec, exec, s[6:7]
	s_and_saveexec_b64 s[6:7], s[4:5]
	s_cbranch_execz .LBB2_12572
.LBB2_12571:
	v_bfe_u32 v12, v6, 24, 3
	v_ffbh_u32_e32 v16, v12
	v_min_u32_e32 v16, 32, v16
	v_lshrrev_b32_e32 v14, 27, v6
	v_subrev_u32_e32 v17, 28, v16
	v_and_b32_e32 v13, 0x80000000, v6
	v_and_b32_e32 v14, 15, v14
	v_bfe_u32 v15, v6, 27, 4
	v_lshlrev_b32_sdwa v6, v17, v6 dst_sel:DWORD dst_unused:UNUSED_PAD src0_sel:DWORD src1_sel:BYTE_3
	v_sub_u32_e32 v16, 29, v16
	v_and_b32_e32 v6, 7, v6
	v_cmp_eq_u16_e32 vcc, 0, v14
	v_cndmask_b32_e32 v6, v12, v6, vcc
	v_cndmask_b32_e32 v12, v15, v16, vcc
	v_mov_b32_e32 v14, 0x3b800000
	v_lshlrev_b32_e32 v6, 20, v6
	v_lshl_add_u32 v12, v12, 23, v14
	v_or3_b32 v12, v13, v12, v6
.LBB2_12572:
	s_or_b64 exec, exec, s[6:7]
	s_movk_i32 s4, 0x7f
	v_cmp_gt_i16_sdwa s[6:7], v2, s4 src0_sel:BYTE_3 src1_sel:DWORD
	s_mov_b64 s[4:5], 0
                                        ; implicit-def: $sgpr10
	s_and_saveexec_b64 s[8:9], s[6:7]
	s_xor_b64 s[6:7], exec, s[8:9]
	s_cbranch_execz .LBB2_12573
; %bb.48413:
	s_getpc_b64 s[14:15]
.Lpost_getpc27790:
	s_add_u32 s14, s14, (.LBB2_26909-.Lpost_getpc27790)&4294967295
	s_addc_u32 s15, s15, (.LBB2_26909-.Lpost_getpc27790)>>32
	s_setpc_b64 s[14:15]
.LBB2_12573:
	s_or_saveexec_b64 s[6:7], s[6:7]
	v_mov_b32_e32 v6, s10
	s_xor_b64 exec, exec, s[6:7]
	s_cbranch_execz .LBB2_12574
; %bb.48415:
	s_getpc_b64 s[14:15]
.Lpost_getpc27791:
	s_add_u32 s14, s14, (.LBB2_26912-.Lpost_getpc27791)&4294967295
	s_addc_u32 s15, s15, (.LBB2_26912-.Lpost_getpc27791)>>32
	s_setpc_b64 s[14:15]
.LBB2_12574:
	s_or_b64 exec, exec, s[6:7]
	s_and_saveexec_b64 s[6:7], s[4:5]
	s_cbranch_execz .LBB2_12576
.LBB2_12575:
	v_bfe_u32 v6, v2, 24, 3
	v_ffbh_u32_e32 v16, v6
	v_min_u32_e32 v16, 32, v16
	v_lshrrev_b32_e32 v14, 27, v2
	v_subrev_u32_e32 v17, 28, v16
	v_and_b32_e32 v13, 0x80000000, v2
	v_and_b32_e32 v14, 15, v14
	v_bfe_u32 v15, v2, 27, 4
	v_lshlrev_b32_sdwa v2, v17, v2 dst_sel:DWORD dst_unused:UNUSED_PAD src0_sel:DWORD src1_sel:BYTE_3
	v_sub_u32_e32 v16, 29, v16
	v_and_b32_e32 v2, 7, v2
	v_cmp_eq_u16_e32 vcc, 0, v14
	v_cndmask_b32_e32 v2, v6, v2, vcc
	v_cndmask_b32_e32 v6, v15, v16, vcc
	v_mov_b32_e32 v14, 0x3b800000
	v_lshlrev_b32_e32 v2, 20, v2
	v_lshl_add_u32 v6, v6, 23, v14
	v_or3_b32 v6, v13, v6, v2
.LBB2_12576:
	s_or_b64 exec, exec, s[6:7]
	s_nop 0
	v_mfma_f32_16x16x4f32 a[0:3], v12, v6, a[0:3]
	s_movk_i32 s4, 0x7f
	v_cmp_gt_i16_sdwa s[6:7], v7, s4 src0_sel:BYTE_0 src1_sel:DWORD
	s_mov_b64 s[4:5], 0
                                        ; implicit-def: $sgpr10
	s_and_saveexec_b64 s[8:9], s[6:7]
	s_xor_b64 s[6:7], exec, s[8:9]
	s_cbranch_execz .LBB2_12577
; %bb.48417:
	s_getpc_b64 s[14:15]
.Lpost_getpc27792:
	s_add_u32 s14, s14, (.LBB2_26913-.Lpost_getpc27792)&4294967295
	s_addc_u32 s15, s15, (.LBB2_26913-.Lpost_getpc27792)>>32
	s_setpc_b64 s[14:15]
.LBB2_12577:
	s_or_saveexec_b64 s[6:7], s[6:7]
	v_mov_b32_e32 v2, s10
	s_xor_b64 exec, exec, s[6:7]
	s_cbranch_execz .LBB2_12578
; %bb.48419:
	s_getpc_b64 s[14:15]
.Lpost_getpc27793:
	s_add_u32 s14, s14, (.LBB2_26916-.Lpost_getpc27793)&4294967295
	s_addc_u32 s15, s15, (.LBB2_26916-.Lpost_getpc27793)>>32
	s_setpc_b64 s[14:15]
.LBB2_12578:
	s_or_b64 exec, exec, s[6:7]
	s_and_saveexec_b64 s[6:7], s[4:5]
	s_cbranch_execz .LBB2_12580
.LBB2_12579:
	v_and_b32_e32 v2, 7, v7
	v_ffbh_u32_e32 v12, v2
	v_min_u32_e32 v12, 32, v12
	v_lshrrev_b16_e32 v6, 3, v7
	v_subrev_u32_e32 v13, 28, v12
	v_and_b32_e32 v6, 15, v6
	v_lshlrev_b32_e32 v13, v13, v7
	v_sub_u32_e32 v12, 29, v12
	v_and_b32_e32 v13, 7, v13
	v_cmp_eq_u16_e32 vcc, 0, v6
	v_cndmask_b32_e32 v2, v2, v13, vcc
	v_cndmask_b32_e32 v6, v6, v12, vcc
	v_lshlrev_b32_e32 v12, 24, v7
	v_mov_b32_e32 v13, 0x3b800000
	v_lshlrev_b32_e32 v2, 20, v2
	v_and_b32_e32 v12, 0x80000000, v12
	v_lshl_add_u32 v6, v6, 23, v13
	v_or3_b32 v2, v12, v6, v2
.LBB2_12580:
	s_or_b64 exec, exec, s[6:7]
	s_movk_i32 s4, 0x7f
	v_cmp_gt_i16_sdwa s[6:7], v3, s4 src0_sel:BYTE_0 src1_sel:DWORD
	s_mov_b64 s[4:5], 0
                                        ; implicit-def: $sgpr10
	s_and_saveexec_b64 s[8:9], s[6:7]
	s_xor_b64 s[6:7], exec, s[8:9]
	s_cbranch_execz .LBB2_12581
; %bb.48421:
	s_getpc_b64 s[14:15]
.Lpost_getpc27794:
	s_add_u32 s14, s14, (.LBB2_26917-.Lpost_getpc27794)&4294967295
	s_addc_u32 s15, s15, (.LBB2_26917-.Lpost_getpc27794)>>32
	s_setpc_b64 s[14:15]
.LBB2_12581:
	s_or_saveexec_b64 s[6:7], s[6:7]
	v_mov_b32_e32 v6, s10
	s_xor_b64 exec, exec, s[6:7]
	s_cbranch_execz .LBB2_12582
; %bb.48423:
	s_getpc_b64 s[14:15]
.Lpost_getpc27795:
	s_add_u32 s14, s14, (.LBB2_26920-.Lpost_getpc27795)&4294967295
	s_addc_u32 s15, s15, (.LBB2_26920-.Lpost_getpc27795)>>32
	s_setpc_b64 s[14:15]
.LBB2_12582:
	s_or_b64 exec, exec, s[6:7]
	s_and_saveexec_b64 s[6:7], s[4:5]
	s_cbranch_execz .LBB2_12584
.LBB2_12583:
	v_and_b32_e32 v6, 7, v3
	v_ffbh_u32_e32 v13, v6
	v_min_u32_e32 v13, 32, v13
	v_lshrrev_b16_e32 v12, 3, v3
	v_subrev_u32_e32 v14, 28, v13
	v_and_b32_e32 v12, 15, v12
	v_lshlrev_b32_e32 v14, v14, v3
	v_sub_u32_e32 v13, 29, v13
	v_and_b32_e32 v14, 7, v14
	v_cmp_eq_u16_e32 vcc, 0, v12
	v_cndmask_b32_e32 v6, v6, v14, vcc
	v_cndmask_b32_e32 v12, v12, v13, vcc
	v_lshlrev_b32_e32 v13, 24, v3
	v_mov_b32_e32 v14, 0x3b800000
	v_lshlrev_b32_e32 v6, 20, v6
	v_and_b32_e32 v13, 0x80000000, v13
	v_lshl_add_u32 v12, v12, 23, v14
	v_or3_b32 v6, v13, v12, v6
.LBB2_12584:
	s_or_b64 exec, exec, s[6:7]
	s_nop 0
	v_mfma_f32_16x16x4f32 a[0:3], v2, v6, a[0:3]
	v_lshrrev_b32_e32 v6, 8, v7
	s_movk_i32 s4, 0x7f
	v_cmp_gt_i16_sdwa s[6:7], v6, s4 src0_sel:BYTE_0 src1_sel:DWORD
	s_mov_b64 s[4:5], 0
                                        ; implicit-def: $sgpr10
	s_and_saveexec_b64 s[8:9], s[6:7]
	s_xor_b64 s[6:7], exec, s[8:9]
	s_cbranch_execz .LBB2_12585
; %bb.48425:
	s_getpc_b64 s[14:15]
.Lpost_getpc27796:
	s_add_u32 s14, s14, (.LBB2_26921-.Lpost_getpc27796)&4294967295
	s_addc_u32 s15, s15, (.LBB2_26921-.Lpost_getpc27796)>>32
	s_setpc_b64 s[14:15]
.LBB2_12585:
	s_or_saveexec_b64 s[6:7], s[6:7]
	v_mov_b32_e32 v2, s10
	s_xor_b64 exec, exec, s[6:7]
	s_cbranch_execz .LBB2_12586
; %bb.48427:
	s_getpc_b64 s[14:15]
.Lpost_getpc27797:
	s_add_u32 s14, s14, (.LBB2_26924-.Lpost_getpc27797)&4294967295
	s_addc_u32 s15, s15, (.LBB2_26924-.Lpost_getpc27797)>>32
	s_setpc_b64 s[14:15]
.LBB2_12586:
	s_or_b64 exec, exec, s[6:7]
	s_and_saveexec_b64 s[6:7], s[4:5]
	s_cbranch_execz .LBB2_12588
.LBB2_12587:
	v_bfe_u32 v2, v7, 8, 3
	v_ffbh_u32_e32 v13, v2
	v_min_u32_e32 v13, 32, v13
	v_lshrrev_b16_e32 v12, 3, v6
	v_subrev_u32_e32 v14, 28, v13
	v_and_b32_e32 v12, 15, v12
	v_lshlrev_b32_e32 v6, v14, v6
	v_sub_u32_e32 v13, 29, v13
	v_and_b32_e32 v6, 7, v6
	v_cmp_eq_u16_e32 vcc, 0, v12
	v_cndmask_b32_e32 v2, v2, v6, vcc
	v_cndmask_b32_e32 v6, v12, v13, vcc
	v_lshlrev_b32_e32 v12, 16, v7
	v_mov_b32_e32 v13, 0x3b800000
	v_lshlrev_b32_e32 v2, 20, v2
	v_and_b32_e32 v12, 0x80000000, v12
	v_lshl_add_u32 v6, v6, 23, v13
	v_or3_b32 v2, v12, v6, v2
.LBB2_12588:
	s_or_b64 exec, exec, s[6:7]
	v_lshrrev_b32_e32 v6, 8, v3
	s_movk_i32 s4, 0x7f
	v_cmp_gt_i16_sdwa s[6:7], v6, s4 src0_sel:BYTE_0 src1_sel:DWORD
	s_mov_b64 s[4:5], 0
                                        ; implicit-def: $sgpr10
	s_and_saveexec_b64 s[8:9], s[6:7]
	s_xor_b64 s[6:7], exec, s[8:9]
	s_cbranch_execz .LBB2_12589
; %bb.48429:
	s_getpc_b64 s[14:15]
.Lpost_getpc27798:
	s_add_u32 s14, s14, (.LBB2_26925-.Lpost_getpc27798)&4294967295
	s_addc_u32 s15, s15, (.LBB2_26925-.Lpost_getpc27798)>>32
	s_setpc_b64 s[14:15]
.LBB2_12589:
	s_or_saveexec_b64 s[6:7], s[6:7]
	v_mov_b32_e32 v12, s10
	s_xor_b64 exec, exec, s[6:7]
	s_cbranch_execz .LBB2_12590
; %bb.48431:
	s_getpc_b64 s[14:15]
.Lpost_getpc27799:
	s_add_u32 s14, s14, (.LBB2_26928-.Lpost_getpc27799)&4294967295
	s_addc_u32 s15, s15, (.LBB2_26928-.Lpost_getpc27799)>>32
	s_setpc_b64 s[14:15]
.LBB2_12590:
	s_or_b64 exec, exec, s[6:7]
	s_and_saveexec_b64 s[6:7], s[4:5]
	s_cbranch_execz .LBB2_12592
.LBB2_12591:
	v_bfe_u32 v12, v3, 8, 3
	v_ffbh_u32_e32 v14, v12
	v_min_u32_e32 v14, 32, v14
	v_lshrrev_b16_e32 v13, 3, v6
	v_subrev_u32_e32 v15, 28, v14
	v_and_b32_e32 v13, 15, v13
	v_lshlrev_b32_e32 v6, v15, v6
	v_sub_u32_e32 v14, 29, v14
	v_and_b32_e32 v6, 7, v6
	v_cmp_eq_u16_e32 vcc, 0, v13
	v_cndmask_b32_e32 v6, v12, v6, vcc
	v_cndmask_b32_e32 v12, v13, v14, vcc
	v_lshlrev_b32_e32 v13, 16, v3
	v_mov_b32_e32 v14, 0x3b800000
	v_lshlrev_b32_e32 v6, 20, v6
	v_and_b32_e32 v13, 0x80000000, v13
	v_lshl_add_u32 v12, v12, 23, v14
	v_or3_b32 v12, v13, v12, v6
.LBB2_12592:
	s_or_b64 exec, exec, s[6:7]
	s_nop 0
	v_mfma_f32_16x16x4f32 a[0:3], v2, v12, a[0:3]
	s_movk_i32 s4, 0xff
	v_and_b32_sdwa v6, v7, s4 dst_sel:DWORD dst_unused:UNUSED_PAD src0_sel:WORD_1 src1_sel:DWORD
	s_movk_i32 s4, 0x7f
	v_cmp_lt_i16_e32 vcc, s4, v6
	s_mov_b64 s[4:5], 0
                                        ; implicit-def: $sgpr10
	s_and_saveexec_b64 s[6:7], vcc
	s_xor_b64 s[6:7], exec, s[6:7]
	s_cbranch_execz .LBB2_12593
; %bb.48433:
	s_getpc_b64 s[14:15]
.Lpost_getpc27800:
	s_add_u32 s14, s14, (.LBB2_26929-.Lpost_getpc27800)&4294967295
	s_addc_u32 s15, s15, (.LBB2_26929-.Lpost_getpc27800)>>32
	s_setpc_b64 s[14:15]
.LBB2_12593:
	s_or_saveexec_b64 s[6:7], s[6:7]
	v_mov_b32_e32 v2, s10
	s_xor_b64 exec, exec, s[6:7]
	s_cbranch_execz .LBB2_12594
; %bb.48435:
	s_getpc_b64 s[14:15]
.Lpost_getpc27801:
	s_add_u32 s14, s14, (.LBB2_26932-.Lpost_getpc27801)&4294967295
	s_addc_u32 s15, s15, (.LBB2_26932-.Lpost_getpc27801)>>32
	s_setpc_b64 s[14:15]
.LBB2_12594:
	s_or_b64 exec, exec, s[6:7]
	s_and_saveexec_b64 s[6:7], s[4:5]
	s_cbranch_execz .LBB2_12596
.LBB2_12595:
	v_bfe_u32 v2, v7, 16, 3
	v_ffbh_u32_e32 v13, v2
	v_min_u32_e32 v13, 32, v13
	v_lshrrev_b32_e32 v6, 19, v7
	v_subrev_u32_e32 v14, 28, v13
	v_and_b32_e32 v6, 15, v6
	v_lshlrev_b32_sdwa v14, v14, v7 dst_sel:DWORD dst_unused:UNUSED_PAD src0_sel:DWORD src1_sel:WORD_1
	v_bfe_u32 v12, v7, 19, 4
	v_sub_u32_e32 v13, 29, v13
	v_and_b32_e32 v14, 7, v14
	v_cmp_eq_u16_e32 vcc, 0, v6
	v_cndmask_b32_e32 v2, v2, v14, vcc
	v_cndmask_b32_e32 v6, v12, v13, vcc
	v_lshlrev_b32_e32 v12, 8, v7
	v_mov_b32_e32 v13, 0x3b800000
	v_lshlrev_b32_e32 v2, 20, v2
	v_and_b32_e32 v12, 0x80000000, v12
	v_lshl_add_u32 v6, v6, 23, v13
	v_or3_b32 v2, v12, v6, v2
.LBB2_12596:
	s_or_b64 exec, exec, s[6:7]
	s_movk_i32 s4, 0xff
	v_and_b32_sdwa v6, v3, s4 dst_sel:DWORD dst_unused:UNUSED_PAD src0_sel:WORD_1 src1_sel:DWORD
	s_movk_i32 s4, 0x7f
	v_cmp_lt_i16_e32 vcc, s4, v6
	s_mov_b64 s[4:5], 0
                                        ; implicit-def: $sgpr10
	s_and_saveexec_b64 s[6:7], vcc
	s_xor_b64 s[6:7], exec, s[6:7]
	s_cbranch_execz .LBB2_12597
; %bb.48437:
	s_getpc_b64 s[14:15]
.Lpost_getpc27802:
	s_add_u32 s14, s14, (.LBB2_26933-.Lpost_getpc27802)&4294967295
	s_addc_u32 s15, s15, (.LBB2_26933-.Lpost_getpc27802)>>32
	s_setpc_b64 s[14:15]
.LBB2_12597:
	s_or_saveexec_b64 s[6:7], s[6:7]
	v_mov_b32_e32 v12, s10
	s_xor_b64 exec, exec, s[6:7]
	s_cbranch_execz .LBB2_12598
; %bb.48439:
	s_getpc_b64 s[14:15]
.Lpost_getpc27803:
	s_add_u32 s14, s14, (.LBB2_26936-.Lpost_getpc27803)&4294967295
	s_addc_u32 s15, s15, (.LBB2_26936-.Lpost_getpc27803)>>32
	s_setpc_b64 s[14:15]
.LBB2_12598:
	s_or_b64 exec, exec, s[6:7]
	s_and_saveexec_b64 s[6:7], s[4:5]
	s_cbranch_execz .LBB2_12600
.LBB2_12599:
	v_bfe_u32 v6, v3, 16, 3
	v_ffbh_u32_e32 v14, v6
	v_min_u32_e32 v14, 32, v14
	v_lshrrev_b32_e32 v12, 19, v3
	v_subrev_u32_e32 v15, 28, v14
	v_and_b32_e32 v12, 15, v12
	v_lshlrev_b32_sdwa v15, v15, v3 dst_sel:DWORD dst_unused:UNUSED_PAD src0_sel:DWORD src1_sel:WORD_1
	v_bfe_u32 v13, v3, 19, 4
	v_sub_u32_e32 v14, 29, v14
	v_and_b32_e32 v15, 7, v15
	v_cmp_eq_u16_e32 vcc, 0, v12
	v_cndmask_b32_e32 v6, v6, v15, vcc
	v_cndmask_b32_e32 v12, v13, v14, vcc
	v_lshlrev_b32_e32 v13, 8, v3
	v_mov_b32_e32 v14, 0x3b800000
	v_lshlrev_b32_e32 v6, 20, v6
	v_and_b32_e32 v13, 0x80000000, v13
	v_lshl_add_u32 v12, v12, 23, v14
	v_or3_b32 v12, v13, v12, v6
.LBB2_12600:
	s_or_b64 exec, exec, s[6:7]
	s_nop 0
	v_mfma_f32_16x16x4f32 a[0:3], v2, v12, a[0:3]
	s_movk_i32 s4, 0x7f
	v_cmp_gt_i16_sdwa s[6:7], v7, s4 src0_sel:BYTE_3 src1_sel:DWORD
	s_mov_b64 s[4:5], 0
                                        ; implicit-def: $sgpr10
	s_and_saveexec_b64 s[8:9], s[6:7]
	s_xor_b64 s[6:7], exec, s[8:9]
	s_cbranch_execz .LBB2_12601
; %bb.48441:
	s_getpc_b64 s[14:15]
.Lpost_getpc27804:
	s_add_u32 s14, s14, (.LBB2_26937-.Lpost_getpc27804)&4294967295
	s_addc_u32 s15, s15, (.LBB2_26937-.Lpost_getpc27804)>>32
	s_setpc_b64 s[14:15]
.LBB2_12601:
	s_or_saveexec_b64 s[6:7], s[6:7]
	v_mov_b32_e32 v2, s10
	s_xor_b64 exec, exec, s[6:7]
	s_cbranch_execz .LBB2_12602
; %bb.48443:
	s_getpc_b64 s[14:15]
.Lpost_getpc27805:
	s_add_u32 s14, s14, (.LBB2_26940-.Lpost_getpc27805)&4294967295
	s_addc_u32 s15, s15, (.LBB2_26940-.Lpost_getpc27805)>>32
	s_setpc_b64 s[14:15]
.LBB2_12602:
	s_or_b64 exec, exec, s[6:7]
	s_and_saveexec_b64 s[6:7], s[4:5]
	s_cbranch_execz .LBB2_12604
.LBB2_12603:
	v_bfe_u32 v2, v7, 24, 3
	v_ffbh_u32_e32 v14, v2
	v_min_u32_e32 v14, 32, v14
	v_lshrrev_b32_e32 v12, 27, v7
	v_subrev_u32_e32 v15, 28, v14
	v_and_b32_e32 v6, 0x80000000, v7
	v_and_b32_e32 v12, 15, v12
	v_bfe_u32 v13, v7, 27, 4
	v_lshlrev_b32_sdwa v7, v15, v7 dst_sel:DWORD dst_unused:UNUSED_PAD src0_sel:DWORD src1_sel:BYTE_3
	v_sub_u32_e32 v14, 29, v14
	v_and_b32_e32 v7, 7, v7
	v_cmp_eq_u16_e32 vcc, 0, v12
	v_cndmask_b32_e32 v2, v2, v7, vcc
	v_cndmask_b32_e32 v7, v13, v14, vcc
	v_mov_b32_e32 v12, 0x3b800000
	v_lshlrev_b32_e32 v2, 20, v2
	v_lshl_add_u32 v7, v7, 23, v12
	v_or3_b32 v2, v6, v7, v2
.LBB2_12604:
	s_or_b64 exec, exec, s[6:7]
	s_movk_i32 s4, 0x7f
	v_cmp_gt_i16_sdwa s[6:7], v3, s4 src0_sel:BYTE_3 src1_sel:DWORD
	s_mov_b64 s[4:5], 0
                                        ; implicit-def: $sgpr10
	s_and_saveexec_b64 s[8:9], s[6:7]
	s_xor_b64 s[6:7], exec, s[8:9]
	s_cbranch_execz .LBB2_12605
; %bb.48445:
	s_getpc_b64 s[14:15]
.Lpost_getpc27806:
	s_add_u32 s14, s14, (.LBB2_26941-.Lpost_getpc27806)&4294967295
	s_addc_u32 s15, s15, (.LBB2_26941-.Lpost_getpc27806)>>32
	s_setpc_b64 s[14:15]
.LBB2_12605:
	s_or_saveexec_b64 s[6:7], s[6:7]
	v_mov_b32_e32 v6, s10
	s_xor_b64 exec, exec, s[6:7]
	s_cbranch_execz .LBB2_12606
; %bb.48447:
	s_getpc_b64 s[14:15]
.Lpost_getpc27807:
	s_add_u32 s14, s14, (.LBB2_26944-.Lpost_getpc27807)&4294967295
	s_addc_u32 s15, s15, (.LBB2_26944-.Lpost_getpc27807)>>32
	s_setpc_b64 s[14:15]
.LBB2_12606:
	s_or_b64 exec, exec, s[6:7]
	s_and_saveexec_b64 s[6:7], s[4:5]
	s_cbranch_execz .LBB2_12608
.LBB2_12607:
	v_bfe_u32 v6, v3, 24, 3
	v_ffbh_u32_e32 v14, v6
	v_min_u32_e32 v14, 32, v14
	v_lshrrev_b32_e32 v12, 27, v3
	v_subrev_u32_e32 v15, 28, v14
	v_and_b32_e32 v7, 0x80000000, v3
	v_and_b32_e32 v12, 15, v12
	v_bfe_u32 v13, v3, 27, 4
	v_lshlrev_b32_sdwa v3, v15, v3 dst_sel:DWORD dst_unused:UNUSED_PAD src0_sel:DWORD src1_sel:BYTE_3
	v_sub_u32_e32 v14, 29, v14
	v_and_b32_e32 v3, 7, v3
	v_cmp_eq_u16_e32 vcc, 0, v12
	v_cndmask_b32_e32 v3, v6, v3, vcc
	v_cndmask_b32_e32 v6, v13, v14, vcc
	v_mov_b32_e32 v12, 0x3b800000
	v_lshlrev_b32_e32 v3, 20, v3
	v_lshl_add_u32 v6, v6, 23, v12
	v_or3_b32 v6, v7, v6, v3
.LBB2_12608:
	s_or_b64 exec, exec, s[6:7]
	s_nop 0
	v_mfma_f32_16x16x4f32 a[0:3], v2, v6, a[0:3]
	s_movk_i32 s4, 0x7f
	v_cmp_gt_i16_sdwa s[6:7], v8, s4 src0_sel:BYTE_0 src1_sel:DWORD
	s_mov_b64 s[4:5], 0
                                        ; implicit-def: $sgpr10
	s_and_saveexec_b64 s[8:9], s[6:7]
	s_xor_b64 s[6:7], exec, s[8:9]
	s_cbranch_execz .LBB2_12609
; %bb.48449:
	s_getpc_b64 s[14:15]
.Lpost_getpc27808:
	s_add_u32 s14, s14, (.LBB2_26945-.Lpost_getpc27808)&4294967295
	s_addc_u32 s15, s15, (.LBB2_26945-.Lpost_getpc27808)>>32
	s_setpc_b64 s[14:15]
.LBB2_12609:
	s_or_saveexec_b64 s[6:7], s[6:7]
	v_mov_b32_e32 v2, s10
	s_xor_b64 exec, exec, s[6:7]
	s_cbranch_execz .LBB2_12610
; %bb.48451:
	s_getpc_b64 s[14:15]
.Lpost_getpc27809:
	s_add_u32 s14, s14, (.LBB2_26948-.Lpost_getpc27809)&4294967295
	s_addc_u32 s15, s15, (.LBB2_26948-.Lpost_getpc27809)>>32
	s_setpc_b64 s[14:15]
.LBB2_12610:
	s_or_b64 exec, exec, s[6:7]
	s_and_saveexec_b64 s[6:7], s[4:5]
	s_cbranch_execz .LBB2_12612
.LBB2_12611:
	v_and_b32_e32 v2, 7, v8
	v_ffbh_u32_e32 v6, v2
	v_min_u32_e32 v6, 32, v6
	v_lshrrev_b16_e32 v3, 3, v8
	v_subrev_u32_e32 v7, 28, v6
	v_and_b32_e32 v3, 15, v3
	v_lshlrev_b32_e32 v7, v7, v8
	v_sub_u32_e32 v6, 29, v6
	v_and_b32_e32 v7, 7, v7
	v_cmp_eq_u16_e32 vcc, 0, v3
	v_cndmask_b32_e32 v2, v2, v7, vcc
	v_cndmask_b32_e32 v3, v3, v6, vcc
	v_lshlrev_b32_e32 v6, 24, v8
	v_mov_b32_e32 v7, 0x3b800000
	v_lshlrev_b32_e32 v2, 20, v2
	v_and_b32_e32 v6, 0x80000000, v6
	v_lshl_add_u32 v3, v3, 23, v7
	v_or3_b32 v2, v6, v3, v2
.LBB2_12612:
	s_or_b64 exec, exec, s[6:7]
	s_movk_i32 s4, 0x7f
	v_cmp_gt_i16_sdwa s[6:7], v4, s4 src0_sel:BYTE_0 src1_sel:DWORD
	s_mov_b64 s[4:5], 0
                                        ; implicit-def: $sgpr10
	s_and_saveexec_b64 s[8:9], s[6:7]
	s_xor_b64 s[6:7], exec, s[8:9]
	s_cbranch_execz .LBB2_12613
; %bb.48453:
	s_getpc_b64 s[14:15]
.Lpost_getpc27810:
	s_add_u32 s14, s14, (.LBB2_26949-.Lpost_getpc27810)&4294967295
	s_addc_u32 s15, s15, (.LBB2_26949-.Lpost_getpc27810)>>32
	s_setpc_b64 s[14:15]
.LBB2_12613:
	s_or_saveexec_b64 s[6:7], s[6:7]
	v_mov_b32_e32 v3, s10
	s_xor_b64 exec, exec, s[6:7]
	s_cbranch_execz .LBB2_12614
; %bb.48455:
	s_getpc_b64 s[14:15]
.Lpost_getpc27811:
	s_add_u32 s14, s14, (.LBB2_26952-.Lpost_getpc27811)&4294967295
	s_addc_u32 s15, s15, (.LBB2_26952-.Lpost_getpc27811)>>32
	s_setpc_b64 s[14:15]
.LBB2_12614:
	s_or_b64 exec, exec, s[6:7]
	s_and_saveexec_b64 s[6:7], s[4:5]
	s_cbranch_execz .LBB2_12616
.LBB2_12615:
	v_and_b32_e32 v3, 7, v4
	v_ffbh_u32_e32 v7, v3
	v_min_u32_e32 v7, 32, v7
	v_lshrrev_b16_e32 v6, 3, v4
	v_subrev_u32_e32 v12, 28, v7
	v_and_b32_e32 v6, 15, v6
	v_lshlrev_b32_e32 v12, v12, v4
	v_sub_u32_e32 v7, 29, v7
	v_and_b32_e32 v12, 7, v12
	v_cmp_eq_u16_e32 vcc, 0, v6
	v_cndmask_b32_e32 v3, v3, v12, vcc
	v_cndmask_b32_e32 v6, v6, v7, vcc
	v_lshlrev_b32_e32 v7, 24, v4
	v_mov_b32_e32 v12, 0x3b800000
	v_lshlrev_b32_e32 v3, 20, v3
	v_and_b32_e32 v7, 0x80000000, v7
	v_lshl_add_u32 v6, v6, 23, v12
	v_or3_b32 v3, v7, v6, v3
.LBB2_12616:
	s_or_b64 exec, exec, s[6:7]
	s_nop 0
	v_mfma_f32_16x16x4f32 a[0:3], v2, v3, a[0:3]
	v_lshrrev_b32_e32 v3, 8, v8
	s_movk_i32 s4, 0x7f
	v_cmp_gt_i16_sdwa s[6:7], v3, s4 src0_sel:BYTE_0 src1_sel:DWORD
	s_mov_b64 s[4:5], 0
                                        ; implicit-def: $sgpr10
	s_and_saveexec_b64 s[8:9], s[6:7]
	s_xor_b64 s[6:7], exec, s[8:9]
	s_cbranch_execz .LBB2_12617
; %bb.48457:
	s_getpc_b64 s[14:15]
.Lpost_getpc27812:
	s_add_u32 s14, s14, (.LBB2_26953-.Lpost_getpc27812)&4294967295
	s_addc_u32 s15, s15, (.LBB2_26953-.Lpost_getpc27812)>>32
	s_setpc_b64 s[14:15]
.LBB2_12617:
	s_or_saveexec_b64 s[6:7], s[6:7]
	v_mov_b32_e32 v2, s10
	s_xor_b64 exec, exec, s[6:7]
	s_cbranch_execz .LBB2_12618
; %bb.48459:
	s_getpc_b64 s[14:15]
.Lpost_getpc27813:
	s_add_u32 s14, s14, (.LBB2_26956-.Lpost_getpc27813)&4294967295
	s_addc_u32 s15, s15, (.LBB2_26956-.Lpost_getpc27813)>>32
	s_setpc_b64 s[14:15]
.LBB2_12618:
	s_or_b64 exec, exec, s[6:7]
	s_and_saveexec_b64 s[6:7], s[4:5]
	s_cbranch_execz .LBB2_12620
.LBB2_12619:
	v_bfe_u32 v2, v8, 8, 3
	v_ffbh_u32_e32 v7, v2
	v_min_u32_e32 v7, 32, v7
	v_lshrrev_b16_e32 v6, 3, v3
	v_subrev_u32_e32 v12, 28, v7
	v_and_b32_e32 v6, 15, v6
	v_lshlrev_b32_e32 v3, v12, v3
	v_sub_u32_e32 v7, 29, v7
	v_and_b32_e32 v3, 7, v3
	v_cmp_eq_u16_e32 vcc, 0, v6
	v_cndmask_b32_e32 v2, v2, v3, vcc
	v_cndmask_b32_e32 v3, v6, v7, vcc
	v_lshlrev_b32_e32 v6, 16, v8
	v_mov_b32_e32 v7, 0x3b800000
	v_lshlrev_b32_e32 v2, 20, v2
	v_and_b32_e32 v6, 0x80000000, v6
	v_lshl_add_u32 v3, v3, 23, v7
	v_or3_b32 v2, v6, v3, v2
.LBB2_12620:
	s_or_b64 exec, exec, s[6:7]
	v_lshrrev_b32_e32 v3, 8, v4
	s_movk_i32 s4, 0x7f
	v_cmp_gt_i16_sdwa s[6:7], v3, s4 src0_sel:BYTE_0 src1_sel:DWORD
	s_mov_b64 s[4:5], 0
                                        ; implicit-def: $sgpr10
	s_and_saveexec_b64 s[8:9], s[6:7]
	s_xor_b64 s[6:7], exec, s[8:9]
	s_cbranch_execz .LBB2_12621
; %bb.48461:
	s_getpc_b64 s[14:15]
.Lpost_getpc27814:
	s_add_u32 s14, s14, (.LBB2_26957-.Lpost_getpc27814)&4294967295
	s_addc_u32 s15, s15, (.LBB2_26957-.Lpost_getpc27814)>>32
	s_setpc_b64 s[14:15]
.LBB2_12621:
	s_or_saveexec_b64 s[6:7], s[6:7]
	v_mov_b32_e32 v6, s10
	s_xor_b64 exec, exec, s[6:7]
	s_cbranch_execz .LBB2_12622
; %bb.48463:
	s_getpc_b64 s[14:15]
.Lpost_getpc27815:
	s_add_u32 s14, s14, (.LBB2_26960-.Lpost_getpc27815)&4294967295
	s_addc_u32 s15, s15, (.LBB2_26960-.Lpost_getpc27815)>>32
	s_setpc_b64 s[14:15]
.LBB2_12622:
	s_or_b64 exec, exec, s[6:7]
	s_and_saveexec_b64 s[6:7], s[4:5]
	s_cbranch_execz .LBB2_12624
.LBB2_12623:
	v_bfe_u32 v6, v4, 8, 3
	v_ffbh_u32_e32 v12, v6
	v_min_u32_e32 v12, 32, v12
	v_lshrrev_b16_e32 v7, 3, v3
	v_subrev_u32_e32 v13, 28, v12
	v_and_b32_e32 v7, 15, v7
	v_lshlrev_b32_e32 v3, v13, v3
	v_sub_u32_e32 v12, 29, v12
	v_and_b32_e32 v3, 7, v3
	v_cmp_eq_u16_e32 vcc, 0, v7
	v_cndmask_b32_e32 v3, v6, v3, vcc
	v_cndmask_b32_e32 v6, v7, v12, vcc
	v_lshlrev_b32_e32 v7, 16, v4
	v_mov_b32_e32 v12, 0x3b800000
	v_lshlrev_b32_e32 v3, 20, v3
	v_and_b32_e32 v7, 0x80000000, v7
	v_lshl_add_u32 v6, v6, 23, v12
	v_or3_b32 v6, v7, v6, v3
.LBB2_12624:
	s_or_b64 exec, exec, s[6:7]
	s_nop 0
	v_mfma_f32_16x16x4f32 a[0:3], v2, v6, a[0:3]
	s_movk_i32 s4, 0xff
	v_and_b32_sdwa v3, v8, s4 dst_sel:DWORD dst_unused:UNUSED_PAD src0_sel:WORD_1 src1_sel:DWORD
	s_movk_i32 s4, 0x7f
	v_cmp_lt_i16_e32 vcc, s4, v3
	s_mov_b64 s[4:5], 0
                                        ; implicit-def: $sgpr10
	s_and_saveexec_b64 s[6:7], vcc
	s_xor_b64 s[6:7], exec, s[6:7]
	s_cbranch_execz .LBB2_12625
; %bb.48465:
	s_getpc_b64 s[14:15]
.Lpost_getpc27816:
	s_add_u32 s14, s14, (.LBB2_26961-.Lpost_getpc27816)&4294967295
	s_addc_u32 s15, s15, (.LBB2_26961-.Lpost_getpc27816)>>32
	s_setpc_b64 s[14:15]
.LBB2_12625:
	s_or_saveexec_b64 s[6:7], s[6:7]
	v_mov_b32_e32 v2, s10
	s_xor_b64 exec, exec, s[6:7]
	s_cbranch_execz .LBB2_12626
; %bb.48467:
	s_getpc_b64 s[14:15]
.Lpost_getpc27817:
	s_add_u32 s14, s14, (.LBB2_26964-.Lpost_getpc27817)&4294967295
	s_addc_u32 s15, s15, (.LBB2_26964-.Lpost_getpc27817)>>32
	s_setpc_b64 s[14:15]
.LBB2_12626:
	s_or_b64 exec, exec, s[6:7]
	s_and_saveexec_b64 s[6:7], s[4:5]
	s_cbranch_execz .LBB2_12628
.LBB2_12627:
	v_bfe_u32 v2, v8, 16, 3
	v_ffbh_u32_e32 v7, v2
	v_min_u32_e32 v7, 32, v7
	v_lshrrev_b32_e32 v3, 19, v8
	v_subrev_u32_e32 v12, 28, v7
	v_and_b32_e32 v3, 15, v3
	v_lshlrev_b32_sdwa v12, v12, v8 dst_sel:DWORD dst_unused:UNUSED_PAD src0_sel:DWORD src1_sel:WORD_1
	v_bfe_u32 v6, v8, 19, 4
	v_sub_u32_e32 v7, 29, v7
	v_and_b32_e32 v12, 7, v12
	v_cmp_eq_u16_e32 vcc, 0, v3
	v_cndmask_b32_e32 v2, v2, v12, vcc
	v_cndmask_b32_e32 v3, v6, v7, vcc
	v_lshlrev_b32_e32 v6, 8, v8
	v_mov_b32_e32 v7, 0x3b800000
	v_lshlrev_b32_e32 v2, 20, v2
	v_and_b32_e32 v6, 0x80000000, v6
	v_lshl_add_u32 v3, v3, 23, v7
	v_or3_b32 v2, v6, v3, v2
.LBB2_12628:
	s_or_b64 exec, exec, s[6:7]
	s_movk_i32 s4, 0xff
	v_and_b32_sdwa v3, v4, s4 dst_sel:DWORD dst_unused:UNUSED_PAD src0_sel:WORD_1 src1_sel:DWORD
	s_movk_i32 s4, 0x7f
	v_cmp_lt_i16_e32 vcc, s4, v3
	s_mov_b64 s[4:5], 0
                                        ; implicit-def: $sgpr10
	s_and_saveexec_b64 s[6:7], vcc
	s_xor_b64 s[6:7], exec, s[6:7]
	s_cbranch_execz .LBB2_12629
; %bb.48469:
	s_getpc_b64 s[14:15]
.Lpost_getpc27818:
	s_add_u32 s14, s14, (.LBB2_26965-.Lpost_getpc27818)&4294967295
	s_addc_u32 s15, s15, (.LBB2_26965-.Lpost_getpc27818)>>32
	s_setpc_b64 s[14:15]
.LBB2_12629:
	s_or_saveexec_b64 s[6:7], s[6:7]
	v_mov_b32_e32 v6, s10
	s_xor_b64 exec, exec, s[6:7]
	s_cbranch_execz .LBB2_12630
; %bb.48471:
	s_getpc_b64 s[14:15]
.Lpost_getpc27819:
	s_add_u32 s14, s14, (.LBB2_26968-.Lpost_getpc27819)&4294967295
	s_addc_u32 s15, s15, (.LBB2_26968-.Lpost_getpc27819)>>32
	s_setpc_b64 s[14:15]
.LBB2_12630:
	s_or_b64 exec, exec, s[6:7]
	s_and_saveexec_b64 s[6:7], s[4:5]
	s_cbranch_execz .LBB2_12632
.LBB2_12631:
	v_bfe_u32 v3, v4, 16, 3
	v_ffbh_u32_e32 v12, v3
	v_min_u32_e32 v12, 32, v12
	v_lshrrev_b32_e32 v6, 19, v4
	v_subrev_u32_e32 v13, 28, v12
	v_and_b32_e32 v6, 15, v6
	v_lshlrev_b32_sdwa v13, v13, v4 dst_sel:DWORD dst_unused:UNUSED_PAD src0_sel:DWORD src1_sel:WORD_1
	v_bfe_u32 v7, v4, 19, 4
	v_sub_u32_e32 v12, 29, v12
	v_and_b32_e32 v13, 7, v13
	v_cmp_eq_u16_e32 vcc, 0, v6
	v_cndmask_b32_e32 v3, v3, v13, vcc
	v_cndmask_b32_e32 v6, v7, v12, vcc
	v_lshlrev_b32_e32 v7, 8, v4
	v_mov_b32_e32 v12, 0x3b800000
	v_lshlrev_b32_e32 v3, 20, v3
	v_and_b32_e32 v7, 0x80000000, v7
	v_lshl_add_u32 v6, v6, 23, v12
	v_or3_b32 v6, v7, v6, v3
.LBB2_12632:
	s_or_b64 exec, exec, s[6:7]
	s_nop 0
	v_mfma_f32_16x16x4f32 a[0:3], v2, v6, a[0:3]
	s_movk_i32 s4, 0x7f
	v_cmp_gt_i16_sdwa s[6:7], v8, s4 src0_sel:BYTE_3 src1_sel:DWORD
	s_mov_b64 s[4:5], 0
                                        ; implicit-def: $sgpr10
	s_and_saveexec_b64 s[8:9], s[6:7]
	s_xor_b64 s[6:7], exec, s[8:9]
	s_cbranch_execz .LBB2_12633
; %bb.48473:
	s_getpc_b64 s[14:15]
.Lpost_getpc27820:
	s_add_u32 s14, s14, (.LBB2_26969-.Lpost_getpc27820)&4294967295
	s_addc_u32 s15, s15, (.LBB2_26969-.Lpost_getpc27820)>>32
	s_setpc_b64 s[14:15]
.LBB2_12633:
	s_or_saveexec_b64 s[6:7], s[6:7]
	v_mov_b32_e32 v2, s10
	s_xor_b64 exec, exec, s[6:7]
	s_cbranch_execz .LBB2_12634
; %bb.48475:
	s_getpc_b64 s[14:15]
.Lpost_getpc27821:
	s_add_u32 s14, s14, (.LBB2_26972-.Lpost_getpc27821)&4294967295
	s_addc_u32 s15, s15, (.LBB2_26972-.Lpost_getpc27821)>>32
	s_setpc_b64 s[14:15]
.LBB2_12634:
	s_or_b64 exec, exec, s[6:7]
	s_and_saveexec_b64 s[6:7], s[4:5]
	s_cbranch_execz .LBB2_12636
.LBB2_12635:
	v_bfe_u32 v2, v8, 24, 3
	v_ffbh_u32_e32 v12, v2
	v_min_u32_e32 v12, 32, v12
	v_lshrrev_b32_e32 v6, 27, v8
	v_subrev_u32_e32 v13, 28, v12
	v_and_b32_e32 v3, 0x80000000, v8
	v_and_b32_e32 v6, 15, v6
	v_bfe_u32 v7, v8, 27, 4
	v_lshlrev_b32_sdwa v8, v13, v8 dst_sel:DWORD dst_unused:UNUSED_PAD src0_sel:DWORD src1_sel:BYTE_3
	v_sub_u32_e32 v12, 29, v12
	v_and_b32_e32 v8, 7, v8
	v_cmp_eq_u16_e32 vcc, 0, v6
	v_cndmask_b32_e32 v2, v2, v8, vcc
	v_cndmask_b32_e32 v6, v7, v12, vcc
	v_mov_b32_e32 v7, 0x3b800000
	v_lshlrev_b32_e32 v2, 20, v2
	v_lshl_add_u32 v6, v6, 23, v7
	v_or3_b32 v2, v3, v6, v2
.LBB2_12636:
	s_or_b64 exec, exec, s[6:7]
	s_movk_i32 s4, 0x7f
	v_cmp_gt_i16_sdwa s[6:7], v4, s4 src0_sel:BYTE_3 src1_sel:DWORD
	s_mov_b64 s[4:5], 0
                                        ; implicit-def: $sgpr10
	s_and_saveexec_b64 s[8:9], s[6:7]
	s_xor_b64 s[6:7], exec, s[8:9]
	s_cbranch_execz .LBB2_12637
; %bb.48477:
	s_getpc_b64 s[14:15]
.Lpost_getpc27822:
	s_add_u32 s14, s14, (.LBB2_26973-.Lpost_getpc27822)&4294967295
	s_addc_u32 s15, s15, (.LBB2_26973-.Lpost_getpc27822)>>32
	s_setpc_b64 s[14:15]
.LBB2_12637:
	s_or_saveexec_b64 s[6:7], s[6:7]
	v_mov_b32_e32 v3, s10
	s_xor_b64 exec, exec, s[6:7]
	s_cbranch_execz .LBB2_12638
; %bb.48479:
	s_getpc_b64 s[14:15]
.Lpost_getpc27823:
	s_add_u32 s14, s14, (.LBB2_26976-.Lpost_getpc27823)&4294967295
	s_addc_u32 s15, s15, (.LBB2_26976-.Lpost_getpc27823)>>32
	s_setpc_b64 s[14:15]
.LBB2_12638:
	s_or_b64 exec, exec, s[6:7]
	s_and_saveexec_b64 s[6:7], s[4:5]
	s_cbranch_execz .LBB2_12640
.LBB2_12639:
	v_bfe_u32 v3, v4, 24, 3
	v_ffbh_u32_e32 v12, v3
	v_min_u32_e32 v12, 32, v12
	v_lshrrev_b32_e32 v7, 27, v4
	v_subrev_u32_e32 v13, 28, v12
	v_and_b32_e32 v6, 0x80000000, v4
	v_and_b32_e32 v7, 15, v7
	v_bfe_u32 v8, v4, 27, 4
	v_lshlrev_b32_sdwa v4, v13, v4 dst_sel:DWORD dst_unused:UNUSED_PAD src0_sel:DWORD src1_sel:BYTE_3
	v_sub_u32_e32 v12, 29, v12
	v_and_b32_e32 v4, 7, v4
	v_cmp_eq_u16_e32 vcc, 0, v7
	v_cndmask_b32_e32 v3, v3, v4, vcc
	v_cndmask_b32_e32 v4, v8, v12, vcc
	v_mov_b32_e32 v7, 0x3b800000
	v_lshlrev_b32_e32 v3, 20, v3
	v_lshl_add_u32 v4, v4, 23, v7
	v_or3_b32 v3, v6, v4, v3
.LBB2_12640:
	s_or_b64 exec, exec, s[6:7]
	s_nop 0
	v_mfma_f32_16x16x4f32 a[0:3], v2, v3, a[0:3]
	s_movk_i32 s4, 0x7f
	v_cmp_gt_i16_sdwa s[6:7], v9, s4 src0_sel:BYTE_0 src1_sel:DWORD
	s_mov_b64 s[4:5], 0
                                        ; implicit-def: $sgpr10
	s_and_saveexec_b64 s[8:9], s[6:7]
	s_xor_b64 s[6:7], exec, s[8:9]
	s_cbranch_execz .LBB2_12641
; %bb.48481:
	s_getpc_b64 s[14:15]
.Lpost_getpc27824:
	s_add_u32 s14, s14, (.LBB2_26977-.Lpost_getpc27824)&4294967295
	s_addc_u32 s15, s15, (.LBB2_26977-.Lpost_getpc27824)>>32
	s_setpc_b64 s[14:15]
.LBB2_12641:
	s_or_saveexec_b64 s[6:7], s[6:7]
	v_mov_b32_e32 v2, s10
	s_xor_b64 exec, exec, s[6:7]
	s_cbranch_execz .LBB2_12642
; %bb.48483:
	s_getpc_b64 s[14:15]
.Lpost_getpc27825:
	s_add_u32 s14, s14, (.LBB2_26980-.Lpost_getpc27825)&4294967295
	s_addc_u32 s15, s15, (.LBB2_26980-.Lpost_getpc27825)>>32
	s_setpc_b64 s[14:15]
.LBB2_12642:
	s_or_b64 exec, exec, s[6:7]
	s_and_saveexec_b64 s[6:7], s[4:5]
	s_cbranch_execz .LBB2_12644
.LBB2_12643:
	v_mov_b32_e32 v2, 8
	v_and_b32_e32 v3, 7, v9
	v_lshrrev_b32_sdwa v2, v2, v9 dst_sel:BYTE_1 dst_unused:UNUSED_PAD src0_sel:DWORD src1_sel:DWORD
	v_ffbh_u32_e32 v4, v3
	v_or_b32_sdwa v2, v9, v2 dst_sel:DWORD dst_unused:UNUSED_PAD src0_sel:BYTE_0 src1_sel:DWORD
	v_min_u32_e32 v4, 32, v4
	v_lshrrev_b16_e32 v2, 3, v2
	v_subrev_u32_e32 v6, 28, v4
	v_and_b32_e32 v2, 15, v2
	v_lshlrev_b32_e32 v6, v6, v9
	v_sub_u32_e32 v4, 29, v4
	v_and_b32_e32 v6, 7, v6
	v_cmp_eq_u16_e32 vcc, 0, v2
	v_cndmask_b32_e32 v3, v3, v6, vcc
	v_cndmask_b32_e32 v2, v2, v4, vcc
	v_lshlrev_b32_e32 v4, 24, v9
	v_mov_b32_e32 v6, 0x3b800000
	v_lshlrev_b32_e32 v3, 20, v3
	v_and_b32_e32 v4, 0x80000000, v4
	v_lshl_add_u32 v2, v2, 23, v6
	v_or3_b32 v2, v4, v2, v3
.LBB2_12644:
	s_or_b64 exec, exec, s[6:7]
	s_movk_i32 s4, 0x7f
	v_cmp_gt_i16_sdwa s[6:7], v5, s4 src0_sel:BYTE_0 src1_sel:DWORD
	s_mov_b64 s[4:5], 0
                                        ; implicit-def: $sgpr10
	s_and_saveexec_b64 s[8:9], s[6:7]
	s_xor_b64 s[6:7], exec, s[8:9]
	s_cbranch_execz .LBB2_12645
; %bb.48485:
	s_getpc_b64 s[14:15]
.Lpost_getpc27826:
	s_add_u32 s14, s14, (.LBB2_26981-.Lpost_getpc27826)&4294967295
	s_addc_u32 s15, s15, (.LBB2_26981-.Lpost_getpc27826)>>32
	s_setpc_b64 s[14:15]
.LBB2_12645:
	s_or_saveexec_b64 s[6:7], s[6:7]
	v_mov_b32_e32 v3, s10
	s_xor_b64 exec, exec, s[6:7]
	s_cbranch_execz .LBB2_12646
; %bb.48487:
	s_getpc_b64 s[14:15]
.Lpost_getpc27827:
	s_add_u32 s14, s14, (.LBB2_26984-.Lpost_getpc27827)&4294967295
	s_addc_u32 s15, s15, (.LBB2_26984-.Lpost_getpc27827)>>32
	s_setpc_b64 s[14:15]
.LBB2_12646:
	s_or_b64 exec, exec, s[6:7]
	s_and_saveexec_b64 s[6:7], s[4:5]
	s_cbranch_execz .LBB2_12648
.LBB2_12647:
	v_mov_b32_e32 v3, 8
	v_and_b32_e32 v4, 7, v5
	v_lshrrev_b32_sdwa v3, v3, v5 dst_sel:BYTE_1 dst_unused:UNUSED_PAD src0_sel:DWORD src1_sel:DWORD
	v_ffbh_u32_e32 v6, v4
	v_or_b32_sdwa v3, v5, v3 dst_sel:DWORD dst_unused:UNUSED_PAD src0_sel:BYTE_0 src1_sel:DWORD
	v_min_u32_e32 v6, 32, v6
	v_lshrrev_b16_e32 v3, 3, v3
	v_subrev_u32_e32 v7, 28, v6
	v_and_b32_e32 v3, 15, v3
	v_lshlrev_b32_e32 v7, v7, v5
	v_sub_u32_e32 v6, 29, v6
	v_and_b32_e32 v7, 7, v7
	v_cmp_eq_u16_e32 vcc, 0, v3
	v_cndmask_b32_e32 v4, v4, v7, vcc
	v_cndmask_b32_e32 v3, v3, v6, vcc
	v_lshlrev_b32_e32 v6, 24, v5
	v_mov_b32_e32 v7, 0x3b800000
	v_lshlrev_b32_e32 v4, 20, v4
	v_and_b32_e32 v6, 0x80000000, v6
	v_lshl_add_u32 v3, v3, 23, v7
	v_or3_b32 v3, v6, v3, v4
.LBB2_12648:
	s_or_b64 exec, exec, s[6:7]
	s_nop 0
	v_mfma_f32_16x16x4f32 a[0:3], v2, v3, a[0:3]
	v_lshrrev_b32_e32 v3, 8, v9
	s_movk_i32 s4, 0x7f
	v_cmp_gt_i16_sdwa s[6:7], v3, s4 src0_sel:BYTE_0 src1_sel:DWORD
	s_mov_b64 s[4:5], 0
                                        ; implicit-def: $sgpr10
	s_and_saveexec_b64 s[8:9], s[6:7]
	s_xor_b64 s[6:7], exec, s[8:9]
	s_cbranch_execz .LBB2_12649
; %bb.48489:
	s_getpc_b64 s[14:15]
.Lpost_getpc27828:
	s_add_u32 s14, s14, (.LBB2_26985-.Lpost_getpc27828)&4294967295
	s_addc_u32 s15, s15, (.LBB2_26985-.Lpost_getpc27828)>>32
	s_setpc_b64 s[14:15]
.LBB2_12649:
	s_or_saveexec_b64 s[6:7], s[6:7]
	v_mov_b32_e32 v2, s10
	s_xor_b64 exec, exec, s[6:7]
	s_cbranch_execz .LBB2_12650
; %bb.48491:
	s_getpc_b64 s[14:15]
.Lpost_getpc27829:
	s_add_u32 s14, s14, (.LBB2_26988-.Lpost_getpc27829)&4294967295
	s_addc_u32 s15, s15, (.LBB2_26988-.Lpost_getpc27829)>>32
	s_setpc_b64 s[14:15]
.LBB2_12650:
	s_or_b64 exec, exec, s[6:7]
	s_and_saveexec_b64 s[6:7], s[4:5]
	s_cbranch_execz .LBB2_12652
.LBB2_12651:
	v_bfe_u32 v2, v9, 8, 3
	v_ffbh_u32_e32 v6, v2
	v_min_u32_e32 v6, 32, v6
	v_lshrrev_b16_e32 v4, 3, v3
	v_subrev_u32_e32 v7, 28, v6
	v_and_b32_e32 v4, 15, v4
	v_lshlrev_b32_e32 v3, v7, v3
	v_sub_u32_e32 v6, 29, v6
	v_and_b32_e32 v3, 7, v3
	v_cmp_eq_u16_e32 vcc, 0, v4
	v_cndmask_b32_e32 v2, v2, v3, vcc
	v_cndmask_b32_e32 v3, v4, v6, vcc
	v_lshlrev_b32_e32 v4, 16, v9
	v_mov_b32_e32 v6, 0x3b800000
	v_lshlrev_b32_e32 v2, 20, v2
	v_and_b32_e32 v4, 0x80000000, v4
	v_lshl_add_u32 v3, v3, 23, v6
	v_or3_b32 v2, v4, v3, v2
.LBB2_12652:
	s_or_b64 exec, exec, s[6:7]
	v_lshrrev_b32_e32 v3, 8, v5
	s_movk_i32 s4, 0x7f
	v_cmp_gt_i16_sdwa s[6:7], v3, s4 src0_sel:BYTE_0 src1_sel:DWORD
	s_mov_b64 s[4:5], 0
                                        ; implicit-def: $sgpr10
	s_and_saveexec_b64 s[8:9], s[6:7]
	s_xor_b64 s[6:7], exec, s[8:9]
	s_cbranch_execz .LBB2_12653
; %bb.48493:
	s_getpc_b64 s[14:15]
.Lpost_getpc27830:
	s_add_u32 s14, s14, (.LBB2_26989-.Lpost_getpc27830)&4294967295
	s_addc_u32 s15, s15, (.LBB2_26989-.Lpost_getpc27830)>>32
	s_setpc_b64 s[14:15]
.LBB2_12653:
	s_or_saveexec_b64 s[6:7], s[6:7]
	v_mov_b32_e32 v4, s10
	s_xor_b64 exec, exec, s[6:7]
	s_cbranch_execz .LBB2_12654
; %bb.48495:
	s_getpc_b64 s[14:15]
.Lpost_getpc27831:
	s_add_u32 s14, s14, (.LBB2_26992-.Lpost_getpc27831)&4294967295
	s_addc_u32 s15, s15, (.LBB2_26992-.Lpost_getpc27831)>>32
	s_setpc_b64 s[14:15]
.LBB2_12654:
	s_or_b64 exec, exec, s[6:7]
	s_and_saveexec_b64 s[6:7], s[4:5]
	s_cbranch_execz .LBB2_12656
.LBB2_12655:
	v_bfe_u32 v4, v5, 8, 3
	v_ffbh_u32_e32 v7, v4
	v_min_u32_e32 v7, 32, v7
	v_lshrrev_b16_e32 v6, 3, v3
	v_subrev_u32_e32 v8, 28, v7
	v_and_b32_e32 v6, 15, v6
	v_lshlrev_b32_e32 v3, v8, v3
	v_sub_u32_e32 v7, 29, v7
	v_and_b32_e32 v3, 7, v3
	v_cmp_eq_u16_e32 vcc, 0, v6
	v_cndmask_b32_e32 v3, v4, v3, vcc
	v_cndmask_b32_e32 v4, v6, v7, vcc
	v_lshlrev_b32_e32 v6, 16, v5
	v_mov_b32_e32 v7, 0x3b800000
	v_lshlrev_b32_e32 v3, 20, v3
	v_and_b32_e32 v6, 0x80000000, v6
	v_lshl_add_u32 v4, v4, 23, v7
	v_or3_b32 v4, v6, v4, v3
.LBB2_12656:
	s_or_b64 exec, exec, s[6:7]
	s_nop 0
	v_mfma_f32_16x16x4f32 a[0:3], v2, v4, a[0:3]
	s_movk_i32 s4, 0xff
	v_and_b32_sdwa v3, v9, s4 dst_sel:DWORD dst_unused:UNUSED_PAD src0_sel:WORD_1 src1_sel:DWORD
	s_movk_i32 s4, 0x7f
	v_cmp_lt_i16_e32 vcc, s4, v3
	s_mov_b64 s[4:5], 0
                                        ; implicit-def: $sgpr10
	s_and_saveexec_b64 s[6:7], vcc
	s_xor_b64 s[6:7], exec, s[6:7]
	s_cbranch_execz .LBB2_12657
; %bb.48497:
	s_getpc_b64 s[14:15]
.Lpost_getpc27832:
	s_add_u32 s14, s14, (.LBB2_26993-.Lpost_getpc27832)&4294967295
	s_addc_u32 s15, s15, (.LBB2_26993-.Lpost_getpc27832)>>32
	s_setpc_b64 s[14:15]
.LBB2_12657:
	s_or_saveexec_b64 s[6:7], s[6:7]
	v_mov_b32_e32 v2, s10
	s_xor_b64 exec, exec, s[6:7]
	s_cbranch_execz .LBB2_12658
; %bb.48499:
	s_getpc_b64 s[14:15]
.Lpost_getpc27833:
	s_add_u32 s14, s14, (.LBB2_26996-.Lpost_getpc27833)&4294967295
	s_addc_u32 s15, s15, (.LBB2_26996-.Lpost_getpc27833)>>32
	s_setpc_b64 s[14:15]
.LBB2_12658:
	s_or_b64 exec, exec, s[6:7]
	s_and_saveexec_b64 s[6:7], s[4:5]
	s_cbranch_execz .LBB2_12660
.LBB2_12659:
	v_bfe_u32 v2, v9, 16, 3
	v_ffbh_u32_e32 v6, v2
	v_min_u32_e32 v6, 32, v6
	v_lshrrev_b32_e32 v3, 19, v9
	v_subrev_u32_e32 v7, 28, v6
	v_and_b32_e32 v3, 15, v3
	v_lshlrev_b32_sdwa v7, v7, v9 dst_sel:DWORD dst_unused:UNUSED_PAD src0_sel:DWORD src1_sel:WORD_1
	v_bfe_u32 v4, v9, 19, 4
	v_sub_u32_e32 v6, 29, v6
	v_and_b32_e32 v7, 7, v7
	v_cmp_eq_u16_e32 vcc, 0, v3
	v_cndmask_b32_e32 v2, v2, v7, vcc
	v_cndmask_b32_e32 v3, v4, v6, vcc
	v_lshlrev_b32_e32 v4, 8, v9
	v_mov_b32_e32 v6, 0x3b800000
	v_lshlrev_b32_e32 v2, 20, v2
	v_and_b32_e32 v4, 0x80000000, v4
	v_lshl_add_u32 v3, v3, 23, v6
	v_or3_b32 v2, v4, v3, v2
.LBB2_12660:
	s_or_b64 exec, exec, s[6:7]
	s_movk_i32 s4, 0xff
	v_and_b32_sdwa v3, v5, s4 dst_sel:DWORD dst_unused:UNUSED_PAD src0_sel:WORD_1 src1_sel:DWORD
	s_movk_i32 s4, 0x7f
	v_cmp_lt_i16_e32 vcc, s4, v3
	s_mov_b64 s[4:5], 0
                                        ; implicit-def: $sgpr10
	s_and_saveexec_b64 s[6:7], vcc
	s_xor_b64 s[6:7], exec, s[6:7]
	s_cbranch_execz .LBB2_12661
; %bb.48501:
	s_getpc_b64 s[14:15]
.Lpost_getpc27834:
	s_add_u32 s14, s14, (.LBB2_26997-.Lpost_getpc27834)&4294967295
	s_addc_u32 s15, s15, (.LBB2_26997-.Lpost_getpc27834)>>32
	s_setpc_b64 s[14:15]
.LBB2_12661:
	s_or_saveexec_b64 s[6:7], s[6:7]
	v_mov_b32_e32 v4, s10
	s_xor_b64 exec, exec, s[6:7]
	s_cbranch_execz .LBB2_12662
; %bb.48503:
	s_getpc_b64 s[14:15]
.Lpost_getpc27835:
	s_add_u32 s14, s14, (.LBB2_27000-.Lpost_getpc27835)&4294967295
	s_addc_u32 s15, s15, (.LBB2_27000-.Lpost_getpc27835)>>32
	s_setpc_b64 s[14:15]
.LBB2_12662:
	s_or_b64 exec, exec, s[6:7]
	s_and_saveexec_b64 s[6:7], s[4:5]
	s_cbranch_execz .LBB2_12664
.LBB2_12663:
	v_bfe_u32 v3, v5, 16, 3
	v_ffbh_u32_e32 v7, v3
	v_min_u32_e32 v7, 32, v7
	v_lshrrev_b32_e32 v4, 19, v5
	v_subrev_u32_e32 v8, 28, v7
	v_and_b32_e32 v4, 15, v4
	v_lshlrev_b32_sdwa v8, v8, v5 dst_sel:DWORD dst_unused:UNUSED_PAD src0_sel:DWORD src1_sel:WORD_1
	v_bfe_u32 v6, v5, 19, 4
	v_sub_u32_e32 v7, 29, v7
	v_and_b32_e32 v8, 7, v8
	v_cmp_eq_u16_e32 vcc, 0, v4
	v_cndmask_b32_e32 v3, v3, v8, vcc
	v_cndmask_b32_e32 v4, v6, v7, vcc
	v_lshlrev_b32_e32 v6, 8, v5
	v_mov_b32_e32 v7, 0x3b800000
	v_lshlrev_b32_e32 v3, 20, v3
	v_and_b32_e32 v6, 0x80000000, v6
	v_lshl_add_u32 v4, v4, 23, v7
	v_or3_b32 v4, v6, v4, v3
.LBB2_12664:
	s_or_b64 exec, exec, s[6:7]
	s_nop 0
	v_mfma_f32_16x16x4f32 a[0:3], v2, v4, a[0:3]
	s_movk_i32 s4, 0x7f
	v_cmp_gt_i16_sdwa s[6:7], v9, s4 src0_sel:BYTE_3 src1_sel:DWORD
	s_mov_b64 s[4:5], 0
                                        ; implicit-def: $sgpr10
	s_and_saveexec_b64 s[8:9], s[6:7]
	s_xor_b64 s[6:7], exec, s[8:9]
	s_cbranch_execz .LBB2_12665
; %bb.48505:
	s_getpc_b64 s[14:15]
.Lpost_getpc27836:
	s_add_u32 s14, s14, (.LBB2_27001-.Lpost_getpc27836)&4294967295
	s_addc_u32 s15, s15, (.LBB2_27001-.Lpost_getpc27836)>>32
	s_setpc_b64 s[14:15]
.LBB2_12665:
	s_or_saveexec_b64 s[6:7], s[6:7]
	v_mov_b32_e32 v2, s10
	s_xor_b64 exec, exec, s[6:7]
	s_cbranch_execz .LBB2_12666
; %bb.48507:
	s_getpc_b64 s[14:15]
.Lpost_getpc27837:
	s_add_u32 s14, s14, (.LBB2_27004-.Lpost_getpc27837)&4294967295
	s_addc_u32 s15, s15, (.LBB2_27004-.Lpost_getpc27837)>>32
	s_setpc_b64 s[14:15]
.LBB2_12666:
	s_or_b64 exec, exec, s[6:7]
	s_and_saveexec_b64 s[6:7], s[4:5]
	s_cbranch_execz .LBB2_12668
.LBB2_12667:
	v_bfe_u32 v2, v9, 24, 3
	v_ffbh_u32_e32 v7, v2
	v_min_u32_e32 v7, 32, v7
	v_lshrrev_b32_e32 v4, 27, v9
	v_subrev_u32_e32 v8, 28, v7
	v_and_b32_e32 v4, 15, v4
	v_lshlrev_b32_sdwa v8, v8, v9 dst_sel:DWORD dst_unused:UNUSED_PAD src0_sel:DWORD src1_sel:BYTE_3
	v_bfe_u32 v6, v9, 27, 4
	v_sub_u32_e32 v7, 29, v7
	v_and_b32_e32 v8, 7, v8
	v_cmp_eq_u16_e32 vcc, 0, v4
	v_cndmask_b32_e32 v2, v2, v8, vcc
	v_cndmask_b32_e32 v4, v6, v7, vcc
	v_mov_b32_e32 v6, 0x3b800000
	v_and_b32_e32 v3, 0x80000000, v9
	v_lshlrev_b32_e32 v2, 20, v2
	v_lshl_add_u32 v4, v4, 23, v6
	v_or3_b32 v2, v3, v4, v2
.LBB2_12668:
	s_or_b64 exec, exec, s[6:7]
	s_movk_i32 s4, 0x7f
	v_cmp_gt_i16_sdwa s[6:7], v5, s4 src0_sel:BYTE_3 src1_sel:DWORD
	s_mov_b64 s[4:5], 0
                                        ; implicit-def: $sgpr10
	s_and_saveexec_b64 s[8:9], s[6:7]
	s_xor_b64 s[6:7], exec, s[8:9]
	s_cbranch_execz .LBB2_12669
; %bb.48509:
	s_getpc_b64 s[14:15]
.Lpost_getpc27838:
	s_add_u32 s14, s14, (.LBB2_27005-.Lpost_getpc27838)&4294967295
	s_addc_u32 s15, s15, (.LBB2_27005-.Lpost_getpc27838)>>32
	s_setpc_b64 s[14:15]
.LBB2_12669:
	s_or_saveexec_b64 s[6:7], s[6:7]
	v_mov_b32_e32 v3, s10
	s_xor_b64 exec, exec, s[6:7]
	s_cbranch_execz .LBB2_12670
; %bb.48511:
	s_getpc_b64 s[14:15]
.Lpost_getpc27839:
	s_add_u32 s14, s14, (.LBB2_27008-.Lpost_getpc27839)&4294967295
	s_addc_u32 s15, s15, (.LBB2_27008-.Lpost_getpc27839)>>32
	s_setpc_b64 s[14:15]
.LBB2_12670:
	s_or_b64 exec, exec, s[6:7]
	s_and_saveexec_b64 s[6:7], s[4:5]
	s_cbranch_execz .LBB2_12672
.LBB2_12671:
	v_bfe_u32 v3, v5, 24, 3
	v_ffbh_u32_e32 v8, v3
	v_min_u32_e32 v8, 32, v8
	v_lshrrev_b32_e32 v6, 27, v5
	v_subrev_u32_e32 v9, 28, v8
	v_and_b32_e32 v4, 0x80000000, v5
	v_and_b32_e32 v6, 15, v6
	v_bfe_u32 v7, v5, 27, 4
	v_lshlrev_b32_sdwa v5, v9, v5 dst_sel:DWORD dst_unused:UNUSED_PAD src0_sel:DWORD src1_sel:BYTE_3
	v_sub_u32_e32 v8, 29, v8
	v_and_b32_e32 v5, 7, v5
	v_cmp_eq_u16_e32 vcc, 0, v6
	v_cndmask_b32_e32 v3, v3, v5, vcc
	v_cndmask_b32_e32 v5, v7, v8, vcc
	v_mov_b32_e32 v6, 0x3b800000
	v_lshlrev_b32_e32 v3, 20, v3
	v_lshl_add_u32 v5, v5, 23, v6
	v_or3_b32 v3, v4, v5, v3
.LBB2_12672:
	s_or_b64 exec, exec, s[6:7]
	s_nop 0
	v_mfma_f32_16x16x4f32 a[0:3], v2, v3, a[0:3]
	s_movk_i32 s4, 0x7f
                                        ; implicit-def: $sgpr10
	s_nop 7
	s_nop 1
	flat_store_dwordx4 v[10:11], a[0:3] offset:672
	flat_load_dwordx4 v[12:15], v[0:1]
	s_nop 0
	flat_load_dwordx2 v[10:11], v[0:1] offset:16
	s_waitcnt vmcnt(0) lgkmcnt(0)
	flat_load_dwordx4 v[6:9], v[12:13] offset:192
	flat_load_dwordx4 v[2:5], v[14:15] offset:176
	s_waitcnt vmcnt(0) lgkmcnt(0)
	v_cmp_gt_i16_sdwa s[6:7], v6, s4 src0_sel:BYTE_0 src1_sel:DWORD
	s_mov_b64 s[4:5], 0
	s_and_saveexec_b64 s[8:9], s[6:7]
	s_xor_b64 s[6:7], exec, s[8:9]
	s_cbranch_execz .LBB2_12673
; %bb.48513:
	s_getpc_b64 s[14:15]
.Lpost_getpc27840:
	s_add_u32 s14, s14, (.LBB2_27009-.Lpost_getpc27840)&4294967295
	s_addc_u32 s15, s15, (.LBB2_27009-.Lpost_getpc27840)>>32
	s_setpc_b64 s[14:15]
.LBB2_12673:
	s_or_saveexec_b64 s[6:7], s[6:7]
	v_mov_b32_e32 v12, s10
	s_xor_b64 exec, exec, s[6:7]
	s_cbranch_execz .LBB2_12674
; %bb.48515:
	s_getpc_b64 s[14:15]
.Lpost_getpc27841:
	s_add_u32 s14, s14, (.LBB2_27012-.Lpost_getpc27841)&4294967295
	s_addc_u32 s15, s15, (.LBB2_27012-.Lpost_getpc27841)>>32
	s_setpc_b64 s[14:15]
.LBB2_12674:
	s_or_b64 exec, exec, s[6:7]
	s_and_saveexec_b64 s[6:7], s[4:5]
	s_cbranch_execz .LBB2_12676
.LBB2_12675:
	v_and_b32_e32 v12, 7, v6
	v_ffbh_u32_e32 v14, v12
	v_min_u32_e32 v14, 32, v14
	v_lshrrev_b16_e32 v13, 3, v6
	v_subrev_u32_e32 v15, 28, v14
	v_and_b32_e32 v13, 15, v13
	v_lshlrev_b32_e32 v15, v15, v6
	v_sub_u32_e32 v14, 29, v14
	v_and_b32_e32 v15, 7, v15
	v_cmp_eq_u16_e32 vcc, 0, v13
	v_cndmask_b32_e32 v12, v12, v15, vcc
	v_cndmask_b32_e32 v13, v13, v14, vcc
	v_lshlrev_b32_e32 v14, 24, v6
	v_mov_b32_e32 v15, 0x3b800000
	v_lshlrev_b32_e32 v12, 20, v12
	v_and_b32_e32 v14, 0x80000000, v14
	v_lshl_add_u32 v13, v13, 23, v15
	v_or3_b32 v12, v14, v13, v12
.LBB2_12676:
	s_or_b64 exec, exec, s[6:7]
	s_movk_i32 s4, 0x7f
	v_cmp_gt_i16_sdwa s[6:7], v2, s4 src0_sel:BYTE_0 src1_sel:DWORD
	s_mov_b64 s[4:5], 0
                                        ; implicit-def: $sgpr10
	s_and_saveexec_b64 s[8:9], s[6:7]
	s_xor_b64 s[6:7], exec, s[8:9]
	s_cbranch_execz .LBB2_12677
; %bb.48517:
	s_getpc_b64 s[14:15]
.Lpost_getpc27842:
	s_add_u32 s14, s14, (.LBB2_27013-.Lpost_getpc27842)&4294967295
	s_addc_u32 s15, s15, (.LBB2_27013-.Lpost_getpc27842)>>32
	s_setpc_b64 s[14:15]
.LBB2_12677:
	s_or_saveexec_b64 s[6:7], s[6:7]
	v_mov_b32_e32 v13, s10
	s_xor_b64 exec, exec, s[6:7]
	s_cbranch_execz .LBB2_12678
; %bb.48519:
	s_getpc_b64 s[14:15]
.Lpost_getpc27843:
	s_add_u32 s14, s14, (.LBB2_27016-.Lpost_getpc27843)&4294967295
	s_addc_u32 s15, s15, (.LBB2_27016-.Lpost_getpc27843)>>32
	s_setpc_b64 s[14:15]
.LBB2_12678:
	s_or_b64 exec, exec, s[6:7]
	s_and_saveexec_b64 s[6:7], s[4:5]
	s_cbranch_execz .LBB2_12680
.LBB2_12679:
	v_and_b32_e32 v13, 7, v2
	v_ffbh_u32_e32 v15, v13
	v_min_u32_e32 v15, 32, v15
	v_lshrrev_b16_e32 v14, 3, v2
	v_subrev_u32_e32 v16, 28, v15
	v_and_b32_e32 v14, 15, v14
	v_lshlrev_b32_e32 v16, v16, v2
	v_sub_u32_e32 v15, 29, v15
	v_and_b32_e32 v16, 7, v16
	v_cmp_eq_u16_e32 vcc, 0, v14
	v_cndmask_b32_e32 v13, v13, v16, vcc
	v_cndmask_b32_e32 v14, v14, v15, vcc
	v_lshlrev_b32_e32 v15, 24, v2
	v_mov_b32_e32 v16, 0x3b800000
	v_lshlrev_b32_e32 v13, 20, v13
	v_and_b32_e32 v15, 0x80000000, v15
	v_lshl_add_u32 v14, v14, 23, v16
	v_or3_b32 v13, v15, v14, v13
.LBB2_12680:
	s_or_b64 exec, exec, s[6:7]
	flat_load_dwordx4 a[0:3], v[10:11] offset:688
	s_movk_i32 s4, 0x7f
                                        ; implicit-def: $sgpr10
	s_waitcnt vmcnt(0) lgkmcnt(0)
	v_mfma_f32_16x16x4f32 a[0:3], v12, v13, a[0:3]
	v_lshrrev_b32_e32 v13, 8, v6
	v_cmp_gt_i16_sdwa s[6:7], v13, s4 src0_sel:BYTE_0 src1_sel:DWORD
	s_mov_b64 s[4:5], 0
	s_and_saveexec_b64 s[8:9], s[6:7]
	s_xor_b64 s[6:7], exec, s[8:9]
	s_cbranch_execz .LBB2_12681
; %bb.48521:
	s_getpc_b64 s[14:15]
.Lpost_getpc27844:
	s_add_u32 s14, s14, (.LBB2_27017-.Lpost_getpc27844)&4294967295
	s_addc_u32 s15, s15, (.LBB2_27017-.Lpost_getpc27844)>>32
	s_setpc_b64 s[14:15]
.LBB2_12681:
	s_or_saveexec_b64 s[6:7], s[6:7]
	v_mov_b32_e32 v12, s10
	s_xor_b64 exec, exec, s[6:7]
	s_cbranch_execz .LBB2_12682
; %bb.48523:
	s_getpc_b64 s[14:15]
.Lpost_getpc27845:
	s_add_u32 s14, s14, (.LBB2_27020-.Lpost_getpc27845)&4294967295
	s_addc_u32 s15, s15, (.LBB2_27020-.Lpost_getpc27845)>>32
	s_setpc_b64 s[14:15]
.LBB2_12682:
	s_or_b64 exec, exec, s[6:7]
	s_and_saveexec_b64 s[6:7], s[4:5]
	s_cbranch_execz .LBB2_12684
.LBB2_12683:
	v_bfe_u32 v12, v6, 8, 3
	v_ffbh_u32_e32 v15, v12
	v_min_u32_e32 v15, 32, v15
	v_lshrrev_b16_e32 v14, 3, v13
	v_subrev_u32_e32 v16, 28, v15
	v_and_b32_e32 v14, 15, v14
	v_lshlrev_b32_e32 v13, v16, v13
	v_sub_u32_e32 v15, 29, v15
	v_and_b32_e32 v13, 7, v13
	v_cmp_eq_u16_e32 vcc, 0, v14
	v_cndmask_b32_e32 v12, v12, v13, vcc
	v_cndmask_b32_e32 v13, v14, v15, vcc
	v_lshlrev_b32_e32 v14, 16, v6
	v_mov_b32_e32 v15, 0x3b800000
	v_lshlrev_b32_e32 v12, 20, v12
	v_and_b32_e32 v14, 0x80000000, v14
	v_lshl_add_u32 v13, v13, 23, v15
	v_or3_b32 v12, v14, v13, v12
.LBB2_12684:
	s_or_b64 exec, exec, s[6:7]
	v_lshrrev_b32_e32 v13, 8, v2
	s_movk_i32 s4, 0x7f
	v_cmp_gt_i16_sdwa s[6:7], v13, s4 src0_sel:BYTE_0 src1_sel:DWORD
	s_mov_b64 s[4:5], 0
                                        ; implicit-def: $sgpr10
	s_and_saveexec_b64 s[8:9], s[6:7]
	s_xor_b64 s[6:7], exec, s[8:9]
	s_cbranch_execz .LBB2_12685
; %bb.48525:
	s_getpc_b64 s[14:15]
.Lpost_getpc27846:
	s_add_u32 s14, s14, (.LBB2_27021-.Lpost_getpc27846)&4294967295
	s_addc_u32 s15, s15, (.LBB2_27021-.Lpost_getpc27846)>>32
	s_setpc_b64 s[14:15]
.LBB2_12685:
	s_or_saveexec_b64 s[6:7], s[6:7]
	v_mov_b32_e32 v14, s10
	s_xor_b64 exec, exec, s[6:7]
	s_cbranch_execz .LBB2_12686
; %bb.48527:
	s_getpc_b64 s[14:15]
.Lpost_getpc27847:
	s_add_u32 s14, s14, (.LBB2_27024-.Lpost_getpc27847)&4294967295
	s_addc_u32 s15, s15, (.LBB2_27024-.Lpost_getpc27847)>>32
	s_setpc_b64 s[14:15]
.LBB2_12686:
	s_or_b64 exec, exec, s[6:7]
	s_and_saveexec_b64 s[6:7], s[4:5]
	s_cbranch_execz .LBB2_12688
.LBB2_12687:
	v_bfe_u32 v14, v2, 8, 3
	v_ffbh_u32_e32 v16, v14
	v_min_u32_e32 v16, 32, v16
	v_lshrrev_b16_e32 v15, 3, v13
	v_subrev_u32_e32 v17, 28, v16
	v_and_b32_e32 v15, 15, v15
	v_lshlrev_b32_e32 v13, v17, v13
	v_sub_u32_e32 v16, 29, v16
	v_and_b32_e32 v13, 7, v13
	v_cmp_eq_u16_e32 vcc, 0, v15
	v_cndmask_b32_e32 v13, v14, v13, vcc
	v_cndmask_b32_e32 v14, v15, v16, vcc
	v_lshlrev_b32_e32 v15, 16, v2
	v_mov_b32_e32 v16, 0x3b800000
	v_lshlrev_b32_e32 v13, 20, v13
	v_and_b32_e32 v15, 0x80000000, v15
	v_lshl_add_u32 v14, v14, 23, v16
	v_or3_b32 v14, v15, v14, v13
.LBB2_12688:
	s_or_b64 exec, exec, s[6:7]
	s_nop 0
	v_mfma_f32_16x16x4f32 a[0:3], v12, v14, a[0:3]
	s_movk_i32 s4, 0xff
	v_and_b32_sdwa v13, v6, s4 dst_sel:DWORD dst_unused:UNUSED_PAD src0_sel:WORD_1 src1_sel:DWORD
	s_movk_i32 s4, 0x7f
	v_cmp_lt_i16_e32 vcc, s4, v13
	s_mov_b64 s[4:5], 0
                                        ; implicit-def: $sgpr10
	s_and_saveexec_b64 s[6:7], vcc
	s_xor_b64 s[6:7], exec, s[6:7]
	s_cbranch_execz .LBB2_12689
; %bb.48529:
	s_getpc_b64 s[14:15]
.Lpost_getpc27848:
	s_add_u32 s14, s14, (.LBB2_27025-.Lpost_getpc27848)&4294967295
	s_addc_u32 s15, s15, (.LBB2_27025-.Lpost_getpc27848)>>32
	s_setpc_b64 s[14:15]
.LBB2_12689:
	s_or_saveexec_b64 s[6:7], s[6:7]
	v_mov_b32_e32 v12, s10
	s_xor_b64 exec, exec, s[6:7]
	s_cbranch_execz .LBB2_12690
; %bb.48531:
	s_getpc_b64 s[14:15]
.Lpost_getpc27849:
	s_add_u32 s14, s14, (.LBB2_27028-.Lpost_getpc27849)&4294967295
	s_addc_u32 s15, s15, (.LBB2_27028-.Lpost_getpc27849)>>32
	s_setpc_b64 s[14:15]
.LBB2_12690:
	s_or_b64 exec, exec, s[6:7]
	s_and_saveexec_b64 s[6:7], s[4:5]
	s_cbranch_execz .LBB2_12692
.LBB2_12691:
	v_bfe_u32 v12, v6, 16, 3
	v_ffbh_u32_e32 v15, v12
	v_min_u32_e32 v15, 32, v15
	v_lshrrev_b32_e32 v13, 19, v6
	v_subrev_u32_e32 v16, 28, v15
	v_and_b32_e32 v13, 15, v13
	v_lshlrev_b32_sdwa v16, v16, v6 dst_sel:DWORD dst_unused:UNUSED_PAD src0_sel:DWORD src1_sel:WORD_1
	v_bfe_u32 v14, v6, 19, 4
	v_sub_u32_e32 v15, 29, v15
	v_and_b32_e32 v16, 7, v16
	v_cmp_eq_u16_e32 vcc, 0, v13
	v_cndmask_b32_e32 v12, v12, v16, vcc
	v_cndmask_b32_e32 v13, v14, v15, vcc
	v_lshlrev_b32_e32 v14, 8, v6
	v_mov_b32_e32 v15, 0x3b800000
	v_lshlrev_b32_e32 v12, 20, v12
	v_and_b32_e32 v14, 0x80000000, v14
	v_lshl_add_u32 v13, v13, 23, v15
	v_or3_b32 v12, v14, v13, v12
.LBB2_12692:
	s_or_b64 exec, exec, s[6:7]
	s_movk_i32 s4, 0xff
	v_and_b32_sdwa v13, v2, s4 dst_sel:DWORD dst_unused:UNUSED_PAD src0_sel:WORD_1 src1_sel:DWORD
	s_movk_i32 s4, 0x7f
	v_cmp_lt_i16_e32 vcc, s4, v13
	s_mov_b64 s[4:5], 0
                                        ; implicit-def: $sgpr10
	s_and_saveexec_b64 s[6:7], vcc
	s_xor_b64 s[6:7], exec, s[6:7]
	s_cbranch_execz .LBB2_12693
; %bb.48533:
	s_getpc_b64 s[14:15]
.Lpost_getpc27850:
	s_add_u32 s14, s14, (.LBB2_27029-.Lpost_getpc27850)&4294967295
	s_addc_u32 s15, s15, (.LBB2_27029-.Lpost_getpc27850)>>32
	s_setpc_b64 s[14:15]
.LBB2_12693:
	s_or_saveexec_b64 s[6:7], s[6:7]
	v_mov_b32_e32 v14, s10
	s_xor_b64 exec, exec, s[6:7]
	s_cbranch_execz .LBB2_12694
; %bb.48535:
	s_getpc_b64 s[14:15]
.Lpost_getpc27851:
	s_add_u32 s14, s14, (.LBB2_27032-.Lpost_getpc27851)&4294967295
	s_addc_u32 s15, s15, (.LBB2_27032-.Lpost_getpc27851)>>32
	s_setpc_b64 s[14:15]
.LBB2_12694:
	s_or_b64 exec, exec, s[6:7]
	s_and_saveexec_b64 s[6:7], s[4:5]
	s_cbranch_execz .LBB2_12696
.LBB2_12695:
	v_bfe_u32 v13, v2, 16, 3
	v_ffbh_u32_e32 v16, v13
	v_min_u32_e32 v16, 32, v16
	v_lshrrev_b32_e32 v14, 19, v2
	v_subrev_u32_e32 v17, 28, v16
	v_and_b32_e32 v14, 15, v14
	v_lshlrev_b32_sdwa v17, v17, v2 dst_sel:DWORD dst_unused:UNUSED_PAD src0_sel:DWORD src1_sel:WORD_1
	v_bfe_u32 v15, v2, 19, 4
	v_sub_u32_e32 v16, 29, v16
	v_and_b32_e32 v17, 7, v17
	v_cmp_eq_u16_e32 vcc, 0, v14
	v_cndmask_b32_e32 v13, v13, v17, vcc
	v_cndmask_b32_e32 v14, v15, v16, vcc
	v_lshlrev_b32_e32 v15, 8, v2
	v_mov_b32_e32 v16, 0x3b800000
	v_lshlrev_b32_e32 v13, 20, v13
	v_and_b32_e32 v15, 0x80000000, v15
	v_lshl_add_u32 v14, v14, 23, v16
	v_or3_b32 v14, v15, v14, v13
.LBB2_12696:
	s_or_b64 exec, exec, s[6:7]
	s_nop 0
	v_mfma_f32_16x16x4f32 a[0:3], v12, v14, a[0:3]
	s_movk_i32 s4, 0x7f
	v_cmp_gt_i16_sdwa s[6:7], v6, s4 src0_sel:BYTE_3 src1_sel:DWORD
	s_mov_b64 s[4:5], 0
                                        ; implicit-def: $sgpr10
	s_and_saveexec_b64 s[8:9], s[6:7]
	s_xor_b64 s[6:7], exec, s[8:9]
	s_cbranch_execz .LBB2_12697
; %bb.48537:
	s_getpc_b64 s[14:15]
.Lpost_getpc27852:
	s_add_u32 s14, s14, (.LBB2_27033-.Lpost_getpc27852)&4294967295
	s_addc_u32 s15, s15, (.LBB2_27033-.Lpost_getpc27852)>>32
	s_setpc_b64 s[14:15]
.LBB2_12697:
	s_or_saveexec_b64 s[6:7], s[6:7]
	v_mov_b32_e32 v12, s10
	s_xor_b64 exec, exec, s[6:7]
	s_cbranch_execz .LBB2_12698
; %bb.48539:
	s_getpc_b64 s[14:15]
.Lpost_getpc27853:
	s_add_u32 s14, s14, (.LBB2_27036-.Lpost_getpc27853)&4294967295
	s_addc_u32 s15, s15, (.LBB2_27036-.Lpost_getpc27853)>>32
	s_setpc_b64 s[14:15]
.LBB2_12698:
	s_or_b64 exec, exec, s[6:7]
	s_and_saveexec_b64 s[6:7], s[4:5]
	s_cbranch_execz .LBB2_12700
.LBB2_12699:
	v_bfe_u32 v12, v6, 24, 3
	v_ffbh_u32_e32 v16, v12
	v_min_u32_e32 v16, 32, v16
	v_lshrrev_b32_e32 v14, 27, v6
	v_subrev_u32_e32 v17, 28, v16
	v_and_b32_e32 v13, 0x80000000, v6
	v_and_b32_e32 v14, 15, v14
	v_bfe_u32 v15, v6, 27, 4
	v_lshlrev_b32_sdwa v6, v17, v6 dst_sel:DWORD dst_unused:UNUSED_PAD src0_sel:DWORD src1_sel:BYTE_3
	v_sub_u32_e32 v16, 29, v16
	v_and_b32_e32 v6, 7, v6
	v_cmp_eq_u16_e32 vcc, 0, v14
	v_cndmask_b32_e32 v6, v12, v6, vcc
	v_cndmask_b32_e32 v12, v15, v16, vcc
	v_mov_b32_e32 v14, 0x3b800000
	v_lshlrev_b32_e32 v6, 20, v6
	v_lshl_add_u32 v12, v12, 23, v14
	v_or3_b32 v12, v13, v12, v6
.LBB2_12700:
	s_or_b64 exec, exec, s[6:7]
	s_movk_i32 s4, 0x7f
	v_cmp_gt_i16_sdwa s[6:7], v2, s4 src0_sel:BYTE_3 src1_sel:DWORD
	s_mov_b64 s[4:5], 0
                                        ; implicit-def: $sgpr10
	s_and_saveexec_b64 s[8:9], s[6:7]
	s_xor_b64 s[6:7], exec, s[8:9]
	s_cbranch_execz .LBB2_12701
; %bb.48541:
	s_getpc_b64 s[14:15]
.Lpost_getpc27854:
	s_add_u32 s14, s14, (.LBB2_27037-.Lpost_getpc27854)&4294967295
	s_addc_u32 s15, s15, (.LBB2_27037-.Lpost_getpc27854)>>32
	s_setpc_b64 s[14:15]
.LBB2_12701:
	s_or_saveexec_b64 s[6:7], s[6:7]
	v_mov_b32_e32 v6, s10
	s_xor_b64 exec, exec, s[6:7]
	s_cbranch_execz .LBB2_12702
; %bb.48543:
	s_getpc_b64 s[14:15]
.Lpost_getpc27855:
	s_add_u32 s14, s14, (.LBB2_27040-.Lpost_getpc27855)&4294967295
	s_addc_u32 s15, s15, (.LBB2_27040-.Lpost_getpc27855)>>32
	s_setpc_b64 s[14:15]
.LBB2_12702:
	s_or_b64 exec, exec, s[6:7]
	s_and_saveexec_b64 s[6:7], s[4:5]
	s_cbranch_execz .LBB2_12704
.LBB2_12703:
	v_bfe_u32 v6, v2, 24, 3
	v_ffbh_u32_e32 v16, v6
	v_min_u32_e32 v16, 32, v16
	v_lshrrev_b32_e32 v14, 27, v2
	v_subrev_u32_e32 v17, 28, v16
	v_and_b32_e32 v13, 0x80000000, v2
	v_and_b32_e32 v14, 15, v14
	v_bfe_u32 v15, v2, 27, 4
	v_lshlrev_b32_sdwa v2, v17, v2 dst_sel:DWORD dst_unused:UNUSED_PAD src0_sel:DWORD src1_sel:BYTE_3
	v_sub_u32_e32 v16, 29, v16
	v_and_b32_e32 v2, 7, v2
	v_cmp_eq_u16_e32 vcc, 0, v14
	v_cndmask_b32_e32 v2, v6, v2, vcc
	v_cndmask_b32_e32 v6, v15, v16, vcc
	v_mov_b32_e32 v14, 0x3b800000
	v_lshlrev_b32_e32 v2, 20, v2
	v_lshl_add_u32 v6, v6, 23, v14
	v_or3_b32 v6, v13, v6, v2
.LBB2_12704:
	s_or_b64 exec, exec, s[6:7]
	s_nop 0
	v_mfma_f32_16x16x4f32 a[0:3], v12, v6, a[0:3]
	s_movk_i32 s4, 0x7f
	v_cmp_gt_i16_sdwa s[6:7], v7, s4 src0_sel:BYTE_0 src1_sel:DWORD
	s_mov_b64 s[4:5], 0
                                        ; implicit-def: $sgpr10
	s_and_saveexec_b64 s[8:9], s[6:7]
	s_xor_b64 s[6:7], exec, s[8:9]
	s_cbranch_execz .LBB2_12705
; %bb.48545:
	s_getpc_b64 s[14:15]
.Lpost_getpc27856:
	s_add_u32 s14, s14, (.LBB2_27041-.Lpost_getpc27856)&4294967295
	s_addc_u32 s15, s15, (.LBB2_27041-.Lpost_getpc27856)>>32
	s_setpc_b64 s[14:15]
.LBB2_12705:
	s_or_saveexec_b64 s[6:7], s[6:7]
	v_mov_b32_e32 v2, s10
	s_xor_b64 exec, exec, s[6:7]
	s_cbranch_execz .LBB2_12706
; %bb.48547:
	s_getpc_b64 s[14:15]
.Lpost_getpc27857:
	s_add_u32 s14, s14, (.LBB2_27044-.Lpost_getpc27857)&4294967295
	s_addc_u32 s15, s15, (.LBB2_27044-.Lpost_getpc27857)>>32
	s_setpc_b64 s[14:15]
.LBB2_12706:
	s_or_b64 exec, exec, s[6:7]
	s_and_saveexec_b64 s[6:7], s[4:5]
	s_cbranch_execz .LBB2_12708
.LBB2_12707:
	v_and_b32_e32 v2, 7, v7
	v_ffbh_u32_e32 v12, v2
	v_min_u32_e32 v12, 32, v12
	v_lshrrev_b16_e32 v6, 3, v7
	v_subrev_u32_e32 v13, 28, v12
	v_and_b32_e32 v6, 15, v6
	v_lshlrev_b32_e32 v13, v13, v7
	v_sub_u32_e32 v12, 29, v12
	v_and_b32_e32 v13, 7, v13
	v_cmp_eq_u16_e32 vcc, 0, v6
	v_cndmask_b32_e32 v2, v2, v13, vcc
	v_cndmask_b32_e32 v6, v6, v12, vcc
	v_lshlrev_b32_e32 v12, 24, v7
	v_mov_b32_e32 v13, 0x3b800000
	v_lshlrev_b32_e32 v2, 20, v2
	v_and_b32_e32 v12, 0x80000000, v12
	v_lshl_add_u32 v6, v6, 23, v13
	v_or3_b32 v2, v12, v6, v2
.LBB2_12708:
	s_or_b64 exec, exec, s[6:7]
	s_movk_i32 s4, 0x7f
	v_cmp_gt_i16_sdwa s[6:7], v3, s4 src0_sel:BYTE_0 src1_sel:DWORD
	s_mov_b64 s[4:5], 0
                                        ; implicit-def: $sgpr10
	s_and_saveexec_b64 s[8:9], s[6:7]
	s_xor_b64 s[6:7], exec, s[8:9]
	s_cbranch_execz .LBB2_12709
; %bb.48549:
	s_getpc_b64 s[14:15]
.Lpost_getpc27858:
	s_add_u32 s14, s14, (.LBB2_27045-.Lpost_getpc27858)&4294967295
	s_addc_u32 s15, s15, (.LBB2_27045-.Lpost_getpc27858)>>32
	s_setpc_b64 s[14:15]
.LBB2_12709:
	s_or_saveexec_b64 s[6:7], s[6:7]
	v_mov_b32_e32 v6, s10
	s_xor_b64 exec, exec, s[6:7]
	s_cbranch_execz .LBB2_12710
; %bb.48551:
	s_getpc_b64 s[14:15]
.Lpost_getpc27859:
	s_add_u32 s14, s14, (.LBB2_27048-.Lpost_getpc27859)&4294967295
	s_addc_u32 s15, s15, (.LBB2_27048-.Lpost_getpc27859)>>32
	s_setpc_b64 s[14:15]
.LBB2_12710:
	s_or_b64 exec, exec, s[6:7]
	s_and_saveexec_b64 s[6:7], s[4:5]
	s_cbranch_execz .LBB2_12712
.LBB2_12711:
	v_and_b32_e32 v6, 7, v3
	v_ffbh_u32_e32 v13, v6
	v_min_u32_e32 v13, 32, v13
	v_lshrrev_b16_e32 v12, 3, v3
	v_subrev_u32_e32 v14, 28, v13
	v_and_b32_e32 v12, 15, v12
	v_lshlrev_b32_e32 v14, v14, v3
	v_sub_u32_e32 v13, 29, v13
	v_and_b32_e32 v14, 7, v14
	v_cmp_eq_u16_e32 vcc, 0, v12
	v_cndmask_b32_e32 v6, v6, v14, vcc
	v_cndmask_b32_e32 v12, v12, v13, vcc
	v_lshlrev_b32_e32 v13, 24, v3
	v_mov_b32_e32 v14, 0x3b800000
	v_lshlrev_b32_e32 v6, 20, v6
	v_and_b32_e32 v13, 0x80000000, v13
	v_lshl_add_u32 v12, v12, 23, v14
	v_or3_b32 v6, v13, v12, v6
.LBB2_12712:
	s_or_b64 exec, exec, s[6:7]
	s_nop 0
	v_mfma_f32_16x16x4f32 a[0:3], v2, v6, a[0:3]
	v_lshrrev_b32_e32 v6, 8, v7
	s_movk_i32 s4, 0x7f
	v_cmp_gt_i16_sdwa s[6:7], v6, s4 src0_sel:BYTE_0 src1_sel:DWORD
	s_mov_b64 s[4:5], 0
                                        ; implicit-def: $sgpr10
	s_and_saveexec_b64 s[8:9], s[6:7]
	s_xor_b64 s[6:7], exec, s[8:9]
	s_cbranch_execz .LBB2_12713
; %bb.48553:
	s_getpc_b64 s[14:15]
.Lpost_getpc27860:
	s_add_u32 s14, s14, (.LBB2_27049-.Lpost_getpc27860)&4294967295
	s_addc_u32 s15, s15, (.LBB2_27049-.Lpost_getpc27860)>>32
	s_setpc_b64 s[14:15]
.LBB2_12713:
	s_or_saveexec_b64 s[6:7], s[6:7]
	v_mov_b32_e32 v2, s10
	s_xor_b64 exec, exec, s[6:7]
	s_cbranch_execz .LBB2_12714
; %bb.48555:
	s_getpc_b64 s[14:15]
.Lpost_getpc27861:
	s_add_u32 s14, s14, (.LBB2_27052-.Lpost_getpc27861)&4294967295
	s_addc_u32 s15, s15, (.LBB2_27052-.Lpost_getpc27861)>>32
	s_setpc_b64 s[14:15]
.LBB2_12714:
	s_or_b64 exec, exec, s[6:7]
	s_and_saveexec_b64 s[6:7], s[4:5]
	s_cbranch_execz .LBB2_12716
.LBB2_12715:
	v_bfe_u32 v2, v7, 8, 3
	v_ffbh_u32_e32 v13, v2
	v_min_u32_e32 v13, 32, v13
	v_lshrrev_b16_e32 v12, 3, v6
	v_subrev_u32_e32 v14, 28, v13
	v_and_b32_e32 v12, 15, v12
	v_lshlrev_b32_e32 v6, v14, v6
	v_sub_u32_e32 v13, 29, v13
	v_and_b32_e32 v6, 7, v6
	v_cmp_eq_u16_e32 vcc, 0, v12
	v_cndmask_b32_e32 v2, v2, v6, vcc
	v_cndmask_b32_e32 v6, v12, v13, vcc
	v_lshlrev_b32_e32 v12, 16, v7
	v_mov_b32_e32 v13, 0x3b800000
	v_lshlrev_b32_e32 v2, 20, v2
	v_and_b32_e32 v12, 0x80000000, v12
	v_lshl_add_u32 v6, v6, 23, v13
	v_or3_b32 v2, v12, v6, v2
.LBB2_12716:
	s_or_b64 exec, exec, s[6:7]
	v_lshrrev_b32_e32 v6, 8, v3
	s_movk_i32 s4, 0x7f
	v_cmp_gt_i16_sdwa s[6:7], v6, s4 src0_sel:BYTE_0 src1_sel:DWORD
	s_mov_b64 s[4:5], 0
                                        ; implicit-def: $sgpr10
	s_and_saveexec_b64 s[8:9], s[6:7]
	s_xor_b64 s[6:7], exec, s[8:9]
	s_cbranch_execz .LBB2_12717
; %bb.48557:
	s_getpc_b64 s[14:15]
.Lpost_getpc27862:
	s_add_u32 s14, s14, (.LBB2_27053-.Lpost_getpc27862)&4294967295
	s_addc_u32 s15, s15, (.LBB2_27053-.Lpost_getpc27862)>>32
	s_setpc_b64 s[14:15]
.LBB2_12717:
	s_or_saveexec_b64 s[6:7], s[6:7]
	v_mov_b32_e32 v12, s10
	s_xor_b64 exec, exec, s[6:7]
	s_cbranch_execz .LBB2_12718
; %bb.48559:
	s_getpc_b64 s[14:15]
.Lpost_getpc27863:
	s_add_u32 s14, s14, (.LBB2_27056-.Lpost_getpc27863)&4294967295
	s_addc_u32 s15, s15, (.LBB2_27056-.Lpost_getpc27863)>>32
	s_setpc_b64 s[14:15]
.LBB2_12718:
	s_or_b64 exec, exec, s[6:7]
	s_and_saveexec_b64 s[6:7], s[4:5]
	s_cbranch_execz .LBB2_12720
.LBB2_12719:
	v_bfe_u32 v12, v3, 8, 3
	v_ffbh_u32_e32 v14, v12
	v_min_u32_e32 v14, 32, v14
	v_lshrrev_b16_e32 v13, 3, v6
	v_subrev_u32_e32 v15, 28, v14
	v_and_b32_e32 v13, 15, v13
	v_lshlrev_b32_e32 v6, v15, v6
	v_sub_u32_e32 v14, 29, v14
	v_and_b32_e32 v6, 7, v6
	v_cmp_eq_u16_e32 vcc, 0, v13
	v_cndmask_b32_e32 v6, v12, v6, vcc
	v_cndmask_b32_e32 v12, v13, v14, vcc
	v_lshlrev_b32_e32 v13, 16, v3
	v_mov_b32_e32 v14, 0x3b800000
	v_lshlrev_b32_e32 v6, 20, v6
	v_and_b32_e32 v13, 0x80000000, v13
	v_lshl_add_u32 v12, v12, 23, v14
	v_or3_b32 v12, v13, v12, v6
.LBB2_12720:
	s_or_b64 exec, exec, s[6:7]
	s_nop 0
	v_mfma_f32_16x16x4f32 a[0:3], v2, v12, a[0:3]
	s_movk_i32 s4, 0xff
	v_and_b32_sdwa v6, v7, s4 dst_sel:DWORD dst_unused:UNUSED_PAD src0_sel:WORD_1 src1_sel:DWORD
	s_movk_i32 s4, 0x7f
	v_cmp_lt_i16_e32 vcc, s4, v6
	s_mov_b64 s[4:5], 0
                                        ; implicit-def: $sgpr10
	s_and_saveexec_b64 s[6:7], vcc
	s_xor_b64 s[6:7], exec, s[6:7]
	s_cbranch_execz .LBB2_12721
; %bb.48561:
	s_getpc_b64 s[14:15]
.Lpost_getpc27864:
	s_add_u32 s14, s14, (.LBB2_27057-.Lpost_getpc27864)&4294967295
	s_addc_u32 s15, s15, (.LBB2_27057-.Lpost_getpc27864)>>32
	s_setpc_b64 s[14:15]
.LBB2_12721:
	s_or_saveexec_b64 s[6:7], s[6:7]
	v_mov_b32_e32 v2, s10
	s_xor_b64 exec, exec, s[6:7]
	s_cbranch_execz .LBB2_12722
; %bb.48563:
	s_getpc_b64 s[14:15]
.Lpost_getpc27865:
	s_add_u32 s14, s14, (.LBB2_27060-.Lpost_getpc27865)&4294967295
	s_addc_u32 s15, s15, (.LBB2_27060-.Lpost_getpc27865)>>32
	s_setpc_b64 s[14:15]
.LBB2_12722:
	s_or_b64 exec, exec, s[6:7]
	s_and_saveexec_b64 s[6:7], s[4:5]
	s_cbranch_execz .LBB2_12724
.LBB2_12723:
	v_bfe_u32 v2, v7, 16, 3
	v_ffbh_u32_e32 v13, v2
	v_min_u32_e32 v13, 32, v13
	v_lshrrev_b32_e32 v6, 19, v7
	v_subrev_u32_e32 v14, 28, v13
	v_and_b32_e32 v6, 15, v6
	v_lshlrev_b32_sdwa v14, v14, v7 dst_sel:DWORD dst_unused:UNUSED_PAD src0_sel:DWORD src1_sel:WORD_1
	v_bfe_u32 v12, v7, 19, 4
	v_sub_u32_e32 v13, 29, v13
	v_and_b32_e32 v14, 7, v14
	v_cmp_eq_u16_e32 vcc, 0, v6
	v_cndmask_b32_e32 v2, v2, v14, vcc
	v_cndmask_b32_e32 v6, v12, v13, vcc
	v_lshlrev_b32_e32 v12, 8, v7
	v_mov_b32_e32 v13, 0x3b800000
	v_lshlrev_b32_e32 v2, 20, v2
	v_and_b32_e32 v12, 0x80000000, v12
	v_lshl_add_u32 v6, v6, 23, v13
	v_or3_b32 v2, v12, v6, v2
.LBB2_12724:
	s_or_b64 exec, exec, s[6:7]
	s_movk_i32 s4, 0xff
	v_and_b32_sdwa v6, v3, s4 dst_sel:DWORD dst_unused:UNUSED_PAD src0_sel:WORD_1 src1_sel:DWORD
	s_movk_i32 s4, 0x7f
	v_cmp_lt_i16_e32 vcc, s4, v6
	s_mov_b64 s[4:5], 0
                                        ; implicit-def: $sgpr10
	s_and_saveexec_b64 s[6:7], vcc
	s_xor_b64 s[6:7], exec, s[6:7]
	s_cbranch_execz .LBB2_12725
; %bb.48565:
	s_getpc_b64 s[14:15]
.Lpost_getpc27866:
	s_add_u32 s14, s14, (.LBB2_27061-.Lpost_getpc27866)&4294967295
	s_addc_u32 s15, s15, (.LBB2_27061-.Lpost_getpc27866)>>32
	s_setpc_b64 s[14:15]
.LBB2_12725:
	s_or_saveexec_b64 s[6:7], s[6:7]
	v_mov_b32_e32 v12, s10
	s_xor_b64 exec, exec, s[6:7]
	s_cbranch_execz .LBB2_12726
; %bb.48567:
	s_getpc_b64 s[14:15]
.Lpost_getpc27867:
	s_add_u32 s14, s14, (.LBB2_27064-.Lpost_getpc27867)&4294967295
	s_addc_u32 s15, s15, (.LBB2_27064-.Lpost_getpc27867)>>32
	s_setpc_b64 s[14:15]
.LBB2_12726:
	s_or_b64 exec, exec, s[6:7]
	s_and_saveexec_b64 s[6:7], s[4:5]
	s_cbranch_execz .LBB2_12728
.LBB2_12727:
	v_bfe_u32 v6, v3, 16, 3
	v_ffbh_u32_e32 v14, v6
	v_min_u32_e32 v14, 32, v14
	v_lshrrev_b32_e32 v12, 19, v3
	v_subrev_u32_e32 v15, 28, v14
	v_and_b32_e32 v12, 15, v12
	v_lshlrev_b32_sdwa v15, v15, v3 dst_sel:DWORD dst_unused:UNUSED_PAD src0_sel:DWORD src1_sel:WORD_1
	v_bfe_u32 v13, v3, 19, 4
	v_sub_u32_e32 v14, 29, v14
	v_and_b32_e32 v15, 7, v15
	v_cmp_eq_u16_e32 vcc, 0, v12
	v_cndmask_b32_e32 v6, v6, v15, vcc
	v_cndmask_b32_e32 v12, v13, v14, vcc
	v_lshlrev_b32_e32 v13, 8, v3
	v_mov_b32_e32 v14, 0x3b800000
	v_lshlrev_b32_e32 v6, 20, v6
	v_and_b32_e32 v13, 0x80000000, v13
	v_lshl_add_u32 v12, v12, 23, v14
	v_or3_b32 v12, v13, v12, v6
.LBB2_12728:
	s_or_b64 exec, exec, s[6:7]
	s_nop 0
	v_mfma_f32_16x16x4f32 a[0:3], v2, v12, a[0:3]
	s_movk_i32 s4, 0x7f
	v_cmp_gt_i16_sdwa s[6:7], v7, s4 src0_sel:BYTE_3 src1_sel:DWORD
	s_mov_b64 s[4:5], 0
                                        ; implicit-def: $sgpr10
	s_and_saveexec_b64 s[8:9], s[6:7]
	s_xor_b64 s[6:7], exec, s[8:9]
	s_cbranch_execz .LBB2_12729
; %bb.48569:
	s_getpc_b64 s[14:15]
.Lpost_getpc27868:
	s_add_u32 s14, s14, (.LBB2_27065-.Lpost_getpc27868)&4294967295
	s_addc_u32 s15, s15, (.LBB2_27065-.Lpost_getpc27868)>>32
	s_setpc_b64 s[14:15]
.LBB2_12729:
	s_or_saveexec_b64 s[6:7], s[6:7]
	v_mov_b32_e32 v2, s10
	s_xor_b64 exec, exec, s[6:7]
	s_cbranch_execz .LBB2_12730
; %bb.48571:
	s_getpc_b64 s[14:15]
.Lpost_getpc27869:
	s_add_u32 s14, s14, (.LBB2_27068-.Lpost_getpc27869)&4294967295
	s_addc_u32 s15, s15, (.LBB2_27068-.Lpost_getpc27869)>>32
	s_setpc_b64 s[14:15]
.LBB2_12730:
	s_or_b64 exec, exec, s[6:7]
	s_and_saveexec_b64 s[6:7], s[4:5]
	s_cbranch_execz .LBB2_12732
.LBB2_12731:
	v_bfe_u32 v2, v7, 24, 3
	v_ffbh_u32_e32 v14, v2
	v_min_u32_e32 v14, 32, v14
	v_lshrrev_b32_e32 v12, 27, v7
	v_subrev_u32_e32 v15, 28, v14
	v_and_b32_e32 v6, 0x80000000, v7
	v_and_b32_e32 v12, 15, v12
	v_bfe_u32 v13, v7, 27, 4
	v_lshlrev_b32_sdwa v7, v15, v7 dst_sel:DWORD dst_unused:UNUSED_PAD src0_sel:DWORD src1_sel:BYTE_3
	v_sub_u32_e32 v14, 29, v14
	v_and_b32_e32 v7, 7, v7
	v_cmp_eq_u16_e32 vcc, 0, v12
	v_cndmask_b32_e32 v2, v2, v7, vcc
	v_cndmask_b32_e32 v7, v13, v14, vcc
	v_mov_b32_e32 v12, 0x3b800000
	v_lshlrev_b32_e32 v2, 20, v2
	v_lshl_add_u32 v7, v7, 23, v12
	v_or3_b32 v2, v6, v7, v2
.LBB2_12732:
	s_or_b64 exec, exec, s[6:7]
	s_movk_i32 s4, 0x7f
	v_cmp_gt_i16_sdwa s[6:7], v3, s4 src0_sel:BYTE_3 src1_sel:DWORD
	s_mov_b64 s[4:5], 0
                                        ; implicit-def: $sgpr10
	s_and_saveexec_b64 s[8:9], s[6:7]
	s_xor_b64 s[6:7], exec, s[8:9]
	s_cbranch_execz .LBB2_12733
; %bb.48573:
	s_getpc_b64 s[14:15]
.Lpost_getpc27870:
	s_add_u32 s14, s14, (.LBB2_27069-.Lpost_getpc27870)&4294967295
	s_addc_u32 s15, s15, (.LBB2_27069-.Lpost_getpc27870)>>32
	s_setpc_b64 s[14:15]
.LBB2_12733:
	s_or_saveexec_b64 s[6:7], s[6:7]
	v_mov_b32_e32 v6, s10
	s_xor_b64 exec, exec, s[6:7]
	s_cbranch_execz .LBB2_12734
; %bb.48575:
	s_getpc_b64 s[14:15]
.Lpost_getpc27871:
	s_add_u32 s14, s14, (.LBB2_27072-.Lpost_getpc27871)&4294967295
	s_addc_u32 s15, s15, (.LBB2_27072-.Lpost_getpc27871)>>32
	s_setpc_b64 s[14:15]
.LBB2_12734:
	s_or_b64 exec, exec, s[6:7]
	s_and_saveexec_b64 s[6:7], s[4:5]
	s_cbranch_execz .LBB2_12736
.LBB2_12735:
	v_bfe_u32 v6, v3, 24, 3
	v_ffbh_u32_e32 v14, v6
	v_min_u32_e32 v14, 32, v14
	v_lshrrev_b32_e32 v12, 27, v3
	v_subrev_u32_e32 v15, 28, v14
	v_and_b32_e32 v7, 0x80000000, v3
	v_and_b32_e32 v12, 15, v12
	v_bfe_u32 v13, v3, 27, 4
	v_lshlrev_b32_sdwa v3, v15, v3 dst_sel:DWORD dst_unused:UNUSED_PAD src0_sel:DWORD src1_sel:BYTE_3
	v_sub_u32_e32 v14, 29, v14
	v_and_b32_e32 v3, 7, v3
	v_cmp_eq_u16_e32 vcc, 0, v12
	v_cndmask_b32_e32 v3, v6, v3, vcc
	v_cndmask_b32_e32 v6, v13, v14, vcc
	v_mov_b32_e32 v12, 0x3b800000
	v_lshlrev_b32_e32 v3, 20, v3
	v_lshl_add_u32 v6, v6, 23, v12
	v_or3_b32 v6, v7, v6, v3
.LBB2_12736:
	s_or_b64 exec, exec, s[6:7]
	s_nop 0
	v_mfma_f32_16x16x4f32 a[0:3], v2, v6, a[0:3]
	s_movk_i32 s4, 0x7f
	v_cmp_gt_i16_sdwa s[6:7], v8, s4 src0_sel:BYTE_0 src1_sel:DWORD
	s_mov_b64 s[4:5], 0
                                        ; implicit-def: $sgpr10
	s_and_saveexec_b64 s[8:9], s[6:7]
	s_xor_b64 s[6:7], exec, s[8:9]
	s_cbranch_execz .LBB2_12737
; %bb.48577:
	s_getpc_b64 s[14:15]
.Lpost_getpc27872:
	s_add_u32 s14, s14, (.LBB2_27073-.Lpost_getpc27872)&4294967295
	s_addc_u32 s15, s15, (.LBB2_27073-.Lpost_getpc27872)>>32
	s_setpc_b64 s[14:15]
.LBB2_12737:
	s_or_saveexec_b64 s[6:7], s[6:7]
	v_mov_b32_e32 v2, s10
	s_xor_b64 exec, exec, s[6:7]
	s_cbranch_execz .LBB2_12738
; %bb.48579:
	s_getpc_b64 s[14:15]
.Lpost_getpc27873:
	s_add_u32 s14, s14, (.LBB2_27076-.Lpost_getpc27873)&4294967295
	s_addc_u32 s15, s15, (.LBB2_27076-.Lpost_getpc27873)>>32
	s_setpc_b64 s[14:15]
.LBB2_12738:
	s_or_b64 exec, exec, s[6:7]
	s_and_saveexec_b64 s[6:7], s[4:5]
	s_cbranch_execz .LBB2_12740
.LBB2_12739:
	v_and_b32_e32 v2, 7, v8
	v_ffbh_u32_e32 v6, v2
	v_min_u32_e32 v6, 32, v6
	v_lshrrev_b16_e32 v3, 3, v8
	v_subrev_u32_e32 v7, 28, v6
	v_and_b32_e32 v3, 15, v3
	v_lshlrev_b32_e32 v7, v7, v8
	v_sub_u32_e32 v6, 29, v6
	v_and_b32_e32 v7, 7, v7
	v_cmp_eq_u16_e32 vcc, 0, v3
	v_cndmask_b32_e32 v2, v2, v7, vcc
	v_cndmask_b32_e32 v3, v3, v6, vcc
	v_lshlrev_b32_e32 v6, 24, v8
	v_mov_b32_e32 v7, 0x3b800000
	v_lshlrev_b32_e32 v2, 20, v2
	v_and_b32_e32 v6, 0x80000000, v6
	v_lshl_add_u32 v3, v3, 23, v7
	v_or3_b32 v2, v6, v3, v2
.LBB2_12740:
	s_or_b64 exec, exec, s[6:7]
	s_movk_i32 s4, 0x7f
	v_cmp_gt_i16_sdwa s[6:7], v4, s4 src0_sel:BYTE_0 src1_sel:DWORD
	s_mov_b64 s[4:5], 0
                                        ; implicit-def: $sgpr10
	s_and_saveexec_b64 s[8:9], s[6:7]
	s_xor_b64 s[6:7], exec, s[8:9]
	s_cbranch_execz .LBB2_12741
; %bb.48581:
	s_getpc_b64 s[14:15]
.Lpost_getpc27874:
	s_add_u32 s14, s14, (.LBB2_27077-.Lpost_getpc27874)&4294967295
	s_addc_u32 s15, s15, (.LBB2_27077-.Lpost_getpc27874)>>32
	s_setpc_b64 s[14:15]
.LBB2_12741:
	s_or_saveexec_b64 s[6:7], s[6:7]
	v_mov_b32_e32 v3, s10
	s_xor_b64 exec, exec, s[6:7]
	s_cbranch_execz .LBB2_12742
; %bb.48583:
	s_getpc_b64 s[14:15]
.Lpost_getpc27875:
	s_add_u32 s14, s14, (.LBB2_27080-.Lpost_getpc27875)&4294967295
	s_addc_u32 s15, s15, (.LBB2_27080-.Lpost_getpc27875)>>32
	s_setpc_b64 s[14:15]
.LBB2_12742:
	s_or_b64 exec, exec, s[6:7]
	s_and_saveexec_b64 s[6:7], s[4:5]
	s_cbranch_execz .LBB2_12744
.LBB2_12743:
	v_and_b32_e32 v3, 7, v4
	v_ffbh_u32_e32 v7, v3
	v_min_u32_e32 v7, 32, v7
	v_lshrrev_b16_e32 v6, 3, v4
	v_subrev_u32_e32 v12, 28, v7
	v_and_b32_e32 v6, 15, v6
	v_lshlrev_b32_e32 v12, v12, v4
	v_sub_u32_e32 v7, 29, v7
	v_and_b32_e32 v12, 7, v12
	v_cmp_eq_u16_e32 vcc, 0, v6
	v_cndmask_b32_e32 v3, v3, v12, vcc
	v_cndmask_b32_e32 v6, v6, v7, vcc
	v_lshlrev_b32_e32 v7, 24, v4
	v_mov_b32_e32 v12, 0x3b800000
	v_lshlrev_b32_e32 v3, 20, v3
	v_and_b32_e32 v7, 0x80000000, v7
	v_lshl_add_u32 v6, v6, 23, v12
	v_or3_b32 v3, v7, v6, v3
.LBB2_12744:
	s_or_b64 exec, exec, s[6:7]
	s_nop 0
	v_mfma_f32_16x16x4f32 a[0:3], v2, v3, a[0:3]
	v_lshrrev_b32_e32 v3, 8, v8
	s_movk_i32 s4, 0x7f
	v_cmp_gt_i16_sdwa s[6:7], v3, s4 src0_sel:BYTE_0 src1_sel:DWORD
	s_mov_b64 s[4:5], 0
                                        ; implicit-def: $sgpr10
	s_and_saveexec_b64 s[8:9], s[6:7]
	s_xor_b64 s[6:7], exec, s[8:9]
	s_cbranch_execz .LBB2_12745
; %bb.48585:
	s_getpc_b64 s[14:15]
.Lpost_getpc27876:
	s_add_u32 s14, s14, (.LBB2_27081-.Lpost_getpc27876)&4294967295
	s_addc_u32 s15, s15, (.LBB2_27081-.Lpost_getpc27876)>>32
	s_setpc_b64 s[14:15]
.LBB2_12745:
	s_or_saveexec_b64 s[6:7], s[6:7]
	v_mov_b32_e32 v2, s10
	s_xor_b64 exec, exec, s[6:7]
	s_cbranch_execz .LBB2_12746
; %bb.48587:
	s_getpc_b64 s[14:15]
.Lpost_getpc27877:
	s_add_u32 s14, s14, (.LBB2_27084-.Lpost_getpc27877)&4294967295
	s_addc_u32 s15, s15, (.LBB2_27084-.Lpost_getpc27877)>>32
	s_setpc_b64 s[14:15]
.LBB2_12746:
	s_or_b64 exec, exec, s[6:7]
	s_and_saveexec_b64 s[6:7], s[4:5]
	s_cbranch_execz .LBB2_12748
.LBB2_12747:
	v_bfe_u32 v2, v8, 8, 3
	v_ffbh_u32_e32 v7, v2
	v_min_u32_e32 v7, 32, v7
	v_lshrrev_b16_e32 v6, 3, v3
	v_subrev_u32_e32 v12, 28, v7
	v_and_b32_e32 v6, 15, v6
	v_lshlrev_b32_e32 v3, v12, v3
	v_sub_u32_e32 v7, 29, v7
	v_and_b32_e32 v3, 7, v3
	v_cmp_eq_u16_e32 vcc, 0, v6
	v_cndmask_b32_e32 v2, v2, v3, vcc
	v_cndmask_b32_e32 v3, v6, v7, vcc
	v_lshlrev_b32_e32 v6, 16, v8
	v_mov_b32_e32 v7, 0x3b800000
	v_lshlrev_b32_e32 v2, 20, v2
	v_and_b32_e32 v6, 0x80000000, v6
	v_lshl_add_u32 v3, v3, 23, v7
	v_or3_b32 v2, v6, v3, v2
.LBB2_12748:
	s_or_b64 exec, exec, s[6:7]
	v_lshrrev_b32_e32 v3, 8, v4
	s_movk_i32 s4, 0x7f
	v_cmp_gt_i16_sdwa s[6:7], v3, s4 src0_sel:BYTE_0 src1_sel:DWORD
	s_mov_b64 s[4:5], 0
                                        ; implicit-def: $sgpr10
	s_and_saveexec_b64 s[8:9], s[6:7]
	s_xor_b64 s[6:7], exec, s[8:9]
	s_cbranch_execz .LBB2_12749
; %bb.48589:
	s_getpc_b64 s[14:15]
.Lpost_getpc27878:
	s_add_u32 s14, s14, (.LBB2_27085-.Lpost_getpc27878)&4294967295
	s_addc_u32 s15, s15, (.LBB2_27085-.Lpost_getpc27878)>>32
	s_setpc_b64 s[14:15]
.LBB2_12749:
	s_or_saveexec_b64 s[6:7], s[6:7]
	v_mov_b32_e32 v6, s10
	s_xor_b64 exec, exec, s[6:7]
	s_cbranch_execz .LBB2_12750
; %bb.48591:
	s_getpc_b64 s[14:15]
.Lpost_getpc27879:
	s_add_u32 s14, s14, (.LBB2_27088-.Lpost_getpc27879)&4294967295
	s_addc_u32 s15, s15, (.LBB2_27088-.Lpost_getpc27879)>>32
	s_setpc_b64 s[14:15]
.LBB2_12750:
	s_or_b64 exec, exec, s[6:7]
	s_and_saveexec_b64 s[6:7], s[4:5]
	s_cbranch_execz .LBB2_12752
.LBB2_12751:
	v_bfe_u32 v6, v4, 8, 3
	v_ffbh_u32_e32 v12, v6
	v_min_u32_e32 v12, 32, v12
	v_lshrrev_b16_e32 v7, 3, v3
	v_subrev_u32_e32 v13, 28, v12
	v_and_b32_e32 v7, 15, v7
	v_lshlrev_b32_e32 v3, v13, v3
	v_sub_u32_e32 v12, 29, v12
	v_and_b32_e32 v3, 7, v3
	v_cmp_eq_u16_e32 vcc, 0, v7
	v_cndmask_b32_e32 v3, v6, v3, vcc
	v_cndmask_b32_e32 v6, v7, v12, vcc
	v_lshlrev_b32_e32 v7, 16, v4
	v_mov_b32_e32 v12, 0x3b800000
	v_lshlrev_b32_e32 v3, 20, v3
	v_and_b32_e32 v7, 0x80000000, v7
	v_lshl_add_u32 v6, v6, 23, v12
	v_or3_b32 v6, v7, v6, v3
.LBB2_12752:
	s_or_b64 exec, exec, s[6:7]
	s_nop 0
	v_mfma_f32_16x16x4f32 a[0:3], v2, v6, a[0:3]
	s_movk_i32 s4, 0xff
	v_and_b32_sdwa v3, v8, s4 dst_sel:DWORD dst_unused:UNUSED_PAD src0_sel:WORD_1 src1_sel:DWORD
	s_movk_i32 s4, 0x7f
	v_cmp_lt_i16_e32 vcc, s4, v3
	s_mov_b64 s[4:5], 0
                                        ; implicit-def: $sgpr10
	s_and_saveexec_b64 s[6:7], vcc
	s_xor_b64 s[6:7], exec, s[6:7]
	s_cbranch_execz .LBB2_12753
; %bb.48593:
	s_getpc_b64 s[14:15]
.Lpost_getpc27880:
	s_add_u32 s14, s14, (.LBB2_27089-.Lpost_getpc27880)&4294967295
	s_addc_u32 s15, s15, (.LBB2_27089-.Lpost_getpc27880)>>32
	s_setpc_b64 s[14:15]
.LBB2_12753:
	s_or_saveexec_b64 s[6:7], s[6:7]
	v_mov_b32_e32 v2, s10
	s_xor_b64 exec, exec, s[6:7]
	s_cbranch_execz .LBB2_12754
; %bb.48595:
	s_getpc_b64 s[14:15]
.Lpost_getpc27881:
	s_add_u32 s14, s14, (.LBB2_27092-.Lpost_getpc27881)&4294967295
	s_addc_u32 s15, s15, (.LBB2_27092-.Lpost_getpc27881)>>32
	s_setpc_b64 s[14:15]
.LBB2_12754:
	s_or_b64 exec, exec, s[6:7]
	s_and_saveexec_b64 s[6:7], s[4:5]
	s_cbranch_execz .LBB2_12756
.LBB2_12755:
	v_bfe_u32 v2, v8, 16, 3
	v_ffbh_u32_e32 v7, v2
	v_min_u32_e32 v7, 32, v7
	v_lshrrev_b32_e32 v3, 19, v8
	v_subrev_u32_e32 v12, 28, v7
	v_and_b32_e32 v3, 15, v3
	v_lshlrev_b32_sdwa v12, v12, v8 dst_sel:DWORD dst_unused:UNUSED_PAD src0_sel:DWORD src1_sel:WORD_1
	v_bfe_u32 v6, v8, 19, 4
	v_sub_u32_e32 v7, 29, v7
	v_and_b32_e32 v12, 7, v12
	v_cmp_eq_u16_e32 vcc, 0, v3
	v_cndmask_b32_e32 v2, v2, v12, vcc
	v_cndmask_b32_e32 v3, v6, v7, vcc
	v_lshlrev_b32_e32 v6, 8, v8
	v_mov_b32_e32 v7, 0x3b800000
	v_lshlrev_b32_e32 v2, 20, v2
	v_and_b32_e32 v6, 0x80000000, v6
	v_lshl_add_u32 v3, v3, 23, v7
	v_or3_b32 v2, v6, v3, v2
.LBB2_12756:
	s_or_b64 exec, exec, s[6:7]
	s_movk_i32 s4, 0xff
	v_and_b32_sdwa v3, v4, s4 dst_sel:DWORD dst_unused:UNUSED_PAD src0_sel:WORD_1 src1_sel:DWORD
	s_movk_i32 s4, 0x7f
	v_cmp_lt_i16_e32 vcc, s4, v3
	s_mov_b64 s[4:5], 0
                                        ; implicit-def: $sgpr10
	s_and_saveexec_b64 s[6:7], vcc
	s_xor_b64 s[6:7], exec, s[6:7]
	s_cbranch_execz .LBB2_12757
; %bb.48597:
	s_getpc_b64 s[14:15]
.Lpost_getpc27882:
	s_add_u32 s14, s14, (.LBB2_27093-.Lpost_getpc27882)&4294967295
	s_addc_u32 s15, s15, (.LBB2_27093-.Lpost_getpc27882)>>32
	s_setpc_b64 s[14:15]
.LBB2_12757:
	s_or_saveexec_b64 s[6:7], s[6:7]
	v_mov_b32_e32 v6, s10
	s_xor_b64 exec, exec, s[6:7]
	s_cbranch_execz .LBB2_12758
; %bb.48599:
	s_getpc_b64 s[14:15]
.Lpost_getpc27883:
	s_add_u32 s14, s14, (.LBB2_27096-.Lpost_getpc27883)&4294967295
	s_addc_u32 s15, s15, (.LBB2_27096-.Lpost_getpc27883)>>32
	s_setpc_b64 s[14:15]
.LBB2_12758:
	s_or_b64 exec, exec, s[6:7]
	s_and_saveexec_b64 s[6:7], s[4:5]
	s_cbranch_execz .LBB2_12760
.LBB2_12759:
	v_bfe_u32 v3, v4, 16, 3
	v_ffbh_u32_e32 v12, v3
	v_min_u32_e32 v12, 32, v12
	v_lshrrev_b32_e32 v6, 19, v4
	v_subrev_u32_e32 v13, 28, v12
	v_and_b32_e32 v6, 15, v6
	v_lshlrev_b32_sdwa v13, v13, v4 dst_sel:DWORD dst_unused:UNUSED_PAD src0_sel:DWORD src1_sel:WORD_1
	v_bfe_u32 v7, v4, 19, 4
	v_sub_u32_e32 v12, 29, v12
	v_and_b32_e32 v13, 7, v13
	v_cmp_eq_u16_e32 vcc, 0, v6
	v_cndmask_b32_e32 v3, v3, v13, vcc
	v_cndmask_b32_e32 v6, v7, v12, vcc
	v_lshlrev_b32_e32 v7, 8, v4
	v_mov_b32_e32 v12, 0x3b800000
	v_lshlrev_b32_e32 v3, 20, v3
	v_and_b32_e32 v7, 0x80000000, v7
	v_lshl_add_u32 v6, v6, 23, v12
	v_or3_b32 v6, v7, v6, v3
.LBB2_12760:
	s_or_b64 exec, exec, s[6:7]
	s_nop 0
	v_mfma_f32_16x16x4f32 a[0:3], v2, v6, a[0:3]
	s_movk_i32 s4, 0x7f
	v_cmp_gt_i16_sdwa s[6:7], v8, s4 src0_sel:BYTE_3 src1_sel:DWORD
	s_mov_b64 s[4:5], 0
                                        ; implicit-def: $sgpr10
	s_and_saveexec_b64 s[8:9], s[6:7]
	s_xor_b64 s[6:7], exec, s[8:9]
	s_cbranch_execz .LBB2_12761
; %bb.48601:
	s_getpc_b64 s[14:15]
.Lpost_getpc27884:
	s_add_u32 s14, s14, (.LBB2_27097-.Lpost_getpc27884)&4294967295
	s_addc_u32 s15, s15, (.LBB2_27097-.Lpost_getpc27884)>>32
	s_setpc_b64 s[14:15]
.LBB2_12761:
	s_or_saveexec_b64 s[6:7], s[6:7]
	v_mov_b32_e32 v2, s10
	s_xor_b64 exec, exec, s[6:7]
	s_cbranch_execz .LBB2_12762
; %bb.48603:
	s_getpc_b64 s[14:15]
.Lpost_getpc27885:
	s_add_u32 s14, s14, (.LBB2_27100-.Lpost_getpc27885)&4294967295
	s_addc_u32 s15, s15, (.LBB2_27100-.Lpost_getpc27885)>>32
	s_setpc_b64 s[14:15]
.LBB2_12762:
	s_or_b64 exec, exec, s[6:7]
	s_and_saveexec_b64 s[6:7], s[4:5]
	s_cbranch_execz .LBB2_12764
.LBB2_12763:
	v_bfe_u32 v2, v8, 24, 3
	v_ffbh_u32_e32 v12, v2
	v_min_u32_e32 v12, 32, v12
	v_lshrrev_b32_e32 v6, 27, v8
	v_subrev_u32_e32 v13, 28, v12
	v_and_b32_e32 v3, 0x80000000, v8
	v_and_b32_e32 v6, 15, v6
	v_bfe_u32 v7, v8, 27, 4
	v_lshlrev_b32_sdwa v8, v13, v8 dst_sel:DWORD dst_unused:UNUSED_PAD src0_sel:DWORD src1_sel:BYTE_3
	v_sub_u32_e32 v12, 29, v12
	v_and_b32_e32 v8, 7, v8
	v_cmp_eq_u16_e32 vcc, 0, v6
	v_cndmask_b32_e32 v2, v2, v8, vcc
	v_cndmask_b32_e32 v6, v7, v12, vcc
	v_mov_b32_e32 v7, 0x3b800000
	v_lshlrev_b32_e32 v2, 20, v2
	v_lshl_add_u32 v6, v6, 23, v7
	v_or3_b32 v2, v3, v6, v2
.LBB2_12764:
	s_or_b64 exec, exec, s[6:7]
	s_movk_i32 s4, 0x7f
	v_cmp_gt_i16_sdwa s[6:7], v4, s4 src0_sel:BYTE_3 src1_sel:DWORD
	s_mov_b64 s[4:5], 0
                                        ; implicit-def: $sgpr10
	s_and_saveexec_b64 s[8:9], s[6:7]
	s_xor_b64 s[6:7], exec, s[8:9]
	s_cbranch_execz .LBB2_12765
; %bb.48605:
	s_getpc_b64 s[14:15]
.Lpost_getpc27886:
	s_add_u32 s14, s14, (.LBB2_27101-.Lpost_getpc27886)&4294967295
	s_addc_u32 s15, s15, (.LBB2_27101-.Lpost_getpc27886)>>32
	s_setpc_b64 s[14:15]
.LBB2_12765:
	s_or_saveexec_b64 s[6:7], s[6:7]
	v_mov_b32_e32 v3, s10
	s_xor_b64 exec, exec, s[6:7]
	s_cbranch_execz .LBB2_12766
; %bb.48607:
	s_getpc_b64 s[14:15]
.Lpost_getpc27887:
	s_add_u32 s14, s14, (.LBB2_27104-.Lpost_getpc27887)&4294967295
	s_addc_u32 s15, s15, (.LBB2_27104-.Lpost_getpc27887)>>32
	s_setpc_b64 s[14:15]
.LBB2_12766:
	s_or_b64 exec, exec, s[6:7]
	s_and_saveexec_b64 s[6:7], s[4:5]
	s_cbranch_execz .LBB2_12768
.LBB2_12767:
	v_bfe_u32 v3, v4, 24, 3
	v_ffbh_u32_e32 v12, v3
	v_min_u32_e32 v12, 32, v12
	v_lshrrev_b32_e32 v7, 27, v4
	v_subrev_u32_e32 v13, 28, v12
	v_and_b32_e32 v6, 0x80000000, v4
	v_and_b32_e32 v7, 15, v7
	v_bfe_u32 v8, v4, 27, 4
	v_lshlrev_b32_sdwa v4, v13, v4 dst_sel:DWORD dst_unused:UNUSED_PAD src0_sel:DWORD src1_sel:BYTE_3
	v_sub_u32_e32 v12, 29, v12
	v_and_b32_e32 v4, 7, v4
	v_cmp_eq_u16_e32 vcc, 0, v7
	v_cndmask_b32_e32 v3, v3, v4, vcc
	v_cndmask_b32_e32 v4, v8, v12, vcc
	v_mov_b32_e32 v7, 0x3b800000
	v_lshlrev_b32_e32 v3, 20, v3
	v_lshl_add_u32 v4, v4, 23, v7
	v_or3_b32 v3, v6, v4, v3
.LBB2_12768:
	s_or_b64 exec, exec, s[6:7]
	s_nop 0
	v_mfma_f32_16x16x4f32 a[0:3], v2, v3, a[0:3]
	s_movk_i32 s4, 0x7f
	v_cmp_gt_i16_sdwa s[6:7], v9, s4 src0_sel:BYTE_0 src1_sel:DWORD
	s_mov_b64 s[4:5], 0
                                        ; implicit-def: $sgpr10
	s_and_saveexec_b64 s[8:9], s[6:7]
	s_xor_b64 s[6:7], exec, s[8:9]
	s_cbranch_execz .LBB2_12769
; %bb.48609:
	s_getpc_b64 s[14:15]
.Lpost_getpc27888:
	s_add_u32 s14, s14, (.LBB2_27105-.Lpost_getpc27888)&4294967295
	s_addc_u32 s15, s15, (.LBB2_27105-.Lpost_getpc27888)>>32
	s_setpc_b64 s[14:15]
.LBB2_12769:
	s_or_saveexec_b64 s[6:7], s[6:7]
	v_mov_b32_e32 v2, s10
	s_xor_b64 exec, exec, s[6:7]
	s_cbranch_execz .LBB2_12770
; %bb.48611:
	s_getpc_b64 s[14:15]
.Lpost_getpc27889:
	s_add_u32 s14, s14, (.LBB2_27108-.Lpost_getpc27889)&4294967295
	s_addc_u32 s15, s15, (.LBB2_27108-.Lpost_getpc27889)>>32
	s_setpc_b64 s[14:15]
.LBB2_12770:
	s_or_b64 exec, exec, s[6:7]
	s_and_saveexec_b64 s[6:7], s[4:5]
	s_cbranch_execz .LBB2_12772
.LBB2_12771:
	v_mov_b32_e32 v2, 8
	v_and_b32_e32 v3, 7, v9
	v_lshrrev_b32_sdwa v2, v2, v9 dst_sel:BYTE_1 dst_unused:UNUSED_PAD src0_sel:DWORD src1_sel:DWORD
	v_ffbh_u32_e32 v4, v3
	v_or_b32_sdwa v2, v9, v2 dst_sel:DWORD dst_unused:UNUSED_PAD src0_sel:BYTE_0 src1_sel:DWORD
	v_min_u32_e32 v4, 32, v4
	v_lshrrev_b16_e32 v2, 3, v2
	v_subrev_u32_e32 v6, 28, v4
	v_and_b32_e32 v2, 15, v2
	v_lshlrev_b32_e32 v6, v6, v9
	v_sub_u32_e32 v4, 29, v4
	v_and_b32_e32 v6, 7, v6
	v_cmp_eq_u16_e32 vcc, 0, v2
	v_cndmask_b32_e32 v3, v3, v6, vcc
	v_cndmask_b32_e32 v2, v2, v4, vcc
	v_lshlrev_b32_e32 v4, 24, v9
	v_mov_b32_e32 v6, 0x3b800000
	v_lshlrev_b32_e32 v3, 20, v3
	v_and_b32_e32 v4, 0x80000000, v4
	v_lshl_add_u32 v2, v2, 23, v6
	v_or3_b32 v2, v4, v2, v3
.LBB2_12772:
	s_or_b64 exec, exec, s[6:7]
	s_movk_i32 s4, 0x7f
	v_cmp_gt_i16_sdwa s[6:7], v5, s4 src0_sel:BYTE_0 src1_sel:DWORD
	s_mov_b64 s[4:5], 0
                                        ; implicit-def: $sgpr10
	s_and_saveexec_b64 s[8:9], s[6:7]
	s_xor_b64 s[6:7], exec, s[8:9]
	s_cbranch_execz .LBB2_12773
; %bb.48613:
	s_getpc_b64 s[14:15]
.Lpost_getpc27890:
	s_add_u32 s14, s14, (.LBB2_27109-.Lpost_getpc27890)&4294967295
	s_addc_u32 s15, s15, (.LBB2_27109-.Lpost_getpc27890)>>32
	s_setpc_b64 s[14:15]
.LBB2_12773:
	s_or_saveexec_b64 s[6:7], s[6:7]
	v_mov_b32_e32 v3, s10
	s_xor_b64 exec, exec, s[6:7]
	s_cbranch_execz .LBB2_12774
; %bb.48615:
	s_getpc_b64 s[14:15]
.Lpost_getpc27891:
	s_add_u32 s14, s14, (.LBB2_27112-.Lpost_getpc27891)&4294967295
	s_addc_u32 s15, s15, (.LBB2_27112-.Lpost_getpc27891)>>32
	s_setpc_b64 s[14:15]
.LBB2_12774:
	s_or_b64 exec, exec, s[6:7]
	s_and_saveexec_b64 s[6:7], s[4:5]
	s_cbranch_execz .LBB2_12776
.LBB2_12775:
	v_mov_b32_e32 v3, 8
	v_and_b32_e32 v4, 7, v5
	v_lshrrev_b32_sdwa v3, v3, v5 dst_sel:BYTE_1 dst_unused:UNUSED_PAD src0_sel:DWORD src1_sel:DWORD
	v_ffbh_u32_e32 v6, v4
	v_or_b32_sdwa v3, v5, v3 dst_sel:DWORD dst_unused:UNUSED_PAD src0_sel:BYTE_0 src1_sel:DWORD
	v_min_u32_e32 v6, 32, v6
	v_lshrrev_b16_e32 v3, 3, v3
	v_subrev_u32_e32 v7, 28, v6
	v_and_b32_e32 v3, 15, v3
	v_lshlrev_b32_e32 v7, v7, v5
	v_sub_u32_e32 v6, 29, v6
	v_and_b32_e32 v7, 7, v7
	v_cmp_eq_u16_e32 vcc, 0, v3
	v_cndmask_b32_e32 v4, v4, v7, vcc
	v_cndmask_b32_e32 v3, v3, v6, vcc
	v_lshlrev_b32_e32 v6, 24, v5
	v_mov_b32_e32 v7, 0x3b800000
	v_lshlrev_b32_e32 v4, 20, v4
	v_and_b32_e32 v6, 0x80000000, v6
	v_lshl_add_u32 v3, v3, 23, v7
	v_or3_b32 v3, v6, v3, v4
.LBB2_12776:
	s_or_b64 exec, exec, s[6:7]
	s_nop 0
	v_mfma_f32_16x16x4f32 a[0:3], v2, v3, a[0:3]
	v_lshrrev_b32_e32 v3, 8, v9
	s_movk_i32 s4, 0x7f
	v_cmp_gt_i16_sdwa s[6:7], v3, s4 src0_sel:BYTE_0 src1_sel:DWORD
	s_mov_b64 s[4:5], 0
                                        ; implicit-def: $sgpr10
	s_and_saveexec_b64 s[8:9], s[6:7]
	s_xor_b64 s[6:7], exec, s[8:9]
	s_cbranch_execz .LBB2_12777
; %bb.48617:
	s_getpc_b64 s[14:15]
.Lpost_getpc27892:
	s_add_u32 s14, s14, (.LBB2_27113-.Lpost_getpc27892)&4294967295
	s_addc_u32 s15, s15, (.LBB2_27113-.Lpost_getpc27892)>>32
	s_setpc_b64 s[14:15]
.LBB2_12777:
	s_or_saveexec_b64 s[6:7], s[6:7]
	v_mov_b32_e32 v2, s10
	s_xor_b64 exec, exec, s[6:7]
	s_cbranch_execz .LBB2_12778
; %bb.48619:
	s_getpc_b64 s[14:15]
.Lpost_getpc27893:
	s_add_u32 s14, s14, (.LBB2_27116-.Lpost_getpc27893)&4294967295
	s_addc_u32 s15, s15, (.LBB2_27116-.Lpost_getpc27893)>>32
	s_setpc_b64 s[14:15]
.LBB2_12778:
	s_or_b64 exec, exec, s[6:7]
	s_and_saveexec_b64 s[6:7], s[4:5]
	s_cbranch_execz .LBB2_12780
.LBB2_12779:
	v_bfe_u32 v2, v9, 8, 3
	v_ffbh_u32_e32 v6, v2
	v_min_u32_e32 v6, 32, v6
	v_lshrrev_b16_e32 v4, 3, v3
	v_subrev_u32_e32 v7, 28, v6
	v_and_b32_e32 v4, 15, v4
	v_lshlrev_b32_e32 v3, v7, v3
	v_sub_u32_e32 v6, 29, v6
	v_and_b32_e32 v3, 7, v3
	v_cmp_eq_u16_e32 vcc, 0, v4
	v_cndmask_b32_e32 v2, v2, v3, vcc
	v_cndmask_b32_e32 v3, v4, v6, vcc
	v_lshlrev_b32_e32 v4, 16, v9
	v_mov_b32_e32 v6, 0x3b800000
	v_lshlrev_b32_e32 v2, 20, v2
	v_and_b32_e32 v4, 0x80000000, v4
	v_lshl_add_u32 v3, v3, 23, v6
	v_or3_b32 v2, v4, v3, v2
.LBB2_12780:
	s_or_b64 exec, exec, s[6:7]
	v_lshrrev_b32_e32 v3, 8, v5
	s_movk_i32 s4, 0x7f
	v_cmp_gt_i16_sdwa s[6:7], v3, s4 src0_sel:BYTE_0 src1_sel:DWORD
	s_mov_b64 s[4:5], 0
                                        ; implicit-def: $sgpr10
	s_and_saveexec_b64 s[8:9], s[6:7]
	s_xor_b64 s[6:7], exec, s[8:9]
	s_cbranch_execz .LBB2_12781
; %bb.48621:
	s_getpc_b64 s[14:15]
.Lpost_getpc27894:
	s_add_u32 s14, s14, (.LBB2_27117-.Lpost_getpc27894)&4294967295
	s_addc_u32 s15, s15, (.LBB2_27117-.Lpost_getpc27894)>>32
	s_setpc_b64 s[14:15]
.LBB2_12781:
	s_or_saveexec_b64 s[6:7], s[6:7]
	v_mov_b32_e32 v4, s10
	s_xor_b64 exec, exec, s[6:7]
	s_cbranch_execz .LBB2_12782
; %bb.48623:
	s_getpc_b64 s[14:15]
.Lpost_getpc27895:
	s_add_u32 s14, s14, (.LBB2_27120-.Lpost_getpc27895)&4294967295
	s_addc_u32 s15, s15, (.LBB2_27120-.Lpost_getpc27895)>>32
	s_setpc_b64 s[14:15]
.LBB2_12782:
	s_or_b64 exec, exec, s[6:7]
	s_and_saveexec_b64 s[6:7], s[4:5]
	s_cbranch_execz .LBB2_12784
.LBB2_12783:
	v_bfe_u32 v4, v5, 8, 3
	v_ffbh_u32_e32 v7, v4
	v_min_u32_e32 v7, 32, v7
	v_lshrrev_b16_e32 v6, 3, v3
	v_subrev_u32_e32 v8, 28, v7
	v_and_b32_e32 v6, 15, v6
	v_lshlrev_b32_e32 v3, v8, v3
	v_sub_u32_e32 v7, 29, v7
	v_and_b32_e32 v3, 7, v3
	v_cmp_eq_u16_e32 vcc, 0, v6
	v_cndmask_b32_e32 v3, v4, v3, vcc
	v_cndmask_b32_e32 v4, v6, v7, vcc
	v_lshlrev_b32_e32 v6, 16, v5
	v_mov_b32_e32 v7, 0x3b800000
	v_lshlrev_b32_e32 v3, 20, v3
	v_and_b32_e32 v6, 0x80000000, v6
	v_lshl_add_u32 v4, v4, 23, v7
	v_or3_b32 v4, v6, v4, v3
.LBB2_12784:
	s_or_b64 exec, exec, s[6:7]
	s_nop 0
	v_mfma_f32_16x16x4f32 a[0:3], v2, v4, a[0:3]
	s_movk_i32 s4, 0xff
	v_and_b32_sdwa v3, v9, s4 dst_sel:DWORD dst_unused:UNUSED_PAD src0_sel:WORD_1 src1_sel:DWORD
	s_movk_i32 s4, 0x7f
	v_cmp_lt_i16_e32 vcc, s4, v3
	s_mov_b64 s[4:5], 0
                                        ; implicit-def: $sgpr10
	s_and_saveexec_b64 s[6:7], vcc
	s_xor_b64 s[6:7], exec, s[6:7]
	s_cbranch_execz .LBB2_12785
; %bb.48625:
	s_getpc_b64 s[14:15]
.Lpost_getpc27896:
	s_add_u32 s14, s14, (.LBB2_27121-.Lpost_getpc27896)&4294967295
	s_addc_u32 s15, s15, (.LBB2_27121-.Lpost_getpc27896)>>32
	s_setpc_b64 s[14:15]
.LBB2_12785:
	s_or_saveexec_b64 s[6:7], s[6:7]
	v_mov_b32_e32 v2, s10
	s_xor_b64 exec, exec, s[6:7]
	s_cbranch_execz .LBB2_12786
; %bb.48627:
	s_getpc_b64 s[14:15]
.Lpost_getpc27897:
	s_add_u32 s14, s14, (.LBB2_27124-.Lpost_getpc27897)&4294967295
	s_addc_u32 s15, s15, (.LBB2_27124-.Lpost_getpc27897)>>32
	s_setpc_b64 s[14:15]
.LBB2_12786:
	s_or_b64 exec, exec, s[6:7]
	s_and_saveexec_b64 s[6:7], s[4:5]
	s_cbranch_execz .LBB2_12788
.LBB2_12787:
	v_bfe_u32 v2, v9, 16, 3
	v_ffbh_u32_e32 v6, v2
	v_min_u32_e32 v6, 32, v6
	v_lshrrev_b32_e32 v3, 19, v9
	v_subrev_u32_e32 v7, 28, v6
	v_and_b32_e32 v3, 15, v3
	v_lshlrev_b32_sdwa v7, v7, v9 dst_sel:DWORD dst_unused:UNUSED_PAD src0_sel:DWORD src1_sel:WORD_1
	v_bfe_u32 v4, v9, 19, 4
	v_sub_u32_e32 v6, 29, v6
	v_and_b32_e32 v7, 7, v7
	v_cmp_eq_u16_e32 vcc, 0, v3
	v_cndmask_b32_e32 v2, v2, v7, vcc
	v_cndmask_b32_e32 v3, v4, v6, vcc
	v_lshlrev_b32_e32 v4, 8, v9
	v_mov_b32_e32 v6, 0x3b800000
	v_lshlrev_b32_e32 v2, 20, v2
	v_and_b32_e32 v4, 0x80000000, v4
	v_lshl_add_u32 v3, v3, 23, v6
	v_or3_b32 v2, v4, v3, v2
.LBB2_12788:
	s_or_b64 exec, exec, s[6:7]
	s_movk_i32 s4, 0xff
	v_and_b32_sdwa v3, v5, s4 dst_sel:DWORD dst_unused:UNUSED_PAD src0_sel:WORD_1 src1_sel:DWORD
	s_movk_i32 s4, 0x7f
	v_cmp_lt_i16_e32 vcc, s4, v3
	s_mov_b64 s[4:5], 0
                                        ; implicit-def: $sgpr10
	s_and_saveexec_b64 s[6:7], vcc
	s_xor_b64 s[6:7], exec, s[6:7]
	s_cbranch_execz .LBB2_12789
; %bb.48629:
	s_getpc_b64 s[14:15]
.Lpost_getpc27898:
	s_add_u32 s14, s14, (.LBB2_27125-.Lpost_getpc27898)&4294967295
	s_addc_u32 s15, s15, (.LBB2_27125-.Lpost_getpc27898)>>32
	s_setpc_b64 s[14:15]
.LBB2_12789:
	s_or_saveexec_b64 s[6:7], s[6:7]
	v_mov_b32_e32 v4, s10
	s_xor_b64 exec, exec, s[6:7]
	s_cbranch_execz .LBB2_12790
; %bb.48631:
	s_getpc_b64 s[14:15]
.Lpost_getpc27899:
	s_add_u32 s14, s14, (.LBB2_27128-.Lpost_getpc27899)&4294967295
	s_addc_u32 s15, s15, (.LBB2_27128-.Lpost_getpc27899)>>32
	s_setpc_b64 s[14:15]
.LBB2_12790:
	s_or_b64 exec, exec, s[6:7]
	s_and_saveexec_b64 s[6:7], s[4:5]
	s_cbranch_execz .LBB2_12792
.LBB2_12791:
	v_bfe_u32 v3, v5, 16, 3
	v_ffbh_u32_e32 v7, v3
	v_min_u32_e32 v7, 32, v7
	v_lshrrev_b32_e32 v4, 19, v5
	v_subrev_u32_e32 v8, 28, v7
	v_and_b32_e32 v4, 15, v4
	v_lshlrev_b32_sdwa v8, v8, v5 dst_sel:DWORD dst_unused:UNUSED_PAD src0_sel:DWORD src1_sel:WORD_1
	v_bfe_u32 v6, v5, 19, 4
	v_sub_u32_e32 v7, 29, v7
	v_and_b32_e32 v8, 7, v8
	v_cmp_eq_u16_e32 vcc, 0, v4
	v_cndmask_b32_e32 v3, v3, v8, vcc
	v_cndmask_b32_e32 v4, v6, v7, vcc
	v_lshlrev_b32_e32 v6, 8, v5
	v_mov_b32_e32 v7, 0x3b800000
	v_lshlrev_b32_e32 v3, 20, v3
	v_and_b32_e32 v6, 0x80000000, v6
	v_lshl_add_u32 v4, v4, 23, v7
	v_or3_b32 v4, v6, v4, v3
.LBB2_12792:
	s_or_b64 exec, exec, s[6:7]
	s_nop 0
	v_mfma_f32_16x16x4f32 a[0:3], v2, v4, a[0:3]
	s_movk_i32 s4, 0x7f
	v_cmp_gt_i16_sdwa s[6:7], v9, s4 src0_sel:BYTE_3 src1_sel:DWORD
	s_mov_b64 s[4:5], 0
                                        ; implicit-def: $sgpr10
	s_and_saveexec_b64 s[8:9], s[6:7]
	s_xor_b64 s[6:7], exec, s[8:9]
	s_cbranch_execz .LBB2_12793
; %bb.48633:
	s_getpc_b64 s[14:15]
.Lpost_getpc27900:
	s_add_u32 s14, s14, (.LBB2_27129-.Lpost_getpc27900)&4294967295
	s_addc_u32 s15, s15, (.LBB2_27129-.Lpost_getpc27900)>>32
	s_setpc_b64 s[14:15]
.LBB2_12793:
	s_or_saveexec_b64 s[6:7], s[6:7]
	v_mov_b32_e32 v2, s10
	s_xor_b64 exec, exec, s[6:7]
	s_cbranch_execz .LBB2_12794
; %bb.48635:
	s_getpc_b64 s[14:15]
.Lpost_getpc27901:
	s_add_u32 s14, s14, (.LBB2_27132-.Lpost_getpc27901)&4294967295
	s_addc_u32 s15, s15, (.LBB2_27132-.Lpost_getpc27901)>>32
	s_setpc_b64 s[14:15]
.LBB2_12794:
	s_or_b64 exec, exec, s[6:7]
	s_and_saveexec_b64 s[6:7], s[4:5]
	s_cbranch_execz .LBB2_12796
.LBB2_12795:
	v_bfe_u32 v2, v9, 24, 3
	v_ffbh_u32_e32 v7, v2
	v_min_u32_e32 v7, 32, v7
	v_lshrrev_b32_e32 v4, 27, v9
	v_subrev_u32_e32 v8, 28, v7
	v_and_b32_e32 v4, 15, v4
	v_lshlrev_b32_sdwa v8, v8, v9 dst_sel:DWORD dst_unused:UNUSED_PAD src0_sel:DWORD src1_sel:BYTE_3
	v_bfe_u32 v6, v9, 27, 4
	v_sub_u32_e32 v7, 29, v7
	v_and_b32_e32 v8, 7, v8
	v_cmp_eq_u16_e32 vcc, 0, v4
	v_cndmask_b32_e32 v2, v2, v8, vcc
	v_cndmask_b32_e32 v4, v6, v7, vcc
	v_mov_b32_e32 v6, 0x3b800000
	v_and_b32_e32 v3, 0x80000000, v9
	v_lshlrev_b32_e32 v2, 20, v2
	v_lshl_add_u32 v4, v4, 23, v6
	v_or3_b32 v2, v3, v4, v2
.LBB2_12796:
	s_or_b64 exec, exec, s[6:7]
	s_movk_i32 s4, 0x7f
	v_cmp_gt_i16_sdwa s[6:7], v5, s4 src0_sel:BYTE_3 src1_sel:DWORD
	s_mov_b64 s[4:5], 0
                                        ; implicit-def: $sgpr10
	s_and_saveexec_b64 s[8:9], s[6:7]
	s_xor_b64 s[6:7], exec, s[8:9]
	s_cbranch_execz .LBB2_12797
; %bb.48637:
	s_getpc_b64 s[14:15]
.Lpost_getpc27902:
	s_add_u32 s14, s14, (.LBB2_27133-.Lpost_getpc27902)&4294967295
	s_addc_u32 s15, s15, (.LBB2_27133-.Lpost_getpc27902)>>32
	s_setpc_b64 s[14:15]
.LBB2_12797:
	s_or_saveexec_b64 s[6:7], s[6:7]
	v_mov_b32_e32 v3, s10
	s_xor_b64 exec, exec, s[6:7]
	s_cbranch_execz .LBB2_12798
; %bb.48639:
	s_getpc_b64 s[14:15]
.Lpost_getpc27903:
	s_add_u32 s14, s14, (.LBB2_27136-.Lpost_getpc27903)&4294967295
	s_addc_u32 s15, s15, (.LBB2_27136-.Lpost_getpc27903)>>32
	s_setpc_b64 s[14:15]
.LBB2_12798:
	s_or_b64 exec, exec, s[6:7]
	s_and_saveexec_b64 s[6:7], s[4:5]
	s_cbranch_execz .LBB2_12800
.LBB2_12799:
	v_bfe_u32 v3, v5, 24, 3
	v_ffbh_u32_e32 v8, v3
	v_min_u32_e32 v8, 32, v8
	v_lshrrev_b32_e32 v6, 27, v5
	v_subrev_u32_e32 v9, 28, v8
	v_and_b32_e32 v4, 0x80000000, v5
	v_and_b32_e32 v6, 15, v6
	v_bfe_u32 v7, v5, 27, 4
	v_lshlrev_b32_sdwa v5, v9, v5 dst_sel:DWORD dst_unused:UNUSED_PAD src0_sel:DWORD src1_sel:BYTE_3
	v_sub_u32_e32 v8, 29, v8
	v_and_b32_e32 v5, 7, v5
	v_cmp_eq_u16_e32 vcc, 0, v6
	v_cndmask_b32_e32 v3, v3, v5, vcc
	v_cndmask_b32_e32 v5, v7, v8, vcc
	v_mov_b32_e32 v6, 0x3b800000
	v_lshlrev_b32_e32 v3, 20, v3
	v_lshl_add_u32 v5, v5, 23, v6
	v_or3_b32 v3, v4, v5, v3
.LBB2_12800:
	s_or_b64 exec, exec, s[6:7]
	s_nop 0
	v_mfma_f32_16x16x4f32 a[0:3], v2, v3, a[0:3]
	s_movk_i32 s4, 0x7f
                                        ; implicit-def: $sgpr10
	s_nop 7
	s_nop 1
	flat_store_dwordx4 v[10:11], a[0:3] offset:688
	flat_load_dwordx4 v[12:15], v[0:1]
	s_nop 0
	flat_load_dwordx2 v[10:11], v[0:1] offset:16
	s_waitcnt vmcnt(0) lgkmcnt(0)
	flat_load_dwordx4 v[6:9], v[12:13] offset:192
	flat_load_dwordx4 v[2:5], v[14:15] offset:192
	s_waitcnt vmcnt(0) lgkmcnt(0)
	v_cmp_gt_i16_sdwa s[6:7], v6, s4 src0_sel:BYTE_0 src1_sel:DWORD
	s_mov_b64 s[4:5], 0
	s_and_saveexec_b64 s[8:9], s[6:7]
	s_xor_b64 s[6:7], exec, s[8:9]
	s_cbranch_execz .LBB2_12801
; %bb.48641:
	s_getpc_b64 s[14:15]
.Lpost_getpc27904:
	s_add_u32 s14, s14, (.LBB2_27137-.Lpost_getpc27904)&4294967295
	s_addc_u32 s15, s15, (.LBB2_27137-.Lpost_getpc27904)>>32
	s_setpc_b64 s[14:15]
.LBB2_12801:
	s_or_saveexec_b64 s[6:7], s[6:7]
	v_mov_b32_e32 v12, s10
	s_xor_b64 exec, exec, s[6:7]
	s_cbranch_execz .LBB2_12802
; %bb.48643:
	s_getpc_b64 s[14:15]
.Lpost_getpc27905:
	s_add_u32 s14, s14, (.LBB2_27140-.Lpost_getpc27905)&4294967295
	s_addc_u32 s15, s15, (.LBB2_27140-.Lpost_getpc27905)>>32
	s_setpc_b64 s[14:15]
.LBB2_12802:
	s_or_b64 exec, exec, s[6:7]
	s_and_saveexec_b64 s[6:7], s[4:5]
	s_cbranch_execz .LBB2_12804
.LBB2_12803:
	v_and_b32_e32 v12, 7, v6
	v_ffbh_u32_e32 v14, v12
	v_min_u32_e32 v14, 32, v14
	v_lshrrev_b16_e32 v13, 3, v6
	v_subrev_u32_e32 v15, 28, v14
	v_and_b32_e32 v13, 15, v13
	v_lshlrev_b32_e32 v15, v15, v6
	v_sub_u32_e32 v14, 29, v14
	v_and_b32_e32 v15, 7, v15
	v_cmp_eq_u16_e32 vcc, 0, v13
	v_cndmask_b32_e32 v12, v12, v15, vcc
	v_cndmask_b32_e32 v13, v13, v14, vcc
	v_lshlrev_b32_e32 v14, 24, v6
	v_mov_b32_e32 v15, 0x3b800000
	v_lshlrev_b32_e32 v12, 20, v12
	v_and_b32_e32 v14, 0x80000000, v14
	v_lshl_add_u32 v13, v13, 23, v15
	v_or3_b32 v12, v14, v13, v12
.LBB2_12804:
	s_or_b64 exec, exec, s[6:7]
	s_movk_i32 s4, 0x7f
	v_cmp_gt_i16_sdwa s[6:7], v2, s4 src0_sel:BYTE_0 src1_sel:DWORD
	s_mov_b64 s[4:5], 0
                                        ; implicit-def: $sgpr10
	s_and_saveexec_b64 s[8:9], s[6:7]
	s_xor_b64 s[6:7], exec, s[8:9]
	s_cbranch_execz .LBB2_12805
; %bb.48645:
	s_getpc_b64 s[14:15]
.Lpost_getpc27906:
	s_add_u32 s14, s14, (.LBB2_27141-.Lpost_getpc27906)&4294967295
	s_addc_u32 s15, s15, (.LBB2_27141-.Lpost_getpc27906)>>32
	s_setpc_b64 s[14:15]
.LBB2_12805:
	s_or_saveexec_b64 s[6:7], s[6:7]
	v_mov_b32_e32 v13, s10
	s_xor_b64 exec, exec, s[6:7]
	s_cbranch_execz .LBB2_12806
; %bb.48647:
	s_getpc_b64 s[14:15]
.Lpost_getpc27907:
	s_add_u32 s14, s14, (.LBB2_27144-.Lpost_getpc27907)&4294967295
	s_addc_u32 s15, s15, (.LBB2_27144-.Lpost_getpc27907)>>32
	s_setpc_b64 s[14:15]
.LBB2_12806:
	s_or_b64 exec, exec, s[6:7]
	s_and_saveexec_b64 s[6:7], s[4:5]
	s_cbranch_execz .LBB2_12808
.LBB2_12807:
	v_and_b32_e32 v13, 7, v2
	v_ffbh_u32_e32 v15, v13
	v_min_u32_e32 v15, 32, v15
	v_lshrrev_b16_e32 v14, 3, v2
	v_subrev_u32_e32 v16, 28, v15
	v_and_b32_e32 v14, 15, v14
	v_lshlrev_b32_e32 v16, v16, v2
	v_sub_u32_e32 v15, 29, v15
	v_and_b32_e32 v16, 7, v16
	v_cmp_eq_u16_e32 vcc, 0, v14
	v_cndmask_b32_e32 v13, v13, v16, vcc
	v_cndmask_b32_e32 v14, v14, v15, vcc
	v_lshlrev_b32_e32 v15, 24, v2
	v_mov_b32_e32 v16, 0x3b800000
	v_lshlrev_b32_e32 v13, 20, v13
	v_and_b32_e32 v15, 0x80000000, v15
	v_lshl_add_u32 v14, v14, 23, v16
	v_or3_b32 v13, v15, v14, v13
.LBB2_12808:
	s_or_b64 exec, exec, s[6:7]
	flat_load_dwordx4 a[0:3], v[10:11] offset:704
	s_movk_i32 s4, 0x7f
                                        ; implicit-def: $sgpr10
	s_waitcnt vmcnt(0) lgkmcnt(0)
	v_mfma_f32_16x16x4f32 a[0:3], v12, v13, a[0:3]
	v_lshrrev_b32_e32 v13, 8, v6
	v_cmp_gt_i16_sdwa s[6:7], v13, s4 src0_sel:BYTE_0 src1_sel:DWORD
	s_mov_b64 s[4:5], 0
	s_and_saveexec_b64 s[8:9], s[6:7]
	s_xor_b64 s[6:7], exec, s[8:9]
	s_cbranch_execz .LBB2_12809
; %bb.48649:
	s_getpc_b64 s[14:15]
.Lpost_getpc27908:
	s_add_u32 s14, s14, (.LBB2_27145-.Lpost_getpc27908)&4294967295
	s_addc_u32 s15, s15, (.LBB2_27145-.Lpost_getpc27908)>>32
	s_setpc_b64 s[14:15]
.LBB2_12809:
	s_or_saveexec_b64 s[6:7], s[6:7]
	v_mov_b32_e32 v12, s10
	s_xor_b64 exec, exec, s[6:7]
	s_cbranch_execz .LBB2_12810
; %bb.48651:
	s_getpc_b64 s[14:15]
.Lpost_getpc27909:
	s_add_u32 s14, s14, (.LBB2_27148-.Lpost_getpc27909)&4294967295
	s_addc_u32 s15, s15, (.LBB2_27148-.Lpost_getpc27909)>>32
	s_setpc_b64 s[14:15]
.LBB2_12810:
	s_or_b64 exec, exec, s[6:7]
	s_and_saveexec_b64 s[6:7], s[4:5]
	s_cbranch_execz .LBB2_12812
.LBB2_12811:
	v_bfe_u32 v12, v6, 8, 3
	v_ffbh_u32_e32 v15, v12
	v_min_u32_e32 v15, 32, v15
	v_lshrrev_b16_e32 v14, 3, v13
	v_subrev_u32_e32 v16, 28, v15
	v_and_b32_e32 v14, 15, v14
	v_lshlrev_b32_e32 v13, v16, v13
	v_sub_u32_e32 v15, 29, v15
	v_and_b32_e32 v13, 7, v13
	v_cmp_eq_u16_e32 vcc, 0, v14
	v_cndmask_b32_e32 v12, v12, v13, vcc
	v_cndmask_b32_e32 v13, v14, v15, vcc
	v_lshlrev_b32_e32 v14, 16, v6
	v_mov_b32_e32 v15, 0x3b800000
	v_lshlrev_b32_e32 v12, 20, v12
	v_and_b32_e32 v14, 0x80000000, v14
	v_lshl_add_u32 v13, v13, 23, v15
	v_or3_b32 v12, v14, v13, v12
.LBB2_12812:
	s_or_b64 exec, exec, s[6:7]
	v_lshrrev_b32_e32 v13, 8, v2
	s_movk_i32 s4, 0x7f
	v_cmp_gt_i16_sdwa s[6:7], v13, s4 src0_sel:BYTE_0 src1_sel:DWORD
	s_mov_b64 s[4:5], 0
                                        ; implicit-def: $sgpr10
	s_and_saveexec_b64 s[8:9], s[6:7]
	s_xor_b64 s[6:7], exec, s[8:9]
	s_cbranch_execz .LBB2_12813
; %bb.48653:
	s_getpc_b64 s[14:15]
.Lpost_getpc27910:
	s_add_u32 s14, s14, (.LBB2_27149-.Lpost_getpc27910)&4294967295
	s_addc_u32 s15, s15, (.LBB2_27149-.Lpost_getpc27910)>>32
	s_setpc_b64 s[14:15]
.LBB2_12813:
	s_or_saveexec_b64 s[6:7], s[6:7]
	v_mov_b32_e32 v14, s10
	s_xor_b64 exec, exec, s[6:7]
	s_cbranch_execz .LBB2_12814
; %bb.48655:
	s_getpc_b64 s[14:15]
.Lpost_getpc27911:
	s_add_u32 s14, s14, (.LBB2_27152-.Lpost_getpc27911)&4294967295
	s_addc_u32 s15, s15, (.LBB2_27152-.Lpost_getpc27911)>>32
	s_setpc_b64 s[14:15]
.LBB2_12814:
	s_or_b64 exec, exec, s[6:7]
	s_and_saveexec_b64 s[6:7], s[4:5]
	s_cbranch_execz .LBB2_12816
.LBB2_12815:
	v_bfe_u32 v14, v2, 8, 3
	v_ffbh_u32_e32 v16, v14
	v_min_u32_e32 v16, 32, v16
	v_lshrrev_b16_e32 v15, 3, v13
	v_subrev_u32_e32 v17, 28, v16
	v_and_b32_e32 v15, 15, v15
	v_lshlrev_b32_e32 v13, v17, v13
	v_sub_u32_e32 v16, 29, v16
	v_and_b32_e32 v13, 7, v13
	v_cmp_eq_u16_e32 vcc, 0, v15
	v_cndmask_b32_e32 v13, v14, v13, vcc
	v_cndmask_b32_e32 v14, v15, v16, vcc
	v_lshlrev_b32_e32 v15, 16, v2
	v_mov_b32_e32 v16, 0x3b800000
	v_lshlrev_b32_e32 v13, 20, v13
	v_and_b32_e32 v15, 0x80000000, v15
	v_lshl_add_u32 v14, v14, 23, v16
	v_or3_b32 v14, v15, v14, v13
.LBB2_12816:
	s_or_b64 exec, exec, s[6:7]
	s_nop 0
	v_mfma_f32_16x16x4f32 a[0:3], v12, v14, a[0:3]
	s_movk_i32 s4, 0xff
	v_and_b32_sdwa v13, v6, s4 dst_sel:DWORD dst_unused:UNUSED_PAD src0_sel:WORD_1 src1_sel:DWORD
	s_movk_i32 s4, 0x7f
	v_cmp_lt_i16_e32 vcc, s4, v13
	s_mov_b64 s[4:5], 0
                                        ; implicit-def: $sgpr10
	s_and_saveexec_b64 s[6:7], vcc
	s_xor_b64 s[6:7], exec, s[6:7]
	s_cbranch_execz .LBB2_12817
; %bb.48657:
	s_getpc_b64 s[14:15]
.Lpost_getpc27912:
	s_add_u32 s14, s14, (.LBB2_27153-.Lpost_getpc27912)&4294967295
	s_addc_u32 s15, s15, (.LBB2_27153-.Lpost_getpc27912)>>32
	s_setpc_b64 s[14:15]
.LBB2_12817:
	s_or_saveexec_b64 s[6:7], s[6:7]
	v_mov_b32_e32 v12, s10
	s_xor_b64 exec, exec, s[6:7]
	s_cbranch_execz .LBB2_12818
; %bb.48659:
	s_getpc_b64 s[14:15]
.Lpost_getpc27913:
	s_add_u32 s14, s14, (.LBB2_27156-.Lpost_getpc27913)&4294967295
	s_addc_u32 s15, s15, (.LBB2_27156-.Lpost_getpc27913)>>32
	s_setpc_b64 s[14:15]
.LBB2_12818:
	s_or_b64 exec, exec, s[6:7]
	s_and_saveexec_b64 s[6:7], s[4:5]
	s_cbranch_execz .LBB2_12820
.LBB2_12819:
	v_bfe_u32 v12, v6, 16, 3
	v_ffbh_u32_e32 v15, v12
	v_min_u32_e32 v15, 32, v15
	v_lshrrev_b32_e32 v13, 19, v6
	v_subrev_u32_e32 v16, 28, v15
	v_and_b32_e32 v13, 15, v13
	v_lshlrev_b32_sdwa v16, v16, v6 dst_sel:DWORD dst_unused:UNUSED_PAD src0_sel:DWORD src1_sel:WORD_1
	v_bfe_u32 v14, v6, 19, 4
	v_sub_u32_e32 v15, 29, v15
	v_and_b32_e32 v16, 7, v16
	v_cmp_eq_u16_e32 vcc, 0, v13
	v_cndmask_b32_e32 v12, v12, v16, vcc
	v_cndmask_b32_e32 v13, v14, v15, vcc
	v_lshlrev_b32_e32 v14, 8, v6
	v_mov_b32_e32 v15, 0x3b800000
	v_lshlrev_b32_e32 v12, 20, v12
	v_and_b32_e32 v14, 0x80000000, v14
	v_lshl_add_u32 v13, v13, 23, v15
	v_or3_b32 v12, v14, v13, v12
.LBB2_12820:
	s_or_b64 exec, exec, s[6:7]
	s_movk_i32 s4, 0xff
	v_and_b32_sdwa v13, v2, s4 dst_sel:DWORD dst_unused:UNUSED_PAD src0_sel:WORD_1 src1_sel:DWORD
	s_movk_i32 s4, 0x7f
	v_cmp_lt_i16_e32 vcc, s4, v13
	s_mov_b64 s[4:5], 0
                                        ; implicit-def: $sgpr10
	s_and_saveexec_b64 s[6:7], vcc
	s_xor_b64 s[6:7], exec, s[6:7]
	s_cbranch_execz .LBB2_12821
; %bb.48661:
	s_getpc_b64 s[14:15]
.Lpost_getpc27914:
	s_add_u32 s14, s14, (.LBB2_27157-.Lpost_getpc27914)&4294967295
	s_addc_u32 s15, s15, (.LBB2_27157-.Lpost_getpc27914)>>32
	s_setpc_b64 s[14:15]
.LBB2_12821:
	s_or_saveexec_b64 s[6:7], s[6:7]
	v_mov_b32_e32 v14, s10
	s_xor_b64 exec, exec, s[6:7]
	s_cbranch_execz .LBB2_12822
; %bb.48663:
	s_getpc_b64 s[14:15]
.Lpost_getpc27915:
	s_add_u32 s14, s14, (.LBB2_27160-.Lpost_getpc27915)&4294967295
	s_addc_u32 s15, s15, (.LBB2_27160-.Lpost_getpc27915)>>32
	s_setpc_b64 s[14:15]
.LBB2_12822:
	s_or_b64 exec, exec, s[6:7]
	s_and_saveexec_b64 s[6:7], s[4:5]
	s_cbranch_execz .LBB2_12824
.LBB2_12823:
	v_bfe_u32 v13, v2, 16, 3
	v_ffbh_u32_e32 v16, v13
	v_min_u32_e32 v16, 32, v16
	v_lshrrev_b32_e32 v14, 19, v2
	v_subrev_u32_e32 v17, 28, v16
	v_and_b32_e32 v14, 15, v14
	v_lshlrev_b32_sdwa v17, v17, v2 dst_sel:DWORD dst_unused:UNUSED_PAD src0_sel:DWORD src1_sel:WORD_1
	v_bfe_u32 v15, v2, 19, 4
	v_sub_u32_e32 v16, 29, v16
	v_and_b32_e32 v17, 7, v17
	v_cmp_eq_u16_e32 vcc, 0, v14
	v_cndmask_b32_e32 v13, v13, v17, vcc
	v_cndmask_b32_e32 v14, v15, v16, vcc
	v_lshlrev_b32_e32 v15, 8, v2
	v_mov_b32_e32 v16, 0x3b800000
	v_lshlrev_b32_e32 v13, 20, v13
	v_and_b32_e32 v15, 0x80000000, v15
	v_lshl_add_u32 v14, v14, 23, v16
	v_or3_b32 v14, v15, v14, v13
.LBB2_12824:
	s_or_b64 exec, exec, s[6:7]
	s_nop 0
	v_mfma_f32_16x16x4f32 a[0:3], v12, v14, a[0:3]
	s_movk_i32 s4, 0x7f
	v_cmp_gt_i16_sdwa s[6:7], v6, s4 src0_sel:BYTE_3 src1_sel:DWORD
	s_mov_b64 s[4:5], 0
                                        ; implicit-def: $sgpr10
	s_and_saveexec_b64 s[8:9], s[6:7]
	s_xor_b64 s[6:7], exec, s[8:9]
	s_cbranch_execz .LBB2_12825
; %bb.48665:
	s_getpc_b64 s[14:15]
.Lpost_getpc27916:
	s_add_u32 s14, s14, (.LBB2_27161-.Lpost_getpc27916)&4294967295
	s_addc_u32 s15, s15, (.LBB2_27161-.Lpost_getpc27916)>>32
	s_setpc_b64 s[14:15]
.LBB2_12825:
	s_or_saveexec_b64 s[6:7], s[6:7]
	v_mov_b32_e32 v12, s10
	s_xor_b64 exec, exec, s[6:7]
	s_cbranch_execz .LBB2_12826
; %bb.48667:
	s_getpc_b64 s[14:15]
.Lpost_getpc27917:
	s_add_u32 s14, s14, (.LBB2_27164-.Lpost_getpc27917)&4294967295
	s_addc_u32 s15, s15, (.LBB2_27164-.Lpost_getpc27917)>>32
	s_setpc_b64 s[14:15]
.LBB2_12826:
	s_or_b64 exec, exec, s[6:7]
	s_and_saveexec_b64 s[6:7], s[4:5]
	s_cbranch_execz .LBB2_12828
.LBB2_12827:
	v_bfe_u32 v12, v6, 24, 3
	v_ffbh_u32_e32 v16, v12
	v_min_u32_e32 v16, 32, v16
	v_lshrrev_b32_e32 v14, 27, v6
	v_subrev_u32_e32 v17, 28, v16
	v_and_b32_e32 v13, 0x80000000, v6
	v_and_b32_e32 v14, 15, v14
	v_bfe_u32 v15, v6, 27, 4
	v_lshlrev_b32_sdwa v6, v17, v6 dst_sel:DWORD dst_unused:UNUSED_PAD src0_sel:DWORD src1_sel:BYTE_3
	v_sub_u32_e32 v16, 29, v16
	v_and_b32_e32 v6, 7, v6
	v_cmp_eq_u16_e32 vcc, 0, v14
	v_cndmask_b32_e32 v6, v12, v6, vcc
	v_cndmask_b32_e32 v12, v15, v16, vcc
	v_mov_b32_e32 v14, 0x3b800000
	v_lshlrev_b32_e32 v6, 20, v6
	v_lshl_add_u32 v12, v12, 23, v14
	v_or3_b32 v12, v13, v12, v6
.LBB2_12828:
	s_or_b64 exec, exec, s[6:7]
	s_movk_i32 s4, 0x7f
	v_cmp_gt_i16_sdwa s[6:7], v2, s4 src0_sel:BYTE_3 src1_sel:DWORD
	s_mov_b64 s[4:5], 0
                                        ; implicit-def: $sgpr10
	s_and_saveexec_b64 s[8:9], s[6:7]
	s_xor_b64 s[6:7], exec, s[8:9]
	s_cbranch_execz .LBB2_12829
; %bb.48669:
	s_getpc_b64 s[14:15]
.Lpost_getpc27918:
	s_add_u32 s14, s14, (.LBB2_27165-.Lpost_getpc27918)&4294967295
	s_addc_u32 s15, s15, (.LBB2_27165-.Lpost_getpc27918)>>32
	s_setpc_b64 s[14:15]
.LBB2_12829:
	s_or_saveexec_b64 s[6:7], s[6:7]
	v_mov_b32_e32 v6, s10
	s_xor_b64 exec, exec, s[6:7]
	s_cbranch_execz .LBB2_12830
; %bb.48671:
	s_getpc_b64 s[14:15]
.Lpost_getpc27919:
	s_add_u32 s14, s14, (.LBB2_27168-.Lpost_getpc27919)&4294967295
	s_addc_u32 s15, s15, (.LBB2_27168-.Lpost_getpc27919)>>32
	s_setpc_b64 s[14:15]
.LBB2_12830:
	s_or_b64 exec, exec, s[6:7]
	s_and_saveexec_b64 s[6:7], s[4:5]
	s_cbranch_execz .LBB2_12832
.LBB2_12831:
	v_bfe_u32 v6, v2, 24, 3
	v_ffbh_u32_e32 v16, v6
	v_min_u32_e32 v16, 32, v16
	v_lshrrev_b32_e32 v14, 27, v2
	v_subrev_u32_e32 v17, 28, v16
	v_and_b32_e32 v13, 0x80000000, v2
	v_and_b32_e32 v14, 15, v14
	v_bfe_u32 v15, v2, 27, 4
	v_lshlrev_b32_sdwa v2, v17, v2 dst_sel:DWORD dst_unused:UNUSED_PAD src0_sel:DWORD src1_sel:BYTE_3
	v_sub_u32_e32 v16, 29, v16
	v_and_b32_e32 v2, 7, v2
	v_cmp_eq_u16_e32 vcc, 0, v14
	v_cndmask_b32_e32 v2, v6, v2, vcc
	v_cndmask_b32_e32 v6, v15, v16, vcc
	v_mov_b32_e32 v14, 0x3b800000
	v_lshlrev_b32_e32 v2, 20, v2
	v_lshl_add_u32 v6, v6, 23, v14
	v_or3_b32 v6, v13, v6, v2
.LBB2_12832:
	s_or_b64 exec, exec, s[6:7]
	s_nop 0
	v_mfma_f32_16x16x4f32 a[0:3], v12, v6, a[0:3]
	s_movk_i32 s4, 0x7f
	v_cmp_gt_i16_sdwa s[6:7], v7, s4 src0_sel:BYTE_0 src1_sel:DWORD
	s_mov_b64 s[4:5], 0
                                        ; implicit-def: $sgpr10
	s_and_saveexec_b64 s[8:9], s[6:7]
	s_xor_b64 s[6:7], exec, s[8:9]
	s_cbranch_execz .LBB2_12833
; %bb.48673:
	s_getpc_b64 s[14:15]
.Lpost_getpc27920:
	s_add_u32 s14, s14, (.LBB2_27169-.Lpost_getpc27920)&4294967295
	s_addc_u32 s15, s15, (.LBB2_27169-.Lpost_getpc27920)>>32
	s_setpc_b64 s[14:15]
.LBB2_12833:
	s_or_saveexec_b64 s[6:7], s[6:7]
	v_mov_b32_e32 v2, s10
	s_xor_b64 exec, exec, s[6:7]
	s_cbranch_execz .LBB2_12834
; %bb.48675:
	s_getpc_b64 s[14:15]
.Lpost_getpc27921:
	s_add_u32 s14, s14, (.LBB2_27172-.Lpost_getpc27921)&4294967295
	s_addc_u32 s15, s15, (.LBB2_27172-.Lpost_getpc27921)>>32
	s_setpc_b64 s[14:15]
.LBB2_12834:
	s_or_b64 exec, exec, s[6:7]
	s_and_saveexec_b64 s[6:7], s[4:5]
	s_cbranch_execz .LBB2_12836
.LBB2_12835:
	v_and_b32_e32 v2, 7, v7
	v_ffbh_u32_e32 v12, v2
	v_min_u32_e32 v12, 32, v12
	v_lshrrev_b16_e32 v6, 3, v7
	v_subrev_u32_e32 v13, 28, v12
	v_and_b32_e32 v6, 15, v6
	v_lshlrev_b32_e32 v13, v13, v7
	v_sub_u32_e32 v12, 29, v12
	v_and_b32_e32 v13, 7, v13
	v_cmp_eq_u16_e32 vcc, 0, v6
	v_cndmask_b32_e32 v2, v2, v13, vcc
	v_cndmask_b32_e32 v6, v6, v12, vcc
	v_lshlrev_b32_e32 v12, 24, v7
	v_mov_b32_e32 v13, 0x3b800000
	v_lshlrev_b32_e32 v2, 20, v2
	v_and_b32_e32 v12, 0x80000000, v12
	v_lshl_add_u32 v6, v6, 23, v13
	v_or3_b32 v2, v12, v6, v2
.LBB2_12836:
	s_or_b64 exec, exec, s[6:7]
	s_movk_i32 s4, 0x7f
	v_cmp_gt_i16_sdwa s[6:7], v3, s4 src0_sel:BYTE_0 src1_sel:DWORD
	s_mov_b64 s[4:5], 0
                                        ; implicit-def: $sgpr10
	s_and_saveexec_b64 s[8:9], s[6:7]
	s_xor_b64 s[6:7], exec, s[8:9]
	s_cbranch_execz .LBB2_12837
; %bb.48677:
	s_getpc_b64 s[14:15]
.Lpost_getpc27922:
	s_add_u32 s14, s14, (.LBB2_27173-.Lpost_getpc27922)&4294967295
	s_addc_u32 s15, s15, (.LBB2_27173-.Lpost_getpc27922)>>32
	s_setpc_b64 s[14:15]
.LBB2_12837:
	s_or_saveexec_b64 s[6:7], s[6:7]
	v_mov_b32_e32 v6, s10
	s_xor_b64 exec, exec, s[6:7]
	s_cbranch_execz .LBB2_12838
; %bb.48679:
	s_getpc_b64 s[14:15]
.Lpost_getpc27923:
	s_add_u32 s14, s14, (.LBB2_27176-.Lpost_getpc27923)&4294967295
	s_addc_u32 s15, s15, (.LBB2_27176-.Lpost_getpc27923)>>32
	s_setpc_b64 s[14:15]
.LBB2_12838:
	s_or_b64 exec, exec, s[6:7]
	s_and_saveexec_b64 s[6:7], s[4:5]
	s_cbranch_execz .LBB2_12840
.LBB2_12839:
	v_and_b32_e32 v6, 7, v3
	v_ffbh_u32_e32 v13, v6
	v_min_u32_e32 v13, 32, v13
	v_lshrrev_b16_e32 v12, 3, v3
	v_subrev_u32_e32 v14, 28, v13
	v_and_b32_e32 v12, 15, v12
	v_lshlrev_b32_e32 v14, v14, v3
	v_sub_u32_e32 v13, 29, v13
	v_and_b32_e32 v14, 7, v14
	v_cmp_eq_u16_e32 vcc, 0, v12
	v_cndmask_b32_e32 v6, v6, v14, vcc
	v_cndmask_b32_e32 v12, v12, v13, vcc
	v_lshlrev_b32_e32 v13, 24, v3
	v_mov_b32_e32 v14, 0x3b800000
	v_lshlrev_b32_e32 v6, 20, v6
	v_and_b32_e32 v13, 0x80000000, v13
	v_lshl_add_u32 v12, v12, 23, v14
	v_or3_b32 v6, v13, v12, v6
.LBB2_12840:
	s_or_b64 exec, exec, s[6:7]
	s_nop 0
	v_mfma_f32_16x16x4f32 a[0:3], v2, v6, a[0:3]
	v_lshrrev_b32_e32 v6, 8, v7
	s_movk_i32 s4, 0x7f
	v_cmp_gt_i16_sdwa s[6:7], v6, s4 src0_sel:BYTE_0 src1_sel:DWORD
	s_mov_b64 s[4:5], 0
                                        ; implicit-def: $sgpr10
	s_and_saveexec_b64 s[8:9], s[6:7]
	s_xor_b64 s[6:7], exec, s[8:9]
	s_cbranch_execz .LBB2_12841
; %bb.48681:
	s_getpc_b64 s[14:15]
.Lpost_getpc27924:
	s_add_u32 s14, s14, (.LBB2_27177-.Lpost_getpc27924)&4294967295
	s_addc_u32 s15, s15, (.LBB2_27177-.Lpost_getpc27924)>>32
	s_setpc_b64 s[14:15]
.LBB2_12841:
	s_or_saveexec_b64 s[6:7], s[6:7]
	v_mov_b32_e32 v2, s10
	s_xor_b64 exec, exec, s[6:7]
	s_cbranch_execz .LBB2_12842
; %bb.48683:
	s_getpc_b64 s[14:15]
.Lpost_getpc27925:
	s_add_u32 s14, s14, (.LBB2_27180-.Lpost_getpc27925)&4294967295
	s_addc_u32 s15, s15, (.LBB2_27180-.Lpost_getpc27925)>>32
	s_setpc_b64 s[14:15]
.LBB2_12842:
	s_or_b64 exec, exec, s[6:7]
	s_and_saveexec_b64 s[6:7], s[4:5]
	s_cbranch_execz .LBB2_12844
.LBB2_12843:
	v_bfe_u32 v2, v7, 8, 3
	v_ffbh_u32_e32 v13, v2
	v_min_u32_e32 v13, 32, v13
	v_lshrrev_b16_e32 v12, 3, v6
	v_subrev_u32_e32 v14, 28, v13
	v_and_b32_e32 v12, 15, v12
	v_lshlrev_b32_e32 v6, v14, v6
	v_sub_u32_e32 v13, 29, v13
	v_and_b32_e32 v6, 7, v6
	v_cmp_eq_u16_e32 vcc, 0, v12
	v_cndmask_b32_e32 v2, v2, v6, vcc
	v_cndmask_b32_e32 v6, v12, v13, vcc
	v_lshlrev_b32_e32 v12, 16, v7
	v_mov_b32_e32 v13, 0x3b800000
	v_lshlrev_b32_e32 v2, 20, v2
	v_and_b32_e32 v12, 0x80000000, v12
	v_lshl_add_u32 v6, v6, 23, v13
	v_or3_b32 v2, v12, v6, v2
.LBB2_12844:
	s_or_b64 exec, exec, s[6:7]
	v_lshrrev_b32_e32 v6, 8, v3
	s_movk_i32 s4, 0x7f
	v_cmp_gt_i16_sdwa s[6:7], v6, s4 src0_sel:BYTE_0 src1_sel:DWORD
	s_mov_b64 s[4:5], 0
                                        ; implicit-def: $sgpr10
	s_and_saveexec_b64 s[8:9], s[6:7]
	s_xor_b64 s[6:7], exec, s[8:9]
	s_cbranch_execz .LBB2_12845
; %bb.48685:
	s_getpc_b64 s[14:15]
.Lpost_getpc27926:
	s_add_u32 s14, s14, (.LBB2_27181-.Lpost_getpc27926)&4294967295
	s_addc_u32 s15, s15, (.LBB2_27181-.Lpost_getpc27926)>>32
	s_setpc_b64 s[14:15]
.LBB2_12845:
	s_or_saveexec_b64 s[6:7], s[6:7]
	v_mov_b32_e32 v12, s10
	s_xor_b64 exec, exec, s[6:7]
	s_cbranch_execz .LBB2_12846
; %bb.48687:
	s_getpc_b64 s[14:15]
.Lpost_getpc27927:
	s_add_u32 s14, s14, (.LBB2_27184-.Lpost_getpc27927)&4294967295
	s_addc_u32 s15, s15, (.LBB2_27184-.Lpost_getpc27927)>>32
	s_setpc_b64 s[14:15]
.LBB2_12846:
	s_or_b64 exec, exec, s[6:7]
	s_and_saveexec_b64 s[6:7], s[4:5]
	s_cbranch_execz .LBB2_12848
.LBB2_12847:
	v_bfe_u32 v12, v3, 8, 3
	v_ffbh_u32_e32 v14, v12
	v_min_u32_e32 v14, 32, v14
	v_lshrrev_b16_e32 v13, 3, v6
	v_subrev_u32_e32 v15, 28, v14
	v_and_b32_e32 v13, 15, v13
	v_lshlrev_b32_e32 v6, v15, v6
	v_sub_u32_e32 v14, 29, v14
	v_and_b32_e32 v6, 7, v6
	v_cmp_eq_u16_e32 vcc, 0, v13
	v_cndmask_b32_e32 v6, v12, v6, vcc
	v_cndmask_b32_e32 v12, v13, v14, vcc
	v_lshlrev_b32_e32 v13, 16, v3
	v_mov_b32_e32 v14, 0x3b800000
	v_lshlrev_b32_e32 v6, 20, v6
	v_and_b32_e32 v13, 0x80000000, v13
	v_lshl_add_u32 v12, v12, 23, v14
	v_or3_b32 v12, v13, v12, v6
.LBB2_12848:
	s_or_b64 exec, exec, s[6:7]
	s_nop 0
	v_mfma_f32_16x16x4f32 a[0:3], v2, v12, a[0:3]
	s_movk_i32 s4, 0xff
	v_and_b32_sdwa v6, v7, s4 dst_sel:DWORD dst_unused:UNUSED_PAD src0_sel:WORD_1 src1_sel:DWORD
	s_movk_i32 s4, 0x7f
	v_cmp_lt_i16_e32 vcc, s4, v6
	s_mov_b64 s[4:5], 0
                                        ; implicit-def: $sgpr10
	s_and_saveexec_b64 s[6:7], vcc
	s_xor_b64 s[6:7], exec, s[6:7]
	s_cbranch_execz .LBB2_12849
; %bb.48689:
	s_getpc_b64 s[14:15]
.Lpost_getpc27928:
	s_add_u32 s14, s14, (.LBB2_27185-.Lpost_getpc27928)&4294967295
	s_addc_u32 s15, s15, (.LBB2_27185-.Lpost_getpc27928)>>32
	s_setpc_b64 s[14:15]
.LBB2_12849:
	s_or_saveexec_b64 s[6:7], s[6:7]
	v_mov_b32_e32 v2, s10
	s_xor_b64 exec, exec, s[6:7]
	s_cbranch_execz .LBB2_12850
; %bb.48691:
	s_getpc_b64 s[14:15]
.Lpost_getpc27929:
	s_add_u32 s14, s14, (.LBB2_27188-.Lpost_getpc27929)&4294967295
	s_addc_u32 s15, s15, (.LBB2_27188-.Lpost_getpc27929)>>32
	s_setpc_b64 s[14:15]
.LBB2_12850:
	s_or_b64 exec, exec, s[6:7]
	s_and_saveexec_b64 s[6:7], s[4:5]
	s_cbranch_execz .LBB2_12852
.LBB2_12851:
	v_bfe_u32 v2, v7, 16, 3
	v_ffbh_u32_e32 v13, v2
	v_min_u32_e32 v13, 32, v13
	v_lshrrev_b32_e32 v6, 19, v7
	v_subrev_u32_e32 v14, 28, v13
	v_and_b32_e32 v6, 15, v6
	v_lshlrev_b32_sdwa v14, v14, v7 dst_sel:DWORD dst_unused:UNUSED_PAD src0_sel:DWORD src1_sel:WORD_1
	v_bfe_u32 v12, v7, 19, 4
	v_sub_u32_e32 v13, 29, v13
	v_and_b32_e32 v14, 7, v14
	v_cmp_eq_u16_e32 vcc, 0, v6
	v_cndmask_b32_e32 v2, v2, v14, vcc
	v_cndmask_b32_e32 v6, v12, v13, vcc
	v_lshlrev_b32_e32 v12, 8, v7
	v_mov_b32_e32 v13, 0x3b800000
	v_lshlrev_b32_e32 v2, 20, v2
	v_and_b32_e32 v12, 0x80000000, v12
	v_lshl_add_u32 v6, v6, 23, v13
	v_or3_b32 v2, v12, v6, v2
.LBB2_12852:
	s_or_b64 exec, exec, s[6:7]
	s_movk_i32 s4, 0xff
	v_and_b32_sdwa v6, v3, s4 dst_sel:DWORD dst_unused:UNUSED_PAD src0_sel:WORD_1 src1_sel:DWORD
	s_movk_i32 s4, 0x7f
	v_cmp_lt_i16_e32 vcc, s4, v6
	s_mov_b64 s[4:5], 0
                                        ; implicit-def: $sgpr10
	s_and_saveexec_b64 s[6:7], vcc
	s_xor_b64 s[6:7], exec, s[6:7]
	s_cbranch_execz .LBB2_12853
; %bb.48693:
	s_getpc_b64 s[14:15]
.Lpost_getpc27930:
	s_add_u32 s14, s14, (.LBB2_27189-.Lpost_getpc27930)&4294967295
	s_addc_u32 s15, s15, (.LBB2_27189-.Lpost_getpc27930)>>32
	s_setpc_b64 s[14:15]
.LBB2_12853:
	s_or_saveexec_b64 s[6:7], s[6:7]
	v_mov_b32_e32 v12, s10
	s_xor_b64 exec, exec, s[6:7]
	s_cbranch_execz .LBB2_12854
; %bb.48695:
	s_getpc_b64 s[14:15]
.Lpost_getpc27931:
	s_add_u32 s14, s14, (.LBB2_27192-.Lpost_getpc27931)&4294967295
	s_addc_u32 s15, s15, (.LBB2_27192-.Lpost_getpc27931)>>32
	s_setpc_b64 s[14:15]
.LBB2_12854:
	s_or_b64 exec, exec, s[6:7]
	s_and_saveexec_b64 s[6:7], s[4:5]
	s_cbranch_execz .LBB2_12856
.LBB2_12855:
	v_bfe_u32 v6, v3, 16, 3
	v_ffbh_u32_e32 v14, v6
	v_min_u32_e32 v14, 32, v14
	v_lshrrev_b32_e32 v12, 19, v3
	v_subrev_u32_e32 v15, 28, v14
	v_and_b32_e32 v12, 15, v12
	v_lshlrev_b32_sdwa v15, v15, v3 dst_sel:DWORD dst_unused:UNUSED_PAD src0_sel:DWORD src1_sel:WORD_1
	v_bfe_u32 v13, v3, 19, 4
	v_sub_u32_e32 v14, 29, v14
	v_and_b32_e32 v15, 7, v15
	v_cmp_eq_u16_e32 vcc, 0, v12
	v_cndmask_b32_e32 v6, v6, v15, vcc
	v_cndmask_b32_e32 v12, v13, v14, vcc
	v_lshlrev_b32_e32 v13, 8, v3
	v_mov_b32_e32 v14, 0x3b800000
	v_lshlrev_b32_e32 v6, 20, v6
	v_and_b32_e32 v13, 0x80000000, v13
	v_lshl_add_u32 v12, v12, 23, v14
	v_or3_b32 v12, v13, v12, v6
.LBB2_12856:
	s_or_b64 exec, exec, s[6:7]
	s_nop 0
	v_mfma_f32_16x16x4f32 a[0:3], v2, v12, a[0:3]
	s_movk_i32 s4, 0x7f
	v_cmp_gt_i16_sdwa s[6:7], v7, s4 src0_sel:BYTE_3 src1_sel:DWORD
	s_mov_b64 s[4:5], 0
                                        ; implicit-def: $sgpr10
	s_and_saveexec_b64 s[8:9], s[6:7]
	s_xor_b64 s[6:7], exec, s[8:9]
	s_cbranch_execz .LBB2_12857
; %bb.48697:
	s_getpc_b64 s[14:15]
.Lpost_getpc27932:
	s_add_u32 s14, s14, (.LBB2_27193-.Lpost_getpc27932)&4294967295
	s_addc_u32 s15, s15, (.LBB2_27193-.Lpost_getpc27932)>>32
	s_setpc_b64 s[14:15]
.LBB2_12857:
	s_or_saveexec_b64 s[6:7], s[6:7]
	v_mov_b32_e32 v2, s10
	s_xor_b64 exec, exec, s[6:7]
	s_cbranch_execz .LBB2_12858
; %bb.48699:
	s_getpc_b64 s[14:15]
.Lpost_getpc27933:
	s_add_u32 s14, s14, (.LBB2_27196-.Lpost_getpc27933)&4294967295
	s_addc_u32 s15, s15, (.LBB2_27196-.Lpost_getpc27933)>>32
	s_setpc_b64 s[14:15]
.LBB2_12858:
	s_or_b64 exec, exec, s[6:7]
	s_and_saveexec_b64 s[6:7], s[4:5]
	s_cbranch_execz .LBB2_12860
.LBB2_12859:
	v_bfe_u32 v2, v7, 24, 3
	v_ffbh_u32_e32 v14, v2
	v_min_u32_e32 v14, 32, v14
	v_lshrrev_b32_e32 v12, 27, v7
	v_subrev_u32_e32 v15, 28, v14
	v_and_b32_e32 v6, 0x80000000, v7
	v_and_b32_e32 v12, 15, v12
	v_bfe_u32 v13, v7, 27, 4
	v_lshlrev_b32_sdwa v7, v15, v7 dst_sel:DWORD dst_unused:UNUSED_PAD src0_sel:DWORD src1_sel:BYTE_3
	v_sub_u32_e32 v14, 29, v14
	v_and_b32_e32 v7, 7, v7
	v_cmp_eq_u16_e32 vcc, 0, v12
	v_cndmask_b32_e32 v2, v2, v7, vcc
	v_cndmask_b32_e32 v7, v13, v14, vcc
	v_mov_b32_e32 v12, 0x3b800000
	v_lshlrev_b32_e32 v2, 20, v2
	v_lshl_add_u32 v7, v7, 23, v12
	v_or3_b32 v2, v6, v7, v2
.LBB2_12860:
	s_or_b64 exec, exec, s[6:7]
	s_movk_i32 s4, 0x7f
	v_cmp_gt_i16_sdwa s[6:7], v3, s4 src0_sel:BYTE_3 src1_sel:DWORD
	s_mov_b64 s[4:5], 0
                                        ; implicit-def: $sgpr10
	s_and_saveexec_b64 s[8:9], s[6:7]
	s_xor_b64 s[6:7], exec, s[8:9]
	s_cbranch_execz .LBB2_12861
; %bb.48701:
	s_getpc_b64 s[14:15]
.Lpost_getpc27934:
	s_add_u32 s14, s14, (.LBB2_27197-.Lpost_getpc27934)&4294967295
	s_addc_u32 s15, s15, (.LBB2_27197-.Lpost_getpc27934)>>32
	s_setpc_b64 s[14:15]
.LBB2_12861:
	s_or_saveexec_b64 s[6:7], s[6:7]
	v_mov_b32_e32 v6, s10
	s_xor_b64 exec, exec, s[6:7]
	s_cbranch_execz .LBB2_12862
; %bb.48703:
	s_getpc_b64 s[14:15]
.Lpost_getpc27935:
	s_add_u32 s14, s14, (.LBB2_27200-.Lpost_getpc27935)&4294967295
	s_addc_u32 s15, s15, (.LBB2_27200-.Lpost_getpc27935)>>32
	s_setpc_b64 s[14:15]
.LBB2_12862:
	s_or_b64 exec, exec, s[6:7]
	s_and_saveexec_b64 s[6:7], s[4:5]
	s_cbranch_execz .LBB2_12864
.LBB2_12863:
	v_bfe_u32 v6, v3, 24, 3
	v_ffbh_u32_e32 v14, v6
	v_min_u32_e32 v14, 32, v14
	v_lshrrev_b32_e32 v12, 27, v3
	v_subrev_u32_e32 v15, 28, v14
	v_and_b32_e32 v7, 0x80000000, v3
	v_and_b32_e32 v12, 15, v12
	v_bfe_u32 v13, v3, 27, 4
	v_lshlrev_b32_sdwa v3, v15, v3 dst_sel:DWORD dst_unused:UNUSED_PAD src0_sel:DWORD src1_sel:BYTE_3
	v_sub_u32_e32 v14, 29, v14
	v_and_b32_e32 v3, 7, v3
	v_cmp_eq_u16_e32 vcc, 0, v12
	v_cndmask_b32_e32 v3, v6, v3, vcc
	v_cndmask_b32_e32 v6, v13, v14, vcc
	v_mov_b32_e32 v12, 0x3b800000
	v_lshlrev_b32_e32 v3, 20, v3
	v_lshl_add_u32 v6, v6, 23, v12
	v_or3_b32 v6, v7, v6, v3
.LBB2_12864:
	s_or_b64 exec, exec, s[6:7]
	s_nop 0
	v_mfma_f32_16x16x4f32 a[0:3], v2, v6, a[0:3]
	s_movk_i32 s4, 0x7f
	v_cmp_gt_i16_sdwa s[6:7], v8, s4 src0_sel:BYTE_0 src1_sel:DWORD
	s_mov_b64 s[4:5], 0
                                        ; implicit-def: $sgpr10
	s_and_saveexec_b64 s[8:9], s[6:7]
	s_xor_b64 s[6:7], exec, s[8:9]
	s_cbranch_execz .LBB2_12865
; %bb.48705:
	s_getpc_b64 s[14:15]
.Lpost_getpc27936:
	s_add_u32 s14, s14, (.LBB2_27201-.Lpost_getpc27936)&4294967295
	s_addc_u32 s15, s15, (.LBB2_27201-.Lpost_getpc27936)>>32
	s_setpc_b64 s[14:15]
.LBB2_12865:
	s_or_saveexec_b64 s[6:7], s[6:7]
	v_mov_b32_e32 v2, s10
	s_xor_b64 exec, exec, s[6:7]
	s_cbranch_execz .LBB2_12866
; %bb.48707:
	s_getpc_b64 s[14:15]
.Lpost_getpc27937:
	s_add_u32 s14, s14, (.LBB2_27204-.Lpost_getpc27937)&4294967295
	s_addc_u32 s15, s15, (.LBB2_27204-.Lpost_getpc27937)>>32
	s_setpc_b64 s[14:15]
.LBB2_12866:
	s_or_b64 exec, exec, s[6:7]
	s_and_saveexec_b64 s[6:7], s[4:5]
	s_cbranch_execz .LBB2_12868
.LBB2_12867:
	v_and_b32_e32 v2, 7, v8
	v_ffbh_u32_e32 v6, v2
	v_min_u32_e32 v6, 32, v6
	v_lshrrev_b16_e32 v3, 3, v8
	v_subrev_u32_e32 v7, 28, v6
	v_and_b32_e32 v3, 15, v3
	v_lshlrev_b32_e32 v7, v7, v8
	v_sub_u32_e32 v6, 29, v6
	v_and_b32_e32 v7, 7, v7
	v_cmp_eq_u16_e32 vcc, 0, v3
	v_cndmask_b32_e32 v2, v2, v7, vcc
	v_cndmask_b32_e32 v3, v3, v6, vcc
	v_lshlrev_b32_e32 v6, 24, v8
	v_mov_b32_e32 v7, 0x3b800000
	v_lshlrev_b32_e32 v2, 20, v2
	v_and_b32_e32 v6, 0x80000000, v6
	v_lshl_add_u32 v3, v3, 23, v7
	v_or3_b32 v2, v6, v3, v2
.LBB2_12868:
	s_or_b64 exec, exec, s[6:7]
	s_movk_i32 s4, 0x7f
	v_cmp_gt_i16_sdwa s[6:7], v4, s4 src0_sel:BYTE_0 src1_sel:DWORD
	s_mov_b64 s[4:5], 0
                                        ; implicit-def: $sgpr10
	s_and_saveexec_b64 s[8:9], s[6:7]
	s_xor_b64 s[6:7], exec, s[8:9]
	s_cbranch_execz .LBB2_12869
; %bb.48709:
	s_getpc_b64 s[14:15]
.Lpost_getpc27938:
	s_add_u32 s14, s14, (.LBB2_27205-.Lpost_getpc27938)&4294967295
	s_addc_u32 s15, s15, (.LBB2_27205-.Lpost_getpc27938)>>32
	s_setpc_b64 s[14:15]
.LBB2_12869:
	s_or_saveexec_b64 s[6:7], s[6:7]
	v_mov_b32_e32 v3, s10
	s_xor_b64 exec, exec, s[6:7]
	s_cbranch_execz .LBB2_12870
; %bb.48711:
	s_getpc_b64 s[14:15]
.Lpost_getpc27939:
	s_add_u32 s14, s14, (.LBB2_27208-.Lpost_getpc27939)&4294967295
	s_addc_u32 s15, s15, (.LBB2_27208-.Lpost_getpc27939)>>32
	s_setpc_b64 s[14:15]
.LBB2_12870:
	s_or_b64 exec, exec, s[6:7]
	s_and_saveexec_b64 s[6:7], s[4:5]
	s_cbranch_execz .LBB2_12872
.LBB2_12871:
	v_and_b32_e32 v3, 7, v4
	v_ffbh_u32_e32 v7, v3
	v_min_u32_e32 v7, 32, v7
	v_lshrrev_b16_e32 v6, 3, v4
	v_subrev_u32_e32 v12, 28, v7
	v_and_b32_e32 v6, 15, v6
	v_lshlrev_b32_e32 v12, v12, v4
	v_sub_u32_e32 v7, 29, v7
	v_and_b32_e32 v12, 7, v12
	v_cmp_eq_u16_e32 vcc, 0, v6
	v_cndmask_b32_e32 v3, v3, v12, vcc
	v_cndmask_b32_e32 v6, v6, v7, vcc
	v_lshlrev_b32_e32 v7, 24, v4
	v_mov_b32_e32 v12, 0x3b800000
	v_lshlrev_b32_e32 v3, 20, v3
	v_and_b32_e32 v7, 0x80000000, v7
	v_lshl_add_u32 v6, v6, 23, v12
	v_or3_b32 v3, v7, v6, v3
.LBB2_12872:
	s_or_b64 exec, exec, s[6:7]
	s_nop 0
	v_mfma_f32_16x16x4f32 a[0:3], v2, v3, a[0:3]
	v_lshrrev_b32_e32 v3, 8, v8
	s_movk_i32 s4, 0x7f
	v_cmp_gt_i16_sdwa s[6:7], v3, s4 src0_sel:BYTE_0 src1_sel:DWORD
	s_mov_b64 s[4:5], 0
                                        ; implicit-def: $sgpr10
	s_and_saveexec_b64 s[8:9], s[6:7]
	s_xor_b64 s[6:7], exec, s[8:9]
	s_cbranch_execz .LBB2_12873
; %bb.48713:
	s_getpc_b64 s[14:15]
.Lpost_getpc27940:
	s_add_u32 s14, s14, (.LBB2_27209-.Lpost_getpc27940)&4294967295
	s_addc_u32 s15, s15, (.LBB2_27209-.Lpost_getpc27940)>>32
	s_setpc_b64 s[14:15]
.LBB2_12873:
	s_or_saveexec_b64 s[6:7], s[6:7]
	v_mov_b32_e32 v2, s10
	s_xor_b64 exec, exec, s[6:7]
	s_cbranch_execz .LBB2_12874
; %bb.48715:
	s_getpc_b64 s[14:15]
.Lpost_getpc27941:
	s_add_u32 s14, s14, (.LBB2_27212-.Lpost_getpc27941)&4294967295
	s_addc_u32 s15, s15, (.LBB2_27212-.Lpost_getpc27941)>>32
	s_setpc_b64 s[14:15]
.LBB2_12874:
	s_or_b64 exec, exec, s[6:7]
	s_and_saveexec_b64 s[6:7], s[4:5]
	s_cbranch_execz .LBB2_12876
.LBB2_12875:
	v_bfe_u32 v2, v8, 8, 3
	v_ffbh_u32_e32 v7, v2
	v_min_u32_e32 v7, 32, v7
	v_lshrrev_b16_e32 v6, 3, v3
	v_subrev_u32_e32 v12, 28, v7
	v_and_b32_e32 v6, 15, v6
	v_lshlrev_b32_e32 v3, v12, v3
	v_sub_u32_e32 v7, 29, v7
	v_and_b32_e32 v3, 7, v3
	v_cmp_eq_u16_e32 vcc, 0, v6
	v_cndmask_b32_e32 v2, v2, v3, vcc
	v_cndmask_b32_e32 v3, v6, v7, vcc
	v_lshlrev_b32_e32 v6, 16, v8
	v_mov_b32_e32 v7, 0x3b800000
	v_lshlrev_b32_e32 v2, 20, v2
	v_and_b32_e32 v6, 0x80000000, v6
	v_lshl_add_u32 v3, v3, 23, v7
	v_or3_b32 v2, v6, v3, v2
.LBB2_12876:
	s_or_b64 exec, exec, s[6:7]
	v_lshrrev_b32_e32 v3, 8, v4
	s_movk_i32 s4, 0x7f
	v_cmp_gt_i16_sdwa s[6:7], v3, s4 src0_sel:BYTE_0 src1_sel:DWORD
	s_mov_b64 s[4:5], 0
                                        ; implicit-def: $sgpr10
	s_and_saveexec_b64 s[8:9], s[6:7]
	s_xor_b64 s[6:7], exec, s[8:9]
	s_cbranch_execz .LBB2_12877
; %bb.48717:
	s_getpc_b64 s[14:15]
.Lpost_getpc27942:
	s_add_u32 s14, s14, (.LBB2_27213-.Lpost_getpc27942)&4294967295
	s_addc_u32 s15, s15, (.LBB2_27213-.Lpost_getpc27942)>>32
	s_setpc_b64 s[14:15]
.LBB2_12877:
	s_or_saveexec_b64 s[6:7], s[6:7]
	v_mov_b32_e32 v6, s10
	s_xor_b64 exec, exec, s[6:7]
	s_cbranch_execz .LBB2_12878
; %bb.48719:
	s_getpc_b64 s[14:15]
.Lpost_getpc27943:
	s_add_u32 s14, s14, (.LBB2_27216-.Lpost_getpc27943)&4294967295
	s_addc_u32 s15, s15, (.LBB2_27216-.Lpost_getpc27943)>>32
	s_setpc_b64 s[14:15]
.LBB2_12878:
	s_or_b64 exec, exec, s[6:7]
	s_and_saveexec_b64 s[6:7], s[4:5]
	s_cbranch_execz .LBB2_12880
.LBB2_12879:
	v_bfe_u32 v6, v4, 8, 3
	v_ffbh_u32_e32 v12, v6
	v_min_u32_e32 v12, 32, v12
	v_lshrrev_b16_e32 v7, 3, v3
	v_subrev_u32_e32 v13, 28, v12
	v_and_b32_e32 v7, 15, v7
	v_lshlrev_b32_e32 v3, v13, v3
	v_sub_u32_e32 v12, 29, v12
	v_and_b32_e32 v3, 7, v3
	v_cmp_eq_u16_e32 vcc, 0, v7
	v_cndmask_b32_e32 v3, v6, v3, vcc
	v_cndmask_b32_e32 v6, v7, v12, vcc
	v_lshlrev_b32_e32 v7, 16, v4
	v_mov_b32_e32 v12, 0x3b800000
	v_lshlrev_b32_e32 v3, 20, v3
	v_and_b32_e32 v7, 0x80000000, v7
	v_lshl_add_u32 v6, v6, 23, v12
	v_or3_b32 v6, v7, v6, v3
.LBB2_12880:
	s_or_b64 exec, exec, s[6:7]
	s_nop 0
	v_mfma_f32_16x16x4f32 a[0:3], v2, v6, a[0:3]
	s_movk_i32 s4, 0xff
	v_and_b32_sdwa v3, v8, s4 dst_sel:DWORD dst_unused:UNUSED_PAD src0_sel:WORD_1 src1_sel:DWORD
	s_movk_i32 s4, 0x7f
	v_cmp_lt_i16_e32 vcc, s4, v3
	s_mov_b64 s[4:5], 0
                                        ; implicit-def: $sgpr10
	s_and_saveexec_b64 s[6:7], vcc
	s_xor_b64 s[6:7], exec, s[6:7]
	s_cbranch_execz .LBB2_12881
; %bb.48721:
	s_getpc_b64 s[14:15]
.Lpost_getpc27944:
	s_add_u32 s14, s14, (.LBB2_27217-.Lpost_getpc27944)&4294967295
	s_addc_u32 s15, s15, (.LBB2_27217-.Lpost_getpc27944)>>32
	s_setpc_b64 s[14:15]
.LBB2_12881:
	s_or_saveexec_b64 s[6:7], s[6:7]
	v_mov_b32_e32 v2, s10
	s_xor_b64 exec, exec, s[6:7]
	s_cbranch_execz .LBB2_12882
; %bb.48723:
	s_getpc_b64 s[14:15]
.Lpost_getpc27945:
	s_add_u32 s14, s14, (.LBB2_27220-.Lpost_getpc27945)&4294967295
	s_addc_u32 s15, s15, (.LBB2_27220-.Lpost_getpc27945)>>32
	s_setpc_b64 s[14:15]
.LBB2_12882:
	s_or_b64 exec, exec, s[6:7]
	s_and_saveexec_b64 s[6:7], s[4:5]
	s_cbranch_execz .LBB2_12884
.LBB2_12883:
	v_bfe_u32 v2, v8, 16, 3
	v_ffbh_u32_e32 v7, v2
	v_min_u32_e32 v7, 32, v7
	v_lshrrev_b32_e32 v3, 19, v8
	v_subrev_u32_e32 v12, 28, v7
	v_and_b32_e32 v3, 15, v3
	v_lshlrev_b32_sdwa v12, v12, v8 dst_sel:DWORD dst_unused:UNUSED_PAD src0_sel:DWORD src1_sel:WORD_1
	v_bfe_u32 v6, v8, 19, 4
	v_sub_u32_e32 v7, 29, v7
	v_and_b32_e32 v12, 7, v12
	v_cmp_eq_u16_e32 vcc, 0, v3
	v_cndmask_b32_e32 v2, v2, v12, vcc
	v_cndmask_b32_e32 v3, v6, v7, vcc
	v_lshlrev_b32_e32 v6, 8, v8
	v_mov_b32_e32 v7, 0x3b800000
	v_lshlrev_b32_e32 v2, 20, v2
	v_and_b32_e32 v6, 0x80000000, v6
	v_lshl_add_u32 v3, v3, 23, v7
	v_or3_b32 v2, v6, v3, v2
.LBB2_12884:
	s_or_b64 exec, exec, s[6:7]
	s_movk_i32 s4, 0xff
	v_and_b32_sdwa v3, v4, s4 dst_sel:DWORD dst_unused:UNUSED_PAD src0_sel:WORD_1 src1_sel:DWORD
	s_movk_i32 s4, 0x7f
	v_cmp_lt_i16_e32 vcc, s4, v3
	s_mov_b64 s[4:5], 0
                                        ; implicit-def: $sgpr10
	s_and_saveexec_b64 s[6:7], vcc
	s_xor_b64 s[6:7], exec, s[6:7]
	s_cbranch_execz .LBB2_12885
; %bb.48725:
	s_getpc_b64 s[14:15]
.Lpost_getpc27946:
	s_add_u32 s14, s14, (.LBB2_27221-.Lpost_getpc27946)&4294967295
	s_addc_u32 s15, s15, (.LBB2_27221-.Lpost_getpc27946)>>32
	s_setpc_b64 s[14:15]
.LBB2_12885:
	s_or_saveexec_b64 s[6:7], s[6:7]
	v_mov_b32_e32 v6, s10
	s_xor_b64 exec, exec, s[6:7]
	s_cbranch_execz .LBB2_12886
; %bb.48727:
	s_getpc_b64 s[14:15]
.Lpost_getpc27947:
	s_add_u32 s14, s14, (.LBB2_27224-.Lpost_getpc27947)&4294967295
	s_addc_u32 s15, s15, (.LBB2_27224-.Lpost_getpc27947)>>32
	s_setpc_b64 s[14:15]
.LBB2_12886:
	s_or_b64 exec, exec, s[6:7]
	s_and_saveexec_b64 s[6:7], s[4:5]
	s_cbranch_execz .LBB2_12888
.LBB2_12887:
	v_bfe_u32 v3, v4, 16, 3
	v_ffbh_u32_e32 v12, v3
	v_min_u32_e32 v12, 32, v12
	v_lshrrev_b32_e32 v6, 19, v4
	v_subrev_u32_e32 v13, 28, v12
	v_and_b32_e32 v6, 15, v6
	v_lshlrev_b32_sdwa v13, v13, v4 dst_sel:DWORD dst_unused:UNUSED_PAD src0_sel:DWORD src1_sel:WORD_1
	v_bfe_u32 v7, v4, 19, 4
	v_sub_u32_e32 v12, 29, v12
	v_and_b32_e32 v13, 7, v13
	v_cmp_eq_u16_e32 vcc, 0, v6
	v_cndmask_b32_e32 v3, v3, v13, vcc
	v_cndmask_b32_e32 v6, v7, v12, vcc
	v_lshlrev_b32_e32 v7, 8, v4
	v_mov_b32_e32 v12, 0x3b800000
	v_lshlrev_b32_e32 v3, 20, v3
	v_and_b32_e32 v7, 0x80000000, v7
	v_lshl_add_u32 v6, v6, 23, v12
	v_or3_b32 v6, v7, v6, v3
.LBB2_12888:
	s_or_b64 exec, exec, s[6:7]
	s_nop 0
	v_mfma_f32_16x16x4f32 a[0:3], v2, v6, a[0:3]
	s_movk_i32 s4, 0x7f
	v_cmp_gt_i16_sdwa s[6:7], v8, s4 src0_sel:BYTE_3 src1_sel:DWORD
	s_mov_b64 s[4:5], 0
                                        ; implicit-def: $sgpr10
	s_and_saveexec_b64 s[8:9], s[6:7]
	s_xor_b64 s[6:7], exec, s[8:9]
	s_cbranch_execz .LBB2_12889
; %bb.48729:
	s_getpc_b64 s[14:15]
.Lpost_getpc27948:
	s_add_u32 s14, s14, (.LBB2_27225-.Lpost_getpc27948)&4294967295
	s_addc_u32 s15, s15, (.LBB2_27225-.Lpost_getpc27948)>>32
	s_setpc_b64 s[14:15]
.LBB2_12889:
	s_or_saveexec_b64 s[6:7], s[6:7]
	v_mov_b32_e32 v2, s10
	s_xor_b64 exec, exec, s[6:7]
	s_cbranch_execz .LBB2_12890
; %bb.48731:
	s_getpc_b64 s[14:15]
.Lpost_getpc27949:
	s_add_u32 s14, s14, (.LBB2_27228-.Lpost_getpc27949)&4294967295
	s_addc_u32 s15, s15, (.LBB2_27228-.Lpost_getpc27949)>>32
	s_setpc_b64 s[14:15]
.LBB2_12890:
	s_or_b64 exec, exec, s[6:7]
	s_and_saveexec_b64 s[6:7], s[4:5]
	s_cbranch_execz .LBB2_12892
.LBB2_12891:
	v_bfe_u32 v2, v8, 24, 3
	v_ffbh_u32_e32 v12, v2
	v_min_u32_e32 v12, 32, v12
	v_lshrrev_b32_e32 v6, 27, v8
	v_subrev_u32_e32 v13, 28, v12
	v_and_b32_e32 v3, 0x80000000, v8
	v_and_b32_e32 v6, 15, v6
	v_bfe_u32 v7, v8, 27, 4
	v_lshlrev_b32_sdwa v8, v13, v8 dst_sel:DWORD dst_unused:UNUSED_PAD src0_sel:DWORD src1_sel:BYTE_3
	v_sub_u32_e32 v12, 29, v12
	v_and_b32_e32 v8, 7, v8
	v_cmp_eq_u16_e32 vcc, 0, v6
	v_cndmask_b32_e32 v2, v2, v8, vcc
	v_cndmask_b32_e32 v6, v7, v12, vcc
	v_mov_b32_e32 v7, 0x3b800000
	v_lshlrev_b32_e32 v2, 20, v2
	v_lshl_add_u32 v6, v6, 23, v7
	v_or3_b32 v2, v3, v6, v2
.LBB2_12892:
	s_or_b64 exec, exec, s[6:7]
	s_movk_i32 s4, 0x7f
	v_cmp_gt_i16_sdwa s[6:7], v4, s4 src0_sel:BYTE_3 src1_sel:DWORD
	s_mov_b64 s[4:5], 0
                                        ; implicit-def: $sgpr10
	s_and_saveexec_b64 s[8:9], s[6:7]
	s_xor_b64 s[6:7], exec, s[8:9]
	s_cbranch_execz .LBB2_12893
; %bb.48733:
	s_getpc_b64 s[14:15]
.Lpost_getpc27950:
	s_add_u32 s14, s14, (.LBB2_27229-.Lpost_getpc27950)&4294967295
	s_addc_u32 s15, s15, (.LBB2_27229-.Lpost_getpc27950)>>32
	s_setpc_b64 s[14:15]
.LBB2_12893:
	s_or_saveexec_b64 s[6:7], s[6:7]
	v_mov_b32_e32 v3, s10
	s_xor_b64 exec, exec, s[6:7]
	s_cbranch_execz .LBB2_12894
; %bb.48735:
	s_getpc_b64 s[14:15]
.Lpost_getpc27951:
	s_add_u32 s14, s14, (.LBB2_27232-.Lpost_getpc27951)&4294967295
	s_addc_u32 s15, s15, (.LBB2_27232-.Lpost_getpc27951)>>32
	s_setpc_b64 s[14:15]
.LBB2_12894:
	s_or_b64 exec, exec, s[6:7]
	s_and_saveexec_b64 s[6:7], s[4:5]
	s_cbranch_execz .LBB2_12896
.LBB2_12895:
	v_bfe_u32 v3, v4, 24, 3
	v_ffbh_u32_e32 v12, v3
	v_min_u32_e32 v12, 32, v12
	v_lshrrev_b32_e32 v7, 27, v4
	v_subrev_u32_e32 v13, 28, v12
	v_and_b32_e32 v6, 0x80000000, v4
	v_and_b32_e32 v7, 15, v7
	v_bfe_u32 v8, v4, 27, 4
	v_lshlrev_b32_sdwa v4, v13, v4 dst_sel:DWORD dst_unused:UNUSED_PAD src0_sel:DWORD src1_sel:BYTE_3
	v_sub_u32_e32 v12, 29, v12
	v_and_b32_e32 v4, 7, v4
	v_cmp_eq_u16_e32 vcc, 0, v7
	v_cndmask_b32_e32 v3, v3, v4, vcc
	v_cndmask_b32_e32 v4, v8, v12, vcc
	v_mov_b32_e32 v7, 0x3b800000
	v_lshlrev_b32_e32 v3, 20, v3
	v_lshl_add_u32 v4, v4, 23, v7
	v_or3_b32 v3, v6, v4, v3
.LBB2_12896:
	s_or_b64 exec, exec, s[6:7]
	s_nop 0
	v_mfma_f32_16x16x4f32 a[0:3], v2, v3, a[0:3]
	s_movk_i32 s4, 0x7f
	v_cmp_gt_i16_sdwa s[6:7], v9, s4 src0_sel:BYTE_0 src1_sel:DWORD
	s_mov_b64 s[4:5], 0
                                        ; implicit-def: $sgpr10
	s_and_saveexec_b64 s[8:9], s[6:7]
	s_xor_b64 s[6:7], exec, s[8:9]
	s_cbranch_execz .LBB2_12897
; %bb.48737:
	s_getpc_b64 s[14:15]
.Lpost_getpc27952:
	s_add_u32 s14, s14, (.LBB2_27233-.Lpost_getpc27952)&4294967295
	s_addc_u32 s15, s15, (.LBB2_27233-.Lpost_getpc27952)>>32
	s_setpc_b64 s[14:15]
.LBB2_12897:
	s_or_saveexec_b64 s[6:7], s[6:7]
	v_mov_b32_e32 v2, s10
	s_xor_b64 exec, exec, s[6:7]
	s_cbranch_execz .LBB2_12898
; %bb.48739:
	s_getpc_b64 s[14:15]
.Lpost_getpc27953:
	s_add_u32 s14, s14, (.LBB2_27236-.Lpost_getpc27953)&4294967295
	s_addc_u32 s15, s15, (.LBB2_27236-.Lpost_getpc27953)>>32
	s_setpc_b64 s[14:15]
.LBB2_12898:
	s_or_b64 exec, exec, s[6:7]
	s_and_saveexec_b64 s[6:7], s[4:5]
	s_cbranch_execz .LBB2_12900
.LBB2_12899:
	v_mov_b32_e32 v2, 8
	v_and_b32_e32 v3, 7, v9
	v_lshrrev_b32_sdwa v2, v2, v9 dst_sel:BYTE_1 dst_unused:UNUSED_PAD src0_sel:DWORD src1_sel:DWORD
	v_ffbh_u32_e32 v4, v3
	v_or_b32_sdwa v2, v9, v2 dst_sel:DWORD dst_unused:UNUSED_PAD src0_sel:BYTE_0 src1_sel:DWORD
	v_min_u32_e32 v4, 32, v4
	v_lshrrev_b16_e32 v2, 3, v2
	v_subrev_u32_e32 v6, 28, v4
	v_and_b32_e32 v2, 15, v2
	v_lshlrev_b32_e32 v6, v6, v9
	v_sub_u32_e32 v4, 29, v4
	v_and_b32_e32 v6, 7, v6
	v_cmp_eq_u16_e32 vcc, 0, v2
	v_cndmask_b32_e32 v3, v3, v6, vcc
	v_cndmask_b32_e32 v2, v2, v4, vcc
	v_lshlrev_b32_e32 v4, 24, v9
	v_mov_b32_e32 v6, 0x3b800000
	v_lshlrev_b32_e32 v3, 20, v3
	v_and_b32_e32 v4, 0x80000000, v4
	v_lshl_add_u32 v2, v2, 23, v6
	v_or3_b32 v2, v4, v2, v3
.LBB2_12900:
	s_or_b64 exec, exec, s[6:7]
	s_movk_i32 s4, 0x7f
	v_cmp_gt_i16_sdwa s[6:7], v5, s4 src0_sel:BYTE_0 src1_sel:DWORD
	s_mov_b64 s[4:5], 0
                                        ; implicit-def: $sgpr10
	s_and_saveexec_b64 s[8:9], s[6:7]
	s_xor_b64 s[6:7], exec, s[8:9]
	s_cbranch_execz .LBB2_12901
; %bb.48741:
	s_getpc_b64 s[14:15]
.Lpost_getpc27954:
	s_add_u32 s14, s14, (.LBB2_27237-.Lpost_getpc27954)&4294967295
	s_addc_u32 s15, s15, (.LBB2_27237-.Lpost_getpc27954)>>32
	s_setpc_b64 s[14:15]
.LBB2_12901:
	s_or_saveexec_b64 s[6:7], s[6:7]
	v_mov_b32_e32 v3, s10
	s_xor_b64 exec, exec, s[6:7]
	s_cbranch_execz .LBB2_12902
; %bb.48743:
	s_getpc_b64 s[14:15]
.Lpost_getpc27955:
	s_add_u32 s14, s14, (.LBB2_27240-.Lpost_getpc27955)&4294967295
	s_addc_u32 s15, s15, (.LBB2_27240-.Lpost_getpc27955)>>32
	s_setpc_b64 s[14:15]
.LBB2_12902:
	s_or_b64 exec, exec, s[6:7]
	s_and_saveexec_b64 s[6:7], s[4:5]
	s_cbranch_execz .LBB2_12904
.LBB2_12903:
	v_mov_b32_e32 v3, 8
	v_and_b32_e32 v4, 7, v5
	v_lshrrev_b32_sdwa v3, v3, v5 dst_sel:BYTE_1 dst_unused:UNUSED_PAD src0_sel:DWORD src1_sel:DWORD
	v_ffbh_u32_e32 v6, v4
	v_or_b32_sdwa v3, v5, v3 dst_sel:DWORD dst_unused:UNUSED_PAD src0_sel:BYTE_0 src1_sel:DWORD
	v_min_u32_e32 v6, 32, v6
	v_lshrrev_b16_e32 v3, 3, v3
	v_subrev_u32_e32 v7, 28, v6
	v_and_b32_e32 v3, 15, v3
	v_lshlrev_b32_e32 v7, v7, v5
	v_sub_u32_e32 v6, 29, v6
	v_and_b32_e32 v7, 7, v7
	v_cmp_eq_u16_e32 vcc, 0, v3
	v_cndmask_b32_e32 v4, v4, v7, vcc
	v_cndmask_b32_e32 v3, v3, v6, vcc
	v_lshlrev_b32_e32 v6, 24, v5
	v_mov_b32_e32 v7, 0x3b800000
	v_lshlrev_b32_e32 v4, 20, v4
	v_and_b32_e32 v6, 0x80000000, v6
	v_lshl_add_u32 v3, v3, 23, v7
	v_or3_b32 v3, v6, v3, v4
.LBB2_12904:
	s_or_b64 exec, exec, s[6:7]
	s_nop 0
	v_mfma_f32_16x16x4f32 a[0:3], v2, v3, a[0:3]
	v_lshrrev_b32_e32 v3, 8, v9
	s_movk_i32 s4, 0x7f
	v_cmp_gt_i16_sdwa s[6:7], v3, s4 src0_sel:BYTE_0 src1_sel:DWORD
	s_mov_b64 s[4:5], 0
                                        ; implicit-def: $sgpr10
	s_and_saveexec_b64 s[8:9], s[6:7]
	s_xor_b64 s[6:7], exec, s[8:9]
	s_cbranch_execz .LBB2_12905
; %bb.48745:
	s_getpc_b64 s[14:15]
.Lpost_getpc27956:
	s_add_u32 s14, s14, (.LBB2_27241-.Lpost_getpc27956)&4294967295
	s_addc_u32 s15, s15, (.LBB2_27241-.Lpost_getpc27956)>>32
	s_setpc_b64 s[14:15]
.LBB2_12905:
	s_or_saveexec_b64 s[6:7], s[6:7]
	v_mov_b32_e32 v2, s10
	s_xor_b64 exec, exec, s[6:7]
	s_cbranch_execz .LBB2_12906
; %bb.48747:
	s_getpc_b64 s[14:15]
.Lpost_getpc27957:
	s_add_u32 s14, s14, (.LBB2_27244-.Lpost_getpc27957)&4294967295
	s_addc_u32 s15, s15, (.LBB2_27244-.Lpost_getpc27957)>>32
	s_setpc_b64 s[14:15]
.LBB2_12906:
	s_or_b64 exec, exec, s[6:7]
	s_and_saveexec_b64 s[6:7], s[4:5]
	s_cbranch_execz .LBB2_12908
.LBB2_12907:
	v_bfe_u32 v2, v9, 8, 3
	v_ffbh_u32_e32 v6, v2
	v_min_u32_e32 v6, 32, v6
	v_lshrrev_b16_e32 v4, 3, v3
	v_subrev_u32_e32 v7, 28, v6
	v_and_b32_e32 v4, 15, v4
	v_lshlrev_b32_e32 v3, v7, v3
	v_sub_u32_e32 v6, 29, v6
	v_and_b32_e32 v3, 7, v3
	v_cmp_eq_u16_e32 vcc, 0, v4
	v_cndmask_b32_e32 v2, v2, v3, vcc
	v_cndmask_b32_e32 v3, v4, v6, vcc
	v_lshlrev_b32_e32 v4, 16, v9
	v_mov_b32_e32 v6, 0x3b800000
	v_lshlrev_b32_e32 v2, 20, v2
	v_and_b32_e32 v4, 0x80000000, v4
	v_lshl_add_u32 v3, v3, 23, v6
	v_or3_b32 v2, v4, v3, v2
.LBB2_12908:
	s_or_b64 exec, exec, s[6:7]
	v_lshrrev_b32_e32 v3, 8, v5
	s_movk_i32 s4, 0x7f
	v_cmp_gt_i16_sdwa s[6:7], v3, s4 src0_sel:BYTE_0 src1_sel:DWORD
	s_mov_b64 s[4:5], 0
                                        ; implicit-def: $sgpr10
	s_and_saveexec_b64 s[8:9], s[6:7]
	s_xor_b64 s[6:7], exec, s[8:9]
	s_cbranch_execz .LBB2_12909
; %bb.48749:
	s_getpc_b64 s[14:15]
.Lpost_getpc27958:
	s_add_u32 s14, s14, (.LBB2_27245-.Lpost_getpc27958)&4294967295
	s_addc_u32 s15, s15, (.LBB2_27245-.Lpost_getpc27958)>>32
	s_setpc_b64 s[14:15]
.LBB2_12909:
	s_or_saveexec_b64 s[6:7], s[6:7]
	v_mov_b32_e32 v4, s10
	s_xor_b64 exec, exec, s[6:7]
	s_cbranch_execz .LBB2_12910
; %bb.48751:
	s_getpc_b64 s[14:15]
.Lpost_getpc27959:
	s_add_u32 s14, s14, (.LBB2_27248-.Lpost_getpc27959)&4294967295
	s_addc_u32 s15, s15, (.LBB2_27248-.Lpost_getpc27959)>>32
	s_setpc_b64 s[14:15]
.LBB2_12910:
	s_or_b64 exec, exec, s[6:7]
	s_and_saveexec_b64 s[6:7], s[4:5]
	s_cbranch_execz .LBB2_12912
.LBB2_12911:
	v_bfe_u32 v4, v5, 8, 3
	v_ffbh_u32_e32 v7, v4
	v_min_u32_e32 v7, 32, v7
	v_lshrrev_b16_e32 v6, 3, v3
	v_subrev_u32_e32 v8, 28, v7
	v_and_b32_e32 v6, 15, v6
	v_lshlrev_b32_e32 v3, v8, v3
	v_sub_u32_e32 v7, 29, v7
	v_and_b32_e32 v3, 7, v3
	v_cmp_eq_u16_e32 vcc, 0, v6
	v_cndmask_b32_e32 v3, v4, v3, vcc
	v_cndmask_b32_e32 v4, v6, v7, vcc
	v_lshlrev_b32_e32 v6, 16, v5
	v_mov_b32_e32 v7, 0x3b800000
	v_lshlrev_b32_e32 v3, 20, v3
	v_and_b32_e32 v6, 0x80000000, v6
	v_lshl_add_u32 v4, v4, 23, v7
	v_or3_b32 v4, v6, v4, v3
.LBB2_12912:
	s_or_b64 exec, exec, s[6:7]
	s_nop 0
	v_mfma_f32_16x16x4f32 a[0:3], v2, v4, a[0:3]
	s_movk_i32 s4, 0xff
	v_and_b32_sdwa v3, v9, s4 dst_sel:DWORD dst_unused:UNUSED_PAD src0_sel:WORD_1 src1_sel:DWORD
	s_movk_i32 s4, 0x7f
	v_cmp_lt_i16_e32 vcc, s4, v3
	s_mov_b64 s[4:5], 0
                                        ; implicit-def: $sgpr10
	s_and_saveexec_b64 s[6:7], vcc
	s_xor_b64 s[6:7], exec, s[6:7]
	s_cbranch_execz .LBB2_12913
; %bb.48753:
	s_getpc_b64 s[14:15]
.Lpost_getpc27960:
	s_add_u32 s14, s14, (.LBB2_27249-.Lpost_getpc27960)&4294967295
	s_addc_u32 s15, s15, (.LBB2_27249-.Lpost_getpc27960)>>32
	s_setpc_b64 s[14:15]
.LBB2_12913:
	s_or_saveexec_b64 s[6:7], s[6:7]
	v_mov_b32_e32 v2, s10
	s_xor_b64 exec, exec, s[6:7]
	s_cbranch_execz .LBB2_12914
; %bb.48755:
	s_getpc_b64 s[14:15]
.Lpost_getpc27961:
	s_add_u32 s14, s14, (.LBB2_27252-.Lpost_getpc27961)&4294967295
	s_addc_u32 s15, s15, (.LBB2_27252-.Lpost_getpc27961)>>32
	s_setpc_b64 s[14:15]
.LBB2_12914:
	s_or_b64 exec, exec, s[6:7]
	s_and_saveexec_b64 s[6:7], s[4:5]
	s_cbranch_execz .LBB2_12916
.LBB2_12915:
	v_bfe_u32 v2, v9, 16, 3
	v_ffbh_u32_e32 v6, v2
	v_min_u32_e32 v6, 32, v6
	v_lshrrev_b32_e32 v3, 19, v9
	v_subrev_u32_e32 v7, 28, v6
	v_and_b32_e32 v3, 15, v3
	v_lshlrev_b32_sdwa v7, v7, v9 dst_sel:DWORD dst_unused:UNUSED_PAD src0_sel:DWORD src1_sel:WORD_1
	v_bfe_u32 v4, v9, 19, 4
	v_sub_u32_e32 v6, 29, v6
	v_and_b32_e32 v7, 7, v7
	v_cmp_eq_u16_e32 vcc, 0, v3
	v_cndmask_b32_e32 v2, v2, v7, vcc
	v_cndmask_b32_e32 v3, v4, v6, vcc
	v_lshlrev_b32_e32 v4, 8, v9
	v_mov_b32_e32 v6, 0x3b800000
	v_lshlrev_b32_e32 v2, 20, v2
	v_and_b32_e32 v4, 0x80000000, v4
	v_lshl_add_u32 v3, v3, 23, v6
	v_or3_b32 v2, v4, v3, v2
.LBB2_12916:
	s_or_b64 exec, exec, s[6:7]
	s_movk_i32 s4, 0xff
	v_and_b32_sdwa v3, v5, s4 dst_sel:DWORD dst_unused:UNUSED_PAD src0_sel:WORD_1 src1_sel:DWORD
	s_movk_i32 s4, 0x7f
	v_cmp_lt_i16_e32 vcc, s4, v3
	s_mov_b64 s[4:5], 0
                                        ; implicit-def: $sgpr10
	s_and_saveexec_b64 s[6:7], vcc
	s_xor_b64 s[6:7], exec, s[6:7]
	s_cbranch_execz .LBB2_12917
; %bb.48757:
	s_getpc_b64 s[14:15]
.Lpost_getpc27962:
	s_add_u32 s14, s14, (.LBB2_27253-.Lpost_getpc27962)&4294967295
	s_addc_u32 s15, s15, (.LBB2_27253-.Lpost_getpc27962)>>32
	s_setpc_b64 s[14:15]
.LBB2_12917:
	s_or_saveexec_b64 s[6:7], s[6:7]
	v_mov_b32_e32 v4, s10
	s_xor_b64 exec, exec, s[6:7]
	s_cbranch_execz .LBB2_12918
; %bb.48759:
	s_getpc_b64 s[14:15]
.Lpost_getpc27963:
	s_add_u32 s14, s14, (.LBB2_27256-.Lpost_getpc27963)&4294967295
	s_addc_u32 s15, s15, (.LBB2_27256-.Lpost_getpc27963)>>32
	s_setpc_b64 s[14:15]
.LBB2_12918:
	s_or_b64 exec, exec, s[6:7]
	s_and_saveexec_b64 s[6:7], s[4:5]
	s_cbranch_execz .LBB2_12920
.LBB2_12919:
	v_bfe_u32 v3, v5, 16, 3
	v_ffbh_u32_e32 v7, v3
	v_min_u32_e32 v7, 32, v7
	v_lshrrev_b32_e32 v4, 19, v5
	v_subrev_u32_e32 v8, 28, v7
	v_and_b32_e32 v4, 15, v4
	v_lshlrev_b32_sdwa v8, v8, v5 dst_sel:DWORD dst_unused:UNUSED_PAD src0_sel:DWORD src1_sel:WORD_1
	v_bfe_u32 v6, v5, 19, 4
	v_sub_u32_e32 v7, 29, v7
	v_and_b32_e32 v8, 7, v8
	v_cmp_eq_u16_e32 vcc, 0, v4
	v_cndmask_b32_e32 v3, v3, v8, vcc
	v_cndmask_b32_e32 v4, v6, v7, vcc
	v_lshlrev_b32_e32 v6, 8, v5
	v_mov_b32_e32 v7, 0x3b800000
	v_lshlrev_b32_e32 v3, 20, v3
	v_and_b32_e32 v6, 0x80000000, v6
	v_lshl_add_u32 v4, v4, 23, v7
	v_or3_b32 v4, v6, v4, v3
.LBB2_12920:
	s_or_b64 exec, exec, s[6:7]
	s_nop 0
	v_mfma_f32_16x16x4f32 a[0:3], v2, v4, a[0:3]
	s_movk_i32 s4, 0x7f
	v_cmp_gt_i16_sdwa s[6:7], v9, s4 src0_sel:BYTE_3 src1_sel:DWORD
	s_mov_b64 s[4:5], 0
                                        ; implicit-def: $sgpr10
	s_and_saveexec_b64 s[8:9], s[6:7]
	s_xor_b64 s[6:7], exec, s[8:9]
	s_cbranch_execz .LBB2_12921
; %bb.48761:
	s_getpc_b64 s[14:15]
.Lpost_getpc27964:
	s_add_u32 s14, s14, (.LBB2_27257-.Lpost_getpc27964)&4294967295
	s_addc_u32 s15, s15, (.LBB2_27257-.Lpost_getpc27964)>>32
	s_setpc_b64 s[14:15]
.LBB2_12921:
	s_or_saveexec_b64 s[6:7], s[6:7]
	v_mov_b32_e32 v2, s10
	s_xor_b64 exec, exec, s[6:7]
	s_cbranch_execz .LBB2_12922
; %bb.48763:
	s_getpc_b64 s[14:15]
.Lpost_getpc27965:
	s_add_u32 s14, s14, (.LBB2_27260-.Lpost_getpc27965)&4294967295
	s_addc_u32 s15, s15, (.LBB2_27260-.Lpost_getpc27965)>>32
	s_setpc_b64 s[14:15]
.LBB2_12922:
	s_or_b64 exec, exec, s[6:7]
	s_and_saveexec_b64 s[6:7], s[4:5]
	s_cbranch_execz .LBB2_12924
.LBB2_12923:
	v_bfe_u32 v2, v9, 24, 3
	v_ffbh_u32_e32 v7, v2
	v_min_u32_e32 v7, 32, v7
	v_lshrrev_b32_e32 v4, 27, v9
	v_subrev_u32_e32 v8, 28, v7
	v_and_b32_e32 v4, 15, v4
	v_lshlrev_b32_sdwa v8, v8, v9 dst_sel:DWORD dst_unused:UNUSED_PAD src0_sel:DWORD src1_sel:BYTE_3
	v_bfe_u32 v6, v9, 27, 4
	v_sub_u32_e32 v7, 29, v7
	v_and_b32_e32 v8, 7, v8
	v_cmp_eq_u16_e32 vcc, 0, v4
	v_cndmask_b32_e32 v2, v2, v8, vcc
	v_cndmask_b32_e32 v4, v6, v7, vcc
	v_mov_b32_e32 v6, 0x3b800000
	v_and_b32_e32 v3, 0x80000000, v9
	v_lshlrev_b32_e32 v2, 20, v2
	v_lshl_add_u32 v4, v4, 23, v6
	v_or3_b32 v2, v3, v4, v2
.LBB2_12924:
	s_or_b64 exec, exec, s[6:7]
	s_movk_i32 s4, 0x7f
	v_cmp_gt_i16_sdwa s[6:7], v5, s4 src0_sel:BYTE_3 src1_sel:DWORD
	s_mov_b64 s[4:5], 0
                                        ; implicit-def: $sgpr10
	s_and_saveexec_b64 s[8:9], s[6:7]
	s_xor_b64 s[6:7], exec, s[8:9]
	s_cbranch_execz .LBB2_12925
; %bb.48765:
	s_getpc_b64 s[14:15]
.Lpost_getpc27966:
	s_add_u32 s14, s14, (.LBB2_27261-.Lpost_getpc27966)&4294967295
	s_addc_u32 s15, s15, (.LBB2_27261-.Lpost_getpc27966)>>32
	s_setpc_b64 s[14:15]
.LBB2_12925:
	s_or_saveexec_b64 s[6:7], s[6:7]
	v_mov_b32_e32 v3, s10
	s_xor_b64 exec, exec, s[6:7]
	s_cbranch_execz .LBB2_12926
; %bb.48767:
	s_getpc_b64 s[14:15]
.Lpost_getpc27967:
	s_add_u32 s14, s14, (.LBB2_27264-.Lpost_getpc27967)&4294967295
	s_addc_u32 s15, s15, (.LBB2_27264-.Lpost_getpc27967)>>32
	s_setpc_b64 s[14:15]
.LBB2_12926:
	s_or_b64 exec, exec, s[6:7]
	s_and_saveexec_b64 s[6:7], s[4:5]
	s_cbranch_execz .LBB2_12928
.LBB2_12927:
	v_bfe_u32 v3, v5, 24, 3
	v_ffbh_u32_e32 v8, v3
	v_min_u32_e32 v8, 32, v8
	v_lshrrev_b32_e32 v6, 27, v5
	v_subrev_u32_e32 v9, 28, v8
	v_and_b32_e32 v4, 0x80000000, v5
	v_and_b32_e32 v6, 15, v6
	v_bfe_u32 v7, v5, 27, 4
	v_lshlrev_b32_sdwa v5, v9, v5 dst_sel:DWORD dst_unused:UNUSED_PAD src0_sel:DWORD src1_sel:BYTE_3
	v_sub_u32_e32 v8, 29, v8
	v_and_b32_e32 v5, 7, v5
	v_cmp_eq_u16_e32 vcc, 0, v6
	v_cndmask_b32_e32 v3, v3, v5, vcc
	v_cndmask_b32_e32 v5, v7, v8, vcc
	v_mov_b32_e32 v6, 0x3b800000
	v_lshlrev_b32_e32 v3, 20, v3
	v_lshl_add_u32 v5, v5, 23, v6
	v_or3_b32 v3, v4, v5, v3
.LBB2_12928:
	s_or_b64 exec, exec, s[6:7]
	s_nop 0
	v_mfma_f32_16x16x4f32 a[0:3], v2, v3, a[0:3]
	s_movk_i32 s4, 0x7f
                                        ; implicit-def: $sgpr10
	s_nop 7
	s_nop 1
	flat_store_dwordx4 v[10:11], a[0:3] offset:704
	flat_load_dwordx4 v[12:15], v[0:1]
	s_nop 0
	flat_load_dwordx2 v[10:11], v[0:1] offset:16
	s_waitcnt vmcnt(0) lgkmcnt(0)
	flat_load_dwordx4 v[6:9], v[12:13] offset:192
	flat_load_dwordx4 v[2:5], v[14:15] offset:208
	s_waitcnt vmcnt(0) lgkmcnt(0)
	v_cmp_gt_i16_sdwa s[6:7], v6, s4 src0_sel:BYTE_0 src1_sel:DWORD
	s_mov_b64 s[4:5], 0
	s_and_saveexec_b64 s[8:9], s[6:7]
	s_xor_b64 s[6:7], exec, s[8:9]
	s_cbranch_execz .LBB2_12929
; %bb.48769:
	s_getpc_b64 s[14:15]
.Lpost_getpc27968:
	s_add_u32 s14, s14, (.LBB2_27265-.Lpost_getpc27968)&4294967295
	s_addc_u32 s15, s15, (.LBB2_27265-.Lpost_getpc27968)>>32
	s_setpc_b64 s[14:15]
.LBB2_12929:
	s_or_saveexec_b64 s[6:7], s[6:7]
	v_mov_b32_e32 v12, s10
	s_xor_b64 exec, exec, s[6:7]
	s_cbranch_execz .LBB2_12930
; %bb.48771:
	s_getpc_b64 s[14:15]
.Lpost_getpc27969:
	s_add_u32 s14, s14, (.LBB2_27268-.Lpost_getpc27969)&4294967295
	s_addc_u32 s15, s15, (.LBB2_27268-.Lpost_getpc27969)>>32
	s_setpc_b64 s[14:15]
.LBB2_12930:
	s_or_b64 exec, exec, s[6:7]
	s_and_saveexec_b64 s[6:7], s[4:5]
	s_cbranch_execz .LBB2_12932
.LBB2_12931:
	v_and_b32_e32 v12, 7, v6
	v_ffbh_u32_e32 v14, v12
	v_min_u32_e32 v14, 32, v14
	v_lshrrev_b16_e32 v13, 3, v6
	v_subrev_u32_e32 v15, 28, v14
	v_and_b32_e32 v13, 15, v13
	v_lshlrev_b32_e32 v15, v15, v6
	v_sub_u32_e32 v14, 29, v14
	v_and_b32_e32 v15, 7, v15
	v_cmp_eq_u16_e32 vcc, 0, v13
	v_cndmask_b32_e32 v12, v12, v15, vcc
	v_cndmask_b32_e32 v13, v13, v14, vcc
	v_lshlrev_b32_e32 v14, 24, v6
	v_mov_b32_e32 v15, 0x3b800000
	v_lshlrev_b32_e32 v12, 20, v12
	v_and_b32_e32 v14, 0x80000000, v14
	v_lshl_add_u32 v13, v13, 23, v15
	v_or3_b32 v12, v14, v13, v12
.LBB2_12932:
	s_or_b64 exec, exec, s[6:7]
	s_movk_i32 s4, 0x7f
	v_cmp_gt_i16_sdwa s[6:7], v2, s4 src0_sel:BYTE_0 src1_sel:DWORD
	s_mov_b64 s[4:5], 0
                                        ; implicit-def: $sgpr10
	s_and_saveexec_b64 s[8:9], s[6:7]
	s_xor_b64 s[6:7], exec, s[8:9]
	s_cbranch_execz .LBB2_12933
; %bb.48773:
	s_getpc_b64 s[14:15]
.Lpost_getpc27970:
	s_add_u32 s14, s14, (.LBB2_27269-.Lpost_getpc27970)&4294967295
	s_addc_u32 s15, s15, (.LBB2_27269-.Lpost_getpc27970)>>32
	s_setpc_b64 s[14:15]
.LBB2_12933:
	s_or_saveexec_b64 s[6:7], s[6:7]
	v_mov_b32_e32 v13, s10
	s_xor_b64 exec, exec, s[6:7]
	s_cbranch_execz .LBB2_12934
; %bb.48775:
	s_getpc_b64 s[14:15]
.Lpost_getpc27971:
	s_add_u32 s14, s14, (.LBB2_27272-.Lpost_getpc27971)&4294967295
	s_addc_u32 s15, s15, (.LBB2_27272-.Lpost_getpc27971)>>32
	s_setpc_b64 s[14:15]
.LBB2_12934:
	s_or_b64 exec, exec, s[6:7]
	s_and_saveexec_b64 s[6:7], s[4:5]
	s_cbranch_execz .LBB2_12936
.LBB2_12935:
	v_and_b32_e32 v13, 7, v2
	v_ffbh_u32_e32 v15, v13
	v_min_u32_e32 v15, 32, v15
	v_lshrrev_b16_e32 v14, 3, v2
	v_subrev_u32_e32 v16, 28, v15
	v_and_b32_e32 v14, 15, v14
	v_lshlrev_b32_e32 v16, v16, v2
	v_sub_u32_e32 v15, 29, v15
	v_and_b32_e32 v16, 7, v16
	v_cmp_eq_u16_e32 vcc, 0, v14
	v_cndmask_b32_e32 v13, v13, v16, vcc
	v_cndmask_b32_e32 v14, v14, v15, vcc
	v_lshlrev_b32_e32 v15, 24, v2
	v_mov_b32_e32 v16, 0x3b800000
	v_lshlrev_b32_e32 v13, 20, v13
	v_and_b32_e32 v15, 0x80000000, v15
	v_lshl_add_u32 v14, v14, 23, v16
	v_or3_b32 v13, v15, v14, v13
.LBB2_12936:
	s_or_b64 exec, exec, s[6:7]
	flat_load_dwordx4 a[0:3], v[10:11] offset:720
	s_movk_i32 s4, 0x7f
                                        ; implicit-def: $sgpr10
	s_waitcnt vmcnt(0) lgkmcnt(0)
	v_mfma_f32_16x16x4f32 a[0:3], v12, v13, a[0:3]
	v_lshrrev_b32_e32 v13, 8, v6
	v_cmp_gt_i16_sdwa s[6:7], v13, s4 src0_sel:BYTE_0 src1_sel:DWORD
	s_mov_b64 s[4:5], 0
	s_and_saveexec_b64 s[8:9], s[6:7]
	s_xor_b64 s[6:7], exec, s[8:9]
	s_cbranch_execz .LBB2_12937
; %bb.48777:
	s_getpc_b64 s[14:15]
.Lpost_getpc27972:
	s_add_u32 s14, s14, (.LBB2_27273-.Lpost_getpc27972)&4294967295
	s_addc_u32 s15, s15, (.LBB2_27273-.Lpost_getpc27972)>>32
	s_setpc_b64 s[14:15]
.LBB2_12937:
	s_or_saveexec_b64 s[6:7], s[6:7]
	v_mov_b32_e32 v12, s10
	s_xor_b64 exec, exec, s[6:7]
	s_cbranch_execz .LBB2_12938
; %bb.48779:
	s_getpc_b64 s[14:15]
.Lpost_getpc27973:
	s_add_u32 s14, s14, (.LBB2_27276-.Lpost_getpc27973)&4294967295
	s_addc_u32 s15, s15, (.LBB2_27276-.Lpost_getpc27973)>>32
	s_setpc_b64 s[14:15]
.LBB2_12938:
	s_or_b64 exec, exec, s[6:7]
	s_and_saveexec_b64 s[6:7], s[4:5]
	s_cbranch_execz .LBB2_12940
.LBB2_12939:
	v_bfe_u32 v12, v6, 8, 3
	v_ffbh_u32_e32 v15, v12
	v_min_u32_e32 v15, 32, v15
	v_lshrrev_b16_e32 v14, 3, v13
	v_subrev_u32_e32 v16, 28, v15
	v_and_b32_e32 v14, 15, v14
	v_lshlrev_b32_e32 v13, v16, v13
	v_sub_u32_e32 v15, 29, v15
	v_and_b32_e32 v13, 7, v13
	v_cmp_eq_u16_e32 vcc, 0, v14
	v_cndmask_b32_e32 v12, v12, v13, vcc
	v_cndmask_b32_e32 v13, v14, v15, vcc
	v_lshlrev_b32_e32 v14, 16, v6
	v_mov_b32_e32 v15, 0x3b800000
	v_lshlrev_b32_e32 v12, 20, v12
	v_and_b32_e32 v14, 0x80000000, v14
	v_lshl_add_u32 v13, v13, 23, v15
	v_or3_b32 v12, v14, v13, v12
.LBB2_12940:
	s_or_b64 exec, exec, s[6:7]
	v_lshrrev_b32_e32 v13, 8, v2
	s_movk_i32 s4, 0x7f
	v_cmp_gt_i16_sdwa s[6:7], v13, s4 src0_sel:BYTE_0 src1_sel:DWORD
	s_mov_b64 s[4:5], 0
                                        ; implicit-def: $sgpr10
	s_and_saveexec_b64 s[8:9], s[6:7]
	s_xor_b64 s[6:7], exec, s[8:9]
	s_cbranch_execz .LBB2_12941
; %bb.48781:
	s_getpc_b64 s[14:15]
.Lpost_getpc27974:
	s_add_u32 s14, s14, (.LBB2_27277-.Lpost_getpc27974)&4294967295
	s_addc_u32 s15, s15, (.LBB2_27277-.Lpost_getpc27974)>>32
	s_setpc_b64 s[14:15]
.LBB2_12941:
	s_or_saveexec_b64 s[6:7], s[6:7]
	v_mov_b32_e32 v14, s10
	s_xor_b64 exec, exec, s[6:7]
	s_cbranch_execz .LBB2_12942
; %bb.48783:
	s_getpc_b64 s[14:15]
.Lpost_getpc27975:
	s_add_u32 s14, s14, (.LBB2_27280-.Lpost_getpc27975)&4294967295
	s_addc_u32 s15, s15, (.LBB2_27280-.Lpost_getpc27975)>>32
	s_setpc_b64 s[14:15]
.LBB2_12942:
	s_or_b64 exec, exec, s[6:7]
	s_and_saveexec_b64 s[6:7], s[4:5]
	s_cbranch_execz .LBB2_12944
.LBB2_12943:
	v_bfe_u32 v14, v2, 8, 3
	v_ffbh_u32_e32 v16, v14
	v_min_u32_e32 v16, 32, v16
	v_lshrrev_b16_e32 v15, 3, v13
	v_subrev_u32_e32 v17, 28, v16
	v_and_b32_e32 v15, 15, v15
	v_lshlrev_b32_e32 v13, v17, v13
	v_sub_u32_e32 v16, 29, v16
	v_and_b32_e32 v13, 7, v13
	v_cmp_eq_u16_e32 vcc, 0, v15
	v_cndmask_b32_e32 v13, v14, v13, vcc
	v_cndmask_b32_e32 v14, v15, v16, vcc
	v_lshlrev_b32_e32 v15, 16, v2
	v_mov_b32_e32 v16, 0x3b800000
	v_lshlrev_b32_e32 v13, 20, v13
	v_and_b32_e32 v15, 0x80000000, v15
	v_lshl_add_u32 v14, v14, 23, v16
	v_or3_b32 v14, v15, v14, v13
.LBB2_12944:
	s_or_b64 exec, exec, s[6:7]
	s_nop 0
	v_mfma_f32_16x16x4f32 a[0:3], v12, v14, a[0:3]
	s_movk_i32 s4, 0xff
	v_and_b32_sdwa v13, v6, s4 dst_sel:DWORD dst_unused:UNUSED_PAD src0_sel:WORD_1 src1_sel:DWORD
	s_movk_i32 s4, 0x7f
	v_cmp_lt_i16_e32 vcc, s4, v13
	s_mov_b64 s[4:5], 0
                                        ; implicit-def: $sgpr10
	s_and_saveexec_b64 s[6:7], vcc
	s_xor_b64 s[6:7], exec, s[6:7]
	s_cbranch_execz .LBB2_12945
; %bb.48785:
	s_getpc_b64 s[14:15]
.Lpost_getpc27976:
	s_add_u32 s14, s14, (.LBB2_27281-.Lpost_getpc27976)&4294967295
	s_addc_u32 s15, s15, (.LBB2_27281-.Lpost_getpc27976)>>32
	s_setpc_b64 s[14:15]
.LBB2_12945:
	s_or_saveexec_b64 s[6:7], s[6:7]
	v_mov_b32_e32 v12, s10
	s_xor_b64 exec, exec, s[6:7]
	s_cbranch_execz .LBB2_12946
; %bb.48787:
	s_getpc_b64 s[14:15]
.Lpost_getpc27977:
	s_add_u32 s14, s14, (.LBB2_27284-.Lpost_getpc27977)&4294967295
	s_addc_u32 s15, s15, (.LBB2_27284-.Lpost_getpc27977)>>32
	s_setpc_b64 s[14:15]
.LBB2_12946:
	s_or_b64 exec, exec, s[6:7]
	s_and_saveexec_b64 s[6:7], s[4:5]
	s_cbranch_execz .LBB2_12948
.LBB2_12947:
	v_bfe_u32 v12, v6, 16, 3
	v_ffbh_u32_e32 v15, v12
	v_min_u32_e32 v15, 32, v15
	v_lshrrev_b32_e32 v13, 19, v6
	v_subrev_u32_e32 v16, 28, v15
	v_and_b32_e32 v13, 15, v13
	v_lshlrev_b32_sdwa v16, v16, v6 dst_sel:DWORD dst_unused:UNUSED_PAD src0_sel:DWORD src1_sel:WORD_1
	v_bfe_u32 v14, v6, 19, 4
	v_sub_u32_e32 v15, 29, v15
	v_and_b32_e32 v16, 7, v16
	v_cmp_eq_u16_e32 vcc, 0, v13
	v_cndmask_b32_e32 v12, v12, v16, vcc
	v_cndmask_b32_e32 v13, v14, v15, vcc
	v_lshlrev_b32_e32 v14, 8, v6
	v_mov_b32_e32 v15, 0x3b800000
	v_lshlrev_b32_e32 v12, 20, v12
	v_and_b32_e32 v14, 0x80000000, v14
	v_lshl_add_u32 v13, v13, 23, v15
	v_or3_b32 v12, v14, v13, v12
.LBB2_12948:
	s_or_b64 exec, exec, s[6:7]
	s_movk_i32 s4, 0xff
	v_and_b32_sdwa v13, v2, s4 dst_sel:DWORD dst_unused:UNUSED_PAD src0_sel:WORD_1 src1_sel:DWORD
	s_movk_i32 s4, 0x7f
	v_cmp_lt_i16_e32 vcc, s4, v13
	s_mov_b64 s[4:5], 0
                                        ; implicit-def: $sgpr10
	s_and_saveexec_b64 s[6:7], vcc
	s_xor_b64 s[6:7], exec, s[6:7]
	s_cbranch_execz .LBB2_12949
; %bb.48789:
	s_getpc_b64 s[14:15]
.Lpost_getpc27978:
	s_add_u32 s14, s14, (.LBB2_27285-.Lpost_getpc27978)&4294967295
	s_addc_u32 s15, s15, (.LBB2_27285-.Lpost_getpc27978)>>32
	s_setpc_b64 s[14:15]
.LBB2_12949:
	s_or_saveexec_b64 s[6:7], s[6:7]
	v_mov_b32_e32 v14, s10
	s_xor_b64 exec, exec, s[6:7]
	s_cbranch_execz .LBB2_12950
; %bb.48791:
	s_getpc_b64 s[14:15]
.Lpost_getpc27979:
	s_add_u32 s14, s14, (.LBB2_27288-.Lpost_getpc27979)&4294967295
	s_addc_u32 s15, s15, (.LBB2_27288-.Lpost_getpc27979)>>32
	s_setpc_b64 s[14:15]
.LBB2_12950:
	s_or_b64 exec, exec, s[6:7]
	s_and_saveexec_b64 s[6:7], s[4:5]
	s_cbranch_execz .LBB2_12952
.LBB2_12951:
	v_bfe_u32 v13, v2, 16, 3
	v_ffbh_u32_e32 v16, v13
	v_min_u32_e32 v16, 32, v16
	v_lshrrev_b32_e32 v14, 19, v2
	v_subrev_u32_e32 v17, 28, v16
	v_and_b32_e32 v14, 15, v14
	v_lshlrev_b32_sdwa v17, v17, v2 dst_sel:DWORD dst_unused:UNUSED_PAD src0_sel:DWORD src1_sel:WORD_1
	v_bfe_u32 v15, v2, 19, 4
	v_sub_u32_e32 v16, 29, v16
	v_and_b32_e32 v17, 7, v17
	v_cmp_eq_u16_e32 vcc, 0, v14
	v_cndmask_b32_e32 v13, v13, v17, vcc
	v_cndmask_b32_e32 v14, v15, v16, vcc
	v_lshlrev_b32_e32 v15, 8, v2
	v_mov_b32_e32 v16, 0x3b800000
	v_lshlrev_b32_e32 v13, 20, v13
	v_and_b32_e32 v15, 0x80000000, v15
	v_lshl_add_u32 v14, v14, 23, v16
	v_or3_b32 v14, v15, v14, v13
.LBB2_12952:
	s_or_b64 exec, exec, s[6:7]
	s_nop 0
	v_mfma_f32_16x16x4f32 a[0:3], v12, v14, a[0:3]
	s_movk_i32 s4, 0x7f
	v_cmp_gt_i16_sdwa s[6:7], v6, s4 src0_sel:BYTE_3 src1_sel:DWORD
	s_mov_b64 s[4:5], 0
                                        ; implicit-def: $sgpr10
	s_and_saveexec_b64 s[8:9], s[6:7]
	s_xor_b64 s[6:7], exec, s[8:9]
	s_cbranch_execz .LBB2_12953
; %bb.48793:
	s_getpc_b64 s[14:15]
.Lpost_getpc27980:
	s_add_u32 s14, s14, (.LBB2_27289-.Lpost_getpc27980)&4294967295
	s_addc_u32 s15, s15, (.LBB2_27289-.Lpost_getpc27980)>>32
	s_setpc_b64 s[14:15]
.LBB2_12953:
	s_or_saveexec_b64 s[6:7], s[6:7]
	v_mov_b32_e32 v12, s10
	s_xor_b64 exec, exec, s[6:7]
	s_cbranch_execz .LBB2_12954
; %bb.48795:
	s_getpc_b64 s[14:15]
.Lpost_getpc27981:
	s_add_u32 s14, s14, (.LBB2_27292-.Lpost_getpc27981)&4294967295
	s_addc_u32 s15, s15, (.LBB2_27292-.Lpost_getpc27981)>>32
	s_setpc_b64 s[14:15]
.LBB2_12954:
	s_or_b64 exec, exec, s[6:7]
	s_and_saveexec_b64 s[6:7], s[4:5]
	s_cbranch_execz .LBB2_12956
.LBB2_12955:
	v_bfe_u32 v12, v6, 24, 3
	v_ffbh_u32_e32 v16, v12
	v_min_u32_e32 v16, 32, v16
	v_lshrrev_b32_e32 v14, 27, v6
	v_subrev_u32_e32 v17, 28, v16
	v_and_b32_e32 v13, 0x80000000, v6
	v_and_b32_e32 v14, 15, v14
	v_bfe_u32 v15, v6, 27, 4
	v_lshlrev_b32_sdwa v6, v17, v6 dst_sel:DWORD dst_unused:UNUSED_PAD src0_sel:DWORD src1_sel:BYTE_3
	v_sub_u32_e32 v16, 29, v16
	v_and_b32_e32 v6, 7, v6
	v_cmp_eq_u16_e32 vcc, 0, v14
	v_cndmask_b32_e32 v6, v12, v6, vcc
	v_cndmask_b32_e32 v12, v15, v16, vcc
	v_mov_b32_e32 v14, 0x3b800000
	v_lshlrev_b32_e32 v6, 20, v6
	v_lshl_add_u32 v12, v12, 23, v14
	v_or3_b32 v12, v13, v12, v6
.LBB2_12956:
	s_or_b64 exec, exec, s[6:7]
	s_movk_i32 s4, 0x7f
	v_cmp_gt_i16_sdwa s[6:7], v2, s4 src0_sel:BYTE_3 src1_sel:DWORD
	s_mov_b64 s[4:5], 0
                                        ; implicit-def: $sgpr10
	s_and_saveexec_b64 s[8:9], s[6:7]
	s_xor_b64 s[6:7], exec, s[8:9]
	s_cbranch_execz .LBB2_12957
; %bb.48797:
	s_getpc_b64 s[14:15]
.Lpost_getpc27982:
	s_add_u32 s14, s14, (.LBB2_27293-.Lpost_getpc27982)&4294967295
	s_addc_u32 s15, s15, (.LBB2_27293-.Lpost_getpc27982)>>32
	s_setpc_b64 s[14:15]
.LBB2_12957:
	s_or_saveexec_b64 s[6:7], s[6:7]
	v_mov_b32_e32 v6, s10
	s_xor_b64 exec, exec, s[6:7]
	s_cbranch_execz .LBB2_12958
; %bb.48799:
	s_getpc_b64 s[14:15]
.Lpost_getpc27983:
	s_add_u32 s14, s14, (.LBB2_27296-.Lpost_getpc27983)&4294967295
	s_addc_u32 s15, s15, (.LBB2_27296-.Lpost_getpc27983)>>32
	s_setpc_b64 s[14:15]
.LBB2_12958:
	s_or_b64 exec, exec, s[6:7]
	s_and_saveexec_b64 s[6:7], s[4:5]
	s_cbranch_execz .LBB2_12960
.LBB2_12959:
	v_bfe_u32 v6, v2, 24, 3
	v_ffbh_u32_e32 v16, v6
	v_min_u32_e32 v16, 32, v16
	v_lshrrev_b32_e32 v14, 27, v2
	v_subrev_u32_e32 v17, 28, v16
	v_and_b32_e32 v13, 0x80000000, v2
	v_and_b32_e32 v14, 15, v14
	v_bfe_u32 v15, v2, 27, 4
	v_lshlrev_b32_sdwa v2, v17, v2 dst_sel:DWORD dst_unused:UNUSED_PAD src0_sel:DWORD src1_sel:BYTE_3
	v_sub_u32_e32 v16, 29, v16
	v_and_b32_e32 v2, 7, v2
	v_cmp_eq_u16_e32 vcc, 0, v14
	v_cndmask_b32_e32 v2, v6, v2, vcc
	v_cndmask_b32_e32 v6, v15, v16, vcc
	v_mov_b32_e32 v14, 0x3b800000
	v_lshlrev_b32_e32 v2, 20, v2
	v_lshl_add_u32 v6, v6, 23, v14
	v_or3_b32 v6, v13, v6, v2
.LBB2_12960:
	s_or_b64 exec, exec, s[6:7]
	s_nop 0
	v_mfma_f32_16x16x4f32 a[0:3], v12, v6, a[0:3]
	s_movk_i32 s4, 0x7f
	v_cmp_gt_i16_sdwa s[6:7], v7, s4 src0_sel:BYTE_0 src1_sel:DWORD
	s_mov_b64 s[4:5], 0
                                        ; implicit-def: $sgpr10
	s_and_saveexec_b64 s[8:9], s[6:7]
	s_xor_b64 s[6:7], exec, s[8:9]
	s_cbranch_execz .LBB2_12961
; %bb.48801:
	s_getpc_b64 s[14:15]
.Lpost_getpc27984:
	s_add_u32 s14, s14, (.LBB2_27297-.Lpost_getpc27984)&4294967295
	s_addc_u32 s15, s15, (.LBB2_27297-.Lpost_getpc27984)>>32
	s_setpc_b64 s[14:15]
.LBB2_12961:
	s_or_saveexec_b64 s[6:7], s[6:7]
	v_mov_b32_e32 v2, s10
	s_xor_b64 exec, exec, s[6:7]
	s_cbranch_execz .LBB2_12962
; %bb.48803:
	s_getpc_b64 s[14:15]
.Lpost_getpc27985:
	s_add_u32 s14, s14, (.LBB2_27300-.Lpost_getpc27985)&4294967295
	s_addc_u32 s15, s15, (.LBB2_27300-.Lpost_getpc27985)>>32
	s_setpc_b64 s[14:15]
.LBB2_12962:
	s_or_b64 exec, exec, s[6:7]
	s_and_saveexec_b64 s[6:7], s[4:5]
	s_cbranch_execz .LBB2_12964
.LBB2_12963:
	v_and_b32_e32 v2, 7, v7
	v_ffbh_u32_e32 v12, v2
	v_min_u32_e32 v12, 32, v12
	v_lshrrev_b16_e32 v6, 3, v7
	v_subrev_u32_e32 v13, 28, v12
	v_and_b32_e32 v6, 15, v6
	v_lshlrev_b32_e32 v13, v13, v7
	v_sub_u32_e32 v12, 29, v12
	v_and_b32_e32 v13, 7, v13
	v_cmp_eq_u16_e32 vcc, 0, v6
	v_cndmask_b32_e32 v2, v2, v13, vcc
	v_cndmask_b32_e32 v6, v6, v12, vcc
	v_lshlrev_b32_e32 v12, 24, v7
	v_mov_b32_e32 v13, 0x3b800000
	v_lshlrev_b32_e32 v2, 20, v2
	v_and_b32_e32 v12, 0x80000000, v12
	v_lshl_add_u32 v6, v6, 23, v13
	v_or3_b32 v2, v12, v6, v2
.LBB2_12964:
	s_or_b64 exec, exec, s[6:7]
	s_movk_i32 s4, 0x7f
	v_cmp_gt_i16_sdwa s[6:7], v3, s4 src0_sel:BYTE_0 src1_sel:DWORD
	s_mov_b64 s[4:5], 0
                                        ; implicit-def: $sgpr10
	s_and_saveexec_b64 s[8:9], s[6:7]
	s_xor_b64 s[6:7], exec, s[8:9]
	s_cbranch_execz .LBB2_12965
; %bb.48805:
	s_getpc_b64 s[14:15]
.Lpost_getpc27986:
	s_add_u32 s14, s14, (.LBB2_27301-.Lpost_getpc27986)&4294967295
	s_addc_u32 s15, s15, (.LBB2_27301-.Lpost_getpc27986)>>32
	s_setpc_b64 s[14:15]
.LBB2_12965:
	s_or_saveexec_b64 s[6:7], s[6:7]
	v_mov_b32_e32 v6, s10
	s_xor_b64 exec, exec, s[6:7]
	s_cbranch_execz .LBB2_12966
; %bb.48807:
	s_getpc_b64 s[14:15]
.Lpost_getpc27987:
	s_add_u32 s14, s14, (.LBB2_27304-.Lpost_getpc27987)&4294967295
	s_addc_u32 s15, s15, (.LBB2_27304-.Lpost_getpc27987)>>32
	s_setpc_b64 s[14:15]
.LBB2_12966:
	s_or_b64 exec, exec, s[6:7]
	s_and_saveexec_b64 s[6:7], s[4:5]
	s_cbranch_execz .LBB2_12968
.LBB2_12967:
	v_and_b32_e32 v6, 7, v3
	v_ffbh_u32_e32 v13, v6
	v_min_u32_e32 v13, 32, v13
	v_lshrrev_b16_e32 v12, 3, v3
	v_subrev_u32_e32 v14, 28, v13
	v_and_b32_e32 v12, 15, v12
	v_lshlrev_b32_e32 v14, v14, v3
	v_sub_u32_e32 v13, 29, v13
	v_and_b32_e32 v14, 7, v14
	v_cmp_eq_u16_e32 vcc, 0, v12
	v_cndmask_b32_e32 v6, v6, v14, vcc
	v_cndmask_b32_e32 v12, v12, v13, vcc
	v_lshlrev_b32_e32 v13, 24, v3
	v_mov_b32_e32 v14, 0x3b800000
	v_lshlrev_b32_e32 v6, 20, v6
	v_and_b32_e32 v13, 0x80000000, v13
	v_lshl_add_u32 v12, v12, 23, v14
	v_or3_b32 v6, v13, v12, v6
.LBB2_12968:
	s_or_b64 exec, exec, s[6:7]
	s_nop 0
	v_mfma_f32_16x16x4f32 a[0:3], v2, v6, a[0:3]
	v_lshrrev_b32_e32 v6, 8, v7
	s_movk_i32 s4, 0x7f
	v_cmp_gt_i16_sdwa s[6:7], v6, s4 src0_sel:BYTE_0 src1_sel:DWORD
	s_mov_b64 s[4:5], 0
                                        ; implicit-def: $sgpr10
	s_and_saveexec_b64 s[8:9], s[6:7]
	s_xor_b64 s[6:7], exec, s[8:9]
	s_cbranch_execz .LBB2_12969
; %bb.48809:
	s_getpc_b64 s[14:15]
.Lpost_getpc27988:
	s_add_u32 s14, s14, (.LBB2_27305-.Lpost_getpc27988)&4294967295
	s_addc_u32 s15, s15, (.LBB2_27305-.Lpost_getpc27988)>>32
	s_setpc_b64 s[14:15]
.LBB2_12969:
	s_or_saveexec_b64 s[6:7], s[6:7]
	v_mov_b32_e32 v2, s10
	s_xor_b64 exec, exec, s[6:7]
	s_cbranch_execz .LBB2_12970
; %bb.48811:
	s_getpc_b64 s[14:15]
.Lpost_getpc27989:
	s_add_u32 s14, s14, (.LBB2_27308-.Lpost_getpc27989)&4294967295
	s_addc_u32 s15, s15, (.LBB2_27308-.Lpost_getpc27989)>>32
	s_setpc_b64 s[14:15]
.LBB2_12970:
	s_or_b64 exec, exec, s[6:7]
	s_and_saveexec_b64 s[6:7], s[4:5]
	s_cbranch_execz .LBB2_12972
.LBB2_12971:
	v_bfe_u32 v2, v7, 8, 3
	v_ffbh_u32_e32 v13, v2
	v_min_u32_e32 v13, 32, v13
	v_lshrrev_b16_e32 v12, 3, v6
	v_subrev_u32_e32 v14, 28, v13
	v_and_b32_e32 v12, 15, v12
	v_lshlrev_b32_e32 v6, v14, v6
	v_sub_u32_e32 v13, 29, v13
	v_and_b32_e32 v6, 7, v6
	v_cmp_eq_u16_e32 vcc, 0, v12
	v_cndmask_b32_e32 v2, v2, v6, vcc
	v_cndmask_b32_e32 v6, v12, v13, vcc
	v_lshlrev_b32_e32 v12, 16, v7
	v_mov_b32_e32 v13, 0x3b800000
	v_lshlrev_b32_e32 v2, 20, v2
	v_and_b32_e32 v12, 0x80000000, v12
	v_lshl_add_u32 v6, v6, 23, v13
	v_or3_b32 v2, v12, v6, v2
.LBB2_12972:
	s_or_b64 exec, exec, s[6:7]
	v_lshrrev_b32_e32 v6, 8, v3
	s_movk_i32 s4, 0x7f
	v_cmp_gt_i16_sdwa s[6:7], v6, s4 src0_sel:BYTE_0 src1_sel:DWORD
	s_mov_b64 s[4:5], 0
                                        ; implicit-def: $sgpr10
	s_and_saveexec_b64 s[8:9], s[6:7]
	s_xor_b64 s[6:7], exec, s[8:9]
	s_cbranch_execz .LBB2_12973
; %bb.48813:
	s_getpc_b64 s[14:15]
.Lpost_getpc27990:
	s_add_u32 s14, s14, (.LBB2_27309-.Lpost_getpc27990)&4294967295
	s_addc_u32 s15, s15, (.LBB2_27309-.Lpost_getpc27990)>>32
	s_setpc_b64 s[14:15]
.LBB2_12973:
	s_or_saveexec_b64 s[6:7], s[6:7]
	v_mov_b32_e32 v12, s10
	s_xor_b64 exec, exec, s[6:7]
	s_cbranch_execz .LBB2_12974
; %bb.48815:
	s_getpc_b64 s[14:15]
.Lpost_getpc27991:
	s_add_u32 s14, s14, (.LBB2_27312-.Lpost_getpc27991)&4294967295
	s_addc_u32 s15, s15, (.LBB2_27312-.Lpost_getpc27991)>>32
	s_setpc_b64 s[14:15]
.LBB2_12974:
	s_or_b64 exec, exec, s[6:7]
	s_and_saveexec_b64 s[6:7], s[4:5]
	s_cbranch_execz .LBB2_12976
.LBB2_12975:
	v_bfe_u32 v12, v3, 8, 3
	v_ffbh_u32_e32 v14, v12
	v_min_u32_e32 v14, 32, v14
	v_lshrrev_b16_e32 v13, 3, v6
	v_subrev_u32_e32 v15, 28, v14
	v_and_b32_e32 v13, 15, v13
	v_lshlrev_b32_e32 v6, v15, v6
	v_sub_u32_e32 v14, 29, v14
	v_and_b32_e32 v6, 7, v6
	v_cmp_eq_u16_e32 vcc, 0, v13
	v_cndmask_b32_e32 v6, v12, v6, vcc
	v_cndmask_b32_e32 v12, v13, v14, vcc
	v_lshlrev_b32_e32 v13, 16, v3
	v_mov_b32_e32 v14, 0x3b800000
	v_lshlrev_b32_e32 v6, 20, v6
	v_and_b32_e32 v13, 0x80000000, v13
	v_lshl_add_u32 v12, v12, 23, v14
	v_or3_b32 v12, v13, v12, v6
.LBB2_12976:
	s_or_b64 exec, exec, s[6:7]
	s_nop 0
	v_mfma_f32_16x16x4f32 a[0:3], v2, v12, a[0:3]
	s_movk_i32 s4, 0xff
	v_and_b32_sdwa v6, v7, s4 dst_sel:DWORD dst_unused:UNUSED_PAD src0_sel:WORD_1 src1_sel:DWORD
	s_movk_i32 s4, 0x7f
	v_cmp_lt_i16_e32 vcc, s4, v6
	s_mov_b64 s[4:5], 0
                                        ; implicit-def: $sgpr10
	s_and_saveexec_b64 s[6:7], vcc
	s_xor_b64 s[6:7], exec, s[6:7]
	s_cbranch_execz .LBB2_12977
; %bb.48817:
	s_getpc_b64 s[14:15]
.Lpost_getpc27992:
	s_add_u32 s14, s14, (.LBB2_27313-.Lpost_getpc27992)&4294967295
	s_addc_u32 s15, s15, (.LBB2_27313-.Lpost_getpc27992)>>32
	s_setpc_b64 s[14:15]
.LBB2_12977:
	s_or_saveexec_b64 s[6:7], s[6:7]
	v_mov_b32_e32 v2, s10
	s_xor_b64 exec, exec, s[6:7]
	s_cbranch_execz .LBB2_12978
; %bb.48819:
	s_getpc_b64 s[14:15]
.Lpost_getpc27993:
	s_add_u32 s14, s14, (.LBB2_27316-.Lpost_getpc27993)&4294967295
	s_addc_u32 s15, s15, (.LBB2_27316-.Lpost_getpc27993)>>32
	s_setpc_b64 s[14:15]
.LBB2_12978:
	s_or_b64 exec, exec, s[6:7]
	s_and_saveexec_b64 s[6:7], s[4:5]
	s_cbranch_execz .LBB2_12980
.LBB2_12979:
	v_bfe_u32 v2, v7, 16, 3
	v_ffbh_u32_e32 v13, v2
	v_min_u32_e32 v13, 32, v13
	v_lshrrev_b32_e32 v6, 19, v7
	v_subrev_u32_e32 v14, 28, v13
	v_and_b32_e32 v6, 15, v6
	v_lshlrev_b32_sdwa v14, v14, v7 dst_sel:DWORD dst_unused:UNUSED_PAD src0_sel:DWORD src1_sel:WORD_1
	v_bfe_u32 v12, v7, 19, 4
	v_sub_u32_e32 v13, 29, v13
	v_and_b32_e32 v14, 7, v14
	v_cmp_eq_u16_e32 vcc, 0, v6
	v_cndmask_b32_e32 v2, v2, v14, vcc
	v_cndmask_b32_e32 v6, v12, v13, vcc
	v_lshlrev_b32_e32 v12, 8, v7
	v_mov_b32_e32 v13, 0x3b800000
	v_lshlrev_b32_e32 v2, 20, v2
	v_and_b32_e32 v12, 0x80000000, v12
	v_lshl_add_u32 v6, v6, 23, v13
	v_or3_b32 v2, v12, v6, v2
.LBB2_12980:
	s_or_b64 exec, exec, s[6:7]
	s_movk_i32 s4, 0xff
	v_and_b32_sdwa v6, v3, s4 dst_sel:DWORD dst_unused:UNUSED_PAD src0_sel:WORD_1 src1_sel:DWORD
	s_movk_i32 s4, 0x7f
	v_cmp_lt_i16_e32 vcc, s4, v6
	s_mov_b64 s[4:5], 0
                                        ; implicit-def: $sgpr10
	s_and_saveexec_b64 s[6:7], vcc
	s_xor_b64 s[6:7], exec, s[6:7]
	s_cbranch_execz .LBB2_12981
; %bb.48821:
	s_getpc_b64 s[14:15]
.Lpost_getpc27994:
	s_add_u32 s14, s14, (.LBB2_27317-.Lpost_getpc27994)&4294967295
	s_addc_u32 s15, s15, (.LBB2_27317-.Lpost_getpc27994)>>32
	s_setpc_b64 s[14:15]
.LBB2_12981:
	s_or_saveexec_b64 s[6:7], s[6:7]
	v_mov_b32_e32 v12, s10
	s_xor_b64 exec, exec, s[6:7]
	s_cbranch_execz .LBB2_12982
; %bb.48823:
	s_getpc_b64 s[14:15]
.Lpost_getpc27995:
	s_add_u32 s14, s14, (.LBB2_27320-.Lpost_getpc27995)&4294967295
	s_addc_u32 s15, s15, (.LBB2_27320-.Lpost_getpc27995)>>32
	s_setpc_b64 s[14:15]
.LBB2_12982:
	s_or_b64 exec, exec, s[6:7]
	s_and_saveexec_b64 s[6:7], s[4:5]
	s_cbranch_execz .LBB2_12984
.LBB2_12983:
	v_bfe_u32 v6, v3, 16, 3
	v_ffbh_u32_e32 v14, v6
	v_min_u32_e32 v14, 32, v14
	v_lshrrev_b32_e32 v12, 19, v3
	v_subrev_u32_e32 v15, 28, v14
	v_and_b32_e32 v12, 15, v12
	v_lshlrev_b32_sdwa v15, v15, v3 dst_sel:DWORD dst_unused:UNUSED_PAD src0_sel:DWORD src1_sel:WORD_1
	v_bfe_u32 v13, v3, 19, 4
	v_sub_u32_e32 v14, 29, v14
	v_and_b32_e32 v15, 7, v15
	v_cmp_eq_u16_e32 vcc, 0, v12
	v_cndmask_b32_e32 v6, v6, v15, vcc
	v_cndmask_b32_e32 v12, v13, v14, vcc
	v_lshlrev_b32_e32 v13, 8, v3
	v_mov_b32_e32 v14, 0x3b800000
	v_lshlrev_b32_e32 v6, 20, v6
	v_and_b32_e32 v13, 0x80000000, v13
	v_lshl_add_u32 v12, v12, 23, v14
	v_or3_b32 v12, v13, v12, v6
.LBB2_12984:
	s_or_b64 exec, exec, s[6:7]
	s_nop 0
	v_mfma_f32_16x16x4f32 a[0:3], v2, v12, a[0:3]
	s_movk_i32 s4, 0x7f
	v_cmp_gt_i16_sdwa s[6:7], v7, s4 src0_sel:BYTE_3 src1_sel:DWORD
	s_mov_b64 s[4:5], 0
                                        ; implicit-def: $sgpr10
	s_and_saveexec_b64 s[8:9], s[6:7]
	s_xor_b64 s[6:7], exec, s[8:9]
	s_cbranch_execz .LBB2_12985
; %bb.48825:
	s_getpc_b64 s[14:15]
.Lpost_getpc27996:
	s_add_u32 s14, s14, (.LBB2_27321-.Lpost_getpc27996)&4294967295
	s_addc_u32 s15, s15, (.LBB2_27321-.Lpost_getpc27996)>>32
	s_setpc_b64 s[14:15]
.LBB2_12985:
	s_or_saveexec_b64 s[6:7], s[6:7]
	v_mov_b32_e32 v2, s10
	s_xor_b64 exec, exec, s[6:7]
	s_cbranch_execz .LBB2_12986
; %bb.48827:
	s_getpc_b64 s[14:15]
.Lpost_getpc27997:
	s_add_u32 s14, s14, (.LBB2_27324-.Lpost_getpc27997)&4294967295
	s_addc_u32 s15, s15, (.LBB2_27324-.Lpost_getpc27997)>>32
	s_setpc_b64 s[14:15]
.LBB2_12986:
	s_or_b64 exec, exec, s[6:7]
	s_and_saveexec_b64 s[6:7], s[4:5]
	s_cbranch_execz .LBB2_12988
.LBB2_12987:
	v_bfe_u32 v2, v7, 24, 3
	v_ffbh_u32_e32 v14, v2
	v_min_u32_e32 v14, 32, v14
	v_lshrrev_b32_e32 v12, 27, v7
	v_subrev_u32_e32 v15, 28, v14
	v_and_b32_e32 v6, 0x80000000, v7
	v_and_b32_e32 v12, 15, v12
	v_bfe_u32 v13, v7, 27, 4
	v_lshlrev_b32_sdwa v7, v15, v7 dst_sel:DWORD dst_unused:UNUSED_PAD src0_sel:DWORD src1_sel:BYTE_3
	v_sub_u32_e32 v14, 29, v14
	v_and_b32_e32 v7, 7, v7
	v_cmp_eq_u16_e32 vcc, 0, v12
	v_cndmask_b32_e32 v2, v2, v7, vcc
	v_cndmask_b32_e32 v7, v13, v14, vcc
	v_mov_b32_e32 v12, 0x3b800000
	v_lshlrev_b32_e32 v2, 20, v2
	v_lshl_add_u32 v7, v7, 23, v12
	v_or3_b32 v2, v6, v7, v2
.LBB2_12988:
	s_or_b64 exec, exec, s[6:7]
	s_movk_i32 s4, 0x7f
	v_cmp_gt_i16_sdwa s[6:7], v3, s4 src0_sel:BYTE_3 src1_sel:DWORD
	s_mov_b64 s[4:5], 0
                                        ; implicit-def: $sgpr10
	s_and_saveexec_b64 s[8:9], s[6:7]
	s_xor_b64 s[6:7], exec, s[8:9]
	s_cbranch_execz .LBB2_12989
; %bb.48829:
	s_getpc_b64 s[14:15]
.Lpost_getpc27998:
	s_add_u32 s14, s14, (.LBB2_27325-.Lpost_getpc27998)&4294967295
	s_addc_u32 s15, s15, (.LBB2_27325-.Lpost_getpc27998)>>32
	s_setpc_b64 s[14:15]
.LBB2_12989:
	s_or_saveexec_b64 s[6:7], s[6:7]
	v_mov_b32_e32 v6, s10
	s_xor_b64 exec, exec, s[6:7]
	s_cbranch_execz .LBB2_12990
; %bb.48831:
	s_getpc_b64 s[14:15]
.Lpost_getpc27999:
	s_add_u32 s14, s14, (.LBB2_27328-.Lpost_getpc27999)&4294967295
	s_addc_u32 s15, s15, (.LBB2_27328-.Lpost_getpc27999)>>32
	s_setpc_b64 s[14:15]
.LBB2_12990:
	s_or_b64 exec, exec, s[6:7]
	s_and_saveexec_b64 s[6:7], s[4:5]
	s_cbranch_execz .LBB2_12992
.LBB2_12991:
	v_bfe_u32 v6, v3, 24, 3
	v_ffbh_u32_e32 v14, v6
	v_min_u32_e32 v14, 32, v14
	v_lshrrev_b32_e32 v12, 27, v3
	v_subrev_u32_e32 v15, 28, v14
	v_and_b32_e32 v7, 0x80000000, v3
	v_and_b32_e32 v12, 15, v12
	v_bfe_u32 v13, v3, 27, 4
	v_lshlrev_b32_sdwa v3, v15, v3 dst_sel:DWORD dst_unused:UNUSED_PAD src0_sel:DWORD src1_sel:BYTE_3
	v_sub_u32_e32 v14, 29, v14
	v_and_b32_e32 v3, 7, v3
	v_cmp_eq_u16_e32 vcc, 0, v12
	v_cndmask_b32_e32 v3, v6, v3, vcc
	v_cndmask_b32_e32 v6, v13, v14, vcc
	v_mov_b32_e32 v12, 0x3b800000
	v_lshlrev_b32_e32 v3, 20, v3
	v_lshl_add_u32 v6, v6, 23, v12
	v_or3_b32 v6, v7, v6, v3
.LBB2_12992:
	s_or_b64 exec, exec, s[6:7]
	s_nop 0
	v_mfma_f32_16x16x4f32 a[0:3], v2, v6, a[0:3]
	s_movk_i32 s4, 0x7f
	v_cmp_gt_i16_sdwa s[6:7], v8, s4 src0_sel:BYTE_0 src1_sel:DWORD
	s_mov_b64 s[4:5], 0
                                        ; implicit-def: $sgpr10
	s_and_saveexec_b64 s[8:9], s[6:7]
	s_xor_b64 s[6:7], exec, s[8:9]
	s_cbranch_execz .LBB2_12993
; %bb.48833:
	s_getpc_b64 s[14:15]
.Lpost_getpc28000:
	s_add_u32 s14, s14, (.LBB2_27329-.Lpost_getpc28000)&4294967295
	s_addc_u32 s15, s15, (.LBB2_27329-.Lpost_getpc28000)>>32
	s_setpc_b64 s[14:15]
.LBB2_12993:
	s_or_saveexec_b64 s[6:7], s[6:7]
	v_mov_b32_e32 v2, s10
	s_xor_b64 exec, exec, s[6:7]
	s_cbranch_execz .LBB2_12994
; %bb.48835:
	s_getpc_b64 s[14:15]
.Lpost_getpc28001:
	s_add_u32 s14, s14, (.LBB2_27332-.Lpost_getpc28001)&4294967295
	s_addc_u32 s15, s15, (.LBB2_27332-.Lpost_getpc28001)>>32
	s_setpc_b64 s[14:15]
.LBB2_12994:
	s_or_b64 exec, exec, s[6:7]
	s_and_saveexec_b64 s[6:7], s[4:5]
	s_cbranch_execz .LBB2_12996
.LBB2_12995:
	v_and_b32_e32 v2, 7, v8
	v_ffbh_u32_e32 v6, v2
	v_min_u32_e32 v6, 32, v6
	v_lshrrev_b16_e32 v3, 3, v8
	v_subrev_u32_e32 v7, 28, v6
	v_and_b32_e32 v3, 15, v3
	v_lshlrev_b32_e32 v7, v7, v8
	v_sub_u32_e32 v6, 29, v6
	v_and_b32_e32 v7, 7, v7
	v_cmp_eq_u16_e32 vcc, 0, v3
	v_cndmask_b32_e32 v2, v2, v7, vcc
	v_cndmask_b32_e32 v3, v3, v6, vcc
	v_lshlrev_b32_e32 v6, 24, v8
	v_mov_b32_e32 v7, 0x3b800000
	v_lshlrev_b32_e32 v2, 20, v2
	v_and_b32_e32 v6, 0x80000000, v6
	v_lshl_add_u32 v3, v3, 23, v7
	v_or3_b32 v2, v6, v3, v2
.LBB2_12996:
	s_or_b64 exec, exec, s[6:7]
	s_movk_i32 s4, 0x7f
	v_cmp_gt_i16_sdwa s[6:7], v4, s4 src0_sel:BYTE_0 src1_sel:DWORD
	s_mov_b64 s[4:5], 0
                                        ; implicit-def: $sgpr10
	s_and_saveexec_b64 s[8:9], s[6:7]
	s_xor_b64 s[6:7], exec, s[8:9]
	s_cbranch_execz .LBB2_12997
; %bb.48837:
	s_getpc_b64 s[14:15]
.Lpost_getpc28002:
	s_add_u32 s14, s14, (.LBB2_27333-.Lpost_getpc28002)&4294967295
	s_addc_u32 s15, s15, (.LBB2_27333-.Lpost_getpc28002)>>32
	s_setpc_b64 s[14:15]
.LBB2_12997:
	s_or_saveexec_b64 s[6:7], s[6:7]
	v_mov_b32_e32 v3, s10
	s_xor_b64 exec, exec, s[6:7]
	s_cbranch_execz .LBB2_12998
; %bb.48839:
	s_getpc_b64 s[14:15]
.Lpost_getpc28003:
	s_add_u32 s14, s14, (.LBB2_27336-.Lpost_getpc28003)&4294967295
	s_addc_u32 s15, s15, (.LBB2_27336-.Lpost_getpc28003)>>32
	s_setpc_b64 s[14:15]
.LBB2_12998:
	s_or_b64 exec, exec, s[6:7]
	s_and_saveexec_b64 s[6:7], s[4:5]
	s_cbranch_execz .LBB2_13000
.LBB2_12999:
	v_and_b32_e32 v3, 7, v4
	v_ffbh_u32_e32 v7, v3
	v_min_u32_e32 v7, 32, v7
	v_lshrrev_b16_e32 v6, 3, v4
	v_subrev_u32_e32 v12, 28, v7
	v_and_b32_e32 v6, 15, v6
	v_lshlrev_b32_e32 v12, v12, v4
	v_sub_u32_e32 v7, 29, v7
	v_and_b32_e32 v12, 7, v12
	v_cmp_eq_u16_e32 vcc, 0, v6
	v_cndmask_b32_e32 v3, v3, v12, vcc
	v_cndmask_b32_e32 v6, v6, v7, vcc
	v_lshlrev_b32_e32 v7, 24, v4
	v_mov_b32_e32 v12, 0x3b800000
	v_lshlrev_b32_e32 v3, 20, v3
	v_and_b32_e32 v7, 0x80000000, v7
	v_lshl_add_u32 v6, v6, 23, v12
	v_or3_b32 v3, v7, v6, v3
.LBB2_13000:
	s_or_b64 exec, exec, s[6:7]
	s_nop 0
	v_mfma_f32_16x16x4f32 a[0:3], v2, v3, a[0:3]
	v_lshrrev_b32_e32 v3, 8, v8
	s_movk_i32 s4, 0x7f
	v_cmp_gt_i16_sdwa s[6:7], v3, s4 src0_sel:BYTE_0 src1_sel:DWORD
	s_mov_b64 s[4:5], 0
                                        ; implicit-def: $sgpr10
	s_and_saveexec_b64 s[8:9], s[6:7]
	s_xor_b64 s[6:7], exec, s[8:9]
	s_cbranch_execz .LBB2_13001
; %bb.48841:
	s_getpc_b64 s[14:15]
.Lpost_getpc28004:
	s_add_u32 s14, s14, (.LBB2_27337-.Lpost_getpc28004)&4294967295
	s_addc_u32 s15, s15, (.LBB2_27337-.Lpost_getpc28004)>>32
	s_setpc_b64 s[14:15]
.LBB2_13001:
	s_or_saveexec_b64 s[6:7], s[6:7]
	v_mov_b32_e32 v2, s10
	s_xor_b64 exec, exec, s[6:7]
	s_cbranch_execz .LBB2_13002
; %bb.48843:
	s_getpc_b64 s[14:15]
.Lpost_getpc28005:
	s_add_u32 s14, s14, (.LBB2_27340-.Lpost_getpc28005)&4294967295
	s_addc_u32 s15, s15, (.LBB2_27340-.Lpost_getpc28005)>>32
	s_setpc_b64 s[14:15]
.LBB2_13002:
	s_or_b64 exec, exec, s[6:7]
	s_and_saveexec_b64 s[6:7], s[4:5]
	s_cbranch_execz .LBB2_13004
.LBB2_13003:
	v_bfe_u32 v2, v8, 8, 3
	v_ffbh_u32_e32 v7, v2
	v_min_u32_e32 v7, 32, v7
	v_lshrrev_b16_e32 v6, 3, v3
	v_subrev_u32_e32 v12, 28, v7
	v_and_b32_e32 v6, 15, v6
	v_lshlrev_b32_e32 v3, v12, v3
	v_sub_u32_e32 v7, 29, v7
	v_and_b32_e32 v3, 7, v3
	v_cmp_eq_u16_e32 vcc, 0, v6
	v_cndmask_b32_e32 v2, v2, v3, vcc
	v_cndmask_b32_e32 v3, v6, v7, vcc
	v_lshlrev_b32_e32 v6, 16, v8
	v_mov_b32_e32 v7, 0x3b800000
	v_lshlrev_b32_e32 v2, 20, v2
	v_and_b32_e32 v6, 0x80000000, v6
	v_lshl_add_u32 v3, v3, 23, v7
	v_or3_b32 v2, v6, v3, v2
.LBB2_13004:
	s_or_b64 exec, exec, s[6:7]
	v_lshrrev_b32_e32 v3, 8, v4
	s_movk_i32 s4, 0x7f
	v_cmp_gt_i16_sdwa s[6:7], v3, s4 src0_sel:BYTE_0 src1_sel:DWORD
	s_mov_b64 s[4:5], 0
                                        ; implicit-def: $sgpr10
	s_and_saveexec_b64 s[8:9], s[6:7]
	s_xor_b64 s[6:7], exec, s[8:9]
	s_cbranch_execz .LBB2_13005
; %bb.48845:
	s_getpc_b64 s[14:15]
.Lpost_getpc28006:
	s_add_u32 s14, s14, (.LBB2_27341-.Lpost_getpc28006)&4294967295
	s_addc_u32 s15, s15, (.LBB2_27341-.Lpost_getpc28006)>>32
	s_setpc_b64 s[14:15]
.LBB2_13005:
	s_or_saveexec_b64 s[6:7], s[6:7]
	v_mov_b32_e32 v6, s10
	s_xor_b64 exec, exec, s[6:7]
	s_cbranch_execz .LBB2_13006
; %bb.48847:
	s_getpc_b64 s[14:15]
.Lpost_getpc28007:
	s_add_u32 s14, s14, (.LBB2_27344-.Lpost_getpc28007)&4294967295
	s_addc_u32 s15, s15, (.LBB2_27344-.Lpost_getpc28007)>>32
	s_setpc_b64 s[14:15]
.LBB2_13006:
	s_or_b64 exec, exec, s[6:7]
	s_and_saveexec_b64 s[6:7], s[4:5]
	s_cbranch_execz .LBB2_13008
.LBB2_13007:
	v_bfe_u32 v6, v4, 8, 3
	v_ffbh_u32_e32 v12, v6
	v_min_u32_e32 v12, 32, v12
	v_lshrrev_b16_e32 v7, 3, v3
	v_subrev_u32_e32 v13, 28, v12
	v_and_b32_e32 v7, 15, v7
	v_lshlrev_b32_e32 v3, v13, v3
	v_sub_u32_e32 v12, 29, v12
	v_and_b32_e32 v3, 7, v3
	v_cmp_eq_u16_e32 vcc, 0, v7
	v_cndmask_b32_e32 v3, v6, v3, vcc
	v_cndmask_b32_e32 v6, v7, v12, vcc
	v_lshlrev_b32_e32 v7, 16, v4
	v_mov_b32_e32 v12, 0x3b800000
	v_lshlrev_b32_e32 v3, 20, v3
	v_and_b32_e32 v7, 0x80000000, v7
	v_lshl_add_u32 v6, v6, 23, v12
	v_or3_b32 v6, v7, v6, v3
.LBB2_13008:
	s_or_b64 exec, exec, s[6:7]
	s_nop 0
	v_mfma_f32_16x16x4f32 a[0:3], v2, v6, a[0:3]
	s_movk_i32 s4, 0xff
	v_and_b32_sdwa v3, v8, s4 dst_sel:DWORD dst_unused:UNUSED_PAD src0_sel:WORD_1 src1_sel:DWORD
	s_movk_i32 s4, 0x7f
	v_cmp_lt_i16_e32 vcc, s4, v3
	s_mov_b64 s[4:5], 0
                                        ; implicit-def: $sgpr10
	s_and_saveexec_b64 s[6:7], vcc
	s_xor_b64 s[6:7], exec, s[6:7]
	s_cbranch_execz .LBB2_13009
; %bb.48849:
	s_getpc_b64 s[14:15]
.Lpost_getpc28008:
	s_add_u32 s14, s14, (.LBB2_27345-.Lpost_getpc28008)&4294967295
	s_addc_u32 s15, s15, (.LBB2_27345-.Lpost_getpc28008)>>32
	s_setpc_b64 s[14:15]
.LBB2_13009:
	s_or_saveexec_b64 s[6:7], s[6:7]
	v_mov_b32_e32 v2, s10
	s_xor_b64 exec, exec, s[6:7]
	s_cbranch_execz .LBB2_13010
; %bb.48851:
	s_getpc_b64 s[14:15]
.Lpost_getpc28009:
	s_add_u32 s14, s14, (.LBB2_27348-.Lpost_getpc28009)&4294967295
	s_addc_u32 s15, s15, (.LBB2_27348-.Lpost_getpc28009)>>32
	s_setpc_b64 s[14:15]
.LBB2_13010:
	s_or_b64 exec, exec, s[6:7]
	s_and_saveexec_b64 s[6:7], s[4:5]
	s_cbranch_execz .LBB2_13012
.LBB2_13011:
	v_bfe_u32 v2, v8, 16, 3
	v_ffbh_u32_e32 v7, v2
	v_min_u32_e32 v7, 32, v7
	v_lshrrev_b32_e32 v3, 19, v8
	v_subrev_u32_e32 v12, 28, v7
	v_and_b32_e32 v3, 15, v3
	v_lshlrev_b32_sdwa v12, v12, v8 dst_sel:DWORD dst_unused:UNUSED_PAD src0_sel:DWORD src1_sel:WORD_1
	v_bfe_u32 v6, v8, 19, 4
	v_sub_u32_e32 v7, 29, v7
	v_and_b32_e32 v12, 7, v12
	v_cmp_eq_u16_e32 vcc, 0, v3
	v_cndmask_b32_e32 v2, v2, v12, vcc
	v_cndmask_b32_e32 v3, v6, v7, vcc
	v_lshlrev_b32_e32 v6, 8, v8
	v_mov_b32_e32 v7, 0x3b800000
	v_lshlrev_b32_e32 v2, 20, v2
	v_and_b32_e32 v6, 0x80000000, v6
	v_lshl_add_u32 v3, v3, 23, v7
	v_or3_b32 v2, v6, v3, v2
.LBB2_13012:
	s_or_b64 exec, exec, s[6:7]
	s_movk_i32 s4, 0xff
	v_and_b32_sdwa v3, v4, s4 dst_sel:DWORD dst_unused:UNUSED_PAD src0_sel:WORD_1 src1_sel:DWORD
	s_movk_i32 s4, 0x7f
	v_cmp_lt_i16_e32 vcc, s4, v3
	s_mov_b64 s[4:5], 0
                                        ; implicit-def: $sgpr10
	s_and_saveexec_b64 s[6:7], vcc
	s_xor_b64 s[6:7], exec, s[6:7]
	s_cbranch_execz .LBB2_13013
; %bb.48853:
	s_getpc_b64 s[14:15]
.Lpost_getpc28010:
	s_add_u32 s14, s14, (.LBB2_27349-.Lpost_getpc28010)&4294967295
	s_addc_u32 s15, s15, (.LBB2_27349-.Lpost_getpc28010)>>32
	s_setpc_b64 s[14:15]
.LBB2_13013:
	s_or_saveexec_b64 s[6:7], s[6:7]
	v_mov_b32_e32 v6, s10
	s_xor_b64 exec, exec, s[6:7]
	s_cbranch_execz .LBB2_13014
; %bb.48855:
	s_getpc_b64 s[14:15]
.Lpost_getpc28011:
	s_add_u32 s14, s14, (.LBB2_27352-.Lpost_getpc28011)&4294967295
	s_addc_u32 s15, s15, (.LBB2_27352-.Lpost_getpc28011)>>32
	s_setpc_b64 s[14:15]
.LBB2_13014:
	s_or_b64 exec, exec, s[6:7]
	s_and_saveexec_b64 s[6:7], s[4:5]
	s_cbranch_execz .LBB2_13016
.LBB2_13015:
	v_bfe_u32 v3, v4, 16, 3
	v_ffbh_u32_e32 v12, v3
	v_min_u32_e32 v12, 32, v12
	v_lshrrev_b32_e32 v6, 19, v4
	v_subrev_u32_e32 v13, 28, v12
	v_and_b32_e32 v6, 15, v6
	v_lshlrev_b32_sdwa v13, v13, v4 dst_sel:DWORD dst_unused:UNUSED_PAD src0_sel:DWORD src1_sel:WORD_1
	v_bfe_u32 v7, v4, 19, 4
	v_sub_u32_e32 v12, 29, v12
	v_and_b32_e32 v13, 7, v13
	v_cmp_eq_u16_e32 vcc, 0, v6
	v_cndmask_b32_e32 v3, v3, v13, vcc
	v_cndmask_b32_e32 v6, v7, v12, vcc
	v_lshlrev_b32_e32 v7, 8, v4
	v_mov_b32_e32 v12, 0x3b800000
	v_lshlrev_b32_e32 v3, 20, v3
	v_and_b32_e32 v7, 0x80000000, v7
	v_lshl_add_u32 v6, v6, 23, v12
	v_or3_b32 v6, v7, v6, v3
.LBB2_13016:
	s_or_b64 exec, exec, s[6:7]
	s_nop 0
	v_mfma_f32_16x16x4f32 a[0:3], v2, v6, a[0:3]
	s_movk_i32 s4, 0x7f
	v_cmp_gt_i16_sdwa s[6:7], v8, s4 src0_sel:BYTE_3 src1_sel:DWORD
	s_mov_b64 s[4:5], 0
                                        ; implicit-def: $sgpr10
	s_and_saveexec_b64 s[8:9], s[6:7]
	s_xor_b64 s[6:7], exec, s[8:9]
	s_cbranch_execz .LBB2_13017
; %bb.48857:
	s_getpc_b64 s[14:15]
.Lpost_getpc28012:
	s_add_u32 s14, s14, (.LBB2_27353-.Lpost_getpc28012)&4294967295
	s_addc_u32 s15, s15, (.LBB2_27353-.Lpost_getpc28012)>>32
	s_setpc_b64 s[14:15]
.LBB2_13017:
	s_or_saveexec_b64 s[6:7], s[6:7]
	v_mov_b32_e32 v2, s10
	s_xor_b64 exec, exec, s[6:7]
	s_cbranch_execz .LBB2_13018
; %bb.48859:
	s_getpc_b64 s[14:15]
.Lpost_getpc28013:
	s_add_u32 s14, s14, (.LBB2_27356-.Lpost_getpc28013)&4294967295
	s_addc_u32 s15, s15, (.LBB2_27356-.Lpost_getpc28013)>>32
	s_setpc_b64 s[14:15]
.LBB2_13018:
	s_or_b64 exec, exec, s[6:7]
	s_and_saveexec_b64 s[6:7], s[4:5]
	s_cbranch_execz .LBB2_13020
.LBB2_13019:
	v_bfe_u32 v2, v8, 24, 3
	v_ffbh_u32_e32 v12, v2
	v_min_u32_e32 v12, 32, v12
	v_lshrrev_b32_e32 v6, 27, v8
	v_subrev_u32_e32 v13, 28, v12
	v_and_b32_e32 v3, 0x80000000, v8
	v_and_b32_e32 v6, 15, v6
	v_bfe_u32 v7, v8, 27, 4
	v_lshlrev_b32_sdwa v8, v13, v8 dst_sel:DWORD dst_unused:UNUSED_PAD src0_sel:DWORD src1_sel:BYTE_3
	v_sub_u32_e32 v12, 29, v12
	v_and_b32_e32 v8, 7, v8
	v_cmp_eq_u16_e32 vcc, 0, v6
	v_cndmask_b32_e32 v2, v2, v8, vcc
	v_cndmask_b32_e32 v6, v7, v12, vcc
	v_mov_b32_e32 v7, 0x3b800000
	v_lshlrev_b32_e32 v2, 20, v2
	v_lshl_add_u32 v6, v6, 23, v7
	v_or3_b32 v2, v3, v6, v2
.LBB2_13020:
	s_or_b64 exec, exec, s[6:7]
	s_movk_i32 s4, 0x7f
	v_cmp_gt_i16_sdwa s[6:7], v4, s4 src0_sel:BYTE_3 src1_sel:DWORD
	s_mov_b64 s[4:5], 0
                                        ; implicit-def: $sgpr10
	s_and_saveexec_b64 s[8:9], s[6:7]
	s_xor_b64 s[6:7], exec, s[8:9]
	s_cbranch_execz .LBB2_13021
; %bb.48861:
	s_getpc_b64 s[14:15]
.Lpost_getpc28014:
	s_add_u32 s14, s14, (.LBB2_27357-.Lpost_getpc28014)&4294967295
	s_addc_u32 s15, s15, (.LBB2_27357-.Lpost_getpc28014)>>32
	s_setpc_b64 s[14:15]
.LBB2_13021:
	s_or_saveexec_b64 s[6:7], s[6:7]
	v_mov_b32_e32 v3, s10
	s_xor_b64 exec, exec, s[6:7]
	s_cbranch_execz .LBB2_13022
; %bb.48863:
	s_getpc_b64 s[14:15]
.Lpost_getpc28015:
	s_add_u32 s14, s14, (.LBB2_27360-.Lpost_getpc28015)&4294967295
	s_addc_u32 s15, s15, (.LBB2_27360-.Lpost_getpc28015)>>32
	s_setpc_b64 s[14:15]
.LBB2_13022:
	s_or_b64 exec, exec, s[6:7]
	s_and_saveexec_b64 s[6:7], s[4:5]
	s_cbranch_execz .LBB2_13024
.LBB2_13023:
	v_bfe_u32 v3, v4, 24, 3
	v_ffbh_u32_e32 v12, v3
	v_min_u32_e32 v12, 32, v12
	v_lshrrev_b32_e32 v7, 27, v4
	v_subrev_u32_e32 v13, 28, v12
	v_and_b32_e32 v6, 0x80000000, v4
	v_and_b32_e32 v7, 15, v7
	v_bfe_u32 v8, v4, 27, 4
	v_lshlrev_b32_sdwa v4, v13, v4 dst_sel:DWORD dst_unused:UNUSED_PAD src0_sel:DWORD src1_sel:BYTE_3
	v_sub_u32_e32 v12, 29, v12
	v_and_b32_e32 v4, 7, v4
	v_cmp_eq_u16_e32 vcc, 0, v7
	v_cndmask_b32_e32 v3, v3, v4, vcc
	v_cndmask_b32_e32 v4, v8, v12, vcc
	v_mov_b32_e32 v7, 0x3b800000
	v_lshlrev_b32_e32 v3, 20, v3
	v_lshl_add_u32 v4, v4, 23, v7
	v_or3_b32 v3, v6, v4, v3
.LBB2_13024:
	s_or_b64 exec, exec, s[6:7]
	s_nop 0
	v_mfma_f32_16x16x4f32 a[0:3], v2, v3, a[0:3]
	s_movk_i32 s4, 0x7f
	v_cmp_gt_i16_sdwa s[6:7], v9, s4 src0_sel:BYTE_0 src1_sel:DWORD
	s_mov_b64 s[4:5], 0
                                        ; implicit-def: $sgpr10
	s_and_saveexec_b64 s[8:9], s[6:7]
	s_xor_b64 s[6:7], exec, s[8:9]
	s_cbranch_execz .LBB2_13025
; %bb.48865:
	s_getpc_b64 s[14:15]
.Lpost_getpc28016:
	s_add_u32 s14, s14, (.LBB2_27361-.Lpost_getpc28016)&4294967295
	s_addc_u32 s15, s15, (.LBB2_27361-.Lpost_getpc28016)>>32
	s_setpc_b64 s[14:15]
.LBB2_13025:
	s_or_saveexec_b64 s[6:7], s[6:7]
	v_mov_b32_e32 v2, s10
	s_xor_b64 exec, exec, s[6:7]
	s_cbranch_execz .LBB2_13026
; %bb.48867:
	s_getpc_b64 s[14:15]
.Lpost_getpc28017:
	s_add_u32 s14, s14, (.LBB2_27364-.Lpost_getpc28017)&4294967295
	s_addc_u32 s15, s15, (.LBB2_27364-.Lpost_getpc28017)>>32
	s_setpc_b64 s[14:15]
.LBB2_13026:
	s_or_b64 exec, exec, s[6:7]
	s_and_saveexec_b64 s[6:7], s[4:5]
	s_cbranch_execz .LBB2_13028
.LBB2_13027:
	v_mov_b32_e32 v2, 8
	v_and_b32_e32 v3, 7, v9
	v_lshrrev_b32_sdwa v2, v2, v9 dst_sel:BYTE_1 dst_unused:UNUSED_PAD src0_sel:DWORD src1_sel:DWORD
	v_ffbh_u32_e32 v4, v3
	v_or_b32_sdwa v2, v9, v2 dst_sel:DWORD dst_unused:UNUSED_PAD src0_sel:BYTE_0 src1_sel:DWORD
	v_min_u32_e32 v4, 32, v4
	v_lshrrev_b16_e32 v2, 3, v2
	v_subrev_u32_e32 v6, 28, v4
	v_and_b32_e32 v2, 15, v2
	v_lshlrev_b32_e32 v6, v6, v9
	v_sub_u32_e32 v4, 29, v4
	v_and_b32_e32 v6, 7, v6
	v_cmp_eq_u16_e32 vcc, 0, v2
	v_cndmask_b32_e32 v3, v3, v6, vcc
	v_cndmask_b32_e32 v2, v2, v4, vcc
	v_lshlrev_b32_e32 v4, 24, v9
	v_mov_b32_e32 v6, 0x3b800000
	v_lshlrev_b32_e32 v3, 20, v3
	v_and_b32_e32 v4, 0x80000000, v4
	v_lshl_add_u32 v2, v2, 23, v6
	v_or3_b32 v2, v4, v2, v3
.LBB2_13028:
	s_or_b64 exec, exec, s[6:7]
	s_movk_i32 s4, 0x7f
	v_cmp_gt_i16_sdwa s[6:7], v5, s4 src0_sel:BYTE_0 src1_sel:DWORD
	s_mov_b64 s[4:5], 0
                                        ; implicit-def: $sgpr10
	s_and_saveexec_b64 s[8:9], s[6:7]
	s_xor_b64 s[6:7], exec, s[8:9]
	s_cbranch_execz .LBB2_13029
; %bb.48869:
	s_getpc_b64 s[14:15]
.Lpost_getpc28018:
	s_add_u32 s14, s14, (.LBB2_27365-.Lpost_getpc28018)&4294967295
	s_addc_u32 s15, s15, (.LBB2_27365-.Lpost_getpc28018)>>32
	s_setpc_b64 s[14:15]
.LBB2_13029:
	s_or_saveexec_b64 s[6:7], s[6:7]
	v_mov_b32_e32 v3, s10
	s_xor_b64 exec, exec, s[6:7]
	s_cbranch_execz .LBB2_13030
; %bb.48871:
	s_getpc_b64 s[14:15]
.Lpost_getpc28019:
	s_add_u32 s14, s14, (.LBB2_27368-.Lpost_getpc28019)&4294967295
	s_addc_u32 s15, s15, (.LBB2_27368-.Lpost_getpc28019)>>32
	s_setpc_b64 s[14:15]
.LBB2_13030:
	s_or_b64 exec, exec, s[6:7]
	s_and_saveexec_b64 s[6:7], s[4:5]
	s_cbranch_execz .LBB2_13032
.LBB2_13031:
	v_mov_b32_e32 v3, 8
	v_and_b32_e32 v4, 7, v5
	v_lshrrev_b32_sdwa v3, v3, v5 dst_sel:BYTE_1 dst_unused:UNUSED_PAD src0_sel:DWORD src1_sel:DWORD
	v_ffbh_u32_e32 v6, v4
	v_or_b32_sdwa v3, v5, v3 dst_sel:DWORD dst_unused:UNUSED_PAD src0_sel:BYTE_0 src1_sel:DWORD
	v_min_u32_e32 v6, 32, v6
	v_lshrrev_b16_e32 v3, 3, v3
	v_subrev_u32_e32 v7, 28, v6
	v_and_b32_e32 v3, 15, v3
	v_lshlrev_b32_e32 v7, v7, v5
	v_sub_u32_e32 v6, 29, v6
	v_and_b32_e32 v7, 7, v7
	v_cmp_eq_u16_e32 vcc, 0, v3
	v_cndmask_b32_e32 v4, v4, v7, vcc
	v_cndmask_b32_e32 v3, v3, v6, vcc
	v_lshlrev_b32_e32 v6, 24, v5
	v_mov_b32_e32 v7, 0x3b800000
	v_lshlrev_b32_e32 v4, 20, v4
	v_and_b32_e32 v6, 0x80000000, v6
	v_lshl_add_u32 v3, v3, 23, v7
	v_or3_b32 v3, v6, v3, v4
.LBB2_13032:
	s_or_b64 exec, exec, s[6:7]
	s_nop 0
	v_mfma_f32_16x16x4f32 a[0:3], v2, v3, a[0:3]
	v_lshrrev_b32_e32 v3, 8, v9
	s_movk_i32 s4, 0x7f
	v_cmp_gt_i16_sdwa s[6:7], v3, s4 src0_sel:BYTE_0 src1_sel:DWORD
	s_mov_b64 s[4:5], 0
                                        ; implicit-def: $sgpr10
	s_and_saveexec_b64 s[8:9], s[6:7]
	s_xor_b64 s[6:7], exec, s[8:9]
	s_cbranch_execz .LBB2_13033
; %bb.48873:
	s_getpc_b64 s[14:15]
.Lpost_getpc28020:
	s_add_u32 s14, s14, (.LBB2_27369-.Lpost_getpc28020)&4294967295
	s_addc_u32 s15, s15, (.LBB2_27369-.Lpost_getpc28020)>>32
	s_setpc_b64 s[14:15]
.LBB2_13033:
	s_or_saveexec_b64 s[6:7], s[6:7]
	v_mov_b32_e32 v2, s10
	s_xor_b64 exec, exec, s[6:7]
	s_cbranch_execz .LBB2_13034
; %bb.48875:
	s_getpc_b64 s[14:15]
.Lpost_getpc28021:
	s_add_u32 s14, s14, (.LBB2_27372-.Lpost_getpc28021)&4294967295
	s_addc_u32 s15, s15, (.LBB2_27372-.Lpost_getpc28021)>>32
	s_setpc_b64 s[14:15]
.LBB2_13034:
	s_or_b64 exec, exec, s[6:7]
	s_and_saveexec_b64 s[6:7], s[4:5]
	s_cbranch_execz .LBB2_13036
.LBB2_13035:
	v_bfe_u32 v2, v9, 8, 3
	v_ffbh_u32_e32 v6, v2
	v_min_u32_e32 v6, 32, v6
	v_lshrrev_b16_e32 v4, 3, v3
	v_subrev_u32_e32 v7, 28, v6
	v_and_b32_e32 v4, 15, v4
	v_lshlrev_b32_e32 v3, v7, v3
	v_sub_u32_e32 v6, 29, v6
	v_and_b32_e32 v3, 7, v3
	v_cmp_eq_u16_e32 vcc, 0, v4
	v_cndmask_b32_e32 v2, v2, v3, vcc
	v_cndmask_b32_e32 v3, v4, v6, vcc
	v_lshlrev_b32_e32 v4, 16, v9
	v_mov_b32_e32 v6, 0x3b800000
	v_lshlrev_b32_e32 v2, 20, v2
	v_and_b32_e32 v4, 0x80000000, v4
	v_lshl_add_u32 v3, v3, 23, v6
	v_or3_b32 v2, v4, v3, v2
.LBB2_13036:
	s_or_b64 exec, exec, s[6:7]
	v_lshrrev_b32_e32 v3, 8, v5
	s_movk_i32 s4, 0x7f
	v_cmp_gt_i16_sdwa s[6:7], v3, s4 src0_sel:BYTE_0 src1_sel:DWORD
	s_mov_b64 s[4:5], 0
                                        ; implicit-def: $sgpr10
	s_and_saveexec_b64 s[8:9], s[6:7]
	s_xor_b64 s[6:7], exec, s[8:9]
	s_cbranch_execz .LBB2_13037
; %bb.48877:
	s_getpc_b64 s[14:15]
.Lpost_getpc28022:
	s_add_u32 s14, s14, (.LBB2_27373-.Lpost_getpc28022)&4294967295
	s_addc_u32 s15, s15, (.LBB2_27373-.Lpost_getpc28022)>>32
	s_setpc_b64 s[14:15]
.LBB2_13037:
	s_or_saveexec_b64 s[6:7], s[6:7]
	v_mov_b32_e32 v4, s10
	s_xor_b64 exec, exec, s[6:7]
	s_cbranch_execz .LBB2_13038
; %bb.48879:
	s_getpc_b64 s[14:15]
.Lpost_getpc28023:
	s_add_u32 s14, s14, (.LBB2_27376-.Lpost_getpc28023)&4294967295
	s_addc_u32 s15, s15, (.LBB2_27376-.Lpost_getpc28023)>>32
	s_setpc_b64 s[14:15]
.LBB2_13038:
	s_or_b64 exec, exec, s[6:7]
	s_and_saveexec_b64 s[6:7], s[4:5]
	s_cbranch_execz .LBB2_13040
.LBB2_13039:
	v_bfe_u32 v4, v5, 8, 3
	v_ffbh_u32_e32 v7, v4
	v_min_u32_e32 v7, 32, v7
	v_lshrrev_b16_e32 v6, 3, v3
	v_subrev_u32_e32 v8, 28, v7
	v_and_b32_e32 v6, 15, v6
	v_lshlrev_b32_e32 v3, v8, v3
	v_sub_u32_e32 v7, 29, v7
	v_and_b32_e32 v3, 7, v3
	v_cmp_eq_u16_e32 vcc, 0, v6
	v_cndmask_b32_e32 v3, v4, v3, vcc
	v_cndmask_b32_e32 v4, v6, v7, vcc
	v_lshlrev_b32_e32 v6, 16, v5
	v_mov_b32_e32 v7, 0x3b800000
	v_lshlrev_b32_e32 v3, 20, v3
	v_and_b32_e32 v6, 0x80000000, v6
	v_lshl_add_u32 v4, v4, 23, v7
	v_or3_b32 v4, v6, v4, v3
.LBB2_13040:
	s_or_b64 exec, exec, s[6:7]
	s_nop 0
	v_mfma_f32_16x16x4f32 a[0:3], v2, v4, a[0:3]
	s_movk_i32 s4, 0xff
	v_and_b32_sdwa v3, v9, s4 dst_sel:DWORD dst_unused:UNUSED_PAD src0_sel:WORD_1 src1_sel:DWORD
	s_movk_i32 s4, 0x7f
	v_cmp_lt_i16_e32 vcc, s4, v3
	s_mov_b64 s[4:5], 0
                                        ; implicit-def: $sgpr10
	s_and_saveexec_b64 s[6:7], vcc
	s_xor_b64 s[6:7], exec, s[6:7]
	s_cbranch_execz .LBB2_13041
; %bb.48881:
	s_getpc_b64 s[14:15]
.Lpost_getpc28024:
	s_add_u32 s14, s14, (.LBB2_27377-.Lpost_getpc28024)&4294967295
	s_addc_u32 s15, s15, (.LBB2_27377-.Lpost_getpc28024)>>32
	s_setpc_b64 s[14:15]
.LBB2_13041:
	s_or_saveexec_b64 s[6:7], s[6:7]
	v_mov_b32_e32 v2, s10
	s_xor_b64 exec, exec, s[6:7]
	s_cbranch_execz .LBB2_13042
; %bb.48883:
	s_getpc_b64 s[14:15]
.Lpost_getpc28025:
	s_add_u32 s14, s14, (.LBB2_27380-.Lpost_getpc28025)&4294967295
	s_addc_u32 s15, s15, (.LBB2_27380-.Lpost_getpc28025)>>32
	s_setpc_b64 s[14:15]
.LBB2_13042:
	s_or_b64 exec, exec, s[6:7]
	s_and_saveexec_b64 s[6:7], s[4:5]
	s_cbranch_execz .LBB2_13044
.LBB2_13043:
	v_bfe_u32 v2, v9, 16, 3
	v_ffbh_u32_e32 v6, v2
	v_min_u32_e32 v6, 32, v6
	v_lshrrev_b32_e32 v3, 19, v9
	v_subrev_u32_e32 v7, 28, v6
	v_and_b32_e32 v3, 15, v3
	v_lshlrev_b32_sdwa v7, v7, v9 dst_sel:DWORD dst_unused:UNUSED_PAD src0_sel:DWORD src1_sel:WORD_1
	v_bfe_u32 v4, v9, 19, 4
	v_sub_u32_e32 v6, 29, v6
	v_and_b32_e32 v7, 7, v7
	v_cmp_eq_u16_e32 vcc, 0, v3
	v_cndmask_b32_e32 v2, v2, v7, vcc
	v_cndmask_b32_e32 v3, v4, v6, vcc
	v_lshlrev_b32_e32 v4, 8, v9
	v_mov_b32_e32 v6, 0x3b800000
	v_lshlrev_b32_e32 v2, 20, v2
	v_and_b32_e32 v4, 0x80000000, v4
	v_lshl_add_u32 v3, v3, 23, v6
	v_or3_b32 v2, v4, v3, v2
.LBB2_13044:
	s_or_b64 exec, exec, s[6:7]
	s_movk_i32 s4, 0xff
	v_and_b32_sdwa v3, v5, s4 dst_sel:DWORD dst_unused:UNUSED_PAD src0_sel:WORD_1 src1_sel:DWORD
	s_movk_i32 s4, 0x7f
	v_cmp_lt_i16_e32 vcc, s4, v3
	s_mov_b64 s[4:5], 0
                                        ; implicit-def: $sgpr10
	s_and_saveexec_b64 s[6:7], vcc
	s_xor_b64 s[6:7], exec, s[6:7]
	s_cbranch_execz .LBB2_13045
; %bb.48885:
	s_getpc_b64 s[14:15]
.Lpost_getpc28026:
	s_add_u32 s14, s14, (.LBB2_27381-.Lpost_getpc28026)&4294967295
	s_addc_u32 s15, s15, (.LBB2_27381-.Lpost_getpc28026)>>32
	s_setpc_b64 s[14:15]
.LBB2_13045:
	s_or_saveexec_b64 s[6:7], s[6:7]
	v_mov_b32_e32 v4, s10
	s_xor_b64 exec, exec, s[6:7]
	s_cbranch_execz .LBB2_13046
; %bb.48887:
	s_getpc_b64 s[14:15]
.Lpost_getpc28027:
	s_add_u32 s14, s14, (.LBB2_27384-.Lpost_getpc28027)&4294967295
	s_addc_u32 s15, s15, (.LBB2_27384-.Lpost_getpc28027)>>32
	s_setpc_b64 s[14:15]
.LBB2_13046:
	s_or_b64 exec, exec, s[6:7]
	s_and_saveexec_b64 s[6:7], s[4:5]
	s_cbranch_execz .LBB2_13048
.LBB2_13047:
	v_bfe_u32 v3, v5, 16, 3
	v_ffbh_u32_e32 v7, v3
	v_min_u32_e32 v7, 32, v7
	v_lshrrev_b32_e32 v4, 19, v5
	v_subrev_u32_e32 v8, 28, v7
	v_and_b32_e32 v4, 15, v4
	v_lshlrev_b32_sdwa v8, v8, v5 dst_sel:DWORD dst_unused:UNUSED_PAD src0_sel:DWORD src1_sel:WORD_1
	v_bfe_u32 v6, v5, 19, 4
	v_sub_u32_e32 v7, 29, v7
	v_and_b32_e32 v8, 7, v8
	v_cmp_eq_u16_e32 vcc, 0, v4
	v_cndmask_b32_e32 v3, v3, v8, vcc
	v_cndmask_b32_e32 v4, v6, v7, vcc
	v_lshlrev_b32_e32 v6, 8, v5
	v_mov_b32_e32 v7, 0x3b800000
	v_lshlrev_b32_e32 v3, 20, v3
	v_and_b32_e32 v6, 0x80000000, v6
	v_lshl_add_u32 v4, v4, 23, v7
	v_or3_b32 v4, v6, v4, v3
.LBB2_13048:
	s_or_b64 exec, exec, s[6:7]
	s_nop 0
	v_mfma_f32_16x16x4f32 a[0:3], v2, v4, a[0:3]
	s_movk_i32 s4, 0x7f
	v_cmp_gt_i16_sdwa s[6:7], v9, s4 src0_sel:BYTE_3 src1_sel:DWORD
	s_mov_b64 s[4:5], 0
                                        ; implicit-def: $sgpr10
	s_and_saveexec_b64 s[8:9], s[6:7]
	s_xor_b64 s[6:7], exec, s[8:9]
	s_cbranch_execz .LBB2_13049
; %bb.48889:
	s_getpc_b64 s[14:15]
.Lpost_getpc28028:
	s_add_u32 s14, s14, (.LBB2_27385-.Lpost_getpc28028)&4294967295
	s_addc_u32 s15, s15, (.LBB2_27385-.Lpost_getpc28028)>>32
	s_setpc_b64 s[14:15]
.LBB2_13049:
	s_or_saveexec_b64 s[6:7], s[6:7]
	v_mov_b32_e32 v2, s10
	s_xor_b64 exec, exec, s[6:7]
	s_cbranch_execz .LBB2_13050
; %bb.48891:
	s_getpc_b64 s[14:15]
.Lpost_getpc28029:
	s_add_u32 s14, s14, (.LBB2_27388-.Lpost_getpc28029)&4294967295
	s_addc_u32 s15, s15, (.LBB2_27388-.Lpost_getpc28029)>>32
	s_setpc_b64 s[14:15]
.LBB2_13050:
	s_or_b64 exec, exec, s[6:7]
	s_and_saveexec_b64 s[6:7], s[4:5]
	s_cbranch_execz .LBB2_13052
.LBB2_13051:
	v_bfe_u32 v2, v9, 24, 3
	v_ffbh_u32_e32 v7, v2
	v_min_u32_e32 v7, 32, v7
	v_lshrrev_b32_e32 v4, 27, v9
	v_subrev_u32_e32 v8, 28, v7
	v_and_b32_e32 v4, 15, v4
	v_lshlrev_b32_sdwa v8, v8, v9 dst_sel:DWORD dst_unused:UNUSED_PAD src0_sel:DWORD src1_sel:BYTE_3
	v_bfe_u32 v6, v9, 27, 4
	v_sub_u32_e32 v7, 29, v7
	v_and_b32_e32 v8, 7, v8
	v_cmp_eq_u16_e32 vcc, 0, v4
	v_cndmask_b32_e32 v2, v2, v8, vcc
	v_cndmask_b32_e32 v4, v6, v7, vcc
	v_mov_b32_e32 v6, 0x3b800000
	v_and_b32_e32 v3, 0x80000000, v9
	v_lshlrev_b32_e32 v2, 20, v2
	v_lshl_add_u32 v4, v4, 23, v6
	v_or3_b32 v2, v3, v4, v2
.LBB2_13052:
	s_or_b64 exec, exec, s[6:7]
	s_movk_i32 s4, 0x7f
	v_cmp_gt_i16_sdwa s[6:7], v5, s4 src0_sel:BYTE_3 src1_sel:DWORD
	s_mov_b64 s[4:5], 0
                                        ; implicit-def: $sgpr10
	s_and_saveexec_b64 s[8:9], s[6:7]
	s_xor_b64 s[6:7], exec, s[8:9]
	s_cbranch_execz .LBB2_13053
; %bb.48893:
	s_getpc_b64 s[14:15]
.Lpost_getpc28030:
	s_add_u32 s14, s14, (.LBB2_27389-.Lpost_getpc28030)&4294967295
	s_addc_u32 s15, s15, (.LBB2_27389-.Lpost_getpc28030)>>32
	s_setpc_b64 s[14:15]
.LBB2_13053:
	s_or_saveexec_b64 s[6:7], s[6:7]
	v_mov_b32_e32 v3, s10
	s_xor_b64 exec, exec, s[6:7]
	s_cbranch_execz .LBB2_13054
; %bb.48895:
	s_getpc_b64 s[14:15]
.Lpost_getpc28031:
	s_add_u32 s14, s14, (.LBB2_27392-.Lpost_getpc28031)&4294967295
	s_addc_u32 s15, s15, (.LBB2_27392-.Lpost_getpc28031)>>32
	s_setpc_b64 s[14:15]
.LBB2_13054:
	s_or_b64 exec, exec, s[6:7]
	s_and_saveexec_b64 s[6:7], s[4:5]
	s_cbranch_execz .LBB2_13056
.LBB2_13055:
	v_bfe_u32 v3, v5, 24, 3
	v_ffbh_u32_e32 v8, v3
	v_min_u32_e32 v8, 32, v8
	v_lshrrev_b32_e32 v6, 27, v5
	v_subrev_u32_e32 v9, 28, v8
	v_and_b32_e32 v4, 0x80000000, v5
	v_and_b32_e32 v6, 15, v6
	v_bfe_u32 v7, v5, 27, 4
	v_lshlrev_b32_sdwa v5, v9, v5 dst_sel:DWORD dst_unused:UNUSED_PAD src0_sel:DWORD src1_sel:BYTE_3
	v_sub_u32_e32 v8, 29, v8
	v_and_b32_e32 v5, 7, v5
	v_cmp_eq_u16_e32 vcc, 0, v6
	v_cndmask_b32_e32 v3, v3, v5, vcc
	v_cndmask_b32_e32 v5, v7, v8, vcc
	v_mov_b32_e32 v6, 0x3b800000
	v_lshlrev_b32_e32 v3, 20, v3
	v_lshl_add_u32 v5, v5, 23, v6
	v_or3_b32 v3, v4, v5, v3
.LBB2_13056:
	s_or_b64 exec, exec, s[6:7]
	s_nop 0
	v_mfma_f32_16x16x4f32 a[0:3], v2, v3, a[0:3]
	s_movk_i32 s4, 0x7f
                                        ; implicit-def: $sgpr10
	s_nop 7
	s_nop 1
	flat_store_dwordx4 v[10:11], a[0:3] offset:720
	flat_load_dwordx4 v[12:15], v[0:1]
	s_nop 0
	flat_load_dwordx2 v[10:11], v[0:1] offset:16
	s_waitcnt vmcnt(0) lgkmcnt(0)
	flat_load_dwordx4 v[6:9], v[12:13] offset:192
	flat_load_dwordx4 v[2:5], v[14:15] offset:224
	s_waitcnt vmcnt(0) lgkmcnt(0)
	v_cmp_gt_i16_sdwa s[6:7], v6, s4 src0_sel:BYTE_0 src1_sel:DWORD
	s_mov_b64 s[4:5], 0
	s_and_saveexec_b64 s[8:9], s[6:7]
	s_xor_b64 s[6:7], exec, s[8:9]
	s_cbranch_execz .LBB2_13057
; %bb.48897:
	s_getpc_b64 s[14:15]
.Lpost_getpc28032:
	s_add_u32 s14, s14, (.LBB2_27393-.Lpost_getpc28032)&4294967295
	s_addc_u32 s15, s15, (.LBB2_27393-.Lpost_getpc28032)>>32
	s_setpc_b64 s[14:15]
.LBB2_13057:
	s_or_saveexec_b64 s[6:7], s[6:7]
	v_mov_b32_e32 v12, s10
	s_xor_b64 exec, exec, s[6:7]
	s_cbranch_execz .LBB2_13058
; %bb.48899:
	s_getpc_b64 s[14:15]
.Lpost_getpc28033:
	s_add_u32 s14, s14, (.LBB2_27396-.Lpost_getpc28033)&4294967295
	s_addc_u32 s15, s15, (.LBB2_27396-.Lpost_getpc28033)>>32
	s_setpc_b64 s[14:15]
.LBB2_13058:
	s_or_b64 exec, exec, s[6:7]
	s_and_saveexec_b64 s[6:7], s[4:5]
	s_cbranch_execz .LBB2_13060
.LBB2_13059:
	v_and_b32_e32 v12, 7, v6
	v_ffbh_u32_e32 v14, v12
	v_min_u32_e32 v14, 32, v14
	v_lshrrev_b16_e32 v13, 3, v6
	v_subrev_u32_e32 v15, 28, v14
	v_and_b32_e32 v13, 15, v13
	v_lshlrev_b32_e32 v15, v15, v6
	v_sub_u32_e32 v14, 29, v14
	v_and_b32_e32 v15, 7, v15
	v_cmp_eq_u16_e32 vcc, 0, v13
	v_cndmask_b32_e32 v12, v12, v15, vcc
	v_cndmask_b32_e32 v13, v13, v14, vcc
	v_lshlrev_b32_e32 v14, 24, v6
	v_mov_b32_e32 v15, 0x3b800000
	v_lshlrev_b32_e32 v12, 20, v12
	v_and_b32_e32 v14, 0x80000000, v14
	v_lshl_add_u32 v13, v13, 23, v15
	v_or3_b32 v12, v14, v13, v12
.LBB2_13060:
	s_or_b64 exec, exec, s[6:7]
	s_movk_i32 s4, 0x7f
	v_cmp_gt_i16_sdwa s[6:7], v2, s4 src0_sel:BYTE_0 src1_sel:DWORD
	s_mov_b64 s[4:5], 0
                                        ; implicit-def: $sgpr10
	s_and_saveexec_b64 s[8:9], s[6:7]
	s_xor_b64 s[6:7], exec, s[8:9]
	s_cbranch_execz .LBB2_13061
; %bb.48901:
	s_getpc_b64 s[14:15]
.Lpost_getpc28034:
	s_add_u32 s14, s14, (.LBB2_27397-.Lpost_getpc28034)&4294967295
	s_addc_u32 s15, s15, (.LBB2_27397-.Lpost_getpc28034)>>32
	s_setpc_b64 s[14:15]
.LBB2_13061:
	s_or_saveexec_b64 s[6:7], s[6:7]
	v_mov_b32_e32 v13, s10
	s_xor_b64 exec, exec, s[6:7]
	s_cbranch_execz .LBB2_13062
; %bb.48903:
	s_getpc_b64 s[14:15]
.Lpost_getpc28035:
	s_add_u32 s14, s14, (.LBB2_27400-.Lpost_getpc28035)&4294967295
	s_addc_u32 s15, s15, (.LBB2_27400-.Lpost_getpc28035)>>32
	s_setpc_b64 s[14:15]
.LBB2_13062:
	s_or_b64 exec, exec, s[6:7]
	s_and_saveexec_b64 s[6:7], s[4:5]
	s_cbranch_execz .LBB2_13064
.LBB2_13063:
	v_and_b32_e32 v13, 7, v2
	v_ffbh_u32_e32 v15, v13
	v_min_u32_e32 v15, 32, v15
	v_lshrrev_b16_e32 v14, 3, v2
	v_subrev_u32_e32 v16, 28, v15
	v_and_b32_e32 v14, 15, v14
	v_lshlrev_b32_e32 v16, v16, v2
	v_sub_u32_e32 v15, 29, v15
	v_and_b32_e32 v16, 7, v16
	v_cmp_eq_u16_e32 vcc, 0, v14
	v_cndmask_b32_e32 v13, v13, v16, vcc
	v_cndmask_b32_e32 v14, v14, v15, vcc
	v_lshlrev_b32_e32 v15, 24, v2
	v_mov_b32_e32 v16, 0x3b800000
	v_lshlrev_b32_e32 v13, 20, v13
	v_and_b32_e32 v15, 0x80000000, v15
	v_lshl_add_u32 v14, v14, 23, v16
	v_or3_b32 v13, v15, v14, v13
.LBB2_13064:
	s_or_b64 exec, exec, s[6:7]
	flat_load_dwordx4 a[0:3], v[10:11] offset:736
	s_movk_i32 s4, 0x7f
                                        ; implicit-def: $sgpr10
	s_waitcnt vmcnt(0) lgkmcnt(0)
	v_mfma_f32_16x16x4f32 a[0:3], v12, v13, a[0:3]
	v_lshrrev_b32_e32 v13, 8, v6
	v_cmp_gt_i16_sdwa s[6:7], v13, s4 src0_sel:BYTE_0 src1_sel:DWORD
	s_mov_b64 s[4:5], 0
	s_and_saveexec_b64 s[8:9], s[6:7]
	s_xor_b64 s[6:7], exec, s[8:9]
	s_cbranch_execz .LBB2_13065
; %bb.48905:
	s_getpc_b64 s[14:15]
.Lpost_getpc28036:
	s_add_u32 s14, s14, (.LBB2_27401-.Lpost_getpc28036)&4294967295
	s_addc_u32 s15, s15, (.LBB2_27401-.Lpost_getpc28036)>>32
	s_setpc_b64 s[14:15]
.LBB2_13065:
	s_or_saveexec_b64 s[6:7], s[6:7]
	v_mov_b32_e32 v12, s10
	s_xor_b64 exec, exec, s[6:7]
	s_cbranch_execz .LBB2_13066
; %bb.48907:
	s_getpc_b64 s[14:15]
.Lpost_getpc28037:
	s_add_u32 s14, s14, (.LBB2_27404-.Lpost_getpc28037)&4294967295
	s_addc_u32 s15, s15, (.LBB2_27404-.Lpost_getpc28037)>>32
	s_setpc_b64 s[14:15]
.LBB2_13066:
	s_or_b64 exec, exec, s[6:7]
	s_and_saveexec_b64 s[6:7], s[4:5]
	s_cbranch_execz .LBB2_13068
.LBB2_13067:
	v_bfe_u32 v12, v6, 8, 3
	v_ffbh_u32_e32 v15, v12
	v_min_u32_e32 v15, 32, v15
	v_lshrrev_b16_e32 v14, 3, v13
	v_subrev_u32_e32 v16, 28, v15
	v_and_b32_e32 v14, 15, v14
	v_lshlrev_b32_e32 v13, v16, v13
	v_sub_u32_e32 v15, 29, v15
	v_and_b32_e32 v13, 7, v13
	v_cmp_eq_u16_e32 vcc, 0, v14
	v_cndmask_b32_e32 v12, v12, v13, vcc
	v_cndmask_b32_e32 v13, v14, v15, vcc
	v_lshlrev_b32_e32 v14, 16, v6
	v_mov_b32_e32 v15, 0x3b800000
	v_lshlrev_b32_e32 v12, 20, v12
	v_and_b32_e32 v14, 0x80000000, v14
	v_lshl_add_u32 v13, v13, 23, v15
	v_or3_b32 v12, v14, v13, v12
.LBB2_13068:
	s_or_b64 exec, exec, s[6:7]
	v_lshrrev_b32_e32 v13, 8, v2
	s_movk_i32 s4, 0x7f
	v_cmp_gt_i16_sdwa s[6:7], v13, s4 src0_sel:BYTE_0 src1_sel:DWORD
	s_mov_b64 s[4:5], 0
                                        ; implicit-def: $sgpr10
	s_and_saveexec_b64 s[8:9], s[6:7]
	s_xor_b64 s[6:7], exec, s[8:9]
	s_cbranch_execz .LBB2_13069
; %bb.48909:
	s_getpc_b64 s[14:15]
.Lpost_getpc28038:
	s_add_u32 s14, s14, (.LBB2_27405-.Lpost_getpc28038)&4294967295
	s_addc_u32 s15, s15, (.LBB2_27405-.Lpost_getpc28038)>>32
	s_setpc_b64 s[14:15]
.LBB2_13069:
	s_or_saveexec_b64 s[6:7], s[6:7]
	v_mov_b32_e32 v14, s10
	s_xor_b64 exec, exec, s[6:7]
	s_cbranch_execz .LBB2_13070
; %bb.48911:
	s_getpc_b64 s[14:15]
.Lpost_getpc28039:
	s_add_u32 s14, s14, (.LBB2_27408-.Lpost_getpc28039)&4294967295
	s_addc_u32 s15, s15, (.LBB2_27408-.Lpost_getpc28039)>>32
	s_setpc_b64 s[14:15]
.LBB2_13070:
	s_or_b64 exec, exec, s[6:7]
	s_and_saveexec_b64 s[6:7], s[4:5]
	s_cbranch_execz .LBB2_13072
.LBB2_13071:
	v_bfe_u32 v14, v2, 8, 3
	v_ffbh_u32_e32 v16, v14
	v_min_u32_e32 v16, 32, v16
	v_lshrrev_b16_e32 v15, 3, v13
	v_subrev_u32_e32 v17, 28, v16
	v_and_b32_e32 v15, 15, v15
	v_lshlrev_b32_e32 v13, v17, v13
	v_sub_u32_e32 v16, 29, v16
	v_and_b32_e32 v13, 7, v13
	v_cmp_eq_u16_e32 vcc, 0, v15
	v_cndmask_b32_e32 v13, v14, v13, vcc
	v_cndmask_b32_e32 v14, v15, v16, vcc
	v_lshlrev_b32_e32 v15, 16, v2
	v_mov_b32_e32 v16, 0x3b800000
	v_lshlrev_b32_e32 v13, 20, v13
	v_and_b32_e32 v15, 0x80000000, v15
	v_lshl_add_u32 v14, v14, 23, v16
	v_or3_b32 v14, v15, v14, v13
.LBB2_13072:
	s_or_b64 exec, exec, s[6:7]
	s_nop 0
	v_mfma_f32_16x16x4f32 a[0:3], v12, v14, a[0:3]
	s_movk_i32 s4, 0xff
	v_and_b32_sdwa v13, v6, s4 dst_sel:DWORD dst_unused:UNUSED_PAD src0_sel:WORD_1 src1_sel:DWORD
	s_movk_i32 s4, 0x7f
	v_cmp_lt_i16_e32 vcc, s4, v13
	s_mov_b64 s[4:5], 0
                                        ; implicit-def: $sgpr10
	s_and_saveexec_b64 s[6:7], vcc
	s_xor_b64 s[6:7], exec, s[6:7]
	s_cbranch_execz .LBB2_13073
; %bb.48913:
	s_getpc_b64 s[14:15]
.Lpost_getpc28040:
	s_add_u32 s14, s14, (.LBB2_27409-.Lpost_getpc28040)&4294967295
	s_addc_u32 s15, s15, (.LBB2_27409-.Lpost_getpc28040)>>32
	s_setpc_b64 s[14:15]
.LBB2_13073:
	s_or_saveexec_b64 s[6:7], s[6:7]
	v_mov_b32_e32 v12, s10
	s_xor_b64 exec, exec, s[6:7]
	s_cbranch_execz .LBB2_13074
; %bb.48915:
	s_getpc_b64 s[14:15]
.Lpost_getpc28041:
	s_add_u32 s14, s14, (.LBB2_27412-.Lpost_getpc28041)&4294967295
	s_addc_u32 s15, s15, (.LBB2_27412-.Lpost_getpc28041)>>32
	s_setpc_b64 s[14:15]
.LBB2_13074:
	s_or_b64 exec, exec, s[6:7]
	s_and_saveexec_b64 s[6:7], s[4:5]
	s_cbranch_execz .LBB2_13076
.LBB2_13075:
	v_bfe_u32 v12, v6, 16, 3
	v_ffbh_u32_e32 v15, v12
	v_min_u32_e32 v15, 32, v15
	v_lshrrev_b32_e32 v13, 19, v6
	v_subrev_u32_e32 v16, 28, v15
	v_and_b32_e32 v13, 15, v13
	v_lshlrev_b32_sdwa v16, v16, v6 dst_sel:DWORD dst_unused:UNUSED_PAD src0_sel:DWORD src1_sel:WORD_1
	v_bfe_u32 v14, v6, 19, 4
	v_sub_u32_e32 v15, 29, v15
	v_and_b32_e32 v16, 7, v16
	v_cmp_eq_u16_e32 vcc, 0, v13
	v_cndmask_b32_e32 v12, v12, v16, vcc
	v_cndmask_b32_e32 v13, v14, v15, vcc
	v_lshlrev_b32_e32 v14, 8, v6
	v_mov_b32_e32 v15, 0x3b800000
	v_lshlrev_b32_e32 v12, 20, v12
	v_and_b32_e32 v14, 0x80000000, v14
	v_lshl_add_u32 v13, v13, 23, v15
	v_or3_b32 v12, v14, v13, v12
.LBB2_13076:
	s_or_b64 exec, exec, s[6:7]
	s_movk_i32 s4, 0xff
	v_and_b32_sdwa v13, v2, s4 dst_sel:DWORD dst_unused:UNUSED_PAD src0_sel:WORD_1 src1_sel:DWORD
	s_movk_i32 s4, 0x7f
	v_cmp_lt_i16_e32 vcc, s4, v13
	s_mov_b64 s[4:5], 0
                                        ; implicit-def: $sgpr10
	s_and_saveexec_b64 s[6:7], vcc
	s_xor_b64 s[6:7], exec, s[6:7]
	s_cbranch_execz .LBB2_13077
; %bb.48917:
	s_getpc_b64 s[14:15]
.Lpost_getpc28042:
	s_add_u32 s14, s14, (.LBB2_27413-.Lpost_getpc28042)&4294967295
	s_addc_u32 s15, s15, (.LBB2_27413-.Lpost_getpc28042)>>32
	s_setpc_b64 s[14:15]
.LBB2_13077:
	s_or_saveexec_b64 s[6:7], s[6:7]
	v_mov_b32_e32 v14, s10
	s_xor_b64 exec, exec, s[6:7]
	s_cbranch_execz .LBB2_13078
; %bb.48919:
	s_getpc_b64 s[14:15]
.Lpost_getpc28043:
	s_add_u32 s14, s14, (.LBB2_27416-.Lpost_getpc28043)&4294967295
	s_addc_u32 s15, s15, (.LBB2_27416-.Lpost_getpc28043)>>32
	s_setpc_b64 s[14:15]
.LBB2_13078:
	s_or_b64 exec, exec, s[6:7]
	s_and_saveexec_b64 s[6:7], s[4:5]
	s_cbranch_execz .LBB2_13080
.LBB2_13079:
	v_bfe_u32 v13, v2, 16, 3
	v_ffbh_u32_e32 v16, v13
	v_min_u32_e32 v16, 32, v16
	v_lshrrev_b32_e32 v14, 19, v2
	v_subrev_u32_e32 v17, 28, v16
	v_and_b32_e32 v14, 15, v14
	v_lshlrev_b32_sdwa v17, v17, v2 dst_sel:DWORD dst_unused:UNUSED_PAD src0_sel:DWORD src1_sel:WORD_1
	v_bfe_u32 v15, v2, 19, 4
	v_sub_u32_e32 v16, 29, v16
	v_and_b32_e32 v17, 7, v17
	v_cmp_eq_u16_e32 vcc, 0, v14
	v_cndmask_b32_e32 v13, v13, v17, vcc
	v_cndmask_b32_e32 v14, v15, v16, vcc
	v_lshlrev_b32_e32 v15, 8, v2
	v_mov_b32_e32 v16, 0x3b800000
	v_lshlrev_b32_e32 v13, 20, v13
	v_and_b32_e32 v15, 0x80000000, v15
	v_lshl_add_u32 v14, v14, 23, v16
	v_or3_b32 v14, v15, v14, v13
.LBB2_13080:
	s_or_b64 exec, exec, s[6:7]
	s_nop 0
	v_mfma_f32_16x16x4f32 a[0:3], v12, v14, a[0:3]
	s_movk_i32 s4, 0x7f
	v_cmp_gt_i16_sdwa s[6:7], v6, s4 src0_sel:BYTE_3 src1_sel:DWORD
	s_mov_b64 s[4:5], 0
                                        ; implicit-def: $sgpr10
	s_and_saveexec_b64 s[8:9], s[6:7]
	s_xor_b64 s[6:7], exec, s[8:9]
	s_cbranch_execz .LBB2_13081
; %bb.48921:
	s_getpc_b64 s[14:15]
.Lpost_getpc28044:
	s_add_u32 s14, s14, (.LBB2_27417-.Lpost_getpc28044)&4294967295
	s_addc_u32 s15, s15, (.LBB2_27417-.Lpost_getpc28044)>>32
	s_setpc_b64 s[14:15]
.LBB2_13081:
	s_or_saveexec_b64 s[6:7], s[6:7]
	v_mov_b32_e32 v12, s10
	s_xor_b64 exec, exec, s[6:7]
	s_cbranch_execz .LBB2_13082
; %bb.48923:
	s_getpc_b64 s[14:15]
.Lpost_getpc28045:
	s_add_u32 s14, s14, (.LBB2_27420-.Lpost_getpc28045)&4294967295
	s_addc_u32 s15, s15, (.LBB2_27420-.Lpost_getpc28045)>>32
	s_setpc_b64 s[14:15]
.LBB2_13082:
	s_or_b64 exec, exec, s[6:7]
	s_and_saveexec_b64 s[6:7], s[4:5]
	s_cbranch_execz .LBB2_13084
.LBB2_13083:
	v_bfe_u32 v12, v6, 24, 3
	v_ffbh_u32_e32 v16, v12
	v_min_u32_e32 v16, 32, v16
	v_lshrrev_b32_e32 v14, 27, v6
	v_subrev_u32_e32 v17, 28, v16
	v_and_b32_e32 v13, 0x80000000, v6
	v_and_b32_e32 v14, 15, v14
	v_bfe_u32 v15, v6, 27, 4
	v_lshlrev_b32_sdwa v6, v17, v6 dst_sel:DWORD dst_unused:UNUSED_PAD src0_sel:DWORD src1_sel:BYTE_3
	v_sub_u32_e32 v16, 29, v16
	v_and_b32_e32 v6, 7, v6
	v_cmp_eq_u16_e32 vcc, 0, v14
	v_cndmask_b32_e32 v6, v12, v6, vcc
	v_cndmask_b32_e32 v12, v15, v16, vcc
	v_mov_b32_e32 v14, 0x3b800000
	v_lshlrev_b32_e32 v6, 20, v6
	v_lshl_add_u32 v12, v12, 23, v14
	v_or3_b32 v12, v13, v12, v6
.LBB2_13084:
	s_or_b64 exec, exec, s[6:7]
	s_movk_i32 s4, 0x7f
	v_cmp_gt_i16_sdwa s[6:7], v2, s4 src0_sel:BYTE_3 src1_sel:DWORD
	s_mov_b64 s[4:5], 0
                                        ; implicit-def: $sgpr10
	s_and_saveexec_b64 s[8:9], s[6:7]
	s_xor_b64 s[6:7], exec, s[8:9]
	s_cbranch_execz .LBB2_13085
; %bb.48925:
	s_getpc_b64 s[14:15]
.Lpost_getpc28046:
	s_add_u32 s14, s14, (.LBB2_27421-.Lpost_getpc28046)&4294967295
	s_addc_u32 s15, s15, (.LBB2_27421-.Lpost_getpc28046)>>32
	s_setpc_b64 s[14:15]
.LBB2_13085:
	s_or_saveexec_b64 s[6:7], s[6:7]
	v_mov_b32_e32 v6, s10
	s_xor_b64 exec, exec, s[6:7]
	s_cbranch_execz .LBB2_13086
; %bb.48927:
	s_getpc_b64 s[14:15]
.Lpost_getpc28047:
	s_add_u32 s14, s14, (.LBB2_27424-.Lpost_getpc28047)&4294967295
	s_addc_u32 s15, s15, (.LBB2_27424-.Lpost_getpc28047)>>32
	s_setpc_b64 s[14:15]
.LBB2_13086:
	s_or_b64 exec, exec, s[6:7]
	s_and_saveexec_b64 s[6:7], s[4:5]
	s_cbranch_execz .LBB2_13088
.LBB2_13087:
	v_bfe_u32 v6, v2, 24, 3
	v_ffbh_u32_e32 v16, v6
	v_min_u32_e32 v16, 32, v16
	v_lshrrev_b32_e32 v14, 27, v2
	v_subrev_u32_e32 v17, 28, v16
	v_and_b32_e32 v13, 0x80000000, v2
	v_and_b32_e32 v14, 15, v14
	v_bfe_u32 v15, v2, 27, 4
	v_lshlrev_b32_sdwa v2, v17, v2 dst_sel:DWORD dst_unused:UNUSED_PAD src0_sel:DWORD src1_sel:BYTE_3
	v_sub_u32_e32 v16, 29, v16
	v_and_b32_e32 v2, 7, v2
	v_cmp_eq_u16_e32 vcc, 0, v14
	v_cndmask_b32_e32 v2, v6, v2, vcc
	v_cndmask_b32_e32 v6, v15, v16, vcc
	v_mov_b32_e32 v14, 0x3b800000
	v_lshlrev_b32_e32 v2, 20, v2
	v_lshl_add_u32 v6, v6, 23, v14
	v_or3_b32 v6, v13, v6, v2
.LBB2_13088:
	s_or_b64 exec, exec, s[6:7]
	s_nop 0
	v_mfma_f32_16x16x4f32 a[0:3], v12, v6, a[0:3]
	s_movk_i32 s4, 0x7f
	v_cmp_gt_i16_sdwa s[6:7], v7, s4 src0_sel:BYTE_0 src1_sel:DWORD
	s_mov_b64 s[4:5], 0
                                        ; implicit-def: $sgpr10
	s_and_saveexec_b64 s[8:9], s[6:7]
	s_xor_b64 s[6:7], exec, s[8:9]
	s_cbranch_execz .LBB2_13089
; %bb.48929:
	s_getpc_b64 s[14:15]
.Lpost_getpc28048:
	s_add_u32 s14, s14, (.LBB2_27425-.Lpost_getpc28048)&4294967295
	s_addc_u32 s15, s15, (.LBB2_27425-.Lpost_getpc28048)>>32
	s_setpc_b64 s[14:15]
.LBB2_13089:
	s_or_saveexec_b64 s[6:7], s[6:7]
	v_mov_b32_e32 v2, s10
	s_xor_b64 exec, exec, s[6:7]
	s_cbranch_execz .LBB2_13090
; %bb.48931:
	s_getpc_b64 s[14:15]
.Lpost_getpc28049:
	s_add_u32 s14, s14, (.LBB2_27428-.Lpost_getpc28049)&4294967295
	s_addc_u32 s15, s15, (.LBB2_27428-.Lpost_getpc28049)>>32
	s_setpc_b64 s[14:15]
.LBB2_13090:
	s_or_b64 exec, exec, s[6:7]
	s_and_saveexec_b64 s[6:7], s[4:5]
	s_cbranch_execz .LBB2_13092
.LBB2_13091:
	v_and_b32_e32 v2, 7, v7
	v_ffbh_u32_e32 v12, v2
	v_min_u32_e32 v12, 32, v12
	v_lshrrev_b16_e32 v6, 3, v7
	v_subrev_u32_e32 v13, 28, v12
	v_and_b32_e32 v6, 15, v6
	v_lshlrev_b32_e32 v13, v13, v7
	v_sub_u32_e32 v12, 29, v12
	v_and_b32_e32 v13, 7, v13
	v_cmp_eq_u16_e32 vcc, 0, v6
	v_cndmask_b32_e32 v2, v2, v13, vcc
	v_cndmask_b32_e32 v6, v6, v12, vcc
	v_lshlrev_b32_e32 v12, 24, v7
	v_mov_b32_e32 v13, 0x3b800000
	v_lshlrev_b32_e32 v2, 20, v2
	v_and_b32_e32 v12, 0x80000000, v12
	v_lshl_add_u32 v6, v6, 23, v13
	v_or3_b32 v2, v12, v6, v2
.LBB2_13092:
	s_or_b64 exec, exec, s[6:7]
	s_movk_i32 s4, 0x7f
	v_cmp_gt_i16_sdwa s[6:7], v3, s4 src0_sel:BYTE_0 src1_sel:DWORD
	s_mov_b64 s[4:5], 0
                                        ; implicit-def: $sgpr10
	s_and_saveexec_b64 s[8:9], s[6:7]
	s_xor_b64 s[6:7], exec, s[8:9]
	s_cbranch_execz .LBB2_13093
; %bb.48933:
	s_getpc_b64 s[14:15]
.Lpost_getpc28050:
	s_add_u32 s14, s14, (.LBB2_27429-.Lpost_getpc28050)&4294967295
	s_addc_u32 s15, s15, (.LBB2_27429-.Lpost_getpc28050)>>32
	s_setpc_b64 s[14:15]
.LBB2_13093:
	s_or_saveexec_b64 s[6:7], s[6:7]
	v_mov_b32_e32 v6, s10
	s_xor_b64 exec, exec, s[6:7]
	s_cbranch_execz .LBB2_13094
; %bb.48935:
	s_getpc_b64 s[14:15]
.Lpost_getpc28051:
	s_add_u32 s14, s14, (.LBB2_27432-.Lpost_getpc28051)&4294967295
	s_addc_u32 s15, s15, (.LBB2_27432-.Lpost_getpc28051)>>32
	s_setpc_b64 s[14:15]
.LBB2_13094:
	s_or_b64 exec, exec, s[6:7]
	s_and_saveexec_b64 s[6:7], s[4:5]
	s_cbranch_execz .LBB2_13096
.LBB2_13095:
	v_and_b32_e32 v6, 7, v3
	v_ffbh_u32_e32 v13, v6
	v_min_u32_e32 v13, 32, v13
	v_lshrrev_b16_e32 v12, 3, v3
	v_subrev_u32_e32 v14, 28, v13
	v_and_b32_e32 v12, 15, v12
	v_lshlrev_b32_e32 v14, v14, v3
	v_sub_u32_e32 v13, 29, v13
	v_and_b32_e32 v14, 7, v14
	v_cmp_eq_u16_e32 vcc, 0, v12
	v_cndmask_b32_e32 v6, v6, v14, vcc
	v_cndmask_b32_e32 v12, v12, v13, vcc
	v_lshlrev_b32_e32 v13, 24, v3
	v_mov_b32_e32 v14, 0x3b800000
	v_lshlrev_b32_e32 v6, 20, v6
	v_and_b32_e32 v13, 0x80000000, v13
	v_lshl_add_u32 v12, v12, 23, v14
	v_or3_b32 v6, v13, v12, v6
.LBB2_13096:
	s_or_b64 exec, exec, s[6:7]
	s_nop 0
	v_mfma_f32_16x16x4f32 a[0:3], v2, v6, a[0:3]
	v_lshrrev_b32_e32 v6, 8, v7
	s_movk_i32 s4, 0x7f
	v_cmp_gt_i16_sdwa s[6:7], v6, s4 src0_sel:BYTE_0 src1_sel:DWORD
	s_mov_b64 s[4:5], 0
                                        ; implicit-def: $sgpr10
	s_and_saveexec_b64 s[8:9], s[6:7]
	s_xor_b64 s[6:7], exec, s[8:9]
	s_cbranch_execz .LBB2_13097
; %bb.48937:
	s_getpc_b64 s[14:15]
.Lpost_getpc28052:
	s_add_u32 s14, s14, (.LBB2_27433-.Lpost_getpc28052)&4294967295
	s_addc_u32 s15, s15, (.LBB2_27433-.Lpost_getpc28052)>>32
	s_setpc_b64 s[14:15]
.LBB2_13097:
	s_or_saveexec_b64 s[6:7], s[6:7]
	v_mov_b32_e32 v2, s10
	s_xor_b64 exec, exec, s[6:7]
	s_cbranch_execz .LBB2_13098
; %bb.48939:
	s_getpc_b64 s[14:15]
.Lpost_getpc28053:
	s_add_u32 s14, s14, (.LBB2_27436-.Lpost_getpc28053)&4294967295
	s_addc_u32 s15, s15, (.LBB2_27436-.Lpost_getpc28053)>>32
	s_setpc_b64 s[14:15]
.LBB2_13098:
	s_or_b64 exec, exec, s[6:7]
	s_and_saveexec_b64 s[6:7], s[4:5]
	s_cbranch_execz .LBB2_13100
.LBB2_13099:
	v_bfe_u32 v2, v7, 8, 3
	v_ffbh_u32_e32 v13, v2
	v_min_u32_e32 v13, 32, v13
	v_lshrrev_b16_e32 v12, 3, v6
	v_subrev_u32_e32 v14, 28, v13
	v_and_b32_e32 v12, 15, v12
	v_lshlrev_b32_e32 v6, v14, v6
	v_sub_u32_e32 v13, 29, v13
	v_and_b32_e32 v6, 7, v6
	v_cmp_eq_u16_e32 vcc, 0, v12
	v_cndmask_b32_e32 v2, v2, v6, vcc
	v_cndmask_b32_e32 v6, v12, v13, vcc
	v_lshlrev_b32_e32 v12, 16, v7
	v_mov_b32_e32 v13, 0x3b800000
	v_lshlrev_b32_e32 v2, 20, v2
	v_and_b32_e32 v12, 0x80000000, v12
	v_lshl_add_u32 v6, v6, 23, v13
	v_or3_b32 v2, v12, v6, v2
.LBB2_13100:
	s_or_b64 exec, exec, s[6:7]
	v_lshrrev_b32_e32 v6, 8, v3
	s_movk_i32 s4, 0x7f
	v_cmp_gt_i16_sdwa s[6:7], v6, s4 src0_sel:BYTE_0 src1_sel:DWORD
	s_mov_b64 s[4:5], 0
                                        ; implicit-def: $sgpr10
	s_and_saveexec_b64 s[8:9], s[6:7]
	s_xor_b64 s[6:7], exec, s[8:9]
	s_cbranch_execz .LBB2_13101
; %bb.48941:
	s_getpc_b64 s[14:15]
.Lpost_getpc28054:
	s_add_u32 s14, s14, (.LBB2_27437-.Lpost_getpc28054)&4294967295
	s_addc_u32 s15, s15, (.LBB2_27437-.Lpost_getpc28054)>>32
	s_setpc_b64 s[14:15]
.LBB2_13101:
	s_or_saveexec_b64 s[6:7], s[6:7]
	v_mov_b32_e32 v12, s10
	s_xor_b64 exec, exec, s[6:7]
	s_cbranch_execz .LBB2_13102
; %bb.48943:
	s_getpc_b64 s[14:15]
.Lpost_getpc28055:
	s_add_u32 s14, s14, (.LBB2_27440-.Lpost_getpc28055)&4294967295
	s_addc_u32 s15, s15, (.LBB2_27440-.Lpost_getpc28055)>>32
	s_setpc_b64 s[14:15]
.LBB2_13102:
	s_or_b64 exec, exec, s[6:7]
	s_and_saveexec_b64 s[6:7], s[4:5]
	s_cbranch_execz .LBB2_13104
.LBB2_13103:
	v_bfe_u32 v12, v3, 8, 3
	v_ffbh_u32_e32 v14, v12
	v_min_u32_e32 v14, 32, v14
	v_lshrrev_b16_e32 v13, 3, v6
	v_subrev_u32_e32 v15, 28, v14
	v_and_b32_e32 v13, 15, v13
	v_lshlrev_b32_e32 v6, v15, v6
	v_sub_u32_e32 v14, 29, v14
	v_and_b32_e32 v6, 7, v6
	v_cmp_eq_u16_e32 vcc, 0, v13
	v_cndmask_b32_e32 v6, v12, v6, vcc
	v_cndmask_b32_e32 v12, v13, v14, vcc
	v_lshlrev_b32_e32 v13, 16, v3
	v_mov_b32_e32 v14, 0x3b800000
	v_lshlrev_b32_e32 v6, 20, v6
	v_and_b32_e32 v13, 0x80000000, v13
	v_lshl_add_u32 v12, v12, 23, v14
	v_or3_b32 v12, v13, v12, v6
.LBB2_13104:
	s_or_b64 exec, exec, s[6:7]
	s_nop 0
	v_mfma_f32_16x16x4f32 a[0:3], v2, v12, a[0:3]
	s_movk_i32 s4, 0xff
	v_and_b32_sdwa v6, v7, s4 dst_sel:DWORD dst_unused:UNUSED_PAD src0_sel:WORD_1 src1_sel:DWORD
	s_movk_i32 s4, 0x7f
	v_cmp_lt_i16_e32 vcc, s4, v6
	s_mov_b64 s[4:5], 0
                                        ; implicit-def: $sgpr10
	s_and_saveexec_b64 s[6:7], vcc
	s_xor_b64 s[6:7], exec, s[6:7]
	s_cbranch_execz .LBB2_13105
; %bb.48945:
	s_getpc_b64 s[14:15]
.Lpost_getpc28056:
	s_add_u32 s14, s14, (.LBB2_27441-.Lpost_getpc28056)&4294967295
	s_addc_u32 s15, s15, (.LBB2_27441-.Lpost_getpc28056)>>32
	s_setpc_b64 s[14:15]
.LBB2_13105:
	s_or_saveexec_b64 s[6:7], s[6:7]
	v_mov_b32_e32 v2, s10
	s_xor_b64 exec, exec, s[6:7]
	s_cbranch_execz .LBB2_13106
; %bb.48947:
	s_getpc_b64 s[14:15]
.Lpost_getpc28057:
	s_add_u32 s14, s14, (.LBB2_27444-.Lpost_getpc28057)&4294967295
	s_addc_u32 s15, s15, (.LBB2_27444-.Lpost_getpc28057)>>32
	s_setpc_b64 s[14:15]
.LBB2_13106:
	s_or_b64 exec, exec, s[6:7]
	s_and_saveexec_b64 s[6:7], s[4:5]
	s_cbranch_execz .LBB2_13108
.LBB2_13107:
	v_bfe_u32 v2, v7, 16, 3
	v_ffbh_u32_e32 v13, v2
	v_min_u32_e32 v13, 32, v13
	v_lshrrev_b32_e32 v6, 19, v7
	v_subrev_u32_e32 v14, 28, v13
	v_and_b32_e32 v6, 15, v6
	v_lshlrev_b32_sdwa v14, v14, v7 dst_sel:DWORD dst_unused:UNUSED_PAD src0_sel:DWORD src1_sel:WORD_1
	v_bfe_u32 v12, v7, 19, 4
	v_sub_u32_e32 v13, 29, v13
	v_and_b32_e32 v14, 7, v14
	v_cmp_eq_u16_e32 vcc, 0, v6
	v_cndmask_b32_e32 v2, v2, v14, vcc
	v_cndmask_b32_e32 v6, v12, v13, vcc
	v_lshlrev_b32_e32 v12, 8, v7
	v_mov_b32_e32 v13, 0x3b800000
	v_lshlrev_b32_e32 v2, 20, v2
	v_and_b32_e32 v12, 0x80000000, v12
	v_lshl_add_u32 v6, v6, 23, v13
	v_or3_b32 v2, v12, v6, v2
.LBB2_13108:
	s_or_b64 exec, exec, s[6:7]
	s_movk_i32 s4, 0xff
	v_and_b32_sdwa v6, v3, s4 dst_sel:DWORD dst_unused:UNUSED_PAD src0_sel:WORD_1 src1_sel:DWORD
	s_movk_i32 s4, 0x7f
	v_cmp_lt_i16_e32 vcc, s4, v6
	s_mov_b64 s[4:5], 0
                                        ; implicit-def: $sgpr10
	s_and_saveexec_b64 s[6:7], vcc
	s_xor_b64 s[6:7], exec, s[6:7]
	s_cbranch_execz .LBB2_13109
; %bb.48949:
	s_getpc_b64 s[14:15]
.Lpost_getpc28058:
	s_add_u32 s14, s14, (.LBB2_27445-.Lpost_getpc28058)&4294967295
	s_addc_u32 s15, s15, (.LBB2_27445-.Lpost_getpc28058)>>32
	s_setpc_b64 s[14:15]
.LBB2_13109:
	s_or_saveexec_b64 s[6:7], s[6:7]
	v_mov_b32_e32 v12, s10
	s_xor_b64 exec, exec, s[6:7]
	s_cbranch_execz .LBB2_13110
; %bb.48951:
	s_getpc_b64 s[14:15]
.Lpost_getpc28059:
	s_add_u32 s14, s14, (.LBB2_27448-.Lpost_getpc28059)&4294967295
	s_addc_u32 s15, s15, (.LBB2_27448-.Lpost_getpc28059)>>32
	s_setpc_b64 s[14:15]
.LBB2_13110:
	s_or_b64 exec, exec, s[6:7]
	s_and_saveexec_b64 s[6:7], s[4:5]
	s_cbranch_execz .LBB2_13112
.LBB2_13111:
	v_bfe_u32 v6, v3, 16, 3
	v_ffbh_u32_e32 v14, v6
	v_min_u32_e32 v14, 32, v14
	v_lshrrev_b32_e32 v12, 19, v3
	v_subrev_u32_e32 v15, 28, v14
	v_and_b32_e32 v12, 15, v12
	v_lshlrev_b32_sdwa v15, v15, v3 dst_sel:DWORD dst_unused:UNUSED_PAD src0_sel:DWORD src1_sel:WORD_1
	v_bfe_u32 v13, v3, 19, 4
	v_sub_u32_e32 v14, 29, v14
	v_and_b32_e32 v15, 7, v15
	v_cmp_eq_u16_e32 vcc, 0, v12
	v_cndmask_b32_e32 v6, v6, v15, vcc
	v_cndmask_b32_e32 v12, v13, v14, vcc
	v_lshlrev_b32_e32 v13, 8, v3
	v_mov_b32_e32 v14, 0x3b800000
	v_lshlrev_b32_e32 v6, 20, v6
	v_and_b32_e32 v13, 0x80000000, v13
	v_lshl_add_u32 v12, v12, 23, v14
	v_or3_b32 v12, v13, v12, v6
.LBB2_13112:
	s_or_b64 exec, exec, s[6:7]
	s_nop 0
	v_mfma_f32_16x16x4f32 a[0:3], v2, v12, a[0:3]
	s_movk_i32 s4, 0x7f
	v_cmp_gt_i16_sdwa s[6:7], v7, s4 src0_sel:BYTE_3 src1_sel:DWORD
	s_mov_b64 s[4:5], 0
                                        ; implicit-def: $sgpr10
	s_and_saveexec_b64 s[8:9], s[6:7]
	s_xor_b64 s[6:7], exec, s[8:9]
	s_cbranch_execz .LBB2_13113
; %bb.48953:
	s_getpc_b64 s[14:15]
.Lpost_getpc28060:
	s_add_u32 s14, s14, (.LBB2_27449-.Lpost_getpc28060)&4294967295
	s_addc_u32 s15, s15, (.LBB2_27449-.Lpost_getpc28060)>>32
	s_setpc_b64 s[14:15]
.LBB2_13113:
	s_or_saveexec_b64 s[6:7], s[6:7]
	v_mov_b32_e32 v2, s10
	s_xor_b64 exec, exec, s[6:7]
	s_cbranch_execz .LBB2_13114
; %bb.48955:
	s_getpc_b64 s[14:15]
.Lpost_getpc28061:
	s_add_u32 s14, s14, (.LBB2_27452-.Lpost_getpc28061)&4294967295
	s_addc_u32 s15, s15, (.LBB2_27452-.Lpost_getpc28061)>>32
	s_setpc_b64 s[14:15]
.LBB2_13114:
	s_or_b64 exec, exec, s[6:7]
	s_and_saveexec_b64 s[6:7], s[4:5]
	s_cbranch_execz .LBB2_13116
.LBB2_13115:
	v_bfe_u32 v2, v7, 24, 3
	v_ffbh_u32_e32 v14, v2
	v_min_u32_e32 v14, 32, v14
	v_lshrrev_b32_e32 v12, 27, v7
	v_subrev_u32_e32 v15, 28, v14
	v_and_b32_e32 v6, 0x80000000, v7
	v_and_b32_e32 v12, 15, v12
	v_bfe_u32 v13, v7, 27, 4
	v_lshlrev_b32_sdwa v7, v15, v7 dst_sel:DWORD dst_unused:UNUSED_PAD src0_sel:DWORD src1_sel:BYTE_3
	v_sub_u32_e32 v14, 29, v14
	v_and_b32_e32 v7, 7, v7
	v_cmp_eq_u16_e32 vcc, 0, v12
	v_cndmask_b32_e32 v2, v2, v7, vcc
	v_cndmask_b32_e32 v7, v13, v14, vcc
	v_mov_b32_e32 v12, 0x3b800000
	v_lshlrev_b32_e32 v2, 20, v2
	v_lshl_add_u32 v7, v7, 23, v12
	v_or3_b32 v2, v6, v7, v2
.LBB2_13116:
	s_or_b64 exec, exec, s[6:7]
	s_movk_i32 s4, 0x7f
	v_cmp_gt_i16_sdwa s[6:7], v3, s4 src0_sel:BYTE_3 src1_sel:DWORD
	s_mov_b64 s[4:5], 0
                                        ; implicit-def: $sgpr10
	s_and_saveexec_b64 s[8:9], s[6:7]
	s_xor_b64 s[6:7], exec, s[8:9]
	s_cbranch_execz .LBB2_13117
; %bb.48957:
	s_getpc_b64 s[14:15]
.Lpost_getpc28062:
	s_add_u32 s14, s14, (.LBB2_27453-.Lpost_getpc28062)&4294967295
	s_addc_u32 s15, s15, (.LBB2_27453-.Lpost_getpc28062)>>32
	s_setpc_b64 s[14:15]
.LBB2_13117:
	s_or_saveexec_b64 s[6:7], s[6:7]
	v_mov_b32_e32 v6, s10
	s_xor_b64 exec, exec, s[6:7]
	s_cbranch_execz .LBB2_13118
; %bb.48959:
	s_getpc_b64 s[14:15]
.Lpost_getpc28063:
	s_add_u32 s14, s14, (.LBB2_27456-.Lpost_getpc28063)&4294967295
	s_addc_u32 s15, s15, (.LBB2_27456-.Lpost_getpc28063)>>32
	s_setpc_b64 s[14:15]
.LBB2_13118:
	s_or_b64 exec, exec, s[6:7]
	s_and_saveexec_b64 s[6:7], s[4:5]
	s_cbranch_execz .LBB2_13120
.LBB2_13119:
	v_bfe_u32 v6, v3, 24, 3
	v_ffbh_u32_e32 v14, v6
	v_min_u32_e32 v14, 32, v14
	v_lshrrev_b32_e32 v12, 27, v3
	v_subrev_u32_e32 v15, 28, v14
	v_and_b32_e32 v7, 0x80000000, v3
	v_and_b32_e32 v12, 15, v12
	v_bfe_u32 v13, v3, 27, 4
	v_lshlrev_b32_sdwa v3, v15, v3 dst_sel:DWORD dst_unused:UNUSED_PAD src0_sel:DWORD src1_sel:BYTE_3
	v_sub_u32_e32 v14, 29, v14
	v_and_b32_e32 v3, 7, v3
	v_cmp_eq_u16_e32 vcc, 0, v12
	v_cndmask_b32_e32 v3, v6, v3, vcc
	v_cndmask_b32_e32 v6, v13, v14, vcc
	v_mov_b32_e32 v12, 0x3b800000
	v_lshlrev_b32_e32 v3, 20, v3
	v_lshl_add_u32 v6, v6, 23, v12
	v_or3_b32 v6, v7, v6, v3
.LBB2_13120:
	s_or_b64 exec, exec, s[6:7]
	s_nop 0
	v_mfma_f32_16x16x4f32 a[0:3], v2, v6, a[0:3]
	s_movk_i32 s4, 0x7f
	v_cmp_gt_i16_sdwa s[6:7], v8, s4 src0_sel:BYTE_0 src1_sel:DWORD
	s_mov_b64 s[4:5], 0
                                        ; implicit-def: $sgpr10
	s_and_saveexec_b64 s[8:9], s[6:7]
	s_xor_b64 s[6:7], exec, s[8:9]
	s_cbranch_execz .LBB2_13121
; %bb.48961:
	s_getpc_b64 s[14:15]
.Lpost_getpc28064:
	s_add_u32 s14, s14, (.LBB2_27457-.Lpost_getpc28064)&4294967295
	s_addc_u32 s15, s15, (.LBB2_27457-.Lpost_getpc28064)>>32
	s_setpc_b64 s[14:15]
.LBB2_13121:
	s_or_saveexec_b64 s[6:7], s[6:7]
	v_mov_b32_e32 v2, s10
	s_xor_b64 exec, exec, s[6:7]
	s_cbranch_execz .LBB2_13122
; %bb.48963:
	s_getpc_b64 s[14:15]
.Lpost_getpc28065:
	s_add_u32 s14, s14, (.LBB2_27460-.Lpost_getpc28065)&4294967295
	s_addc_u32 s15, s15, (.LBB2_27460-.Lpost_getpc28065)>>32
	s_setpc_b64 s[14:15]
.LBB2_13122:
	s_or_b64 exec, exec, s[6:7]
	s_and_saveexec_b64 s[6:7], s[4:5]
	s_cbranch_execz .LBB2_13124
.LBB2_13123:
	v_and_b32_e32 v2, 7, v8
	v_ffbh_u32_e32 v6, v2
	v_min_u32_e32 v6, 32, v6
	v_lshrrev_b16_e32 v3, 3, v8
	v_subrev_u32_e32 v7, 28, v6
	v_and_b32_e32 v3, 15, v3
	v_lshlrev_b32_e32 v7, v7, v8
	v_sub_u32_e32 v6, 29, v6
	v_and_b32_e32 v7, 7, v7
	v_cmp_eq_u16_e32 vcc, 0, v3
	v_cndmask_b32_e32 v2, v2, v7, vcc
	v_cndmask_b32_e32 v3, v3, v6, vcc
	v_lshlrev_b32_e32 v6, 24, v8
	v_mov_b32_e32 v7, 0x3b800000
	v_lshlrev_b32_e32 v2, 20, v2
	v_and_b32_e32 v6, 0x80000000, v6
	v_lshl_add_u32 v3, v3, 23, v7
	v_or3_b32 v2, v6, v3, v2
.LBB2_13124:
	s_or_b64 exec, exec, s[6:7]
	s_movk_i32 s4, 0x7f
	v_cmp_gt_i16_sdwa s[6:7], v4, s4 src0_sel:BYTE_0 src1_sel:DWORD
	s_mov_b64 s[4:5], 0
                                        ; implicit-def: $sgpr10
	s_and_saveexec_b64 s[8:9], s[6:7]
	s_xor_b64 s[6:7], exec, s[8:9]
	s_cbranch_execz .LBB2_13125
; %bb.48965:
	s_getpc_b64 s[14:15]
.Lpost_getpc28066:
	s_add_u32 s14, s14, (.LBB2_27461-.Lpost_getpc28066)&4294967295
	s_addc_u32 s15, s15, (.LBB2_27461-.Lpost_getpc28066)>>32
	s_setpc_b64 s[14:15]
.LBB2_13125:
	s_or_saveexec_b64 s[6:7], s[6:7]
	v_mov_b32_e32 v3, s10
	s_xor_b64 exec, exec, s[6:7]
	s_cbranch_execz .LBB2_13126
; %bb.48967:
	s_getpc_b64 s[14:15]
.Lpost_getpc28067:
	s_add_u32 s14, s14, (.LBB2_27464-.Lpost_getpc28067)&4294967295
	s_addc_u32 s15, s15, (.LBB2_27464-.Lpost_getpc28067)>>32
	s_setpc_b64 s[14:15]
.LBB2_13126:
	s_or_b64 exec, exec, s[6:7]
	s_and_saveexec_b64 s[6:7], s[4:5]
	s_cbranch_execz .LBB2_13128
.LBB2_13127:
	v_and_b32_e32 v3, 7, v4
	v_ffbh_u32_e32 v7, v3
	v_min_u32_e32 v7, 32, v7
	v_lshrrev_b16_e32 v6, 3, v4
	v_subrev_u32_e32 v12, 28, v7
	v_and_b32_e32 v6, 15, v6
	v_lshlrev_b32_e32 v12, v12, v4
	v_sub_u32_e32 v7, 29, v7
	v_and_b32_e32 v12, 7, v12
	v_cmp_eq_u16_e32 vcc, 0, v6
	v_cndmask_b32_e32 v3, v3, v12, vcc
	v_cndmask_b32_e32 v6, v6, v7, vcc
	v_lshlrev_b32_e32 v7, 24, v4
	v_mov_b32_e32 v12, 0x3b800000
	v_lshlrev_b32_e32 v3, 20, v3
	v_and_b32_e32 v7, 0x80000000, v7
	v_lshl_add_u32 v6, v6, 23, v12
	v_or3_b32 v3, v7, v6, v3
.LBB2_13128:
	s_or_b64 exec, exec, s[6:7]
	s_nop 0
	v_mfma_f32_16x16x4f32 a[0:3], v2, v3, a[0:3]
	v_lshrrev_b32_e32 v3, 8, v8
	s_movk_i32 s4, 0x7f
	v_cmp_gt_i16_sdwa s[6:7], v3, s4 src0_sel:BYTE_0 src1_sel:DWORD
	s_mov_b64 s[4:5], 0
                                        ; implicit-def: $sgpr10
	s_and_saveexec_b64 s[8:9], s[6:7]
	s_xor_b64 s[6:7], exec, s[8:9]
	s_cbranch_execz .LBB2_13129
; %bb.48969:
	s_getpc_b64 s[14:15]
.Lpost_getpc28068:
	s_add_u32 s14, s14, (.LBB2_27465-.Lpost_getpc28068)&4294967295
	s_addc_u32 s15, s15, (.LBB2_27465-.Lpost_getpc28068)>>32
	s_setpc_b64 s[14:15]
.LBB2_13129:
	s_or_saveexec_b64 s[6:7], s[6:7]
	v_mov_b32_e32 v2, s10
	s_xor_b64 exec, exec, s[6:7]
	s_cbranch_execz .LBB2_13130
; %bb.48971:
	s_getpc_b64 s[14:15]
.Lpost_getpc28069:
	s_add_u32 s14, s14, (.LBB2_27468-.Lpost_getpc28069)&4294967295
	s_addc_u32 s15, s15, (.LBB2_27468-.Lpost_getpc28069)>>32
	s_setpc_b64 s[14:15]
.LBB2_13130:
	s_or_b64 exec, exec, s[6:7]
	s_and_saveexec_b64 s[6:7], s[4:5]
	s_cbranch_execz .LBB2_13132
.LBB2_13131:
	v_bfe_u32 v2, v8, 8, 3
	v_ffbh_u32_e32 v7, v2
	v_min_u32_e32 v7, 32, v7
	v_lshrrev_b16_e32 v6, 3, v3
	v_subrev_u32_e32 v12, 28, v7
	v_and_b32_e32 v6, 15, v6
	v_lshlrev_b32_e32 v3, v12, v3
	v_sub_u32_e32 v7, 29, v7
	v_and_b32_e32 v3, 7, v3
	v_cmp_eq_u16_e32 vcc, 0, v6
	v_cndmask_b32_e32 v2, v2, v3, vcc
	v_cndmask_b32_e32 v3, v6, v7, vcc
	v_lshlrev_b32_e32 v6, 16, v8
	v_mov_b32_e32 v7, 0x3b800000
	v_lshlrev_b32_e32 v2, 20, v2
	v_and_b32_e32 v6, 0x80000000, v6
	v_lshl_add_u32 v3, v3, 23, v7
	v_or3_b32 v2, v6, v3, v2
.LBB2_13132:
	s_or_b64 exec, exec, s[6:7]
	v_lshrrev_b32_e32 v3, 8, v4
	s_movk_i32 s4, 0x7f
	v_cmp_gt_i16_sdwa s[6:7], v3, s4 src0_sel:BYTE_0 src1_sel:DWORD
	s_mov_b64 s[4:5], 0
                                        ; implicit-def: $sgpr10
	s_and_saveexec_b64 s[8:9], s[6:7]
	s_xor_b64 s[6:7], exec, s[8:9]
	s_cbranch_execz .LBB2_13133
; %bb.48973:
	s_getpc_b64 s[14:15]
.Lpost_getpc28070:
	s_add_u32 s14, s14, (.LBB2_27469-.Lpost_getpc28070)&4294967295
	s_addc_u32 s15, s15, (.LBB2_27469-.Lpost_getpc28070)>>32
	s_setpc_b64 s[14:15]
.LBB2_13133:
	s_or_saveexec_b64 s[6:7], s[6:7]
	v_mov_b32_e32 v6, s10
	s_xor_b64 exec, exec, s[6:7]
	s_cbranch_execz .LBB2_13134
; %bb.48975:
	s_getpc_b64 s[14:15]
.Lpost_getpc28071:
	s_add_u32 s14, s14, (.LBB2_27472-.Lpost_getpc28071)&4294967295
	s_addc_u32 s15, s15, (.LBB2_27472-.Lpost_getpc28071)>>32
	s_setpc_b64 s[14:15]
.LBB2_13134:
	s_or_b64 exec, exec, s[6:7]
	s_and_saveexec_b64 s[6:7], s[4:5]
	s_cbranch_execz .LBB2_13136
.LBB2_13135:
	v_bfe_u32 v6, v4, 8, 3
	v_ffbh_u32_e32 v12, v6
	v_min_u32_e32 v12, 32, v12
	v_lshrrev_b16_e32 v7, 3, v3
	v_subrev_u32_e32 v13, 28, v12
	v_and_b32_e32 v7, 15, v7
	v_lshlrev_b32_e32 v3, v13, v3
	v_sub_u32_e32 v12, 29, v12
	v_and_b32_e32 v3, 7, v3
	v_cmp_eq_u16_e32 vcc, 0, v7
	v_cndmask_b32_e32 v3, v6, v3, vcc
	v_cndmask_b32_e32 v6, v7, v12, vcc
	v_lshlrev_b32_e32 v7, 16, v4
	v_mov_b32_e32 v12, 0x3b800000
	v_lshlrev_b32_e32 v3, 20, v3
	v_and_b32_e32 v7, 0x80000000, v7
	v_lshl_add_u32 v6, v6, 23, v12
	v_or3_b32 v6, v7, v6, v3
.LBB2_13136:
	s_or_b64 exec, exec, s[6:7]
	s_nop 0
	v_mfma_f32_16x16x4f32 a[0:3], v2, v6, a[0:3]
	s_movk_i32 s4, 0xff
	v_and_b32_sdwa v3, v8, s4 dst_sel:DWORD dst_unused:UNUSED_PAD src0_sel:WORD_1 src1_sel:DWORD
	s_movk_i32 s4, 0x7f
	v_cmp_lt_i16_e32 vcc, s4, v3
	s_mov_b64 s[4:5], 0
                                        ; implicit-def: $sgpr10
	s_and_saveexec_b64 s[6:7], vcc
	s_xor_b64 s[6:7], exec, s[6:7]
	s_cbranch_execz .LBB2_13137
; %bb.48977:
	s_getpc_b64 s[14:15]
.Lpost_getpc28072:
	s_add_u32 s14, s14, (.LBB2_27473-.Lpost_getpc28072)&4294967295
	s_addc_u32 s15, s15, (.LBB2_27473-.Lpost_getpc28072)>>32
	s_setpc_b64 s[14:15]
.LBB2_13137:
	s_or_saveexec_b64 s[6:7], s[6:7]
	v_mov_b32_e32 v2, s10
	s_xor_b64 exec, exec, s[6:7]
	s_cbranch_execz .LBB2_13138
; %bb.48979:
	s_getpc_b64 s[14:15]
.Lpost_getpc28073:
	s_add_u32 s14, s14, (.LBB2_27476-.Lpost_getpc28073)&4294967295
	s_addc_u32 s15, s15, (.LBB2_27476-.Lpost_getpc28073)>>32
	s_setpc_b64 s[14:15]
.LBB2_13138:
	s_or_b64 exec, exec, s[6:7]
	s_and_saveexec_b64 s[6:7], s[4:5]
	s_cbranch_execz .LBB2_13140
.LBB2_13139:
	v_bfe_u32 v2, v8, 16, 3
	v_ffbh_u32_e32 v7, v2
	v_min_u32_e32 v7, 32, v7
	v_lshrrev_b32_e32 v3, 19, v8
	v_subrev_u32_e32 v12, 28, v7
	v_and_b32_e32 v3, 15, v3
	v_lshlrev_b32_sdwa v12, v12, v8 dst_sel:DWORD dst_unused:UNUSED_PAD src0_sel:DWORD src1_sel:WORD_1
	v_bfe_u32 v6, v8, 19, 4
	v_sub_u32_e32 v7, 29, v7
	v_and_b32_e32 v12, 7, v12
	v_cmp_eq_u16_e32 vcc, 0, v3
	v_cndmask_b32_e32 v2, v2, v12, vcc
	v_cndmask_b32_e32 v3, v6, v7, vcc
	v_lshlrev_b32_e32 v6, 8, v8
	v_mov_b32_e32 v7, 0x3b800000
	v_lshlrev_b32_e32 v2, 20, v2
	v_and_b32_e32 v6, 0x80000000, v6
	v_lshl_add_u32 v3, v3, 23, v7
	v_or3_b32 v2, v6, v3, v2
.LBB2_13140:
	s_or_b64 exec, exec, s[6:7]
	s_movk_i32 s4, 0xff
	v_and_b32_sdwa v3, v4, s4 dst_sel:DWORD dst_unused:UNUSED_PAD src0_sel:WORD_1 src1_sel:DWORD
	s_movk_i32 s4, 0x7f
	v_cmp_lt_i16_e32 vcc, s4, v3
	s_mov_b64 s[4:5], 0
                                        ; implicit-def: $sgpr10
	s_and_saveexec_b64 s[6:7], vcc
	s_xor_b64 s[6:7], exec, s[6:7]
	s_cbranch_execz .LBB2_13141
; %bb.48981:
	s_getpc_b64 s[14:15]
.Lpost_getpc28074:
	s_add_u32 s14, s14, (.LBB2_27477-.Lpost_getpc28074)&4294967295
	s_addc_u32 s15, s15, (.LBB2_27477-.Lpost_getpc28074)>>32
	s_setpc_b64 s[14:15]
.LBB2_13141:
	s_or_saveexec_b64 s[6:7], s[6:7]
	v_mov_b32_e32 v6, s10
	s_xor_b64 exec, exec, s[6:7]
	s_cbranch_execz .LBB2_13142
; %bb.48983:
	s_getpc_b64 s[14:15]
.Lpost_getpc28075:
	s_add_u32 s14, s14, (.LBB2_27480-.Lpost_getpc28075)&4294967295
	s_addc_u32 s15, s15, (.LBB2_27480-.Lpost_getpc28075)>>32
	s_setpc_b64 s[14:15]
.LBB2_13142:
	s_or_b64 exec, exec, s[6:7]
	s_and_saveexec_b64 s[6:7], s[4:5]
	s_cbranch_execz .LBB2_13144
.LBB2_13143:
	v_bfe_u32 v3, v4, 16, 3
	v_ffbh_u32_e32 v12, v3
	v_min_u32_e32 v12, 32, v12
	v_lshrrev_b32_e32 v6, 19, v4
	v_subrev_u32_e32 v13, 28, v12
	v_and_b32_e32 v6, 15, v6
	v_lshlrev_b32_sdwa v13, v13, v4 dst_sel:DWORD dst_unused:UNUSED_PAD src0_sel:DWORD src1_sel:WORD_1
	v_bfe_u32 v7, v4, 19, 4
	v_sub_u32_e32 v12, 29, v12
	v_and_b32_e32 v13, 7, v13
	v_cmp_eq_u16_e32 vcc, 0, v6
	v_cndmask_b32_e32 v3, v3, v13, vcc
	v_cndmask_b32_e32 v6, v7, v12, vcc
	v_lshlrev_b32_e32 v7, 8, v4
	v_mov_b32_e32 v12, 0x3b800000
	v_lshlrev_b32_e32 v3, 20, v3
	v_and_b32_e32 v7, 0x80000000, v7
	v_lshl_add_u32 v6, v6, 23, v12
	v_or3_b32 v6, v7, v6, v3
.LBB2_13144:
	s_or_b64 exec, exec, s[6:7]
	s_nop 0
	v_mfma_f32_16x16x4f32 a[0:3], v2, v6, a[0:3]
	s_movk_i32 s4, 0x7f
	v_cmp_gt_i16_sdwa s[6:7], v8, s4 src0_sel:BYTE_3 src1_sel:DWORD
	s_mov_b64 s[4:5], 0
                                        ; implicit-def: $sgpr10
	s_and_saveexec_b64 s[8:9], s[6:7]
	s_xor_b64 s[6:7], exec, s[8:9]
	s_cbranch_execz .LBB2_13145
; %bb.48985:
	s_getpc_b64 s[14:15]
.Lpost_getpc28076:
	s_add_u32 s14, s14, (.LBB2_27481-.Lpost_getpc28076)&4294967295
	s_addc_u32 s15, s15, (.LBB2_27481-.Lpost_getpc28076)>>32
	s_setpc_b64 s[14:15]
.LBB2_13145:
	s_or_saveexec_b64 s[6:7], s[6:7]
	v_mov_b32_e32 v2, s10
	s_xor_b64 exec, exec, s[6:7]
	s_cbranch_execz .LBB2_13146
; %bb.48987:
	s_getpc_b64 s[14:15]
.Lpost_getpc28077:
	s_add_u32 s14, s14, (.LBB2_27484-.Lpost_getpc28077)&4294967295
	s_addc_u32 s15, s15, (.LBB2_27484-.Lpost_getpc28077)>>32
	s_setpc_b64 s[14:15]
.LBB2_13146:
	s_or_b64 exec, exec, s[6:7]
	s_and_saveexec_b64 s[6:7], s[4:5]
	s_cbranch_execz .LBB2_13148
.LBB2_13147:
	v_bfe_u32 v2, v8, 24, 3
	v_ffbh_u32_e32 v12, v2
	v_min_u32_e32 v12, 32, v12
	v_lshrrev_b32_e32 v6, 27, v8
	v_subrev_u32_e32 v13, 28, v12
	v_and_b32_e32 v3, 0x80000000, v8
	v_and_b32_e32 v6, 15, v6
	v_bfe_u32 v7, v8, 27, 4
	v_lshlrev_b32_sdwa v8, v13, v8 dst_sel:DWORD dst_unused:UNUSED_PAD src0_sel:DWORD src1_sel:BYTE_3
	v_sub_u32_e32 v12, 29, v12
	v_and_b32_e32 v8, 7, v8
	v_cmp_eq_u16_e32 vcc, 0, v6
	v_cndmask_b32_e32 v2, v2, v8, vcc
	v_cndmask_b32_e32 v6, v7, v12, vcc
	v_mov_b32_e32 v7, 0x3b800000
	v_lshlrev_b32_e32 v2, 20, v2
	v_lshl_add_u32 v6, v6, 23, v7
	v_or3_b32 v2, v3, v6, v2
.LBB2_13148:
	s_or_b64 exec, exec, s[6:7]
	s_movk_i32 s4, 0x7f
	v_cmp_gt_i16_sdwa s[6:7], v4, s4 src0_sel:BYTE_3 src1_sel:DWORD
	s_mov_b64 s[4:5], 0
                                        ; implicit-def: $sgpr10
	s_and_saveexec_b64 s[8:9], s[6:7]
	s_xor_b64 s[6:7], exec, s[8:9]
	s_cbranch_execz .LBB2_13149
; %bb.48989:
	s_getpc_b64 s[14:15]
.Lpost_getpc28078:
	s_add_u32 s14, s14, (.LBB2_27485-.Lpost_getpc28078)&4294967295
	s_addc_u32 s15, s15, (.LBB2_27485-.Lpost_getpc28078)>>32
	s_setpc_b64 s[14:15]
.LBB2_13149:
	s_or_saveexec_b64 s[6:7], s[6:7]
	v_mov_b32_e32 v3, s10
	s_xor_b64 exec, exec, s[6:7]
	s_cbranch_execz .LBB2_13150
; %bb.48991:
	s_getpc_b64 s[14:15]
.Lpost_getpc28079:
	s_add_u32 s14, s14, (.LBB2_27488-.Lpost_getpc28079)&4294967295
	s_addc_u32 s15, s15, (.LBB2_27488-.Lpost_getpc28079)>>32
	s_setpc_b64 s[14:15]
.LBB2_13150:
	s_or_b64 exec, exec, s[6:7]
	s_and_saveexec_b64 s[6:7], s[4:5]
	s_cbranch_execz .LBB2_13152
.LBB2_13151:
	v_bfe_u32 v3, v4, 24, 3
	v_ffbh_u32_e32 v12, v3
	v_min_u32_e32 v12, 32, v12
	v_lshrrev_b32_e32 v7, 27, v4
	v_subrev_u32_e32 v13, 28, v12
	v_and_b32_e32 v6, 0x80000000, v4
	v_and_b32_e32 v7, 15, v7
	v_bfe_u32 v8, v4, 27, 4
	v_lshlrev_b32_sdwa v4, v13, v4 dst_sel:DWORD dst_unused:UNUSED_PAD src0_sel:DWORD src1_sel:BYTE_3
	v_sub_u32_e32 v12, 29, v12
	v_and_b32_e32 v4, 7, v4
	v_cmp_eq_u16_e32 vcc, 0, v7
	v_cndmask_b32_e32 v3, v3, v4, vcc
	v_cndmask_b32_e32 v4, v8, v12, vcc
	v_mov_b32_e32 v7, 0x3b800000
	v_lshlrev_b32_e32 v3, 20, v3
	v_lshl_add_u32 v4, v4, 23, v7
	v_or3_b32 v3, v6, v4, v3
.LBB2_13152:
	s_or_b64 exec, exec, s[6:7]
	s_nop 0
	v_mfma_f32_16x16x4f32 a[0:3], v2, v3, a[0:3]
	s_movk_i32 s4, 0x7f
	v_cmp_gt_i16_sdwa s[6:7], v9, s4 src0_sel:BYTE_0 src1_sel:DWORD
	s_mov_b64 s[4:5], 0
                                        ; implicit-def: $sgpr10
	s_and_saveexec_b64 s[8:9], s[6:7]
	s_xor_b64 s[6:7], exec, s[8:9]
	s_cbranch_execz .LBB2_13153
; %bb.48993:
	s_getpc_b64 s[14:15]
.Lpost_getpc28080:
	s_add_u32 s14, s14, (.LBB2_27489-.Lpost_getpc28080)&4294967295
	s_addc_u32 s15, s15, (.LBB2_27489-.Lpost_getpc28080)>>32
	s_setpc_b64 s[14:15]
.LBB2_13153:
	s_or_saveexec_b64 s[6:7], s[6:7]
	v_mov_b32_e32 v2, s10
	s_xor_b64 exec, exec, s[6:7]
	s_cbranch_execz .LBB2_13154
; %bb.48995:
	s_getpc_b64 s[14:15]
.Lpost_getpc28081:
	s_add_u32 s14, s14, (.LBB2_27492-.Lpost_getpc28081)&4294967295
	s_addc_u32 s15, s15, (.LBB2_27492-.Lpost_getpc28081)>>32
	s_setpc_b64 s[14:15]
.LBB2_13154:
	s_or_b64 exec, exec, s[6:7]
	s_and_saveexec_b64 s[6:7], s[4:5]
	s_cbranch_execz .LBB2_13156
.LBB2_13155:
	v_mov_b32_e32 v2, 8
	v_and_b32_e32 v3, 7, v9
	v_lshrrev_b32_sdwa v2, v2, v9 dst_sel:BYTE_1 dst_unused:UNUSED_PAD src0_sel:DWORD src1_sel:DWORD
	v_ffbh_u32_e32 v4, v3
	v_or_b32_sdwa v2, v9, v2 dst_sel:DWORD dst_unused:UNUSED_PAD src0_sel:BYTE_0 src1_sel:DWORD
	v_min_u32_e32 v4, 32, v4
	v_lshrrev_b16_e32 v2, 3, v2
	v_subrev_u32_e32 v6, 28, v4
	v_and_b32_e32 v2, 15, v2
	v_lshlrev_b32_e32 v6, v6, v9
	v_sub_u32_e32 v4, 29, v4
	v_and_b32_e32 v6, 7, v6
	v_cmp_eq_u16_e32 vcc, 0, v2
	v_cndmask_b32_e32 v3, v3, v6, vcc
	v_cndmask_b32_e32 v2, v2, v4, vcc
	v_lshlrev_b32_e32 v4, 24, v9
	v_mov_b32_e32 v6, 0x3b800000
	v_lshlrev_b32_e32 v3, 20, v3
	v_and_b32_e32 v4, 0x80000000, v4
	v_lshl_add_u32 v2, v2, 23, v6
	v_or3_b32 v2, v4, v2, v3
.LBB2_13156:
	s_or_b64 exec, exec, s[6:7]
	s_movk_i32 s4, 0x7f
	v_cmp_gt_i16_sdwa s[6:7], v5, s4 src0_sel:BYTE_0 src1_sel:DWORD
	s_mov_b64 s[4:5], 0
                                        ; implicit-def: $sgpr10
	s_and_saveexec_b64 s[8:9], s[6:7]
	s_xor_b64 s[6:7], exec, s[8:9]
	s_cbranch_execz .LBB2_13157
; %bb.48997:
	s_getpc_b64 s[14:15]
.Lpost_getpc28082:
	s_add_u32 s14, s14, (.LBB2_27493-.Lpost_getpc28082)&4294967295
	s_addc_u32 s15, s15, (.LBB2_27493-.Lpost_getpc28082)>>32
	s_setpc_b64 s[14:15]
.LBB2_13157:
	s_or_saveexec_b64 s[6:7], s[6:7]
	v_mov_b32_e32 v3, s10
	s_xor_b64 exec, exec, s[6:7]
	s_cbranch_execz .LBB2_13158
; %bb.48999:
	s_getpc_b64 s[14:15]
.Lpost_getpc28083:
	s_add_u32 s14, s14, (.LBB2_27496-.Lpost_getpc28083)&4294967295
	s_addc_u32 s15, s15, (.LBB2_27496-.Lpost_getpc28083)>>32
	s_setpc_b64 s[14:15]
.LBB2_13158:
	s_or_b64 exec, exec, s[6:7]
	s_and_saveexec_b64 s[6:7], s[4:5]
	s_cbranch_execz .LBB2_13160
.LBB2_13159:
	v_mov_b32_e32 v3, 8
	v_and_b32_e32 v4, 7, v5
	v_lshrrev_b32_sdwa v3, v3, v5 dst_sel:BYTE_1 dst_unused:UNUSED_PAD src0_sel:DWORD src1_sel:DWORD
	v_ffbh_u32_e32 v6, v4
	v_or_b32_sdwa v3, v5, v3 dst_sel:DWORD dst_unused:UNUSED_PAD src0_sel:BYTE_0 src1_sel:DWORD
	v_min_u32_e32 v6, 32, v6
	v_lshrrev_b16_e32 v3, 3, v3
	v_subrev_u32_e32 v7, 28, v6
	v_and_b32_e32 v3, 15, v3
	v_lshlrev_b32_e32 v7, v7, v5
	v_sub_u32_e32 v6, 29, v6
	v_and_b32_e32 v7, 7, v7
	v_cmp_eq_u16_e32 vcc, 0, v3
	v_cndmask_b32_e32 v4, v4, v7, vcc
	v_cndmask_b32_e32 v3, v3, v6, vcc
	v_lshlrev_b32_e32 v6, 24, v5
	v_mov_b32_e32 v7, 0x3b800000
	v_lshlrev_b32_e32 v4, 20, v4
	v_and_b32_e32 v6, 0x80000000, v6
	v_lshl_add_u32 v3, v3, 23, v7
	v_or3_b32 v3, v6, v3, v4
.LBB2_13160:
	s_or_b64 exec, exec, s[6:7]
	s_nop 0
	v_mfma_f32_16x16x4f32 a[0:3], v2, v3, a[0:3]
	v_lshrrev_b32_e32 v3, 8, v9
	s_movk_i32 s4, 0x7f
	v_cmp_gt_i16_sdwa s[6:7], v3, s4 src0_sel:BYTE_0 src1_sel:DWORD
	s_mov_b64 s[4:5], 0
                                        ; implicit-def: $sgpr10
	s_and_saveexec_b64 s[8:9], s[6:7]
	s_xor_b64 s[6:7], exec, s[8:9]
	s_cbranch_execz .LBB2_13161
; %bb.49001:
	s_getpc_b64 s[14:15]
.Lpost_getpc28084:
	s_add_u32 s14, s14, (.LBB2_27497-.Lpost_getpc28084)&4294967295
	s_addc_u32 s15, s15, (.LBB2_27497-.Lpost_getpc28084)>>32
	s_setpc_b64 s[14:15]
.LBB2_13161:
	s_or_saveexec_b64 s[6:7], s[6:7]
	v_mov_b32_e32 v2, s10
	s_xor_b64 exec, exec, s[6:7]
	s_cbranch_execz .LBB2_13162
; %bb.49003:
	s_getpc_b64 s[14:15]
.Lpost_getpc28085:
	s_add_u32 s14, s14, (.LBB2_27500-.Lpost_getpc28085)&4294967295
	s_addc_u32 s15, s15, (.LBB2_27500-.Lpost_getpc28085)>>32
	s_setpc_b64 s[14:15]
.LBB2_13162:
	s_or_b64 exec, exec, s[6:7]
	s_and_saveexec_b64 s[6:7], s[4:5]
	s_cbranch_execz .LBB2_13164
.LBB2_13163:
	v_bfe_u32 v2, v9, 8, 3
	v_ffbh_u32_e32 v6, v2
	v_min_u32_e32 v6, 32, v6
	v_lshrrev_b16_e32 v4, 3, v3
	v_subrev_u32_e32 v7, 28, v6
	v_and_b32_e32 v4, 15, v4
	v_lshlrev_b32_e32 v3, v7, v3
	v_sub_u32_e32 v6, 29, v6
	v_and_b32_e32 v3, 7, v3
	v_cmp_eq_u16_e32 vcc, 0, v4
	v_cndmask_b32_e32 v2, v2, v3, vcc
	v_cndmask_b32_e32 v3, v4, v6, vcc
	v_lshlrev_b32_e32 v4, 16, v9
	v_mov_b32_e32 v6, 0x3b800000
	v_lshlrev_b32_e32 v2, 20, v2
	v_and_b32_e32 v4, 0x80000000, v4
	v_lshl_add_u32 v3, v3, 23, v6
	v_or3_b32 v2, v4, v3, v2
.LBB2_13164:
	s_or_b64 exec, exec, s[6:7]
	v_lshrrev_b32_e32 v3, 8, v5
	s_movk_i32 s4, 0x7f
	v_cmp_gt_i16_sdwa s[6:7], v3, s4 src0_sel:BYTE_0 src1_sel:DWORD
	s_mov_b64 s[4:5], 0
                                        ; implicit-def: $sgpr10
	s_and_saveexec_b64 s[8:9], s[6:7]
	s_xor_b64 s[6:7], exec, s[8:9]
	s_cbranch_execz .LBB2_13165
; %bb.49005:
	s_getpc_b64 s[14:15]
.Lpost_getpc28086:
	s_add_u32 s14, s14, (.LBB2_27501-.Lpost_getpc28086)&4294967295
	s_addc_u32 s15, s15, (.LBB2_27501-.Lpost_getpc28086)>>32
	s_setpc_b64 s[14:15]
.LBB2_13165:
	s_or_saveexec_b64 s[6:7], s[6:7]
	v_mov_b32_e32 v4, s10
	s_xor_b64 exec, exec, s[6:7]
	s_cbranch_execz .LBB2_13166
; %bb.49007:
	s_getpc_b64 s[14:15]
.Lpost_getpc28087:
	s_add_u32 s14, s14, (.LBB2_27504-.Lpost_getpc28087)&4294967295
	s_addc_u32 s15, s15, (.LBB2_27504-.Lpost_getpc28087)>>32
	s_setpc_b64 s[14:15]
.LBB2_13166:
	s_or_b64 exec, exec, s[6:7]
	s_and_saveexec_b64 s[6:7], s[4:5]
	s_cbranch_execz .LBB2_13168
.LBB2_13167:
	v_bfe_u32 v4, v5, 8, 3
	v_ffbh_u32_e32 v7, v4
	v_min_u32_e32 v7, 32, v7
	v_lshrrev_b16_e32 v6, 3, v3
	v_subrev_u32_e32 v8, 28, v7
	v_and_b32_e32 v6, 15, v6
	v_lshlrev_b32_e32 v3, v8, v3
	v_sub_u32_e32 v7, 29, v7
	v_and_b32_e32 v3, 7, v3
	v_cmp_eq_u16_e32 vcc, 0, v6
	v_cndmask_b32_e32 v3, v4, v3, vcc
	v_cndmask_b32_e32 v4, v6, v7, vcc
	v_lshlrev_b32_e32 v6, 16, v5
	v_mov_b32_e32 v7, 0x3b800000
	v_lshlrev_b32_e32 v3, 20, v3
	v_and_b32_e32 v6, 0x80000000, v6
	v_lshl_add_u32 v4, v4, 23, v7
	v_or3_b32 v4, v6, v4, v3
.LBB2_13168:
	s_or_b64 exec, exec, s[6:7]
	s_nop 0
	v_mfma_f32_16x16x4f32 a[0:3], v2, v4, a[0:3]
	s_movk_i32 s4, 0xff
	v_and_b32_sdwa v3, v9, s4 dst_sel:DWORD dst_unused:UNUSED_PAD src0_sel:WORD_1 src1_sel:DWORD
	s_movk_i32 s4, 0x7f
	v_cmp_lt_i16_e32 vcc, s4, v3
	s_mov_b64 s[4:5], 0
                                        ; implicit-def: $sgpr10
	s_and_saveexec_b64 s[6:7], vcc
	s_xor_b64 s[6:7], exec, s[6:7]
	s_cbranch_execz .LBB2_13169
; %bb.49009:
	s_getpc_b64 s[14:15]
.Lpost_getpc28088:
	s_add_u32 s14, s14, (.LBB2_27505-.Lpost_getpc28088)&4294967295
	s_addc_u32 s15, s15, (.LBB2_27505-.Lpost_getpc28088)>>32
	s_setpc_b64 s[14:15]
.LBB2_13169:
	s_or_saveexec_b64 s[6:7], s[6:7]
	v_mov_b32_e32 v2, s10
	s_xor_b64 exec, exec, s[6:7]
	s_cbranch_execz .LBB2_13170
; %bb.49011:
	s_getpc_b64 s[14:15]
.Lpost_getpc28089:
	s_add_u32 s14, s14, (.LBB2_27508-.Lpost_getpc28089)&4294967295
	s_addc_u32 s15, s15, (.LBB2_27508-.Lpost_getpc28089)>>32
	s_setpc_b64 s[14:15]
.LBB2_13170:
	s_or_b64 exec, exec, s[6:7]
	s_and_saveexec_b64 s[6:7], s[4:5]
	s_cbranch_execz .LBB2_13172
.LBB2_13171:
	v_bfe_u32 v2, v9, 16, 3
	v_ffbh_u32_e32 v6, v2
	v_min_u32_e32 v6, 32, v6
	v_lshrrev_b32_e32 v3, 19, v9
	v_subrev_u32_e32 v7, 28, v6
	v_and_b32_e32 v3, 15, v3
	v_lshlrev_b32_sdwa v7, v7, v9 dst_sel:DWORD dst_unused:UNUSED_PAD src0_sel:DWORD src1_sel:WORD_1
	v_bfe_u32 v4, v9, 19, 4
	v_sub_u32_e32 v6, 29, v6
	v_and_b32_e32 v7, 7, v7
	v_cmp_eq_u16_e32 vcc, 0, v3
	v_cndmask_b32_e32 v2, v2, v7, vcc
	v_cndmask_b32_e32 v3, v4, v6, vcc
	v_lshlrev_b32_e32 v4, 8, v9
	v_mov_b32_e32 v6, 0x3b800000
	v_lshlrev_b32_e32 v2, 20, v2
	v_and_b32_e32 v4, 0x80000000, v4
	v_lshl_add_u32 v3, v3, 23, v6
	v_or3_b32 v2, v4, v3, v2
.LBB2_13172:
	s_or_b64 exec, exec, s[6:7]
	s_movk_i32 s4, 0xff
	v_and_b32_sdwa v3, v5, s4 dst_sel:DWORD dst_unused:UNUSED_PAD src0_sel:WORD_1 src1_sel:DWORD
	s_movk_i32 s4, 0x7f
	v_cmp_lt_i16_e32 vcc, s4, v3
	s_mov_b64 s[4:5], 0
                                        ; implicit-def: $sgpr10
	s_and_saveexec_b64 s[6:7], vcc
	s_xor_b64 s[6:7], exec, s[6:7]
	s_cbranch_execz .LBB2_13173
; %bb.49013:
	s_getpc_b64 s[14:15]
.Lpost_getpc28090:
	s_add_u32 s14, s14, (.LBB2_27509-.Lpost_getpc28090)&4294967295
	s_addc_u32 s15, s15, (.LBB2_27509-.Lpost_getpc28090)>>32
	s_setpc_b64 s[14:15]
.LBB2_13173:
	s_or_saveexec_b64 s[6:7], s[6:7]
	v_mov_b32_e32 v4, s10
	s_xor_b64 exec, exec, s[6:7]
	s_cbranch_execz .LBB2_13174
; %bb.49015:
	s_getpc_b64 s[14:15]
.Lpost_getpc28091:
	s_add_u32 s14, s14, (.LBB2_27512-.Lpost_getpc28091)&4294967295
	s_addc_u32 s15, s15, (.LBB2_27512-.Lpost_getpc28091)>>32
	s_setpc_b64 s[14:15]
.LBB2_13174:
	s_or_b64 exec, exec, s[6:7]
	s_and_saveexec_b64 s[6:7], s[4:5]
	s_cbranch_execz .LBB2_13176
.LBB2_13175:
	v_bfe_u32 v3, v5, 16, 3
	v_ffbh_u32_e32 v7, v3
	v_min_u32_e32 v7, 32, v7
	v_lshrrev_b32_e32 v4, 19, v5
	v_subrev_u32_e32 v8, 28, v7
	v_and_b32_e32 v4, 15, v4
	v_lshlrev_b32_sdwa v8, v8, v5 dst_sel:DWORD dst_unused:UNUSED_PAD src0_sel:DWORD src1_sel:WORD_1
	v_bfe_u32 v6, v5, 19, 4
	v_sub_u32_e32 v7, 29, v7
	v_and_b32_e32 v8, 7, v8
	v_cmp_eq_u16_e32 vcc, 0, v4
	v_cndmask_b32_e32 v3, v3, v8, vcc
	v_cndmask_b32_e32 v4, v6, v7, vcc
	v_lshlrev_b32_e32 v6, 8, v5
	v_mov_b32_e32 v7, 0x3b800000
	v_lshlrev_b32_e32 v3, 20, v3
	v_and_b32_e32 v6, 0x80000000, v6
	v_lshl_add_u32 v4, v4, 23, v7
	v_or3_b32 v4, v6, v4, v3
.LBB2_13176:
	s_or_b64 exec, exec, s[6:7]
	s_nop 0
	v_mfma_f32_16x16x4f32 a[0:3], v2, v4, a[0:3]
	s_movk_i32 s4, 0x7f
	v_cmp_gt_i16_sdwa s[6:7], v9, s4 src0_sel:BYTE_3 src1_sel:DWORD
	s_mov_b64 s[4:5], 0
                                        ; implicit-def: $sgpr10
	s_and_saveexec_b64 s[8:9], s[6:7]
	s_xor_b64 s[6:7], exec, s[8:9]
	s_cbranch_execz .LBB2_13177
; %bb.49017:
	s_getpc_b64 s[14:15]
.Lpost_getpc28092:
	s_add_u32 s14, s14, (.LBB2_27513-.Lpost_getpc28092)&4294967295
	s_addc_u32 s15, s15, (.LBB2_27513-.Lpost_getpc28092)>>32
	s_setpc_b64 s[14:15]
.LBB2_13177:
	s_or_saveexec_b64 s[6:7], s[6:7]
	v_mov_b32_e32 v2, s10
	s_xor_b64 exec, exec, s[6:7]
	s_cbranch_execz .LBB2_13178
; %bb.49019:
	s_getpc_b64 s[14:15]
.Lpost_getpc28093:
	s_add_u32 s14, s14, (.LBB2_27516-.Lpost_getpc28093)&4294967295
	s_addc_u32 s15, s15, (.LBB2_27516-.Lpost_getpc28093)>>32
	s_setpc_b64 s[14:15]
.LBB2_13178:
	s_or_b64 exec, exec, s[6:7]
	s_and_saveexec_b64 s[6:7], s[4:5]
	s_cbranch_execz .LBB2_13180
.LBB2_13179:
	v_bfe_u32 v2, v9, 24, 3
	v_ffbh_u32_e32 v7, v2
	v_min_u32_e32 v7, 32, v7
	v_lshrrev_b32_e32 v4, 27, v9
	v_subrev_u32_e32 v8, 28, v7
	v_and_b32_e32 v4, 15, v4
	v_lshlrev_b32_sdwa v8, v8, v9 dst_sel:DWORD dst_unused:UNUSED_PAD src0_sel:DWORD src1_sel:BYTE_3
	v_bfe_u32 v6, v9, 27, 4
	v_sub_u32_e32 v7, 29, v7
	v_and_b32_e32 v8, 7, v8
	v_cmp_eq_u16_e32 vcc, 0, v4
	v_cndmask_b32_e32 v2, v2, v8, vcc
	v_cndmask_b32_e32 v4, v6, v7, vcc
	v_mov_b32_e32 v6, 0x3b800000
	v_and_b32_e32 v3, 0x80000000, v9
	v_lshlrev_b32_e32 v2, 20, v2
	v_lshl_add_u32 v4, v4, 23, v6
	v_or3_b32 v2, v3, v4, v2
.LBB2_13180:
	s_or_b64 exec, exec, s[6:7]
	s_movk_i32 s4, 0x7f
	v_cmp_gt_i16_sdwa s[6:7], v5, s4 src0_sel:BYTE_3 src1_sel:DWORD
	s_mov_b64 s[4:5], 0
                                        ; implicit-def: $sgpr10
	s_and_saveexec_b64 s[8:9], s[6:7]
	s_xor_b64 s[6:7], exec, s[8:9]
	s_cbranch_execz .LBB2_13181
; %bb.49021:
	s_getpc_b64 s[14:15]
.Lpost_getpc28094:
	s_add_u32 s14, s14, (.LBB2_27517-.Lpost_getpc28094)&4294967295
	s_addc_u32 s15, s15, (.LBB2_27517-.Lpost_getpc28094)>>32
	s_setpc_b64 s[14:15]
.LBB2_13181:
	s_or_saveexec_b64 s[6:7], s[6:7]
	v_mov_b32_e32 v3, s10
	s_xor_b64 exec, exec, s[6:7]
	s_cbranch_execz .LBB2_13182
; %bb.49023:
	s_getpc_b64 s[14:15]
.Lpost_getpc28095:
	s_add_u32 s14, s14, (.LBB2_27520-.Lpost_getpc28095)&4294967295
	s_addc_u32 s15, s15, (.LBB2_27520-.Lpost_getpc28095)>>32
	s_setpc_b64 s[14:15]
.LBB2_13182:
	s_or_b64 exec, exec, s[6:7]
	s_and_saveexec_b64 s[6:7], s[4:5]
	s_cbranch_execz .LBB2_13184
.LBB2_13183:
	v_bfe_u32 v3, v5, 24, 3
	v_ffbh_u32_e32 v8, v3
	v_min_u32_e32 v8, 32, v8
	v_lshrrev_b32_e32 v6, 27, v5
	v_subrev_u32_e32 v9, 28, v8
	v_and_b32_e32 v4, 0x80000000, v5
	v_and_b32_e32 v6, 15, v6
	v_bfe_u32 v7, v5, 27, 4
	v_lshlrev_b32_sdwa v5, v9, v5 dst_sel:DWORD dst_unused:UNUSED_PAD src0_sel:DWORD src1_sel:BYTE_3
	v_sub_u32_e32 v8, 29, v8
	v_and_b32_e32 v5, 7, v5
	v_cmp_eq_u16_e32 vcc, 0, v6
	v_cndmask_b32_e32 v3, v3, v5, vcc
	v_cndmask_b32_e32 v5, v7, v8, vcc
	v_mov_b32_e32 v6, 0x3b800000
	v_lshlrev_b32_e32 v3, 20, v3
	v_lshl_add_u32 v5, v5, 23, v6
	v_or3_b32 v3, v4, v5, v3
.LBB2_13184:
	s_or_b64 exec, exec, s[6:7]
	s_nop 0
	v_mfma_f32_16x16x4f32 a[0:3], v2, v3, a[0:3]
	s_movk_i32 s4, 0x7f
                                        ; implicit-def: $sgpr10
	s_nop 7
	s_nop 1
	flat_store_dwordx4 v[10:11], a[0:3] offset:736
	flat_load_dwordx4 v[12:15], v[0:1]
	s_nop 0
	flat_load_dwordx2 v[10:11], v[0:1] offset:16
	s_waitcnt vmcnt(0) lgkmcnt(0)
	flat_load_dwordx4 v[6:9], v[12:13] offset:192
	flat_load_dwordx4 v[2:5], v[14:15] offset:240
	s_waitcnt vmcnt(0) lgkmcnt(0)
	v_cmp_gt_i16_sdwa s[6:7], v6, s4 src0_sel:BYTE_0 src1_sel:DWORD
	s_mov_b64 s[4:5], 0
	s_and_saveexec_b64 s[8:9], s[6:7]
	s_xor_b64 s[6:7], exec, s[8:9]
	s_cbranch_execz .LBB2_13185
; %bb.49025:
	s_getpc_b64 s[14:15]
.Lpost_getpc28096:
	s_add_u32 s14, s14, (.LBB2_27521-.Lpost_getpc28096)&4294967295
	s_addc_u32 s15, s15, (.LBB2_27521-.Lpost_getpc28096)>>32
	s_setpc_b64 s[14:15]
.LBB2_13185:
	s_or_saveexec_b64 s[6:7], s[6:7]
	v_mov_b32_e32 v12, s10
	s_xor_b64 exec, exec, s[6:7]
	s_cbranch_execz .LBB2_13186
; %bb.49027:
	s_getpc_b64 s[14:15]
.Lpost_getpc28097:
	s_add_u32 s14, s14, (.LBB2_27524-.Lpost_getpc28097)&4294967295
	s_addc_u32 s15, s15, (.LBB2_27524-.Lpost_getpc28097)>>32
	s_setpc_b64 s[14:15]
.LBB2_13186:
	s_or_b64 exec, exec, s[6:7]
	s_and_saveexec_b64 s[6:7], s[4:5]
	s_cbranch_execz .LBB2_13188
.LBB2_13187:
	v_and_b32_e32 v12, 7, v6
	v_ffbh_u32_e32 v14, v12
	v_min_u32_e32 v14, 32, v14
	v_lshrrev_b16_e32 v13, 3, v6
	v_subrev_u32_e32 v15, 28, v14
	v_and_b32_e32 v13, 15, v13
	v_lshlrev_b32_e32 v15, v15, v6
	v_sub_u32_e32 v14, 29, v14
	v_and_b32_e32 v15, 7, v15
	v_cmp_eq_u16_e32 vcc, 0, v13
	v_cndmask_b32_e32 v12, v12, v15, vcc
	v_cndmask_b32_e32 v13, v13, v14, vcc
	v_lshlrev_b32_e32 v14, 24, v6
	v_mov_b32_e32 v15, 0x3b800000
	v_lshlrev_b32_e32 v12, 20, v12
	v_and_b32_e32 v14, 0x80000000, v14
	v_lshl_add_u32 v13, v13, 23, v15
	v_or3_b32 v12, v14, v13, v12
.LBB2_13188:
	s_or_b64 exec, exec, s[6:7]
	s_movk_i32 s4, 0x7f
	v_cmp_gt_i16_sdwa s[6:7], v2, s4 src0_sel:BYTE_0 src1_sel:DWORD
	s_mov_b64 s[4:5], 0
                                        ; implicit-def: $sgpr10
	s_and_saveexec_b64 s[8:9], s[6:7]
	s_xor_b64 s[6:7], exec, s[8:9]
	s_cbranch_execz .LBB2_13189
; %bb.49029:
	s_getpc_b64 s[14:15]
.Lpost_getpc28098:
	s_add_u32 s14, s14, (.LBB2_27525-.Lpost_getpc28098)&4294967295
	s_addc_u32 s15, s15, (.LBB2_27525-.Lpost_getpc28098)>>32
	s_setpc_b64 s[14:15]
.LBB2_13189:
	s_or_saveexec_b64 s[6:7], s[6:7]
	v_mov_b32_e32 v13, s10
	s_xor_b64 exec, exec, s[6:7]
	s_cbranch_execz .LBB2_13190
; %bb.49031:
	s_getpc_b64 s[14:15]
.Lpost_getpc28099:
	s_add_u32 s14, s14, (.LBB2_27528-.Lpost_getpc28099)&4294967295
	s_addc_u32 s15, s15, (.LBB2_27528-.Lpost_getpc28099)>>32
	s_setpc_b64 s[14:15]
.LBB2_13190:
	s_or_b64 exec, exec, s[6:7]
	s_and_saveexec_b64 s[6:7], s[4:5]
	s_cbranch_execz .LBB2_13192
.LBB2_13191:
	v_and_b32_e32 v13, 7, v2
	v_ffbh_u32_e32 v15, v13
	v_min_u32_e32 v15, 32, v15
	v_lshrrev_b16_e32 v14, 3, v2
	v_subrev_u32_e32 v16, 28, v15
	v_and_b32_e32 v14, 15, v14
	v_lshlrev_b32_e32 v16, v16, v2
	v_sub_u32_e32 v15, 29, v15
	v_and_b32_e32 v16, 7, v16
	v_cmp_eq_u16_e32 vcc, 0, v14
	v_cndmask_b32_e32 v13, v13, v16, vcc
	v_cndmask_b32_e32 v14, v14, v15, vcc
	v_lshlrev_b32_e32 v15, 24, v2
	v_mov_b32_e32 v16, 0x3b800000
	v_lshlrev_b32_e32 v13, 20, v13
	v_and_b32_e32 v15, 0x80000000, v15
	v_lshl_add_u32 v14, v14, 23, v16
	v_or3_b32 v13, v15, v14, v13
.LBB2_13192:
	s_or_b64 exec, exec, s[6:7]
	flat_load_dwordx4 a[0:3], v[10:11] offset:752
	s_movk_i32 s4, 0x7f
                                        ; implicit-def: $sgpr10
	s_waitcnt vmcnt(0) lgkmcnt(0)
	v_mfma_f32_16x16x4f32 a[0:3], v12, v13, a[0:3]
	v_lshrrev_b32_e32 v13, 8, v6
	v_cmp_gt_i16_sdwa s[6:7], v13, s4 src0_sel:BYTE_0 src1_sel:DWORD
	s_mov_b64 s[4:5], 0
	s_and_saveexec_b64 s[8:9], s[6:7]
	s_xor_b64 s[6:7], exec, s[8:9]
	s_cbranch_execz .LBB2_13193
; %bb.49033:
	s_getpc_b64 s[14:15]
.Lpost_getpc28100:
	s_add_u32 s14, s14, (.LBB2_27529-.Lpost_getpc28100)&4294967295
	s_addc_u32 s15, s15, (.LBB2_27529-.Lpost_getpc28100)>>32
	s_setpc_b64 s[14:15]
.LBB2_13193:
	s_or_saveexec_b64 s[6:7], s[6:7]
	v_mov_b32_e32 v12, s10
	s_xor_b64 exec, exec, s[6:7]
	s_cbranch_execz .LBB2_13194
; %bb.49035:
	s_getpc_b64 s[14:15]
.Lpost_getpc28101:
	s_add_u32 s14, s14, (.LBB2_27532-.Lpost_getpc28101)&4294967295
	s_addc_u32 s15, s15, (.LBB2_27532-.Lpost_getpc28101)>>32
	s_setpc_b64 s[14:15]
.LBB2_13194:
	s_or_b64 exec, exec, s[6:7]
	s_and_saveexec_b64 s[6:7], s[4:5]
	s_cbranch_execz .LBB2_13196
.LBB2_13195:
	v_bfe_u32 v12, v6, 8, 3
	v_ffbh_u32_e32 v15, v12
	v_min_u32_e32 v15, 32, v15
	v_lshrrev_b16_e32 v14, 3, v13
	v_subrev_u32_e32 v16, 28, v15
	v_and_b32_e32 v14, 15, v14
	v_lshlrev_b32_e32 v13, v16, v13
	v_sub_u32_e32 v15, 29, v15
	v_and_b32_e32 v13, 7, v13
	v_cmp_eq_u16_e32 vcc, 0, v14
	v_cndmask_b32_e32 v12, v12, v13, vcc
	v_cndmask_b32_e32 v13, v14, v15, vcc
	v_lshlrev_b32_e32 v14, 16, v6
	v_mov_b32_e32 v15, 0x3b800000
	v_lshlrev_b32_e32 v12, 20, v12
	v_and_b32_e32 v14, 0x80000000, v14
	v_lshl_add_u32 v13, v13, 23, v15
	v_or3_b32 v12, v14, v13, v12
.LBB2_13196:
	s_or_b64 exec, exec, s[6:7]
	v_lshrrev_b32_e32 v13, 8, v2
	s_movk_i32 s4, 0x7f
	v_cmp_gt_i16_sdwa s[6:7], v13, s4 src0_sel:BYTE_0 src1_sel:DWORD
	s_mov_b64 s[4:5], 0
                                        ; implicit-def: $sgpr10
	s_and_saveexec_b64 s[8:9], s[6:7]
	s_xor_b64 s[6:7], exec, s[8:9]
	s_cbranch_execz .LBB2_13197
; %bb.49037:
	s_getpc_b64 s[14:15]
.Lpost_getpc28102:
	s_add_u32 s14, s14, (.LBB2_27533-.Lpost_getpc28102)&4294967295
	s_addc_u32 s15, s15, (.LBB2_27533-.Lpost_getpc28102)>>32
	s_setpc_b64 s[14:15]
.LBB2_13197:
	s_or_saveexec_b64 s[6:7], s[6:7]
	v_mov_b32_e32 v14, s10
	s_xor_b64 exec, exec, s[6:7]
	s_cbranch_execz .LBB2_13198
; %bb.49039:
	s_getpc_b64 s[14:15]
.Lpost_getpc28103:
	s_add_u32 s14, s14, (.LBB2_27536-.Lpost_getpc28103)&4294967295
	s_addc_u32 s15, s15, (.LBB2_27536-.Lpost_getpc28103)>>32
	s_setpc_b64 s[14:15]
.LBB2_13198:
	s_or_b64 exec, exec, s[6:7]
	s_and_saveexec_b64 s[6:7], s[4:5]
	s_cbranch_execz .LBB2_13200
.LBB2_13199:
	v_bfe_u32 v14, v2, 8, 3
	v_ffbh_u32_e32 v16, v14
	v_min_u32_e32 v16, 32, v16
	v_lshrrev_b16_e32 v15, 3, v13
	v_subrev_u32_e32 v17, 28, v16
	v_and_b32_e32 v15, 15, v15
	v_lshlrev_b32_e32 v13, v17, v13
	v_sub_u32_e32 v16, 29, v16
	v_and_b32_e32 v13, 7, v13
	v_cmp_eq_u16_e32 vcc, 0, v15
	v_cndmask_b32_e32 v13, v14, v13, vcc
	v_cndmask_b32_e32 v14, v15, v16, vcc
	v_lshlrev_b32_e32 v15, 16, v2
	v_mov_b32_e32 v16, 0x3b800000
	v_lshlrev_b32_e32 v13, 20, v13
	v_and_b32_e32 v15, 0x80000000, v15
	v_lshl_add_u32 v14, v14, 23, v16
	v_or3_b32 v14, v15, v14, v13
.LBB2_13200:
	s_or_b64 exec, exec, s[6:7]
	s_nop 0
	v_mfma_f32_16x16x4f32 a[0:3], v12, v14, a[0:3]
	s_movk_i32 s4, 0xff
	v_and_b32_sdwa v13, v6, s4 dst_sel:DWORD dst_unused:UNUSED_PAD src0_sel:WORD_1 src1_sel:DWORD
	s_movk_i32 s4, 0x7f
	v_cmp_lt_i16_e32 vcc, s4, v13
	s_mov_b64 s[4:5], 0
                                        ; implicit-def: $sgpr10
	s_and_saveexec_b64 s[6:7], vcc
	s_xor_b64 s[6:7], exec, s[6:7]
	s_cbranch_execz .LBB2_13201
; %bb.49041:
	s_getpc_b64 s[14:15]
.Lpost_getpc28104:
	s_add_u32 s14, s14, (.LBB2_27537-.Lpost_getpc28104)&4294967295
	s_addc_u32 s15, s15, (.LBB2_27537-.Lpost_getpc28104)>>32
	s_setpc_b64 s[14:15]
.LBB2_13201:
	s_or_saveexec_b64 s[6:7], s[6:7]
	v_mov_b32_e32 v12, s10
	s_xor_b64 exec, exec, s[6:7]
	s_cbranch_execz .LBB2_13202
; %bb.49043:
	s_getpc_b64 s[14:15]
.Lpost_getpc28105:
	s_add_u32 s14, s14, (.LBB2_27540-.Lpost_getpc28105)&4294967295
	s_addc_u32 s15, s15, (.LBB2_27540-.Lpost_getpc28105)>>32
	s_setpc_b64 s[14:15]
.LBB2_13202:
	s_or_b64 exec, exec, s[6:7]
	s_and_saveexec_b64 s[6:7], s[4:5]
	s_cbranch_execz .LBB2_13204
.LBB2_13203:
	v_bfe_u32 v12, v6, 16, 3
	v_ffbh_u32_e32 v15, v12
	v_min_u32_e32 v15, 32, v15
	v_lshrrev_b32_e32 v13, 19, v6
	v_subrev_u32_e32 v16, 28, v15
	v_and_b32_e32 v13, 15, v13
	v_lshlrev_b32_sdwa v16, v16, v6 dst_sel:DWORD dst_unused:UNUSED_PAD src0_sel:DWORD src1_sel:WORD_1
	v_bfe_u32 v14, v6, 19, 4
	v_sub_u32_e32 v15, 29, v15
	v_and_b32_e32 v16, 7, v16
	v_cmp_eq_u16_e32 vcc, 0, v13
	v_cndmask_b32_e32 v12, v12, v16, vcc
	v_cndmask_b32_e32 v13, v14, v15, vcc
	v_lshlrev_b32_e32 v14, 8, v6
	v_mov_b32_e32 v15, 0x3b800000
	v_lshlrev_b32_e32 v12, 20, v12
	v_and_b32_e32 v14, 0x80000000, v14
	v_lshl_add_u32 v13, v13, 23, v15
	v_or3_b32 v12, v14, v13, v12
.LBB2_13204:
	s_or_b64 exec, exec, s[6:7]
	s_movk_i32 s4, 0xff
	v_and_b32_sdwa v13, v2, s4 dst_sel:DWORD dst_unused:UNUSED_PAD src0_sel:WORD_1 src1_sel:DWORD
	s_movk_i32 s4, 0x7f
	v_cmp_lt_i16_e32 vcc, s4, v13
	s_mov_b64 s[4:5], 0
                                        ; implicit-def: $sgpr10
	s_and_saveexec_b64 s[6:7], vcc
	s_xor_b64 s[6:7], exec, s[6:7]
	s_cbranch_execz .LBB2_13205
; %bb.49045:
	s_getpc_b64 s[14:15]
.Lpost_getpc28106:
	s_add_u32 s14, s14, (.LBB2_27541-.Lpost_getpc28106)&4294967295
	s_addc_u32 s15, s15, (.LBB2_27541-.Lpost_getpc28106)>>32
	s_setpc_b64 s[14:15]
.LBB2_13205:
	s_or_saveexec_b64 s[6:7], s[6:7]
	v_mov_b32_e32 v14, s10
	s_xor_b64 exec, exec, s[6:7]
	s_cbranch_execz .LBB2_13206
; %bb.49047:
	s_getpc_b64 s[14:15]
.Lpost_getpc28107:
	s_add_u32 s14, s14, (.LBB2_27544-.Lpost_getpc28107)&4294967295
	s_addc_u32 s15, s15, (.LBB2_27544-.Lpost_getpc28107)>>32
	s_setpc_b64 s[14:15]
.LBB2_13206:
	s_or_b64 exec, exec, s[6:7]
	s_and_saveexec_b64 s[6:7], s[4:5]
	s_cbranch_execz .LBB2_13208
.LBB2_13207:
	v_bfe_u32 v13, v2, 16, 3
	v_ffbh_u32_e32 v16, v13
	v_min_u32_e32 v16, 32, v16
	v_lshrrev_b32_e32 v14, 19, v2
	v_subrev_u32_e32 v17, 28, v16
	v_and_b32_e32 v14, 15, v14
	v_lshlrev_b32_sdwa v17, v17, v2 dst_sel:DWORD dst_unused:UNUSED_PAD src0_sel:DWORD src1_sel:WORD_1
	v_bfe_u32 v15, v2, 19, 4
	v_sub_u32_e32 v16, 29, v16
	v_and_b32_e32 v17, 7, v17
	v_cmp_eq_u16_e32 vcc, 0, v14
	v_cndmask_b32_e32 v13, v13, v17, vcc
	v_cndmask_b32_e32 v14, v15, v16, vcc
	v_lshlrev_b32_e32 v15, 8, v2
	v_mov_b32_e32 v16, 0x3b800000
	v_lshlrev_b32_e32 v13, 20, v13
	v_and_b32_e32 v15, 0x80000000, v15
	v_lshl_add_u32 v14, v14, 23, v16
	v_or3_b32 v14, v15, v14, v13
.LBB2_13208:
	s_or_b64 exec, exec, s[6:7]
	s_nop 0
	v_mfma_f32_16x16x4f32 a[0:3], v12, v14, a[0:3]
	s_movk_i32 s4, 0x7f
	v_cmp_gt_i16_sdwa s[6:7], v6, s4 src0_sel:BYTE_3 src1_sel:DWORD
	s_mov_b64 s[4:5], 0
                                        ; implicit-def: $sgpr10
	s_and_saveexec_b64 s[8:9], s[6:7]
	s_xor_b64 s[6:7], exec, s[8:9]
	s_cbranch_execz .LBB2_13209
; %bb.49049:
	s_getpc_b64 s[14:15]
.Lpost_getpc28108:
	s_add_u32 s14, s14, (.LBB2_27545-.Lpost_getpc28108)&4294967295
	s_addc_u32 s15, s15, (.LBB2_27545-.Lpost_getpc28108)>>32
	s_setpc_b64 s[14:15]
.LBB2_13209:
	s_or_saveexec_b64 s[6:7], s[6:7]
	v_mov_b32_e32 v12, s10
	s_xor_b64 exec, exec, s[6:7]
	s_cbranch_execz .LBB2_13210
; %bb.49051:
	s_getpc_b64 s[14:15]
.Lpost_getpc28109:
	s_add_u32 s14, s14, (.LBB2_27548-.Lpost_getpc28109)&4294967295
	s_addc_u32 s15, s15, (.LBB2_27548-.Lpost_getpc28109)>>32
	s_setpc_b64 s[14:15]
.LBB2_13210:
	s_or_b64 exec, exec, s[6:7]
	s_and_saveexec_b64 s[6:7], s[4:5]
	s_cbranch_execz .LBB2_13212
.LBB2_13211:
	v_bfe_u32 v12, v6, 24, 3
	v_ffbh_u32_e32 v16, v12
	v_min_u32_e32 v16, 32, v16
	v_lshrrev_b32_e32 v14, 27, v6
	v_subrev_u32_e32 v17, 28, v16
	v_and_b32_e32 v13, 0x80000000, v6
	v_and_b32_e32 v14, 15, v14
	v_bfe_u32 v15, v6, 27, 4
	v_lshlrev_b32_sdwa v6, v17, v6 dst_sel:DWORD dst_unused:UNUSED_PAD src0_sel:DWORD src1_sel:BYTE_3
	v_sub_u32_e32 v16, 29, v16
	v_and_b32_e32 v6, 7, v6
	v_cmp_eq_u16_e32 vcc, 0, v14
	v_cndmask_b32_e32 v6, v12, v6, vcc
	v_cndmask_b32_e32 v12, v15, v16, vcc
	v_mov_b32_e32 v14, 0x3b800000
	v_lshlrev_b32_e32 v6, 20, v6
	v_lshl_add_u32 v12, v12, 23, v14
	v_or3_b32 v12, v13, v12, v6
.LBB2_13212:
	s_or_b64 exec, exec, s[6:7]
	s_movk_i32 s4, 0x7f
	v_cmp_gt_i16_sdwa s[6:7], v2, s4 src0_sel:BYTE_3 src1_sel:DWORD
	s_mov_b64 s[4:5], 0
                                        ; implicit-def: $sgpr10
	s_and_saveexec_b64 s[8:9], s[6:7]
	s_xor_b64 s[6:7], exec, s[8:9]
	s_cbranch_execz .LBB2_13213
; %bb.49053:
	s_getpc_b64 s[14:15]
.Lpost_getpc28110:
	s_add_u32 s14, s14, (.LBB2_27549-.Lpost_getpc28110)&4294967295
	s_addc_u32 s15, s15, (.LBB2_27549-.Lpost_getpc28110)>>32
	s_setpc_b64 s[14:15]
.LBB2_13213:
	s_or_saveexec_b64 s[6:7], s[6:7]
	v_mov_b32_e32 v6, s10
	s_xor_b64 exec, exec, s[6:7]
	s_cbranch_execz .LBB2_13214
; %bb.49055:
	s_getpc_b64 s[14:15]
.Lpost_getpc28111:
	s_add_u32 s14, s14, (.LBB2_27552-.Lpost_getpc28111)&4294967295
	s_addc_u32 s15, s15, (.LBB2_27552-.Lpost_getpc28111)>>32
	s_setpc_b64 s[14:15]
.LBB2_13214:
	s_or_b64 exec, exec, s[6:7]
	s_and_saveexec_b64 s[6:7], s[4:5]
	s_cbranch_execz .LBB2_13216
.LBB2_13215:
	v_bfe_u32 v6, v2, 24, 3
	v_ffbh_u32_e32 v16, v6
	v_min_u32_e32 v16, 32, v16
	v_lshrrev_b32_e32 v14, 27, v2
	v_subrev_u32_e32 v17, 28, v16
	v_and_b32_e32 v13, 0x80000000, v2
	v_and_b32_e32 v14, 15, v14
	v_bfe_u32 v15, v2, 27, 4
	v_lshlrev_b32_sdwa v2, v17, v2 dst_sel:DWORD dst_unused:UNUSED_PAD src0_sel:DWORD src1_sel:BYTE_3
	v_sub_u32_e32 v16, 29, v16
	v_and_b32_e32 v2, 7, v2
	v_cmp_eq_u16_e32 vcc, 0, v14
	v_cndmask_b32_e32 v2, v6, v2, vcc
	v_cndmask_b32_e32 v6, v15, v16, vcc
	v_mov_b32_e32 v14, 0x3b800000
	v_lshlrev_b32_e32 v2, 20, v2
	v_lshl_add_u32 v6, v6, 23, v14
	v_or3_b32 v6, v13, v6, v2
.LBB2_13216:
	s_or_b64 exec, exec, s[6:7]
	s_nop 0
	v_mfma_f32_16x16x4f32 a[0:3], v12, v6, a[0:3]
	s_movk_i32 s4, 0x7f
	v_cmp_gt_i16_sdwa s[6:7], v7, s4 src0_sel:BYTE_0 src1_sel:DWORD
	s_mov_b64 s[4:5], 0
                                        ; implicit-def: $sgpr10
	s_and_saveexec_b64 s[8:9], s[6:7]
	s_xor_b64 s[6:7], exec, s[8:9]
	s_cbranch_execz .LBB2_13217
; %bb.49057:
	s_getpc_b64 s[14:15]
.Lpost_getpc28112:
	s_add_u32 s14, s14, (.LBB2_27553-.Lpost_getpc28112)&4294967295
	s_addc_u32 s15, s15, (.LBB2_27553-.Lpost_getpc28112)>>32
	s_setpc_b64 s[14:15]
.LBB2_13217:
	s_or_saveexec_b64 s[6:7], s[6:7]
	v_mov_b32_e32 v2, s10
	s_xor_b64 exec, exec, s[6:7]
	s_cbranch_execz .LBB2_13218
; %bb.49059:
	s_getpc_b64 s[14:15]
.Lpost_getpc28113:
	s_add_u32 s14, s14, (.LBB2_27556-.Lpost_getpc28113)&4294967295
	s_addc_u32 s15, s15, (.LBB2_27556-.Lpost_getpc28113)>>32
	s_setpc_b64 s[14:15]
.LBB2_13218:
	s_or_b64 exec, exec, s[6:7]
	s_and_saveexec_b64 s[6:7], s[4:5]
	s_cbranch_execz .LBB2_13220
.LBB2_13219:
	v_and_b32_e32 v2, 7, v7
	v_ffbh_u32_e32 v12, v2
	v_min_u32_e32 v12, 32, v12
	v_lshrrev_b16_e32 v6, 3, v7
	v_subrev_u32_e32 v13, 28, v12
	v_and_b32_e32 v6, 15, v6
	v_lshlrev_b32_e32 v13, v13, v7
	v_sub_u32_e32 v12, 29, v12
	v_and_b32_e32 v13, 7, v13
	v_cmp_eq_u16_e32 vcc, 0, v6
	v_cndmask_b32_e32 v2, v2, v13, vcc
	v_cndmask_b32_e32 v6, v6, v12, vcc
	v_lshlrev_b32_e32 v12, 24, v7
	v_mov_b32_e32 v13, 0x3b800000
	v_lshlrev_b32_e32 v2, 20, v2
	v_and_b32_e32 v12, 0x80000000, v12
	v_lshl_add_u32 v6, v6, 23, v13
	v_or3_b32 v2, v12, v6, v2
.LBB2_13220:
	s_or_b64 exec, exec, s[6:7]
	s_movk_i32 s4, 0x7f
	v_cmp_gt_i16_sdwa s[6:7], v3, s4 src0_sel:BYTE_0 src1_sel:DWORD
	s_mov_b64 s[4:5], 0
                                        ; implicit-def: $sgpr10
	s_and_saveexec_b64 s[8:9], s[6:7]
	s_xor_b64 s[6:7], exec, s[8:9]
	s_cbranch_execz .LBB2_13221
; %bb.49061:
	s_getpc_b64 s[14:15]
.Lpost_getpc28114:
	s_add_u32 s14, s14, (.LBB2_27557-.Lpost_getpc28114)&4294967295
	s_addc_u32 s15, s15, (.LBB2_27557-.Lpost_getpc28114)>>32
	s_setpc_b64 s[14:15]
.LBB2_13221:
	s_or_saveexec_b64 s[6:7], s[6:7]
	v_mov_b32_e32 v6, s10
	s_xor_b64 exec, exec, s[6:7]
	s_cbranch_execz .LBB2_13222
; %bb.49063:
	s_getpc_b64 s[14:15]
.Lpost_getpc28115:
	s_add_u32 s14, s14, (.LBB2_27560-.Lpost_getpc28115)&4294967295
	s_addc_u32 s15, s15, (.LBB2_27560-.Lpost_getpc28115)>>32
	s_setpc_b64 s[14:15]
.LBB2_13222:
	s_or_b64 exec, exec, s[6:7]
	s_and_saveexec_b64 s[6:7], s[4:5]
	s_cbranch_execz .LBB2_13224
.LBB2_13223:
	v_and_b32_e32 v6, 7, v3
	v_ffbh_u32_e32 v13, v6
	v_min_u32_e32 v13, 32, v13
	v_lshrrev_b16_e32 v12, 3, v3
	v_subrev_u32_e32 v14, 28, v13
	v_and_b32_e32 v12, 15, v12
	v_lshlrev_b32_e32 v14, v14, v3
	v_sub_u32_e32 v13, 29, v13
	v_and_b32_e32 v14, 7, v14
	v_cmp_eq_u16_e32 vcc, 0, v12
	v_cndmask_b32_e32 v6, v6, v14, vcc
	v_cndmask_b32_e32 v12, v12, v13, vcc
	v_lshlrev_b32_e32 v13, 24, v3
	v_mov_b32_e32 v14, 0x3b800000
	v_lshlrev_b32_e32 v6, 20, v6
	v_and_b32_e32 v13, 0x80000000, v13
	v_lshl_add_u32 v12, v12, 23, v14
	v_or3_b32 v6, v13, v12, v6
.LBB2_13224:
	s_or_b64 exec, exec, s[6:7]
	s_nop 0
	v_mfma_f32_16x16x4f32 a[0:3], v2, v6, a[0:3]
	v_lshrrev_b32_e32 v6, 8, v7
	s_movk_i32 s4, 0x7f
	v_cmp_gt_i16_sdwa s[6:7], v6, s4 src0_sel:BYTE_0 src1_sel:DWORD
	s_mov_b64 s[4:5], 0
                                        ; implicit-def: $sgpr10
	s_and_saveexec_b64 s[8:9], s[6:7]
	s_xor_b64 s[6:7], exec, s[8:9]
	s_cbranch_execz .LBB2_13225
; %bb.49065:
	s_getpc_b64 s[14:15]
.Lpost_getpc28116:
	s_add_u32 s14, s14, (.LBB2_27561-.Lpost_getpc28116)&4294967295
	s_addc_u32 s15, s15, (.LBB2_27561-.Lpost_getpc28116)>>32
	s_setpc_b64 s[14:15]
.LBB2_13225:
	s_or_saveexec_b64 s[6:7], s[6:7]
	v_mov_b32_e32 v2, s10
	s_xor_b64 exec, exec, s[6:7]
	s_cbranch_execz .LBB2_13226
; %bb.49067:
	s_getpc_b64 s[14:15]
.Lpost_getpc28117:
	s_add_u32 s14, s14, (.LBB2_27564-.Lpost_getpc28117)&4294967295
	s_addc_u32 s15, s15, (.LBB2_27564-.Lpost_getpc28117)>>32
	s_setpc_b64 s[14:15]
.LBB2_13226:
	s_or_b64 exec, exec, s[6:7]
	s_and_saveexec_b64 s[6:7], s[4:5]
	s_cbranch_execz .LBB2_13228
.LBB2_13227:
	v_bfe_u32 v2, v7, 8, 3
	v_ffbh_u32_e32 v13, v2
	v_min_u32_e32 v13, 32, v13
	v_lshrrev_b16_e32 v12, 3, v6
	v_subrev_u32_e32 v14, 28, v13
	v_and_b32_e32 v12, 15, v12
	v_lshlrev_b32_e32 v6, v14, v6
	v_sub_u32_e32 v13, 29, v13
	v_and_b32_e32 v6, 7, v6
	v_cmp_eq_u16_e32 vcc, 0, v12
	v_cndmask_b32_e32 v2, v2, v6, vcc
	v_cndmask_b32_e32 v6, v12, v13, vcc
	v_lshlrev_b32_e32 v12, 16, v7
	v_mov_b32_e32 v13, 0x3b800000
	v_lshlrev_b32_e32 v2, 20, v2
	v_and_b32_e32 v12, 0x80000000, v12
	v_lshl_add_u32 v6, v6, 23, v13
	v_or3_b32 v2, v12, v6, v2
.LBB2_13228:
	s_or_b64 exec, exec, s[6:7]
	v_lshrrev_b32_e32 v6, 8, v3
	s_movk_i32 s4, 0x7f
	v_cmp_gt_i16_sdwa s[6:7], v6, s4 src0_sel:BYTE_0 src1_sel:DWORD
	s_mov_b64 s[4:5], 0
                                        ; implicit-def: $sgpr10
	s_and_saveexec_b64 s[8:9], s[6:7]
	s_xor_b64 s[6:7], exec, s[8:9]
	s_cbranch_execz .LBB2_13229
; %bb.49069:
	s_getpc_b64 s[14:15]
.Lpost_getpc28118:
	s_add_u32 s14, s14, (.LBB2_27565-.Lpost_getpc28118)&4294967295
	s_addc_u32 s15, s15, (.LBB2_27565-.Lpost_getpc28118)>>32
	s_setpc_b64 s[14:15]
.LBB2_13229:
	s_or_saveexec_b64 s[6:7], s[6:7]
	v_mov_b32_e32 v12, s10
	s_xor_b64 exec, exec, s[6:7]
	s_cbranch_execz .LBB2_13230
; %bb.49071:
	s_getpc_b64 s[14:15]
.Lpost_getpc28119:
	s_add_u32 s14, s14, (.LBB2_27568-.Lpost_getpc28119)&4294967295
	s_addc_u32 s15, s15, (.LBB2_27568-.Lpost_getpc28119)>>32
	s_setpc_b64 s[14:15]
.LBB2_13230:
	s_or_b64 exec, exec, s[6:7]
	s_and_saveexec_b64 s[6:7], s[4:5]
	s_cbranch_execz .LBB2_13232
.LBB2_13231:
	v_bfe_u32 v12, v3, 8, 3
	v_ffbh_u32_e32 v14, v12
	v_min_u32_e32 v14, 32, v14
	v_lshrrev_b16_e32 v13, 3, v6
	v_subrev_u32_e32 v15, 28, v14
	v_and_b32_e32 v13, 15, v13
	v_lshlrev_b32_e32 v6, v15, v6
	v_sub_u32_e32 v14, 29, v14
	v_and_b32_e32 v6, 7, v6
	v_cmp_eq_u16_e32 vcc, 0, v13
	v_cndmask_b32_e32 v6, v12, v6, vcc
	v_cndmask_b32_e32 v12, v13, v14, vcc
	v_lshlrev_b32_e32 v13, 16, v3
	v_mov_b32_e32 v14, 0x3b800000
	v_lshlrev_b32_e32 v6, 20, v6
	v_and_b32_e32 v13, 0x80000000, v13
	v_lshl_add_u32 v12, v12, 23, v14
	v_or3_b32 v12, v13, v12, v6
.LBB2_13232:
	s_or_b64 exec, exec, s[6:7]
	s_nop 0
	v_mfma_f32_16x16x4f32 a[0:3], v2, v12, a[0:3]
	s_movk_i32 s4, 0xff
	v_and_b32_sdwa v6, v7, s4 dst_sel:DWORD dst_unused:UNUSED_PAD src0_sel:WORD_1 src1_sel:DWORD
	s_movk_i32 s4, 0x7f
	v_cmp_lt_i16_e32 vcc, s4, v6
	s_mov_b64 s[4:5], 0
                                        ; implicit-def: $sgpr10
	s_and_saveexec_b64 s[6:7], vcc
	s_xor_b64 s[6:7], exec, s[6:7]
	s_cbranch_execz .LBB2_13233
; %bb.49073:
	s_getpc_b64 s[14:15]
.Lpost_getpc28120:
	s_add_u32 s14, s14, (.LBB2_27569-.Lpost_getpc28120)&4294967295
	s_addc_u32 s15, s15, (.LBB2_27569-.Lpost_getpc28120)>>32
	s_setpc_b64 s[14:15]
.LBB2_13233:
	s_or_saveexec_b64 s[6:7], s[6:7]
	v_mov_b32_e32 v2, s10
	s_xor_b64 exec, exec, s[6:7]
	s_cbranch_execz .LBB2_13234
; %bb.49075:
	s_getpc_b64 s[14:15]
.Lpost_getpc28121:
	s_add_u32 s14, s14, (.LBB2_27572-.Lpost_getpc28121)&4294967295
	s_addc_u32 s15, s15, (.LBB2_27572-.Lpost_getpc28121)>>32
	s_setpc_b64 s[14:15]
.LBB2_13234:
	s_or_b64 exec, exec, s[6:7]
	s_and_saveexec_b64 s[6:7], s[4:5]
	s_cbranch_execz .LBB2_13236
.LBB2_13235:
	v_bfe_u32 v2, v7, 16, 3
	v_ffbh_u32_e32 v13, v2
	v_min_u32_e32 v13, 32, v13
	v_lshrrev_b32_e32 v6, 19, v7
	v_subrev_u32_e32 v14, 28, v13
	v_and_b32_e32 v6, 15, v6
	v_lshlrev_b32_sdwa v14, v14, v7 dst_sel:DWORD dst_unused:UNUSED_PAD src0_sel:DWORD src1_sel:WORD_1
	v_bfe_u32 v12, v7, 19, 4
	v_sub_u32_e32 v13, 29, v13
	v_and_b32_e32 v14, 7, v14
	v_cmp_eq_u16_e32 vcc, 0, v6
	v_cndmask_b32_e32 v2, v2, v14, vcc
	v_cndmask_b32_e32 v6, v12, v13, vcc
	v_lshlrev_b32_e32 v12, 8, v7
	v_mov_b32_e32 v13, 0x3b800000
	v_lshlrev_b32_e32 v2, 20, v2
	v_and_b32_e32 v12, 0x80000000, v12
	v_lshl_add_u32 v6, v6, 23, v13
	v_or3_b32 v2, v12, v6, v2
.LBB2_13236:
	s_or_b64 exec, exec, s[6:7]
	s_movk_i32 s4, 0xff
	v_and_b32_sdwa v6, v3, s4 dst_sel:DWORD dst_unused:UNUSED_PAD src0_sel:WORD_1 src1_sel:DWORD
	s_movk_i32 s4, 0x7f
	v_cmp_lt_i16_e32 vcc, s4, v6
	s_mov_b64 s[4:5], 0
                                        ; implicit-def: $sgpr10
	s_and_saveexec_b64 s[6:7], vcc
	s_xor_b64 s[6:7], exec, s[6:7]
	s_cbranch_execz .LBB2_13237
; %bb.49077:
	s_getpc_b64 s[14:15]
.Lpost_getpc28122:
	s_add_u32 s14, s14, (.LBB2_27573-.Lpost_getpc28122)&4294967295
	s_addc_u32 s15, s15, (.LBB2_27573-.Lpost_getpc28122)>>32
	s_setpc_b64 s[14:15]
.LBB2_13237:
	s_or_saveexec_b64 s[6:7], s[6:7]
	v_mov_b32_e32 v12, s10
	s_xor_b64 exec, exec, s[6:7]
	s_cbranch_execz .LBB2_13238
; %bb.49079:
	s_getpc_b64 s[14:15]
.Lpost_getpc28123:
	s_add_u32 s14, s14, (.LBB2_27576-.Lpost_getpc28123)&4294967295
	s_addc_u32 s15, s15, (.LBB2_27576-.Lpost_getpc28123)>>32
	s_setpc_b64 s[14:15]
.LBB2_13238:
	s_or_b64 exec, exec, s[6:7]
	s_and_saveexec_b64 s[6:7], s[4:5]
	s_cbranch_execz .LBB2_13240
.LBB2_13239:
	v_bfe_u32 v6, v3, 16, 3
	v_ffbh_u32_e32 v14, v6
	v_min_u32_e32 v14, 32, v14
	v_lshrrev_b32_e32 v12, 19, v3
	v_subrev_u32_e32 v15, 28, v14
	v_and_b32_e32 v12, 15, v12
	v_lshlrev_b32_sdwa v15, v15, v3 dst_sel:DWORD dst_unused:UNUSED_PAD src0_sel:DWORD src1_sel:WORD_1
	v_bfe_u32 v13, v3, 19, 4
	v_sub_u32_e32 v14, 29, v14
	v_and_b32_e32 v15, 7, v15
	v_cmp_eq_u16_e32 vcc, 0, v12
	v_cndmask_b32_e32 v6, v6, v15, vcc
	v_cndmask_b32_e32 v12, v13, v14, vcc
	v_lshlrev_b32_e32 v13, 8, v3
	v_mov_b32_e32 v14, 0x3b800000
	v_lshlrev_b32_e32 v6, 20, v6
	v_and_b32_e32 v13, 0x80000000, v13
	v_lshl_add_u32 v12, v12, 23, v14
	v_or3_b32 v12, v13, v12, v6
.LBB2_13240:
	s_or_b64 exec, exec, s[6:7]
	s_nop 0
	v_mfma_f32_16x16x4f32 a[0:3], v2, v12, a[0:3]
	s_movk_i32 s4, 0x7f
	v_cmp_gt_i16_sdwa s[6:7], v7, s4 src0_sel:BYTE_3 src1_sel:DWORD
	s_mov_b64 s[4:5], 0
                                        ; implicit-def: $sgpr10
	s_and_saveexec_b64 s[8:9], s[6:7]
	s_xor_b64 s[6:7], exec, s[8:9]
	s_cbranch_execz .LBB2_13241
; %bb.49081:
	s_getpc_b64 s[14:15]
.Lpost_getpc28124:
	s_add_u32 s14, s14, (.LBB2_27577-.Lpost_getpc28124)&4294967295
	s_addc_u32 s15, s15, (.LBB2_27577-.Lpost_getpc28124)>>32
	s_setpc_b64 s[14:15]
.LBB2_13241:
	s_or_saveexec_b64 s[6:7], s[6:7]
	v_mov_b32_e32 v2, s10
	s_xor_b64 exec, exec, s[6:7]
	s_cbranch_execz .LBB2_13242
; %bb.49083:
	s_getpc_b64 s[14:15]
.Lpost_getpc28125:
	s_add_u32 s14, s14, (.LBB2_27580-.Lpost_getpc28125)&4294967295
	s_addc_u32 s15, s15, (.LBB2_27580-.Lpost_getpc28125)>>32
	s_setpc_b64 s[14:15]
.LBB2_13242:
	s_or_b64 exec, exec, s[6:7]
	s_and_saveexec_b64 s[6:7], s[4:5]
	s_cbranch_execz .LBB2_13244
.LBB2_13243:
	v_bfe_u32 v2, v7, 24, 3
	v_ffbh_u32_e32 v14, v2
	v_min_u32_e32 v14, 32, v14
	v_lshrrev_b32_e32 v12, 27, v7
	v_subrev_u32_e32 v15, 28, v14
	v_and_b32_e32 v6, 0x80000000, v7
	v_and_b32_e32 v12, 15, v12
	v_bfe_u32 v13, v7, 27, 4
	v_lshlrev_b32_sdwa v7, v15, v7 dst_sel:DWORD dst_unused:UNUSED_PAD src0_sel:DWORD src1_sel:BYTE_3
	v_sub_u32_e32 v14, 29, v14
	v_and_b32_e32 v7, 7, v7
	v_cmp_eq_u16_e32 vcc, 0, v12
	v_cndmask_b32_e32 v2, v2, v7, vcc
	v_cndmask_b32_e32 v7, v13, v14, vcc
	v_mov_b32_e32 v12, 0x3b800000
	v_lshlrev_b32_e32 v2, 20, v2
	v_lshl_add_u32 v7, v7, 23, v12
	v_or3_b32 v2, v6, v7, v2
.LBB2_13244:
	s_or_b64 exec, exec, s[6:7]
	s_movk_i32 s4, 0x7f
	v_cmp_gt_i16_sdwa s[6:7], v3, s4 src0_sel:BYTE_3 src1_sel:DWORD
	s_mov_b64 s[4:5], 0
                                        ; implicit-def: $sgpr10
	s_and_saveexec_b64 s[8:9], s[6:7]
	s_xor_b64 s[6:7], exec, s[8:9]
	s_cbranch_execz .LBB2_13245
; %bb.49085:
	s_getpc_b64 s[14:15]
.Lpost_getpc28126:
	s_add_u32 s14, s14, (.LBB2_27581-.Lpost_getpc28126)&4294967295
	s_addc_u32 s15, s15, (.LBB2_27581-.Lpost_getpc28126)>>32
	s_setpc_b64 s[14:15]
.LBB2_13245:
	s_or_saveexec_b64 s[6:7], s[6:7]
	v_mov_b32_e32 v6, s10
	s_xor_b64 exec, exec, s[6:7]
	s_cbranch_execz .LBB2_13246
; %bb.49087:
	s_getpc_b64 s[14:15]
.Lpost_getpc28127:
	s_add_u32 s14, s14, (.LBB2_27584-.Lpost_getpc28127)&4294967295
	s_addc_u32 s15, s15, (.LBB2_27584-.Lpost_getpc28127)>>32
	s_setpc_b64 s[14:15]
.LBB2_13246:
	s_or_b64 exec, exec, s[6:7]
	s_and_saveexec_b64 s[6:7], s[4:5]
	s_cbranch_execz .LBB2_13248
.LBB2_13247:
	v_bfe_u32 v6, v3, 24, 3
	v_ffbh_u32_e32 v14, v6
	v_min_u32_e32 v14, 32, v14
	v_lshrrev_b32_e32 v12, 27, v3
	v_subrev_u32_e32 v15, 28, v14
	v_and_b32_e32 v7, 0x80000000, v3
	v_and_b32_e32 v12, 15, v12
	v_bfe_u32 v13, v3, 27, 4
	v_lshlrev_b32_sdwa v3, v15, v3 dst_sel:DWORD dst_unused:UNUSED_PAD src0_sel:DWORD src1_sel:BYTE_3
	v_sub_u32_e32 v14, 29, v14
	v_and_b32_e32 v3, 7, v3
	v_cmp_eq_u16_e32 vcc, 0, v12
	v_cndmask_b32_e32 v3, v6, v3, vcc
	v_cndmask_b32_e32 v6, v13, v14, vcc
	v_mov_b32_e32 v12, 0x3b800000
	v_lshlrev_b32_e32 v3, 20, v3
	v_lshl_add_u32 v6, v6, 23, v12
	v_or3_b32 v6, v7, v6, v3
.LBB2_13248:
	s_or_b64 exec, exec, s[6:7]
	s_nop 0
	v_mfma_f32_16x16x4f32 a[0:3], v2, v6, a[0:3]
	s_movk_i32 s4, 0x7f
	v_cmp_gt_i16_sdwa s[6:7], v8, s4 src0_sel:BYTE_0 src1_sel:DWORD
	s_mov_b64 s[4:5], 0
                                        ; implicit-def: $sgpr10
	s_and_saveexec_b64 s[8:9], s[6:7]
	s_xor_b64 s[6:7], exec, s[8:9]
	s_cbranch_execz .LBB2_13249
; %bb.49089:
	s_getpc_b64 s[14:15]
.Lpost_getpc28128:
	s_add_u32 s14, s14, (.LBB2_27585-.Lpost_getpc28128)&4294967295
	s_addc_u32 s15, s15, (.LBB2_27585-.Lpost_getpc28128)>>32
	s_setpc_b64 s[14:15]
.LBB2_13249:
	s_or_saveexec_b64 s[6:7], s[6:7]
	v_mov_b32_e32 v2, s10
	s_xor_b64 exec, exec, s[6:7]
	s_cbranch_execz .LBB2_13250
; %bb.49091:
	s_getpc_b64 s[14:15]
.Lpost_getpc28129:
	s_add_u32 s14, s14, (.LBB2_27588-.Lpost_getpc28129)&4294967295
	s_addc_u32 s15, s15, (.LBB2_27588-.Lpost_getpc28129)>>32
	s_setpc_b64 s[14:15]
.LBB2_13250:
	s_or_b64 exec, exec, s[6:7]
	s_and_saveexec_b64 s[6:7], s[4:5]
	s_cbranch_execz .LBB2_13252
.LBB2_13251:
	v_and_b32_e32 v2, 7, v8
	v_ffbh_u32_e32 v6, v2
	v_min_u32_e32 v6, 32, v6
	v_lshrrev_b16_e32 v3, 3, v8
	v_subrev_u32_e32 v7, 28, v6
	v_and_b32_e32 v3, 15, v3
	v_lshlrev_b32_e32 v7, v7, v8
	v_sub_u32_e32 v6, 29, v6
	v_and_b32_e32 v7, 7, v7
	v_cmp_eq_u16_e32 vcc, 0, v3
	v_cndmask_b32_e32 v2, v2, v7, vcc
	v_cndmask_b32_e32 v3, v3, v6, vcc
	v_lshlrev_b32_e32 v6, 24, v8
	v_mov_b32_e32 v7, 0x3b800000
	v_lshlrev_b32_e32 v2, 20, v2
	v_and_b32_e32 v6, 0x80000000, v6
	v_lshl_add_u32 v3, v3, 23, v7
	v_or3_b32 v2, v6, v3, v2
.LBB2_13252:
	s_or_b64 exec, exec, s[6:7]
	s_movk_i32 s4, 0x7f
	v_cmp_gt_i16_sdwa s[6:7], v4, s4 src0_sel:BYTE_0 src1_sel:DWORD
	s_mov_b64 s[4:5], 0
                                        ; implicit-def: $sgpr10
	s_and_saveexec_b64 s[8:9], s[6:7]
	s_xor_b64 s[6:7], exec, s[8:9]
	s_cbranch_execz .LBB2_13253
; %bb.49093:
	s_getpc_b64 s[14:15]
.Lpost_getpc28130:
	s_add_u32 s14, s14, (.LBB2_27589-.Lpost_getpc28130)&4294967295
	s_addc_u32 s15, s15, (.LBB2_27589-.Lpost_getpc28130)>>32
	s_setpc_b64 s[14:15]
.LBB2_13253:
	s_or_saveexec_b64 s[6:7], s[6:7]
	v_mov_b32_e32 v3, s10
	s_xor_b64 exec, exec, s[6:7]
	s_cbranch_execz .LBB2_13254
; %bb.49095:
	s_getpc_b64 s[14:15]
.Lpost_getpc28131:
	s_add_u32 s14, s14, (.LBB2_27592-.Lpost_getpc28131)&4294967295
	s_addc_u32 s15, s15, (.LBB2_27592-.Lpost_getpc28131)>>32
	s_setpc_b64 s[14:15]
.LBB2_13254:
	s_or_b64 exec, exec, s[6:7]
	s_and_saveexec_b64 s[6:7], s[4:5]
	s_cbranch_execz .LBB2_13256
.LBB2_13255:
	v_and_b32_e32 v3, 7, v4
	v_ffbh_u32_e32 v7, v3
	v_min_u32_e32 v7, 32, v7
	v_lshrrev_b16_e32 v6, 3, v4
	v_subrev_u32_e32 v12, 28, v7
	v_and_b32_e32 v6, 15, v6
	v_lshlrev_b32_e32 v12, v12, v4
	v_sub_u32_e32 v7, 29, v7
	v_and_b32_e32 v12, 7, v12
	v_cmp_eq_u16_e32 vcc, 0, v6
	v_cndmask_b32_e32 v3, v3, v12, vcc
	v_cndmask_b32_e32 v6, v6, v7, vcc
	v_lshlrev_b32_e32 v7, 24, v4
	v_mov_b32_e32 v12, 0x3b800000
	v_lshlrev_b32_e32 v3, 20, v3
	v_and_b32_e32 v7, 0x80000000, v7
	v_lshl_add_u32 v6, v6, 23, v12
	v_or3_b32 v3, v7, v6, v3
.LBB2_13256:
	s_or_b64 exec, exec, s[6:7]
	s_nop 0
	v_mfma_f32_16x16x4f32 a[0:3], v2, v3, a[0:3]
	v_lshrrev_b32_e32 v3, 8, v8
	s_movk_i32 s4, 0x7f
	v_cmp_gt_i16_sdwa s[6:7], v3, s4 src0_sel:BYTE_0 src1_sel:DWORD
	s_mov_b64 s[4:5], 0
                                        ; implicit-def: $sgpr10
	s_and_saveexec_b64 s[8:9], s[6:7]
	s_xor_b64 s[6:7], exec, s[8:9]
	s_cbranch_execz .LBB2_13257
; %bb.49097:
	s_getpc_b64 s[14:15]
.Lpost_getpc28132:
	s_add_u32 s14, s14, (.LBB2_27593-.Lpost_getpc28132)&4294967295
	s_addc_u32 s15, s15, (.LBB2_27593-.Lpost_getpc28132)>>32
	s_setpc_b64 s[14:15]
.LBB2_13257:
	s_or_saveexec_b64 s[6:7], s[6:7]
	v_mov_b32_e32 v2, s10
	s_xor_b64 exec, exec, s[6:7]
	s_cbranch_execz .LBB2_13258
; %bb.49099:
	s_getpc_b64 s[14:15]
.Lpost_getpc28133:
	s_add_u32 s14, s14, (.LBB2_27596-.Lpost_getpc28133)&4294967295
	s_addc_u32 s15, s15, (.LBB2_27596-.Lpost_getpc28133)>>32
	s_setpc_b64 s[14:15]
.LBB2_13258:
	s_or_b64 exec, exec, s[6:7]
	s_and_saveexec_b64 s[6:7], s[4:5]
	s_cbranch_execz .LBB2_13260
.LBB2_13259:
	v_bfe_u32 v2, v8, 8, 3
	v_ffbh_u32_e32 v7, v2
	v_min_u32_e32 v7, 32, v7
	v_lshrrev_b16_e32 v6, 3, v3
	v_subrev_u32_e32 v12, 28, v7
	v_and_b32_e32 v6, 15, v6
	v_lshlrev_b32_e32 v3, v12, v3
	v_sub_u32_e32 v7, 29, v7
	v_and_b32_e32 v3, 7, v3
	v_cmp_eq_u16_e32 vcc, 0, v6
	v_cndmask_b32_e32 v2, v2, v3, vcc
	v_cndmask_b32_e32 v3, v6, v7, vcc
	v_lshlrev_b32_e32 v6, 16, v8
	v_mov_b32_e32 v7, 0x3b800000
	v_lshlrev_b32_e32 v2, 20, v2
	v_and_b32_e32 v6, 0x80000000, v6
	v_lshl_add_u32 v3, v3, 23, v7
	v_or3_b32 v2, v6, v3, v2
.LBB2_13260:
	s_or_b64 exec, exec, s[6:7]
	v_lshrrev_b32_e32 v3, 8, v4
	s_movk_i32 s4, 0x7f
	v_cmp_gt_i16_sdwa s[6:7], v3, s4 src0_sel:BYTE_0 src1_sel:DWORD
	s_mov_b64 s[4:5], 0
                                        ; implicit-def: $sgpr10
	s_and_saveexec_b64 s[8:9], s[6:7]
	s_xor_b64 s[6:7], exec, s[8:9]
	s_cbranch_execz .LBB2_13261
; %bb.49101:
	s_getpc_b64 s[14:15]
.Lpost_getpc28134:
	s_add_u32 s14, s14, (.LBB2_27597-.Lpost_getpc28134)&4294967295
	s_addc_u32 s15, s15, (.LBB2_27597-.Lpost_getpc28134)>>32
	s_setpc_b64 s[14:15]
.LBB2_13261:
	s_or_saveexec_b64 s[6:7], s[6:7]
	v_mov_b32_e32 v6, s10
	s_xor_b64 exec, exec, s[6:7]
	s_cbranch_execz .LBB2_13262
; %bb.49103:
	s_getpc_b64 s[14:15]
.Lpost_getpc28135:
	s_add_u32 s14, s14, (.LBB2_27600-.Lpost_getpc28135)&4294967295
	s_addc_u32 s15, s15, (.LBB2_27600-.Lpost_getpc28135)>>32
	s_setpc_b64 s[14:15]
.LBB2_13262:
	s_or_b64 exec, exec, s[6:7]
	s_and_saveexec_b64 s[6:7], s[4:5]
	s_cbranch_execz .LBB2_13264
.LBB2_13263:
	v_bfe_u32 v6, v4, 8, 3
	v_ffbh_u32_e32 v12, v6
	v_min_u32_e32 v12, 32, v12
	v_lshrrev_b16_e32 v7, 3, v3
	v_subrev_u32_e32 v13, 28, v12
	v_and_b32_e32 v7, 15, v7
	v_lshlrev_b32_e32 v3, v13, v3
	v_sub_u32_e32 v12, 29, v12
	v_and_b32_e32 v3, 7, v3
	v_cmp_eq_u16_e32 vcc, 0, v7
	v_cndmask_b32_e32 v3, v6, v3, vcc
	v_cndmask_b32_e32 v6, v7, v12, vcc
	v_lshlrev_b32_e32 v7, 16, v4
	v_mov_b32_e32 v12, 0x3b800000
	v_lshlrev_b32_e32 v3, 20, v3
	v_and_b32_e32 v7, 0x80000000, v7
	v_lshl_add_u32 v6, v6, 23, v12
	v_or3_b32 v6, v7, v6, v3
.LBB2_13264:
	s_or_b64 exec, exec, s[6:7]
	s_nop 0
	v_mfma_f32_16x16x4f32 a[0:3], v2, v6, a[0:3]
	s_movk_i32 s4, 0xff
	v_and_b32_sdwa v3, v8, s4 dst_sel:DWORD dst_unused:UNUSED_PAD src0_sel:WORD_1 src1_sel:DWORD
	s_movk_i32 s4, 0x7f
	v_cmp_lt_i16_e32 vcc, s4, v3
	s_mov_b64 s[4:5], 0
                                        ; implicit-def: $sgpr10
	s_and_saveexec_b64 s[6:7], vcc
	s_xor_b64 s[6:7], exec, s[6:7]
	s_cbranch_execz .LBB2_13265
; %bb.49105:
	s_getpc_b64 s[14:15]
.Lpost_getpc28136:
	s_add_u32 s14, s14, (.LBB2_27601-.Lpost_getpc28136)&4294967295
	s_addc_u32 s15, s15, (.LBB2_27601-.Lpost_getpc28136)>>32
	s_setpc_b64 s[14:15]
.LBB2_13265:
	s_or_saveexec_b64 s[6:7], s[6:7]
	v_mov_b32_e32 v2, s10
	s_xor_b64 exec, exec, s[6:7]
	s_cbranch_execz .LBB2_13266
; %bb.49107:
	s_getpc_b64 s[14:15]
.Lpost_getpc28137:
	s_add_u32 s14, s14, (.LBB2_27604-.Lpost_getpc28137)&4294967295
	s_addc_u32 s15, s15, (.LBB2_27604-.Lpost_getpc28137)>>32
	s_setpc_b64 s[14:15]
.LBB2_13266:
	s_or_b64 exec, exec, s[6:7]
	s_and_saveexec_b64 s[6:7], s[4:5]
	s_cbranch_execz .LBB2_13268
.LBB2_13267:
	v_bfe_u32 v2, v8, 16, 3
	v_ffbh_u32_e32 v7, v2
	v_min_u32_e32 v7, 32, v7
	v_lshrrev_b32_e32 v3, 19, v8
	v_subrev_u32_e32 v12, 28, v7
	v_and_b32_e32 v3, 15, v3
	v_lshlrev_b32_sdwa v12, v12, v8 dst_sel:DWORD dst_unused:UNUSED_PAD src0_sel:DWORD src1_sel:WORD_1
	v_bfe_u32 v6, v8, 19, 4
	v_sub_u32_e32 v7, 29, v7
	v_and_b32_e32 v12, 7, v12
	v_cmp_eq_u16_e32 vcc, 0, v3
	v_cndmask_b32_e32 v2, v2, v12, vcc
	v_cndmask_b32_e32 v3, v6, v7, vcc
	v_lshlrev_b32_e32 v6, 8, v8
	v_mov_b32_e32 v7, 0x3b800000
	v_lshlrev_b32_e32 v2, 20, v2
	v_and_b32_e32 v6, 0x80000000, v6
	v_lshl_add_u32 v3, v3, 23, v7
	v_or3_b32 v2, v6, v3, v2
.LBB2_13268:
	s_or_b64 exec, exec, s[6:7]
	s_movk_i32 s4, 0xff
	v_and_b32_sdwa v3, v4, s4 dst_sel:DWORD dst_unused:UNUSED_PAD src0_sel:WORD_1 src1_sel:DWORD
	s_movk_i32 s4, 0x7f
	v_cmp_lt_i16_e32 vcc, s4, v3
	s_mov_b64 s[4:5], 0
                                        ; implicit-def: $sgpr10
	s_and_saveexec_b64 s[6:7], vcc
	s_xor_b64 s[6:7], exec, s[6:7]
	s_cbranch_execz .LBB2_13269
; %bb.49109:
	s_getpc_b64 s[14:15]
.Lpost_getpc28138:
	s_add_u32 s14, s14, (.LBB2_27605-.Lpost_getpc28138)&4294967295
	s_addc_u32 s15, s15, (.LBB2_27605-.Lpost_getpc28138)>>32
	s_setpc_b64 s[14:15]
.LBB2_13269:
	s_or_saveexec_b64 s[6:7], s[6:7]
	v_mov_b32_e32 v6, s10
	s_xor_b64 exec, exec, s[6:7]
	s_cbranch_execz .LBB2_13270
; %bb.49111:
	s_getpc_b64 s[14:15]
.Lpost_getpc28139:
	s_add_u32 s14, s14, (.LBB2_27608-.Lpost_getpc28139)&4294967295
	s_addc_u32 s15, s15, (.LBB2_27608-.Lpost_getpc28139)>>32
	s_setpc_b64 s[14:15]
.LBB2_13270:
	s_or_b64 exec, exec, s[6:7]
	s_and_saveexec_b64 s[6:7], s[4:5]
	s_cbranch_execz .LBB2_13272
.LBB2_13271:
	v_bfe_u32 v3, v4, 16, 3
	v_ffbh_u32_e32 v12, v3
	v_min_u32_e32 v12, 32, v12
	v_lshrrev_b32_e32 v6, 19, v4
	v_subrev_u32_e32 v13, 28, v12
	v_and_b32_e32 v6, 15, v6
	v_lshlrev_b32_sdwa v13, v13, v4 dst_sel:DWORD dst_unused:UNUSED_PAD src0_sel:DWORD src1_sel:WORD_1
	v_bfe_u32 v7, v4, 19, 4
	v_sub_u32_e32 v12, 29, v12
	v_and_b32_e32 v13, 7, v13
	v_cmp_eq_u16_e32 vcc, 0, v6
	v_cndmask_b32_e32 v3, v3, v13, vcc
	v_cndmask_b32_e32 v6, v7, v12, vcc
	v_lshlrev_b32_e32 v7, 8, v4
	v_mov_b32_e32 v12, 0x3b800000
	v_lshlrev_b32_e32 v3, 20, v3
	v_and_b32_e32 v7, 0x80000000, v7
	v_lshl_add_u32 v6, v6, 23, v12
	v_or3_b32 v6, v7, v6, v3
.LBB2_13272:
	s_or_b64 exec, exec, s[6:7]
	s_nop 0
	v_mfma_f32_16x16x4f32 a[0:3], v2, v6, a[0:3]
	s_movk_i32 s4, 0x7f
	v_cmp_gt_i16_sdwa s[6:7], v8, s4 src0_sel:BYTE_3 src1_sel:DWORD
	s_mov_b64 s[4:5], 0
                                        ; implicit-def: $sgpr10
	s_and_saveexec_b64 s[8:9], s[6:7]
	s_xor_b64 s[6:7], exec, s[8:9]
	s_cbranch_execz .LBB2_13273
; %bb.49113:
	s_getpc_b64 s[14:15]
.Lpost_getpc28140:
	s_add_u32 s14, s14, (.LBB2_27609-.Lpost_getpc28140)&4294967295
	s_addc_u32 s15, s15, (.LBB2_27609-.Lpost_getpc28140)>>32
	s_setpc_b64 s[14:15]
.LBB2_13273:
	s_or_saveexec_b64 s[6:7], s[6:7]
	v_mov_b32_e32 v2, s10
	s_xor_b64 exec, exec, s[6:7]
	s_cbranch_execz .LBB2_13274
; %bb.49115:
	s_getpc_b64 s[14:15]
.Lpost_getpc28141:
	s_add_u32 s14, s14, (.LBB2_27612-.Lpost_getpc28141)&4294967295
	s_addc_u32 s15, s15, (.LBB2_27612-.Lpost_getpc28141)>>32
	s_setpc_b64 s[14:15]
.LBB2_13274:
	s_or_b64 exec, exec, s[6:7]
	s_and_saveexec_b64 s[6:7], s[4:5]
	s_cbranch_execz .LBB2_13276
.LBB2_13275:
	v_bfe_u32 v2, v8, 24, 3
	v_ffbh_u32_e32 v12, v2
	v_min_u32_e32 v12, 32, v12
	v_lshrrev_b32_e32 v6, 27, v8
	v_subrev_u32_e32 v13, 28, v12
	v_and_b32_e32 v3, 0x80000000, v8
	v_and_b32_e32 v6, 15, v6
	v_bfe_u32 v7, v8, 27, 4
	v_lshlrev_b32_sdwa v8, v13, v8 dst_sel:DWORD dst_unused:UNUSED_PAD src0_sel:DWORD src1_sel:BYTE_3
	v_sub_u32_e32 v12, 29, v12
	v_and_b32_e32 v8, 7, v8
	v_cmp_eq_u16_e32 vcc, 0, v6
	v_cndmask_b32_e32 v2, v2, v8, vcc
	v_cndmask_b32_e32 v6, v7, v12, vcc
	v_mov_b32_e32 v7, 0x3b800000
	v_lshlrev_b32_e32 v2, 20, v2
	v_lshl_add_u32 v6, v6, 23, v7
	v_or3_b32 v2, v3, v6, v2
.LBB2_13276:
	s_or_b64 exec, exec, s[6:7]
	s_movk_i32 s4, 0x7f
	v_cmp_gt_i16_sdwa s[6:7], v4, s4 src0_sel:BYTE_3 src1_sel:DWORD
	s_mov_b64 s[4:5], 0
                                        ; implicit-def: $sgpr10
	s_and_saveexec_b64 s[8:9], s[6:7]
	s_xor_b64 s[6:7], exec, s[8:9]
	s_cbranch_execz .LBB2_13277
; %bb.49117:
	s_getpc_b64 s[14:15]
.Lpost_getpc28142:
	s_add_u32 s14, s14, (.LBB2_27613-.Lpost_getpc28142)&4294967295
	s_addc_u32 s15, s15, (.LBB2_27613-.Lpost_getpc28142)>>32
	s_setpc_b64 s[14:15]
.LBB2_13277:
	s_or_saveexec_b64 s[6:7], s[6:7]
	v_mov_b32_e32 v3, s10
	s_xor_b64 exec, exec, s[6:7]
	s_cbranch_execz .LBB2_13278
; %bb.49119:
	s_getpc_b64 s[14:15]
.Lpost_getpc28143:
	s_add_u32 s14, s14, (.LBB2_27616-.Lpost_getpc28143)&4294967295
	s_addc_u32 s15, s15, (.LBB2_27616-.Lpost_getpc28143)>>32
	s_setpc_b64 s[14:15]
.LBB2_13278:
	s_or_b64 exec, exec, s[6:7]
	s_and_saveexec_b64 s[6:7], s[4:5]
	s_cbranch_execz .LBB2_13280
.LBB2_13279:
	v_bfe_u32 v3, v4, 24, 3
	v_ffbh_u32_e32 v12, v3
	v_min_u32_e32 v12, 32, v12
	v_lshrrev_b32_e32 v7, 27, v4
	v_subrev_u32_e32 v13, 28, v12
	v_and_b32_e32 v6, 0x80000000, v4
	v_and_b32_e32 v7, 15, v7
	v_bfe_u32 v8, v4, 27, 4
	v_lshlrev_b32_sdwa v4, v13, v4 dst_sel:DWORD dst_unused:UNUSED_PAD src0_sel:DWORD src1_sel:BYTE_3
	v_sub_u32_e32 v12, 29, v12
	v_and_b32_e32 v4, 7, v4
	v_cmp_eq_u16_e32 vcc, 0, v7
	v_cndmask_b32_e32 v3, v3, v4, vcc
	v_cndmask_b32_e32 v4, v8, v12, vcc
	v_mov_b32_e32 v7, 0x3b800000
	v_lshlrev_b32_e32 v3, 20, v3
	v_lshl_add_u32 v4, v4, 23, v7
	v_or3_b32 v3, v6, v4, v3
.LBB2_13280:
	s_or_b64 exec, exec, s[6:7]
	s_nop 0
	v_mfma_f32_16x16x4f32 a[0:3], v2, v3, a[0:3]
	s_movk_i32 s4, 0x7f
	v_cmp_gt_i16_sdwa s[6:7], v9, s4 src0_sel:BYTE_0 src1_sel:DWORD
	s_mov_b64 s[4:5], 0
                                        ; implicit-def: $sgpr10
	s_and_saveexec_b64 s[8:9], s[6:7]
	s_xor_b64 s[6:7], exec, s[8:9]
	s_cbranch_execz .LBB2_13281
; %bb.49121:
	s_getpc_b64 s[14:15]
.Lpost_getpc28144:
	s_add_u32 s14, s14, (.LBB2_27617-.Lpost_getpc28144)&4294967295
	s_addc_u32 s15, s15, (.LBB2_27617-.Lpost_getpc28144)>>32
	s_setpc_b64 s[14:15]
.LBB2_13281:
	s_or_saveexec_b64 s[6:7], s[6:7]
	v_mov_b32_e32 v2, s10
	s_xor_b64 exec, exec, s[6:7]
	s_cbranch_execz .LBB2_13282
; %bb.49123:
	s_getpc_b64 s[14:15]
.Lpost_getpc28145:
	s_add_u32 s14, s14, (.LBB2_27620-.Lpost_getpc28145)&4294967295
	s_addc_u32 s15, s15, (.LBB2_27620-.Lpost_getpc28145)>>32
	s_setpc_b64 s[14:15]
.LBB2_13282:
	s_or_b64 exec, exec, s[6:7]
	s_and_saveexec_b64 s[6:7], s[4:5]
	s_cbranch_execz .LBB2_13284
.LBB2_13283:
	v_mov_b32_e32 v2, 8
	v_and_b32_e32 v3, 7, v9
	v_lshrrev_b32_sdwa v2, v2, v9 dst_sel:BYTE_1 dst_unused:UNUSED_PAD src0_sel:DWORD src1_sel:DWORD
	v_ffbh_u32_e32 v4, v3
	v_or_b32_sdwa v2, v9, v2 dst_sel:DWORD dst_unused:UNUSED_PAD src0_sel:BYTE_0 src1_sel:DWORD
	v_min_u32_e32 v4, 32, v4
	v_lshrrev_b16_e32 v2, 3, v2
	v_subrev_u32_e32 v6, 28, v4
	v_and_b32_e32 v2, 15, v2
	v_lshlrev_b32_e32 v6, v6, v9
	v_sub_u32_e32 v4, 29, v4
	v_and_b32_e32 v6, 7, v6
	v_cmp_eq_u16_e32 vcc, 0, v2
	v_cndmask_b32_e32 v3, v3, v6, vcc
	v_cndmask_b32_e32 v2, v2, v4, vcc
	v_lshlrev_b32_e32 v4, 24, v9
	v_mov_b32_e32 v6, 0x3b800000
	v_lshlrev_b32_e32 v3, 20, v3
	v_and_b32_e32 v4, 0x80000000, v4
	v_lshl_add_u32 v2, v2, 23, v6
	v_or3_b32 v2, v4, v2, v3
.LBB2_13284:
	s_or_b64 exec, exec, s[6:7]
	s_movk_i32 s4, 0x7f
	v_cmp_gt_i16_sdwa s[6:7], v5, s4 src0_sel:BYTE_0 src1_sel:DWORD
	s_mov_b64 s[4:5], 0
                                        ; implicit-def: $sgpr10
	s_and_saveexec_b64 s[8:9], s[6:7]
	s_xor_b64 s[6:7], exec, s[8:9]
	s_cbranch_execz .LBB2_13285
; %bb.49125:
	s_getpc_b64 s[14:15]
.Lpost_getpc28146:
	s_add_u32 s14, s14, (.LBB2_27621-.Lpost_getpc28146)&4294967295
	s_addc_u32 s15, s15, (.LBB2_27621-.Lpost_getpc28146)>>32
	s_setpc_b64 s[14:15]
.LBB2_13285:
	s_or_saveexec_b64 s[6:7], s[6:7]
	v_mov_b32_e32 v3, s10
	s_xor_b64 exec, exec, s[6:7]
	s_cbranch_execz .LBB2_13286
; %bb.49127:
	s_getpc_b64 s[14:15]
.Lpost_getpc28147:
	s_add_u32 s14, s14, (.LBB2_27624-.Lpost_getpc28147)&4294967295
	s_addc_u32 s15, s15, (.LBB2_27624-.Lpost_getpc28147)>>32
	s_setpc_b64 s[14:15]
.LBB2_13286:
	s_or_b64 exec, exec, s[6:7]
	s_and_saveexec_b64 s[6:7], s[4:5]
	s_cbranch_execz .LBB2_13288
.LBB2_13287:
	v_mov_b32_e32 v3, 8
	v_and_b32_e32 v4, 7, v5
	v_lshrrev_b32_sdwa v3, v3, v5 dst_sel:BYTE_1 dst_unused:UNUSED_PAD src0_sel:DWORD src1_sel:DWORD
	v_ffbh_u32_e32 v6, v4
	v_or_b32_sdwa v3, v5, v3 dst_sel:DWORD dst_unused:UNUSED_PAD src0_sel:BYTE_0 src1_sel:DWORD
	v_min_u32_e32 v6, 32, v6
	v_lshrrev_b16_e32 v3, 3, v3
	v_subrev_u32_e32 v7, 28, v6
	v_and_b32_e32 v3, 15, v3
	v_lshlrev_b32_e32 v7, v7, v5
	v_sub_u32_e32 v6, 29, v6
	v_and_b32_e32 v7, 7, v7
	v_cmp_eq_u16_e32 vcc, 0, v3
	v_cndmask_b32_e32 v4, v4, v7, vcc
	v_cndmask_b32_e32 v3, v3, v6, vcc
	v_lshlrev_b32_e32 v6, 24, v5
	v_mov_b32_e32 v7, 0x3b800000
	v_lshlrev_b32_e32 v4, 20, v4
	v_and_b32_e32 v6, 0x80000000, v6
	v_lshl_add_u32 v3, v3, 23, v7
	v_or3_b32 v3, v6, v3, v4
.LBB2_13288:
	s_or_b64 exec, exec, s[6:7]
	s_nop 0
	v_mfma_f32_16x16x4f32 a[0:3], v2, v3, a[0:3]
	v_lshrrev_b32_e32 v3, 8, v9
	s_movk_i32 s4, 0x7f
	v_cmp_gt_i16_sdwa s[6:7], v3, s4 src0_sel:BYTE_0 src1_sel:DWORD
	s_mov_b64 s[4:5], 0
                                        ; implicit-def: $sgpr10
	s_and_saveexec_b64 s[8:9], s[6:7]
	s_xor_b64 s[6:7], exec, s[8:9]
	s_cbranch_execz .LBB2_13289
; %bb.49129:
	s_getpc_b64 s[14:15]
.Lpost_getpc28148:
	s_add_u32 s14, s14, (.LBB2_27625-.Lpost_getpc28148)&4294967295
	s_addc_u32 s15, s15, (.LBB2_27625-.Lpost_getpc28148)>>32
	s_setpc_b64 s[14:15]
.LBB2_13289:
	s_or_saveexec_b64 s[6:7], s[6:7]
	v_mov_b32_e32 v2, s10
	s_xor_b64 exec, exec, s[6:7]
	s_cbranch_execz .LBB2_13290
; %bb.49131:
	s_getpc_b64 s[14:15]
.Lpost_getpc28149:
	s_add_u32 s14, s14, (.LBB2_27628-.Lpost_getpc28149)&4294967295
	s_addc_u32 s15, s15, (.LBB2_27628-.Lpost_getpc28149)>>32
	s_setpc_b64 s[14:15]
.LBB2_13290:
	s_or_b64 exec, exec, s[6:7]
	s_and_saveexec_b64 s[6:7], s[4:5]
	s_cbranch_execz .LBB2_13292
.LBB2_13291:
	v_bfe_u32 v2, v9, 8, 3
	v_ffbh_u32_e32 v6, v2
	v_min_u32_e32 v6, 32, v6
	v_lshrrev_b16_e32 v4, 3, v3
	v_subrev_u32_e32 v7, 28, v6
	v_and_b32_e32 v4, 15, v4
	v_lshlrev_b32_e32 v3, v7, v3
	v_sub_u32_e32 v6, 29, v6
	v_and_b32_e32 v3, 7, v3
	v_cmp_eq_u16_e32 vcc, 0, v4
	v_cndmask_b32_e32 v2, v2, v3, vcc
	v_cndmask_b32_e32 v3, v4, v6, vcc
	v_lshlrev_b32_e32 v4, 16, v9
	v_mov_b32_e32 v6, 0x3b800000
	v_lshlrev_b32_e32 v2, 20, v2
	v_and_b32_e32 v4, 0x80000000, v4
	v_lshl_add_u32 v3, v3, 23, v6
	v_or3_b32 v2, v4, v3, v2
.LBB2_13292:
	s_or_b64 exec, exec, s[6:7]
	v_lshrrev_b32_e32 v3, 8, v5
	s_movk_i32 s4, 0x7f
	v_cmp_gt_i16_sdwa s[6:7], v3, s4 src0_sel:BYTE_0 src1_sel:DWORD
	s_mov_b64 s[4:5], 0
                                        ; implicit-def: $sgpr10
	s_and_saveexec_b64 s[8:9], s[6:7]
	s_xor_b64 s[6:7], exec, s[8:9]
	s_cbranch_execz .LBB2_13293
; %bb.49133:
	s_getpc_b64 s[14:15]
.Lpost_getpc28150:
	s_add_u32 s14, s14, (.LBB2_27629-.Lpost_getpc28150)&4294967295
	s_addc_u32 s15, s15, (.LBB2_27629-.Lpost_getpc28150)>>32
	s_setpc_b64 s[14:15]
.LBB2_13293:
	s_or_saveexec_b64 s[6:7], s[6:7]
	v_mov_b32_e32 v4, s10
	s_xor_b64 exec, exec, s[6:7]
	s_cbranch_execz .LBB2_13294
; %bb.49135:
	s_getpc_b64 s[14:15]
.Lpost_getpc28151:
	s_add_u32 s14, s14, (.LBB2_27632-.Lpost_getpc28151)&4294967295
	s_addc_u32 s15, s15, (.LBB2_27632-.Lpost_getpc28151)>>32
	s_setpc_b64 s[14:15]
.LBB2_13294:
	s_or_b64 exec, exec, s[6:7]
	s_and_saveexec_b64 s[6:7], s[4:5]
	s_cbranch_execz .LBB2_13296
.LBB2_13295:
	v_bfe_u32 v4, v5, 8, 3
	v_ffbh_u32_e32 v7, v4
	v_min_u32_e32 v7, 32, v7
	v_lshrrev_b16_e32 v6, 3, v3
	v_subrev_u32_e32 v8, 28, v7
	v_and_b32_e32 v6, 15, v6
	v_lshlrev_b32_e32 v3, v8, v3
	v_sub_u32_e32 v7, 29, v7
	v_and_b32_e32 v3, 7, v3
	v_cmp_eq_u16_e32 vcc, 0, v6
	v_cndmask_b32_e32 v3, v4, v3, vcc
	v_cndmask_b32_e32 v4, v6, v7, vcc
	v_lshlrev_b32_e32 v6, 16, v5
	v_mov_b32_e32 v7, 0x3b800000
	v_lshlrev_b32_e32 v3, 20, v3
	v_and_b32_e32 v6, 0x80000000, v6
	v_lshl_add_u32 v4, v4, 23, v7
	v_or3_b32 v4, v6, v4, v3
.LBB2_13296:
	s_or_b64 exec, exec, s[6:7]
	s_nop 0
	v_mfma_f32_16x16x4f32 a[0:3], v2, v4, a[0:3]
	s_movk_i32 s4, 0xff
	v_and_b32_sdwa v3, v9, s4 dst_sel:DWORD dst_unused:UNUSED_PAD src0_sel:WORD_1 src1_sel:DWORD
	s_movk_i32 s4, 0x7f
	v_cmp_lt_i16_e32 vcc, s4, v3
	s_mov_b64 s[4:5], 0
                                        ; implicit-def: $sgpr10
	s_and_saveexec_b64 s[6:7], vcc
	s_xor_b64 s[6:7], exec, s[6:7]
	s_cbranch_execz .LBB2_13297
; %bb.49137:
	s_getpc_b64 s[14:15]
.Lpost_getpc28152:
	s_add_u32 s14, s14, (.LBB2_27633-.Lpost_getpc28152)&4294967295
	s_addc_u32 s15, s15, (.LBB2_27633-.Lpost_getpc28152)>>32
	s_setpc_b64 s[14:15]
.LBB2_13297:
	s_or_saveexec_b64 s[6:7], s[6:7]
	v_mov_b32_e32 v2, s10
	s_xor_b64 exec, exec, s[6:7]
	s_cbranch_execz .LBB2_13298
; %bb.49139:
	s_getpc_b64 s[14:15]
.Lpost_getpc28153:
	s_add_u32 s14, s14, (.LBB2_27636-.Lpost_getpc28153)&4294967295
	s_addc_u32 s15, s15, (.LBB2_27636-.Lpost_getpc28153)>>32
	s_setpc_b64 s[14:15]
.LBB2_13298:
	s_or_b64 exec, exec, s[6:7]
	s_and_saveexec_b64 s[6:7], s[4:5]
	s_cbranch_execz .LBB2_13300
.LBB2_13299:
	v_bfe_u32 v2, v9, 16, 3
	v_ffbh_u32_e32 v6, v2
	v_min_u32_e32 v6, 32, v6
	v_lshrrev_b32_e32 v3, 19, v9
	v_subrev_u32_e32 v7, 28, v6
	v_and_b32_e32 v3, 15, v3
	v_lshlrev_b32_sdwa v7, v7, v9 dst_sel:DWORD dst_unused:UNUSED_PAD src0_sel:DWORD src1_sel:WORD_1
	v_bfe_u32 v4, v9, 19, 4
	v_sub_u32_e32 v6, 29, v6
	v_and_b32_e32 v7, 7, v7
	v_cmp_eq_u16_e32 vcc, 0, v3
	v_cndmask_b32_e32 v2, v2, v7, vcc
	v_cndmask_b32_e32 v3, v4, v6, vcc
	v_lshlrev_b32_e32 v4, 8, v9
	v_mov_b32_e32 v6, 0x3b800000
	v_lshlrev_b32_e32 v2, 20, v2
	v_and_b32_e32 v4, 0x80000000, v4
	v_lshl_add_u32 v3, v3, 23, v6
	v_or3_b32 v2, v4, v3, v2
.LBB2_13300:
	s_or_b64 exec, exec, s[6:7]
	s_movk_i32 s4, 0xff
	v_and_b32_sdwa v3, v5, s4 dst_sel:DWORD dst_unused:UNUSED_PAD src0_sel:WORD_1 src1_sel:DWORD
	s_movk_i32 s4, 0x7f
	v_cmp_lt_i16_e32 vcc, s4, v3
	s_mov_b64 s[4:5], 0
                                        ; implicit-def: $sgpr10
	s_and_saveexec_b64 s[6:7], vcc
	s_xor_b64 s[6:7], exec, s[6:7]
	s_cbranch_execz .LBB2_13301
; %bb.49141:
	s_getpc_b64 s[14:15]
.Lpost_getpc28154:
	s_add_u32 s14, s14, (.LBB2_27637-.Lpost_getpc28154)&4294967295
	s_addc_u32 s15, s15, (.LBB2_27637-.Lpost_getpc28154)>>32
	s_setpc_b64 s[14:15]
.LBB2_13301:
	s_or_saveexec_b64 s[6:7], s[6:7]
	v_mov_b32_e32 v4, s10
	s_xor_b64 exec, exec, s[6:7]
	s_cbranch_execz .LBB2_13302
; %bb.49143:
	s_getpc_b64 s[14:15]
.Lpost_getpc28155:
	s_add_u32 s14, s14, (.LBB2_27640-.Lpost_getpc28155)&4294967295
	s_addc_u32 s15, s15, (.LBB2_27640-.Lpost_getpc28155)>>32
	s_setpc_b64 s[14:15]
.LBB2_13302:
	s_or_b64 exec, exec, s[6:7]
	s_and_saveexec_b64 s[6:7], s[4:5]
	s_cbranch_execz .LBB2_13304
.LBB2_13303:
	v_bfe_u32 v3, v5, 16, 3
	v_ffbh_u32_e32 v7, v3
	v_min_u32_e32 v7, 32, v7
	v_lshrrev_b32_e32 v4, 19, v5
	v_subrev_u32_e32 v8, 28, v7
	v_and_b32_e32 v4, 15, v4
	v_lshlrev_b32_sdwa v8, v8, v5 dst_sel:DWORD dst_unused:UNUSED_PAD src0_sel:DWORD src1_sel:WORD_1
	v_bfe_u32 v6, v5, 19, 4
	v_sub_u32_e32 v7, 29, v7
	v_and_b32_e32 v8, 7, v8
	v_cmp_eq_u16_e32 vcc, 0, v4
	v_cndmask_b32_e32 v3, v3, v8, vcc
	v_cndmask_b32_e32 v4, v6, v7, vcc
	v_lshlrev_b32_e32 v6, 8, v5
	v_mov_b32_e32 v7, 0x3b800000
	v_lshlrev_b32_e32 v3, 20, v3
	v_and_b32_e32 v6, 0x80000000, v6
	v_lshl_add_u32 v4, v4, 23, v7
	v_or3_b32 v4, v6, v4, v3
.LBB2_13304:
	s_or_b64 exec, exec, s[6:7]
	s_nop 0
	v_mfma_f32_16x16x4f32 a[0:3], v2, v4, a[0:3]
	s_movk_i32 s4, 0x7f
	v_cmp_gt_i16_sdwa s[6:7], v9, s4 src0_sel:BYTE_3 src1_sel:DWORD
	s_mov_b64 s[4:5], 0
                                        ; implicit-def: $sgpr10
	s_and_saveexec_b64 s[8:9], s[6:7]
	s_xor_b64 s[6:7], exec, s[8:9]
	s_cbranch_execz .LBB2_13305
; %bb.49145:
	s_getpc_b64 s[14:15]
.Lpost_getpc28156:
	s_add_u32 s14, s14, (.LBB2_27641-.Lpost_getpc28156)&4294967295
	s_addc_u32 s15, s15, (.LBB2_27641-.Lpost_getpc28156)>>32
	s_setpc_b64 s[14:15]
.LBB2_13305:
	s_or_saveexec_b64 s[6:7], s[6:7]
	v_mov_b32_e32 v2, s10
	s_xor_b64 exec, exec, s[6:7]
	s_cbranch_execz .LBB2_13306
; %bb.49147:
	s_getpc_b64 s[14:15]
.Lpost_getpc28157:
	s_add_u32 s14, s14, (.LBB2_27644-.Lpost_getpc28157)&4294967295
	s_addc_u32 s15, s15, (.LBB2_27644-.Lpost_getpc28157)>>32
	s_setpc_b64 s[14:15]
.LBB2_13306:
	s_or_b64 exec, exec, s[6:7]
	s_and_saveexec_b64 s[6:7], s[4:5]
	s_cbranch_execz .LBB2_13308
.LBB2_13307:
	v_bfe_u32 v2, v9, 24, 3
	v_ffbh_u32_e32 v7, v2
	v_min_u32_e32 v7, 32, v7
	v_lshrrev_b32_e32 v4, 27, v9
	v_subrev_u32_e32 v8, 28, v7
	v_and_b32_e32 v4, 15, v4
	v_lshlrev_b32_sdwa v8, v8, v9 dst_sel:DWORD dst_unused:UNUSED_PAD src0_sel:DWORD src1_sel:BYTE_3
	v_bfe_u32 v6, v9, 27, 4
	v_sub_u32_e32 v7, 29, v7
	v_and_b32_e32 v8, 7, v8
	v_cmp_eq_u16_e32 vcc, 0, v4
	v_cndmask_b32_e32 v2, v2, v8, vcc
	v_cndmask_b32_e32 v4, v6, v7, vcc
	v_mov_b32_e32 v6, 0x3b800000
	v_and_b32_e32 v3, 0x80000000, v9
	v_lshlrev_b32_e32 v2, 20, v2
	v_lshl_add_u32 v4, v4, 23, v6
	v_or3_b32 v2, v3, v4, v2
.LBB2_13308:
	s_or_b64 exec, exec, s[6:7]
	s_movk_i32 s4, 0x7f
	v_cmp_gt_i16_sdwa s[6:7], v5, s4 src0_sel:BYTE_3 src1_sel:DWORD
	s_mov_b64 s[4:5], 0
                                        ; implicit-def: $sgpr10
	s_and_saveexec_b64 s[8:9], s[6:7]
	s_xor_b64 s[6:7], exec, s[8:9]
	s_cbranch_execz .LBB2_13309
; %bb.49149:
	s_getpc_b64 s[14:15]
.Lpost_getpc28158:
	s_add_u32 s14, s14, (.LBB2_27645-.Lpost_getpc28158)&4294967295
	s_addc_u32 s15, s15, (.LBB2_27645-.Lpost_getpc28158)>>32
	s_setpc_b64 s[14:15]
.LBB2_13309:
	s_or_saveexec_b64 s[6:7], s[6:7]
	v_mov_b32_e32 v3, s10
	s_xor_b64 exec, exec, s[6:7]
	s_cbranch_execz .LBB2_13310
; %bb.49151:
	s_getpc_b64 s[14:15]
.Lpost_getpc28159:
	s_add_u32 s14, s14, (.LBB2_27648-.Lpost_getpc28159)&4294967295
	s_addc_u32 s15, s15, (.LBB2_27648-.Lpost_getpc28159)>>32
	s_setpc_b64 s[14:15]
.LBB2_13310:
	s_or_b64 exec, exec, s[6:7]
	s_and_saveexec_b64 s[6:7], s[4:5]
	s_cbranch_execz .LBB2_13312
.LBB2_13311:
	v_bfe_u32 v3, v5, 24, 3
	v_ffbh_u32_e32 v8, v3
	v_min_u32_e32 v8, 32, v8
	v_lshrrev_b32_e32 v6, 27, v5
	v_subrev_u32_e32 v9, 28, v8
	v_and_b32_e32 v4, 0x80000000, v5
	v_and_b32_e32 v6, 15, v6
	v_bfe_u32 v7, v5, 27, 4
	v_lshlrev_b32_sdwa v5, v9, v5 dst_sel:DWORD dst_unused:UNUSED_PAD src0_sel:DWORD src1_sel:BYTE_3
	v_sub_u32_e32 v8, 29, v8
	v_and_b32_e32 v5, 7, v5
	v_cmp_eq_u16_e32 vcc, 0, v6
	v_cndmask_b32_e32 v3, v3, v5, vcc
	v_cndmask_b32_e32 v5, v7, v8, vcc
	v_mov_b32_e32 v6, 0x3b800000
	v_lshlrev_b32_e32 v3, 20, v3
	v_lshl_add_u32 v5, v5, 23, v6
	v_or3_b32 v3, v4, v5, v3
.LBB2_13312:
	s_or_b64 exec, exec, s[6:7]
	s_nop 0
	v_mfma_f32_16x16x4f32 a[0:3], v2, v3, a[0:3]
	s_movk_i32 s4, 0x7f
                                        ; implicit-def: $sgpr10
	s_nop 7
	s_nop 1
	flat_store_dwordx4 v[10:11], a[0:3] offset:752
	flat_load_dwordx4 v[12:15], v[0:1]
	s_nop 0
	flat_load_dwordx2 v[10:11], v[0:1] offset:16
	s_waitcnt vmcnt(0) lgkmcnt(0)
	flat_load_dwordx4 v[6:9], v[12:13] offset:208
	flat_load_dwordx4 v[2:5], v[14:15] offset:128
	s_waitcnt vmcnt(0) lgkmcnt(0)
	v_cmp_gt_i16_sdwa s[6:7], v6, s4 src0_sel:BYTE_0 src1_sel:DWORD
	s_mov_b64 s[4:5], 0
	s_and_saveexec_b64 s[8:9], s[6:7]
	s_xor_b64 s[6:7], exec, s[8:9]
	s_cbranch_execz .LBB2_13313
; %bb.49153:
	s_getpc_b64 s[14:15]
.Lpost_getpc28160:
	s_add_u32 s14, s14, (.LBB2_27649-.Lpost_getpc28160)&4294967295
	s_addc_u32 s15, s15, (.LBB2_27649-.Lpost_getpc28160)>>32
	s_setpc_b64 s[14:15]
.LBB2_13313:
	s_or_saveexec_b64 s[6:7], s[6:7]
	v_mov_b32_e32 v12, s10
	s_xor_b64 exec, exec, s[6:7]
	s_cbranch_execz .LBB2_13314
; %bb.49155:
	s_getpc_b64 s[14:15]
.Lpost_getpc28161:
	s_add_u32 s14, s14, (.LBB2_27652-.Lpost_getpc28161)&4294967295
	s_addc_u32 s15, s15, (.LBB2_27652-.Lpost_getpc28161)>>32
	s_setpc_b64 s[14:15]
.LBB2_13314:
	s_or_b64 exec, exec, s[6:7]
	s_and_saveexec_b64 s[6:7], s[4:5]
	s_cbranch_execz .LBB2_13316
.LBB2_13315:
	v_and_b32_e32 v12, 7, v6
	v_ffbh_u32_e32 v14, v12
	v_min_u32_e32 v14, 32, v14
	v_lshrrev_b16_e32 v13, 3, v6
	v_subrev_u32_e32 v15, 28, v14
	v_and_b32_e32 v13, 15, v13
	v_lshlrev_b32_e32 v15, v15, v6
	v_sub_u32_e32 v14, 29, v14
	v_and_b32_e32 v15, 7, v15
	v_cmp_eq_u16_e32 vcc, 0, v13
	v_cndmask_b32_e32 v12, v12, v15, vcc
	v_cndmask_b32_e32 v13, v13, v14, vcc
	v_lshlrev_b32_e32 v14, 24, v6
	v_mov_b32_e32 v15, 0x3b800000
	v_lshlrev_b32_e32 v12, 20, v12
	v_and_b32_e32 v14, 0x80000000, v14
	v_lshl_add_u32 v13, v13, 23, v15
	v_or3_b32 v12, v14, v13, v12
.LBB2_13316:
	s_or_b64 exec, exec, s[6:7]
	s_movk_i32 s4, 0x7f
	v_cmp_gt_i16_sdwa s[6:7], v2, s4 src0_sel:BYTE_0 src1_sel:DWORD
	s_mov_b64 s[4:5], 0
                                        ; implicit-def: $sgpr10
	s_and_saveexec_b64 s[8:9], s[6:7]
	s_xor_b64 s[6:7], exec, s[8:9]
	s_cbranch_execz .LBB2_13317
; %bb.49157:
	s_getpc_b64 s[14:15]
.Lpost_getpc28162:
	s_add_u32 s14, s14, (.LBB2_27653-.Lpost_getpc28162)&4294967295
	s_addc_u32 s15, s15, (.LBB2_27653-.Lpost_getpc28162)>>32
	s_setpc_b64 s[14:15]
.LBB2_13317:
	s_or_saveexec_b64 s[6:7], s[6:7]
	v_mov_b32_e32 v13, s10
	s_xor_b64 exec, exec, s[6:7]
	s_cbranch_execz .LBB2_13318
; %bb.49159:
	s_getpc_b64 s[14:15]
.Lpost_getpc28163:
	s_add_u32 s14, s14, (.LBB2_27656-.Lpost_getpc28163)&4294967295
	s_addc_u32 s15, s15, (.LBB2_27656-.Lpost_getpc28163)>>32
	s_setpc_b64 s[14:15]
.LBB2_13318:
	s_or_b64 exec, exec, s[6:7]
	s_and_saveexec_b64 s[6:7], s[4:5]
	s_cbranch_execz .LBB2_13320
.LBB2_13319:
	v_and_b32_e32 v13, 7, v2
	v_ffbh_u32_e32 v15, v13
	v_min_u32_e32 v15, 32, v15
	v_lshrrev_b16_e32 v14, 3, v2
	v_subrev_u32_e32 v16, 28, v15
	v_and_b32_e32 v14, 15, v14
	v_lshlrev_b32_e32 v16, v16, v2
	v_sub_u32_e32 v15, 29, v15
	v_and_b32_e32 v16, 7, v16
	v_cmp_eq_u16_e32 vcc, 0, v14
	v_cndmask_b32_e32 v13, v13, v16, vcc
	v_cndmask_b32_e32 v14, v14, v15, vcc
	v_lshlrev_b32_e32 v15, 24, v2
	v_mov_b32_e32 v16, 0x3b800000
	v_lshlrev_b32_e32 v13, 20, v13
	v_and_b32_e32 v15, 0x80000000, v15
	v_lshl_add_u32 v14, v14, 23, v16
	v_or3_b32 v13, v15, v14, v13
.LBB2_13320:
	s_or_b64 exec, exec, s[6:7]
	flat_load_dwordx4 a[0:3], v[10:11] offset:768
	s_movk_i32 s4, 0x7f
                                        ; implicit-def: $sgpr10
	s_waitcnt vmcnt(0) lgkmcnt(0)
	v_mfma_f32_16x16x4f32 a[0:3], v12, v13, a[0:3]
	v_lshrrev_b32_e32 v13, 8, v6
	v_cmp_gt_i16_sdwa s[6:7], v13, s4 src0_sel:BYTE_0 src1_sel:DWORD
	s_mov_b64 s[4:5], 0
	s_and_saveexec_b64 s[8:9], s[6:7]
	s_xor_b64 s[6:7], exec, s[8:9]
	s_cbranch_execz .LBB2_13321
; %bb.49161:
	s_getpc_b64 s[14:15]
.Lpost_getpc28164:
	s_add_u32 s14, s14, (.LBB2_27657-.Lpost_getpc28164)&4294967295
	s_addc_u32 s15, s15, (.LBB2_27657-.Lpost_getpc28164)>>32
	s_setpc_b64 s[14:15]
.LBB2_13321:
	s_or_saveexec_b64 s[6:7], s[6:7]
	v_mov_b32_e32 v12, s10
	s_xor_b64 exec, exec, s[6:7]
	s_cbranch_execz .LBB2_13322
; %bb.49163:
	s_getpc_b64 s[14:15]
.Lpost_getpc28165:
	s_add_u32 s14, s14, (.LBB2_27660-.Lpost_getpc28165)&4294967295
	s_addc_u32 s15, s15, (.LBB2_27660-.Lpost_getpc28165)>>32
	s_setpc_b64 s[14:15]
.LBB2_13322:
	s_or_b64 exec, exec, s[6:7]
	s_and_saveexec_b64 s[6:7], s[4:5]
	s_cbranch_execz .LBB2_13324
.LBB2_13323:
	v_bfe_u32 v12, v6, 8, 3
	v_ffbh_u32_e32 v15, v12
	v_min_u32_e32 v15, 32, v15
	v_lshrrev_b16_e32 v14, 3, v13
	v_subrev_u32_e32 v16, 28, v15
	v_and_b32_e32 v14, 15, v14
	v_lshlrev_b32_e32 v13, v16, v13
	v_sub_u32_e32 v15, 29, v15
	v_and_b32_e32 v13, 7, v13
	v_cmp_eq_u16_e32 vcc, 0, v14
	v_cndmask_b32_e32 v12, v12, v13, vcc
	v_cndmask_b32_e32 v13, v14, v15, vcc
	v_lshlrev_b32_e32 v14, 16, v6
	v_mov_b32_e32 v15, 0x3b800000
	v_lshlrev_b32_e32 v12, 20, v12
	v_and_b32_e32 v14, 0x80000000, v14
	v_lshl_add_u32 v13, v13, 23, v15
	v_or3_b32 v12, v14, v13, v12
.LBB2_13324:
	s_or_b64 exec, exec, s[6:7]
	v_lshrrev_b32_e32 v13, 8, v2
	s_movk_i32 s4, 0x7f
	v_cmp_gt_i16_sdwa s[6:7], v13, s4 src0_sel:BYTE_0 src1_sel:DWORD
	s_mov_b64 s[4:5], 0
                                        ; implicit-def: $sgpr10
	s_and_saveexec_b64 s[8:9], s[6:7]
	s_xor_b64 s[6:7], exec, s[8:9]
	s_cbranch_execz .LBB2_13325
; %bb.49165:
	s_getpc_b64 s[14:15]
.Lpost_getpc28166:
	s_add_u32 s14, s14, (.LBB2_27661-.Lpost_getpc28166)&4294967295
	s_addc_u32 s15, s15, (.LBB2_27661-.Lpost_getpc28166)>>32
	s_setpc_b64 s[14:15]
.LBB2_13325:
	s_or_saveexec_b64 s[6:7], s[6:7]
	v_mov_b32_e32 v14, s10
	s_xor_b64 exec, exec, s[6:7]
	s_cbranch_execz .LBB2_13326
; %bb.49167:
	s_getpc_b64 s[14:15]
.Lpost_getpc28167:
	s_add_u32 s14, s14, (.LBB2_27664-.Lpost_getpc28167)&4294967295
	s_addc_u32 s15, s15, (.LBB2_27664-.Lpost_getpc28167)>>32
	s_setpc_b64 s[14:15]
.LBB2_13326:
	s_or_b64 exec, exec, s[6:7]
	s_and_saveexec_b64 s[6:7], s[4:5]
	s_cbranch_execz .LBB2_13328
.LBB2_13327:
	v_bfe_u32 v14, v2, 8, 3
	v_ffbh_u32_e32 v16, v14
	v_min_u32_e32 v16, 32, v16
	v_lshrrev_b16_e32 v15, 3, v13
	v_subrev_u32_e32 v17, 28, v16
	v_and_b32_e32 v15, 15, v15
	v_lshlrev_b32_e32 v13, v17, v13
	v_sub_u32_e32 v16, 29, v16
	v_and_b32_e32 v13, 7, v13
	v_cmp_eq_u16_e32 vcc, 0, v15
	v_cndmask_b32_e32 v13, v14, v13, vcc
	v_cndmask_b32_e32 v14, v15, v16, vcc
	v_lshlrev_b32_e32 v15, 16, v2
	v_mov_b32_e32 v16, 0x3b800000
	v_lshlrev_b32_e32 v13, 20, v13
	v_and_b32_e32 v15, 0x80000000, v15
	v_lshl_add_u32 v14, v14, 23, v16
	v_or3_b32 v14, v15, v14, v13
.LBB2_13328:
	s_or_b64 exec, exec, s[6:7]
	s_nop 0
	v_mfma_f32_16x16x4f32 a[0:3], v12, v14, a[0:3]
	s_movk_i32 s4, 0xff
	v_and_b32_sdwa v13, v6, s4 dst_sel:DWORD dst_unused:UNUSED_PAD src0_sel:WORD_1 src1_sel:DWORD
	s_movk_i32 s4, 0x7f
	v_cmp_lt_i16_e32 vcc, s4, v13
	s_mov_b64 s[4:5], 0
                                        ; implicit-def: $sgpr10
	s_and_saveexec_b64 s[6:7], vcc
	s_xor_b64 s[6:7], exec, s[6:7]
	s_cbranch_execz .LBB2_13329
; %bb.49169:
	s_getpc_b64 s[14:15]
.Lpost_getpc28168:
	s_add_u32 s14, s14, (.LBB2_27665-.Lpost_getpc28168)&4294967295
	s_addc_u32 s15, s15, (.LBB2_27665-.Lpost_getpc28168)>>32
	s_setpc_b64 s[14:15]
.LBB2_13329:
	s_or_saveexec_b64 s[6:7], s[6:7]
	v_mov_b32_e32 v12, s10
	s_xor_b64 exec, exec, s[6:7]
	s_cbranch_execz .LBB2_13330
; %bb.49171:
	s_getpc_b64 s[14:15]
.Lpost_getpc28169:
	s_add_u32 s14, s14, (.LBB2_27668-.Lpost_getpc28169)&4294967295
	s_addc_u32 s15, s15, (.LBB2_27668-.Lpost_getpc28169)>>32
	s_setpc_b64 s[14:15]
.LBB2_13330:
	s_or_b64 exec, exec, s[6:7]
	s_and_saveexec_b64 s[6:7], s[4:5]
	s_cbranch_execz .LBB2_13332
.LBB2_13331:
	v_bfe_u32 v12, v6, 16, 3
	v_ffbh_u32_e32 v15, v12
	v_min_u32_e32 v15, 32, v15
	v_lshrrev_b32_e32 v13, 19, v6
	v_subrev_u32_e32 v16, 28, v15
	v_and_b32_e32 v13, 15, v13
	v_lshlrev_b32_sdwa v16, v16, v6 dst_sel:DWORD dst_unused:UNUSED_PAD src0_sel:DWORD src1_sel:WORD_1
	v_bfe_u32 v14, v6, 19, 4
	v_sub_u32_e32 v15, 29, v15
	v_and_b32_e32 v16, 7, v16
	v_cmp_eq_u16_e32 vcc, 0, v13
	v_cndmask_b32_e32 v12, v12, v16, vcc
	v_cndmask_b32_e32 v13, v14, v15, vcc
	v_lshlrev_b32_e32 v14, 8, v6
	v_mov_b32_e32 v15, 0x3b800000
	v_lshlrev_b32_e32 v12, 20, v12
	v_and_b32_e32 v14, 0x80000000, v14
	v_lshl_add_u32 v13, v13, 23, v15
	v_or3_b32 v12, v14, v13, v12
.LBB2_13332:
	s_or_b64 exec, exec, s[6:7]
	s_movk_i32 s4, 0xff
	v_and_b32_sdwa v13, v2, s4 dst_sel:DWORD dst_unused:UNUSED_PAD src0_sel:WORD_1 src1_sel:DWORD
	s_movk_i32 s4, 0x7f
	v_cmp_lt_i16_e32 vcc, s4, v13
	s_mov_b64 s[4:5], 0
                                        ; implicit-def: $sgpr10
	s_and_saveexec_b64 s[6:7], vcc
	s_xor_b64 s[6:7], exec, s[6:7]
	s_cbranch_execz .LBB2_13333
; %bb.49173:
	s_getpc_b64 s[14:15]
.Lpost_getpc28170:
	s_add_u32 s14, s14, (.LBB2_27669-.Lpost_getpc28170)&4294967295
	s_addc_u32 s15, s15, (.LBB2_27669-.Lpost_getpc28170)>>32
	s_setpc_b64 s[14:15]
.LBB2_13333:
	s_or_saveexec_b64 s[6:7], s[6:7]
	v_mov_b32_e32 v14, s10
	s_xor_b64 exec, exec, s[6:7]
	s_cbranch_execz .LBB2_13334
; %bb.49175:
	s_getpc_b64 s[14:15]
.Lpost_getpc28171:
	s_add_u32 s14, s14, (.LBB2_27672-.Lpost_getpc28171)&4294967295
	s_addc_u32 s15, s15, (.LBB2_27672-.Lpost_getpc28171)>>32
	s_setpc_b64 s[14:15]
.LBB2_13334:
	s_or_b64 exec, exec, s[6:7]
	s_and_saveexec_b64 s[6:7], s[4:5]
	s_cbranch_execz .LBB2_13336
.LBB2_13335:
	v_bfe_u32 v13, v2, 16, 3
	v_ffbh_u32_e32 v16, v13
	v_min_u32_e32 v16, 32, v16
	v_lshrrev_b32_e32 v14, 19, v2
	v_subrev_u32_e32 v17, 28, v16
	v_and_b32_e32 v14, 15, v14
	v_lshlrev_b32_sdwa v17, v17, v2 dst_sel:DWORD dst_unused:UNUSED_PAD src0_sel:DWORD src1_sel:WORD_1
	v_bfe_u32 v15, v2, 19, 4
	v_sub_u32_e32 v16, 29, v16
	v_and_b32_e32 v17, 7, v17
	v_cmp_eq_u16_e32 vcc, 0, v14
	v_cndmask_b32_e32 v13, v13, v17, vcc
	v_cndmask_b32_e32 v14, v15, v16, vcc
	v_lshlrev_b32_e32 v15, 8, v2
	v_mov_b32_e32 v16, 0x3b800000
	v_lshlrev_b32_e32 v13, 20, v13
	v_and_b32_e32 v15, 0x80000000, v15
	v_lshl_add_u32 v14, v14, 23, v16
	v_or3_b32 v14, v15, v14, v13
.LBB2_13336:
	s_or_b64 exec, exec, s[6:7]
	s_nop 0
	v_mfma_f32_16x16x4f32 a[0:3], v12, v14, a[0:3]
	s_movk_i32 s4, 0x7f
	v_cmp_gt_i16_sdwa s[6:7], v6, s4 src0_sel:BYTE_3 src1_sel:DWORD
	s_mov_b64 s[4:5], 0
                                        ; implicit-def: $sgpr10
	s_and_saveexec_b64 s[8:9], s[6:7]
	s_xor_b64 s[6:7], exec, s[8:9]
	s_cbranch_execz .LBB2_13337
; %bb.49177:
	s_getpc_b64 s[14:15]
.Lpost_getpc28172:
	s_add_u32 s14, s14, (.LBB2_27673-.Lpost_getpc28172)&4294967295
	s_addc_u32 s15, s15, (.LBB2_27673-.Lpost_getpc28172)>>32
	s_setpc_b64 s[14:15]
.LBB2_13337:
	s_or_saveexec_b64 s[6:7], s[6:7]
	v_mov_b32_e32 v12, s10
	s_xor_b64 exec, exec, s[6:7]
	s_cbranch_execz .LBB2_13338
; %bb.49179:
	s_getpc_b64 s[14:15]
.Lpost_getpc28173:
	s_add_u32 s14, s14, (.LBB2_27676-.Lpost_getpc28173)&4294967295
	s_addc_u32 s15, s15, (.LBB2_27676-.Lpost_getpc28173)>>32
	s_setpc_b64 s[14:15]
.LBB2_13338:
	s_or_b64 exec, exec, s[6:7]
	s_and_saveexec_b64 s[6:7], s[4:5]
	s_cbranch_execz .LBB2_13340
.LBB2_13339:
	v_bfe_u32 v12, v6, 24, 3
	v_ffbh_u32_e32 v16, v12
	v_min_u32_e32 v16, 32, v16
	v_lshrrev_b32_e32 v14, 27, v6
	v_subrev_u32_e32 v17, 28, v16
	v_and_b32_e32 v13, 0x80000000, v6
	v_and_b32_e32 v14, 15, v14
	v_bfe_u32 v15, v6, 27, 4
	v_lshlrev_b32_sdwa v6, v17, v6 dst_sel:DWORD dst_unused:UNUSED_PAD src0_sel:DWORD src1_sel:BYTE_3
	v_sub_u32_e32 v16, 29, v16
	v_and_b32_e32 v6, 7, v6
	v_cmp_eq_u16_e32 vcc, 0, v14
	v_cndmask_b32_e32 v6, v12, v6, vcc
	v_cndmask_b32_e32 v12, v15, v16, vcc
	v_mov_b32_e32 v14, 0x3b800000
	v_lshlrev_b32_e32 v6, 20, v6
	v_lshl_add_u32 v12, v12, 23, v14
	v_or3_b32 v12, v13, v12, v6
.LBB2_13340:
	s_or_b64 exec, exec, s[6:7]
	s_movk_i32 s4, 0x7f
	v_cmp_gt_i16_sdwa s[6:7], v2, s4 src0_sel:BYTE_3 src1_sel:DWORD
	s_mov_b64 s[4:5], 0
                                        ; implicit-def: $sgpr10
	s_and_saveexec_b64 s[8:9], s[6:7]
	s_xor_b64 s[6:7], exec, s[8:9]
	s_cbranch_execz .LBB2_13341
; %bb.49181:
	s_getpc_b64 s[14:15]
.Lpost_getpc28174:
	s_add_u32 s14, s14, (.LBB2_27677-.Lpost_getpc28174)&4294967295
	s_addc_u32 s15, s15, (.LBB2_27677-.Lpost_getpc28174)>>32
	s_setpc_b64 s[14:15]
.LBB2_13341:
	s_or_saveexec_b64 s[6:7], s[6:7]
	v_mov_b32_e32 v6, s10
	s_xor_b64 exec, exec, s[6:7]
	s_cbranch_execz .LBB2_13342
; %bb.49183:
	s_getpc_b64 s[14:15]
.Lpost_getpc28175:
	s_add_u32 s14, s14, (.LBB2_27680-.Lpost_getpc28175)&4294967295
	s_addc_u32 s15, s15, (.LBB2_27680-.Lpost_getpc28175)>>32
	s_setpc_b64 s[14:15]
.LBB2_13342:
	s_or_b64 exec, exec, s[6:7]
	s_and_saveexec_b64 s[6:7], s[4:5]
	s_cbranch_execz .LBB2_13344
.LBB2_13343:
	v_bfe_u32 v6, v2, 24, 3
	v_ffbh_u32_e32 v16, v6
	v_min_u32_e32 v16, 32, v16
	v_lshrrev_b32_e32 v14, 27, v2
	v_subrev_u32_e32 v17, 28, v16
	v_and_b32_e32 v13, 0x80000000, v2
	v_and_b32_e32 v14, 15, v14
	v_bfe_u32 v15, v2, 27, 4
	v_lshlrev_b32_sdwa v2, v17, v2 dst_sel:DWORD dst_unused:UNUSED_PAD src0_sel:DWORD src1_sel:BYTE_3
	v_sub_u32_e32 v16, 29, v16
	v_and_b32_e32 v2, 7, v2
	v_cmp_eq_u16_e32 vcc, 0, v14
	v_cndmask_b32_e32 v2, v6, v2, vcc
	v_cndmask_b32_e32 v6, v15, v16, vcc
	v_mov_b32_e32 v14, 0x3b800000
	v_lshlrev_b32_e32 v2, 20, v2
	v_lshl_add_u32 v6, v6, 23, v14
	v_or3_b32 v6, v13, v6, v2
.LBB2_13344:
	s_or_b64 exec, exec, s[6:7]
	s_nop 0
	v_mfma_f32_16x16x4f32 a[0:3], v12, v6, a[0:3]
	s_movk_i32 s4, 0x7f
	v_cmp_gt_i16_sdwa s[6:7], v7, s4 src0_sel:BYTE_0 src1_sel:DWORD
	s_mov_b64 s[4:5], 0
                                        ; implicit-def: $sgpr10
	s_and_saveexec_b64 s[8:9], s[6:7]
	s_xor_b64 s[6:7], exec, s[8:9]
	s_cbranch_execz .LBB2_13345
; %bb.49185:
	s_getpc_b64 s[14:15]
.Lpost_getpc28176:
	s_add_u32 s14, s14, (.LBB2_27681-.Lpost_getpc28176)&4294967295
	s_addc_u32 s15, s15, (.LBB2_27681-.Lpost_getpc28176)>>32
	s_setpc_b64 s[14:15]
.LBB2_13345:
	s_or_saveexec_b64 s[6:7], s[6:7]
	v_mov_b32_e32 v2, s10
	s_xor_b64 exec, exec, s[6:7]
	s_cbranch_execz .LBB2_13346
; %bb.49187:
	s_getpc_b64 s[14:15]
.Lpost_getpc28177:
	s_add_u32 s14, s14, (.LBB2_27684-.Lpost_getpc28177)&4294967295
	s_addc_u32 s15, s15, (.LBB2_27684-.Lpost_getpc28177)>>32
	s_setpc_b64 s[14:15]
.LBB2_13346:
	s_or_b64 exec, exec, s[6:7]
	s_and_saveexec_b64 s[6:7], s[4:5]
	s_cbranch_execz .LBB2_13348
.LBB2_13347:
	v_and_b32_e32 v2, 7, v7
	v_ffbh_u32_e32 v12, v2
	v_min_u32_e32 v12, 32, v12
	v_lshrrev_b16_e32 v6, 3, v7
	v_subrev_u32_e32 v13, 28, v12
	v_and_b32_e32 v6, 15, v6
	v_lshlrev_b32_e32 v13, v13, v7
	v_sub_u32_e32 v12, 29, v12
	v_and_b32_e32 v13, 7, v13
	v_cmp_eq_u16_e32 vcc, 0, v6
	v_cndmask_b32_e32 v2, v2, v13, vcc
	v_cndmask_b32_e32 v6, v6, v12, vcc
	v_lshlrev_b32_e32 v12, 24, v7
	v_mov_b32_e32 v13, 0x3b800000
	v_lshlrev_b32_e32 v2, 20, v2
	v_and_b32_e32 v12, 0x80000000, v12
	v_lshl_add_u32 v6, v6, 23, v13
	v_or3_b32 v2, v12, v6, v2
.LBB2_13348:
	s_or_b64 exec, exec, s[6:7]
	s_movk_i32 s4, 0x7f
	v_cmp_gt_i16_sdwa s[6:7], v3, s4 src0_sel:BYTE_0 src1_sel:DWORD
	s_mov_b64 s[4:5], 0
                                        ; implicit-def: $sgpr10
	s_and_saveexec_b64 s[8:9], s[6:7]
	s_xor_b64 s[6:7], exec, s[8:9]
	s_cbranch_execz .LBB2_13349
; %bb.49189:
	s_getpc_b64 s[14:15]
.Lpost_getpc28178:
	s_add_u32 s14, s14, (.LBB2_27685-.Lpost_getpc28178)&4294967295
	s_addc_u32 s15, s15, (.LBB2_27685-.Lpost_getpc28178)>>32
	s_setpc_b64 s[14:15]
.LBB2_13349:
	s_or_saveexec_b64 s[6:7], s[6:7]
	v_mov_b32_e32 v6, s10
	s_xor_b64 exec, exec, s[6:7]
	s_cbranch_execz .LBB2_13350
; %bb.49191:
	s_getpc_b64 s[14:15]
.Lpost_getpc28179:
	s_add_u32 s14, s14, (.LBB2_27688-.Lpost_getpc28179)&4294967295
	s_addc_u32 s15, s15, (.LBB2_27688-.Lpost_getpc28179)>>32
	s_setpc_b64 s[14:15]
.LBB2_13350:
	s_or_b64 exec, exec, s[6:7]
	s_and_saveexec_b64 s[6:7], s[4:5]
	s_cbranch_execz .LBB2_13352
.LBB2_13351:
	v_and_b32_e32 v6, 7, v3
	v_ffbh_u32_e32 v13, v6
	v_min_u32_e32 v13, 32, v13
	v_lshrrev_b16_e32 v12, 3, v3
	v_subrev_u32_e32 v14, 28, v13
	v_and_b32_e32 v12, 15, v12
	v_lshlrev_b32_e32 v14, v14, v3
	v_sub_u32_e32 v13, 29, v13
	v_and_b32_e32 v14, 7, v14
	v_cmp_eq_u16_e32 vcc, 0, v12
	v_cndmask_b32_e32 v6, v6, v14, vcc
	v_cndmask_b32_e32 v12, v12, v13, vcc
	v_lshlrev_b32_e32 v13, 24, v3
	v_mov_b32_e32 v14, 0x3b800000
	v_lshlrev_b32_e32 v6, 20, v6
	v_and_b32_e32 v13, 0x80000000, v13
	v_lshl_add_u32 v12, v12, 23, v14
	v_or3_b32 v6, v13, v12, v6
.LBB2_13352:
	s_or_b64 exec, exec, s[6:7]
	s_nop 0
	v_mfma_f32_16x16x4f32 a[0:3], v2, v6, a[0:3]
	v_lshrrev_b32_e32 v6, 8, v7
	s_movk_i32 s4, 0x7f
	v_cmp_gt_i16_sdwa s[6:7], v6, s4 src0_sel:BYTE_0 src1_sel:DWORD
	s_mov_b64 s[4:5], 0
                                        ; implicit-def: $sgpr10
	s_and_saveexec_b64 s[8:9], s[6:7]
	s_xor_b64 s[6:7], exec, s[8:9]
	s_cbranch_execz .LBB2_13353
; %bb.49193:
	s_getpc_b64 s[14:15]
.Lpost_getpc28180:
	s_add_u32 s14, s14, (.LBB2_27689-.Lpost_getpc28180)&4294967295
	s_addc_u32 s15, s15, (.LBB2_27689-.Lpost_getpc28180)>>32
	s_setpc_b64 s[14:15]
.LBB2_13353:
	s_or_saveexec_b64 s[6:7], s[6:7]
	v_mov_b32_e32 v2, s10
	s_xor_b64 exec, exec, s[6:7]
	s_cbranch_execz .LBB2_13354
; %bb.49195:
	s_getpc_b64 s[14:15]
.Lpost_getpc28181:
	s_add_u32 s14, s14, (.LBB2_27692-.Lpost_getpc28181)&4294967295
	s_addc_u32 s15, s15, (.LBB2_27692-.Lpost_getpc28181)>>32
	s_setpc_b64 s[14:15]
.LBB2_13354:
	s_or_b64 exec, exec, s[6:7]
	s_and_saveexec_b64 s[6:7], s[4:5]
	s_cbranch_execz .LBB2_13356
.LBB2_13355:
	v_bfe_u32 v2, v7, 8, 3
	v_ffbh_u32_e32 v13, v2
	v_min_u32_e32 v13, 32, v13
	v_lshrrev_b16_e32 v12, 3, v6
	v_subrev_u32_e32 v14, 28, v13
	v_and_b32_e32 v12, 15, v12
	v_lshlrev_b32_e32 v6, v14, v6
	v_sub_u32_e32 v13, 29, v13
	v_and_b32_e32 v6, 7, v6
	v_cmp_eq_u16_e32 vcc, 0, v12
	v_cndmask_b32_e32 v2, v2, v6, vcc
	v_cndmask_b32_e32 v6, v12, v13, vcc
	v_lshlrev_b32_e32 v12, 16, v7
	v_mov_b32_e32 v13, 0x3b800000
	v_lshlrev_b32_e32 v2, 20, v2
	v_and_b32_e32 v12, 0x80000000, v12
	v_lshl_add_u32 v6, v6, 23, v13
	v_or3_b32 v2, v12, v6, v2
.LBB2_13356:
	s_or_b64 exec, exec, s[6:7]
	v_lshrrev_b32_e32 v6, 8, v3
	s_movk_i32 s4, 0x7f
	v_cmp_gt_i16_sdwa s[6:7], v6, s4 src0_sel:BYTE_0 src1_sel:DWORD
	s_mov_b64 s[4:5], 0
                                        ; implicit-def: $sgpr10
	s_and_saveexec_b64 s[8:9], s[6:7]
	s_xor_b64 s[6:7], exec, s[8:9]
	s_cbranch_execz .LBB2_13357
; %bb.49197:
	s_getpc_b64 s[14:15]
.Lpost_getpc28182:
	s_add_u32 s14, s14, (.LBB2_27693-.Lpost_getpc28182)&4294967295
	s_addc_u32 s15, s15, (.LBB2_27693-.Lpost_getpc28182)>>32
	s_setpc_b64 s[14:15]
.LBB2_13357:
	s_or_saveexec_b64 s[6:7], s[6:7]
	v_mov_b32_e32 v12, s10
	s_xor_b64 exec, exec, s[6:7]
	s_cbranch_execz .LBB2_13358
; %bb.49199:
	s_getpc_b64 s[14:15]
.Lpost_getpc28183:
	s_add_u32 s14, s14, (.LBB2_27696-.Lpost_getpc28183)&4294967295
	s_addc_u32 s15, s15, (.LBB2_27696-.Lpost_getpc28183)>>32
	s_setpc_b64 s[14:15]
.LBB2_13358:
	s_or_b64 exec, exec, s[6:7]
	s_and_saveexec_b64 s[6:7], s[4:5]
	s_cbranch_execz .LBB2_13360
.LBB2_13359:
	v_bfe_u32 v12, v3, 8, 3
	v_ffbh_u32_e32 v14, v12
	v_min_u32_e32 v14, 32, v14
	v_lshrrev_b16_e32 v13, 3, v6
	v_subrev_u32_e32 v15, 28, v14
	v_and_b32_e32 v13, 15, v13
	v_lshlrev_b32_e32 v6, v15, v6
	v_sub_u32_e32 v14, 29, v14
	v_and_b32_e32 v6, 7, v6
	v_cmp_eq_u16_e32 vcc, 0, v13
	v_cndmask_b32_e32 v6, v12, v6, vcc
	v_cndmask_b32_e32 v12, v13, v14, vcc
	v_lshlrev_b32_e32 v13, 16, v3
	v_mov_b32_e32 v14, 0x3b800000
	v_lshlrev_b32_e32 v6, 20, v6
	v_and_b32_e32 v13, 0x80000000, v13
	v_lshl_add_u32 v12, v12, 23, v14
	v_or3_b32 v12, v13, v12, v6
.LBB2_13360:
	s_or_b64 exec, exec, s[6:7]
	s_nop 0
	v_mfma_f32_16x16x4f32 a[0:3], v2, v12, a[0:3]
	s_movk_i32 s4, 0xff
	v_and_b32_sdwa v6, v7, s4 dst_sel:DWORD dst_unused:UNUSED_PAD src0_sel:WORD_1 src1_sel:DWORD
	s_movk_i32 s4, 0x7f
	v_cmp_lt_i16_e32 vcc, s4, v6
	s_mov_b64 s[4:5], 0
                                        ; implicit-def: $sgpr10
	s_and_saveexec_b64 s[6:7], vcc
	s_xor_b64 s[6:7], exec, s[6:7]
	s_cbranch_execz .LBB2_13361
; %bb.49201:
	s_getpc_b64 s[14:15]
.Lpost_getpc28184:
	s_add_u32 s14, s14, (.LBB2_27697-.Lpost_getpc28184)&4294967295
	s_addc_u32 s15, s15, (.LBB2_27697-.Lpost_getpc28184)>>32
	s_setpc_b64 s[14:15]
.LBB2_13361:
	s_or_saveexec_b64 s[6:7], s[6:7]
	v_mov_b32_e32 v2, s10
	s_xor_b64 exec, exec, s[6:7]
	s_cbranch_execz .LBB2_13362
; %bb.49203:
	s_getpc_b64 s[14:15]
.Lpost_getpc28185:
	s_add_u32 s14, s14, (.LBB2_27700-.Lpost_getpc28185)&4294967295
	s_addc_u32 s15, s15, (.LBB2_27700-.Lpost_getpc28185)>>32
	s_setpc_b64 s[14:15]
.LBB2_13362:
	s_or_b64 exec, exec, s[6:7]
	s_and_saveexec_b64 s[6:7], s[4:5]
	s_cbranch_execz .LBB2_13364
.LBB2_13363:
	v_bfe_u32 v2, v7, 16, 3
	v_ffbh_u32_e32 v13, v2
	v_min_u32_e32 v13, 32, v13
	v_lshrrev_b32_e32 v6, 19, v7
	v_subrev_u32_e32 v14, 28, v13
	v_and_b32_e32 v6, 15, v6
	v_lshlrev_b32_sdwa v14, v14, v7 dst_sel:DWORD dst_unused:UNUSED_PAD src0_sel:DWORD src1_sel:WORD_1
	v_bfe_u32 v12, v7, 19, 4
	v_sub_u32_e32 v13, 29, v13
	v_and_b32_e32 v14, 7, v14
	v_cmp_eq_u16_e32 vcc, 0, v6
	v_cndmask_b32_e32 v2, v2, v14, vcc
	v_cndmask_b32_e32 v6, v12, v13, vcc
	v_lshlrev_b32_e32 v12, 8, v7
	v_mov_b32_e32 v13, 0x3b800000
	v_lshlrev_b32_e32 v2, 20, v2
	v_and_b32_e32 v12, 0x80000000, v12
	v_lshl_add_u32 v6, v6, 23, v13
	v_or3_b32 v2, v12, v6, v2
.LBB2_13364:
	s_or_b64 exec, exec, s[6:7]
	s_movk_i32 s4, 0xff
	v_and_b32_sdwa v6, v3, s4 dst_sel:DWORD dst_unused:UNUSED_PAD src0_sel:WORD_1 src1_sel:DWORD
	s_movk_i32 s4, 0x7f
	v_cmp_lt_i16_e32 vcc, s4, v6
	s_mov_b64 s[4:5], 0
                                        ; implicit-def: $sgpr10
	s_and_saveexec_b64 s[6:7], vcc
	s_xor_b64 s[6:7], exec, s[6:7]
	s_cbranch_execz .LBB2_13365
; %bb.49205:
	s_getpc_b64 s[14:15]
.Lpost_getpc28186:
	s_add_u32 s14, s14, (.LBB2_27701-.Lpost_getpc28186)&4294967295
	s_addc_u32 s15, s15, (.LBB2_27701-.Lpost_getpc28186)>>32
	s_setpc_b64 s[14:15]
.LBB2_13365:
	s_or_saveexec_b64 s[6:7], s[6:7]
	v_mov_b32_e32 v12, s10
	s_xor_b64 exec, exec, s[6:7]
	s_cbranch_execz .LBB2_13366
; %bb.49207:
	s_getpc_b64 s[14:15]
.Lpost_getpc28187:
	s_add_u32 s14, s14, (.LBB2_27704-.Lpost_getpc28187)&4294967295
	s_addc_u32 s15, s15, (.LBB2_27704-.Lpost_getpc28187)>>32
	s_setpc_b64 s[14:15]
.LBB2_13366:
	s_or_b64 exec, exec, s[6:7]
	s_and_saveexec_b64 s[6:7], s[4:5]
	s_cbranch_execz .LBB2_13368
.LBB2_13367:
	v_bfe_u32 v6, v3, 16, 3
	v_ffbh_u32_e32 v14, v6
	v_min_u32_e32 v14, 32, v14
	v_lshrrev_b32_e32 v12, 19, v3
	v_subrev_u32_e32 v15, 28, v14
	v_and_b32_e32 v12, 15, v12
	v_lshlrev_b32_sdwa v15, v15, v3 dst_sel:DWORD dst_unused:UNUSED_PAD src0_sel:DWORD src1_sel:WORD_1
	v_bfe_u32 v13, v3, 19, 4
	v_sub_u32_e32 v14, 29, v14
	v_and_b32_e32 v15, 7, v15
	v_cmp_eq_u16_e32 vcc, 0, v12
	v_cndmask_b32_e32 v6, v6, v15, vcc
	v_cndmask_b32_e32 v12, v13, v14, vcc
	v_lshlrev_b32_e32 v13, 8, v3
	v_mov_b32_e32 v14, 0x3b800000
	v_lshlrev_b32_e32 v6, 20, v6
	v_and_b32_e32 v13, 0x80000000, v13
	v_lshl_add_u32 v12, v12, 23, v14
	v_or3_b32 v12, v13, v12, v6
.LBB2_13368:
	s_or_b64 exec, exec, s[6:7]
	s_nop 0
	v_mfma_f32_16x16x4f32 a[0:3], v2, v12, a[0:3]
	s_movk_i32 s4, 0x7f
	v_cmp_gt_i16_sdwa s[6:7], v7, s4 src0_sel:BYTE_3 src1_sel:DWORD
	s_mov_b64 s[4:5], 0
                                        ; implicit-def: $sgpr10
	s_and_saveexec_b64 s[8:9], s[6:7]
	s_xor_b64 s[6:7], exec, s[8:9]
	s_cbranch_execz .LBB2_13369
; %bb.49209:
	s_getpc_b64 s[14:15]
.Lpost_getpc28188:
	s_add_u32 s14, s14, (.LBB2_27705-.Lpost_getpc28188)&4294967295
	s_addc_u32 s15, s15, (.LBB2_27705-.Lpost_getpc28188)>>32
	s_setpc_b64 s[14:15]
.LBB2_13369:
	s_or_saveexec_b64 s[6:7], s[6:7]
	v_mov_b32_e32 v2, s10
	s_xor_b64 exec, exec, s[6:7]
	s_cbranch_execz .LBB2_13370
; %bb.49211:
	s_getpc_b64 s[14:15]
.Lpost_getpc28189:
	s_add_u32 s14, s14, (.LBB2_27708-.Lpost_getpc28189)&4294967295
	s_addc_u32 s15, s15, (.LBB2_27708-.Lpost_getpc28189)>>32
	s_setpc_b64 s[14:15]
.LBB2_13370:
	s_or_b64 exec, exec, s[6:7]
	s_and_saveexec_b64 s[6:7], s[4:5]
	s_cbranch_execz .LBB2_13372
.LBB2_13371:
	v_bfe_u32 v2, v7, 24, 3
	v_ffbh_u32_e32 v14, v2
	v_min_u32_e32 v14, 32, v14
	v_lshrrev_b32_e32 v12, 27, v7
	v_subrev_u32_e32 v15, 28, v14
	v_and_b32_e32 v6, 0x80000000, v7
	v_and_b32_e32 v12, 15, v12
	v_bfe_u32 v13, v7, 27, 4
	v_lshlrev_b32_sdwa v7, v15, v7 dst_sel:DWORD dst_unused:UNUSED_PAD src0_sel:DWORD src1_sel:BYTE_3
	v_sub_u32_e32 v14, 29, v14
	v_and_b32_e32 v7, 7, v7
	v_cmp_eq_u16_e32 vcc, 0, v12
	v_cndmask_b32_e32 v2, v2, v7, vcc
	v_cndmask_b32_e32 v7, v13, v14, vcc
	v_mov_b32_e32 v12, 0x3b800000
	v_lshlrev_b32_e32 v2, 20, v2
	v_lshl_add_u32 v7, v7, 23, v12
	v_or3_b32 v2, v6, v7, v2
.LBB2_13372:
	s_or_b64 exec, exec, s[6:7]
	s_movk_i32 s4, 0x7f
	v_cmp_gt_i16_sdwa s[6:7], v3, s4 src0_sel:BYTE_3 src1_sel:DWORD
	s_mov_b64 s[4:5], 0
                                        ; implicit-def: $sgpr10
	s_and_saveexec_b64 s[8:9], s[6:7]
	s_xor_b64 s[6:7], exec, s[8:9]
	s_cbranch_execz .LBB2_13373
; %bb.49213:
	s_getpc_b64 s[14:15]
.Lpost_getpc28190:
	s_add_u32 s14, s14, (.LBB2_27709-.Lpost_getpc28190)&4294967295
	s_addc_u32 s15, s15, (.LBB2_27709-.Lpost_getpc28190)>>32
	s_setpc_b64 s[14:15]
.LBB2_13373:
	s_or_saveexec_b64 s[6:7], s[6:7]
	v_mov_b32_e32 v6, s10
	s_xor_b64 exec, exec, s[6:7]
	s_cbranch_execz .LBB2_13374
; %bb.49215:
	s_getpc_b64 s[14:15]
.Lpost_getpc28191:
	s_add_u32 s14, s14, (.LBB2_27712-.Lpost_getpc28191)&4294967295
	s_addc_u32 s15, s15, (.LBB2_27712-.Lpost_getpc28191)>>32
	s_setpc_b64 s[14:15]
.LBB2_13374:
	s_or_b64 exec, exec, s[6:7]
	s_and_saveexec_b64 s[6:7], s[4:5]
	s_cbranch_execz .LBB2_13376
.LBB2_13375:
	v_bfe_u32 v6, v3, 24, 3
	v_ffbh_u32_e32 v14, v6
	v_min_u32_e32 v14, 32, v14
	v_lshrrev_b32_e32 v12, 27, v3
	v_subrev_u32_e32 v15, 28, v14
	v_and_b32_e32 v7, 0x80000000, v3
	v_and_b32_e32 v12, 15, v12
	v_bfe_u32 v13, v3, 27, 4
	v_lshlrev_b32_sdwa v3, v15, v3 dst_sel:DWORD dst_unused:UNUSED_PAD src0_sel:DWORD src1_sel:BYTE_3
	v_sub_u32_e32 v14, 29, v14
	v_and_b32_e32 v3, 7, v3
	v_cmp_eq_u16_e32 vcc, 0, v12
	v_cndmask_b32_e32 v3, v6, v3, vcc
	v_cndmask_b32_e32 v6, v13, v14, vcc
	v_mov_b32_e32 v12, 0x3b800000
	v_lshlrev_b32_e32 v3, 20, v3
	v_lshl_add_u32 v6, v6, 23, v12
	v_or3_b32 v6, v7, v6, v3
.LBB2_13376:
	s_or_b64 exec, exec, s[6:7]
	s_nop 0
	v_mfma_f32_16x16x4f32 a[0:3], v2, v6, a[0:3]
	s_movk_i32 s4, 0x7f
	v_cmp_gt_i16_sdwa s[6:7], v8, s4 src0_sel:BYTE_0 src1_sel:DWORD
	s_mov_b64 s[4:5], 0
                                        ; implicit-def: $sgpr10
	s_and_saveexec_b64 s[8:9], s[6:7]
	s_xor_b64 s[6:7], exec, s[8:9]
	s_cbranch_execz .LBB2_13377
; %bb.49217:
	s_getpc_b64 s[14:15]
.Lpost_getpc28192:
	s_add_u32 s14, s14, (.LBB2_27713-.Lpost_getpc28192)&4294967295
	s_addc_u32 s15, s15, (.LBB2_27713-.Lpost_getpc28192)>>32
	s_setpc_b64 s[14:15]
.LBB2_13377:
	s_or_saveexec_b64 s[6:7], s[6:7]
	v_mov_b32_e32 v2, s10
	s_xor_b64 exec, exec, s[6:7]
	s_cbranch_execz .LBB2_13378
; %bb.49219:
	s_getpc_b64 s[14:15]
.Lpost_getpc28193:
	s_add_u32 s14, s14, (.LBB2_27716-.Lpost_getpc28193)&4294967295
	s_addc_u32 s15, s15, (.LBB2_27716-.Lpost_getpc28193)>>32
	s_setpc_b64 s[14:15]
.LBB2_13378:
	s_or_b64 exec, exec, s[6:7]
	s_and_saveexec_b64 s[6:7], s[4:5]
	s_cbranch_execz .LBB2_13380
.LBB2_13379:
	v_and_b32_e32 v2, 7, v8
	v_ffbh_u32_e32 v6, v2
	v_min_u32_e32 v6, 32, v6
	v_lshrrev_b16_e32 v3, 3, v8
	v_subrev_u32_e32 v7, 28, v6
	v_and_b32_e32 v3, 15, v3
	v_lshlrev_b32_e32 v7, v7, v8
	v_sub_u32_e32 v6, 29, v6
	v_and_b32_e32 v7, 7, v7
	v_cmp_eq_u16_e32 vcc, 0, v3
	v_cndmask_b32_e32 v2, v2, v7, vcc
	v_cndmask_b32_e32 v3, v3, v6, vcc
	v_lshlrev_b32_e32 v6, 24, v8
	v_mov_b32_e32 v7, 0x3b800000
	v_lshlrev_b32_e32 v2, 20, v2
	v_and_b32_e32 v6, 0x80000000, v6
	v_lshl_add_u32 v3, v3, 23, v7
	v_or3_b32 v2, v6, v3, v2
.LBB2_13380:
	s_or_b64 exec, exec, s[6:7]
	s_movk_i32 s4, 0x7f
	v_cmp_gt_i16_sdwa s[6:7], v4, s4 src0_sel:BYTE_0 src1_sel:DWORD
	s_mov_b64 s[4:5], 0
                                        ; implicit-def: $sgpr10
	s_and_saveexec_b64 s[8:9], s[6:7]
	s_xor_b64 s[6:7], exec, s[8:9]
	s_cbranch_execz .LBB2_13381
; %bb.49221:
	s_getpc_b64 s[14:15]
.Lpost_getpc28194:
	s_add_u32 s14, s14, (.LBB2_27717-.Lpost_getpc28194)&4294967295
	s_addc_u32 s15, s15, (.LBB2_27717-.Lpost_getpc28194)>>32
	s_setpc_b64 s[14:15]
.LBB2_13381:
	s_or_saveexec_b64 s[6:7], s[6:7]
	v_mov_b32_e32 v3, s10
	s_xor_b64 exec, exec, s[6:7]
	s_cbranch_execz .LBB2_13382
; %bb.49223:
	s_getpc_b64 s[14:15]
.Lpost_getpc28195:
	s_add_u32 s14, s14, (.LBB2_27720-.Lpost_getpc28195)&4294967295
	s_addc_u32 s15, s15, (.LBB2_27720-.Lpost_getpc28195)>>32
	s_setpc_b64 s[14:15]
.LBB2_13382:
	s_or_b64 exec, exec, s[6:7]
	s_and_saveexec_b64 s[6:7], s[4:5]
	s_cbranch_execz .LBB2_13384
.LBB2_13383:
	v_and_b32_e32 v3, 7, v4
	v_ffbh_u32_e32 v7, v3
	v_min_u32_e32 v7, 32, v7
	v_lshrrev_b16_e32 v6, 3, v4
	v_subrev_u32_e32 v12, 28, v7
	v_and_b32_e32 v6, 15, v6
	v_lshlrev_b32_e32 v12, v12, v4
	v_sub_u32_e32 v7, 29, v7
	v_and_b32_e32 v12, 7, v12
	v_cmp_eq_u16_e32 vcc, 0, v6
	v_cndmask_b32_e32 v3, v3, v12, vcc
	v_cndmask_b32_e32 v6, v6, v7, vcc
	v_lshlrev_b32_e32 v7, 24, v4
	v_mov_b32_e32 v12, 0x3b800000
	v_lshlrev_b32_e32 v3, 20, v3
	v_and_b32_e32 v7, 0x80000000, v7
	v_lshl_add_u32 v6, v6, 23, v12
	v_or3_b32 v3, v7, v6, v3
.LBB2_13384:
	s_or_b64 exec, exec, s[6:7]
	s_nop 0
	v_mfma_f32_16x16x4f32 a[0:3], v2, v3, a[0:3]
	v_lshrrev_b32_e32 v3, 8, v8
	s_movk_i32 s4, 0x7f
	v_cmp_gt_i16_sdwa s[6:7], v3, s4 src0_sel:BYTE_0 src1_sel:DWORD
	s_mov_b64 s[4:5], 0
                                        ; implicit-def: $sgpr10
	s_and_saveexec_b64 s[8:9], s[6:7]
	s_xor_b64 s[6:7], exec, s[8:9]
	s_cbranch_execz .LBB2_13385
; %bb.49225:
	s_getpc_b64 s[14:15]
.Lpost_getpc28196:
	s_add_u32 s14, s14, (.LBB2_27721-.Lpost_getpc28196)&4294967295
	s_addc_u32 s15, s15, (.LBB2_27721-.Lpost_getpc28196)>>32
	s_setpc_b64 s[14:15]
.LBB2_13385:
	s_or_saveexec_b64 s[6:7], s[6:7]
	v_mov_b32_e32 v2, s10
	s_xor_b64 exec, exec, s[6:7]
	s_cbranch_execz .LBB2_13386
; %bb.49227:
	s_getpc_b64 s[14:15]
.Lpost_getpc28197:
	s_add_u32 s14, s14, (.LBB2_27724-.Lpost_getpc28197)&4294967295
	s_addc_u32 s15, s15, (.LBB2_27724-.Lpost_getpc28197)>>32
	s_setpc_b64 s[14:15]
.LBB2_13386:
	s_or_b64 exec, exec, s[6:7]
	s_and_saveexec_b64 s[6:7], s[4:5]
	s_cbranch_execz .LBB2_13388
.LBB2_13387:
	v_bfe_u32 v2, v8, 8, 3
	v_ffbh_u32_e32 v7, v2
	v_min_u32_e32 v7, 32, v7
	v_lshrrev_b16_e32 v6, 3, v3
	v_subrev_u32_e32 v12, 28, v7
	v_and_b32_e32 v6, 15, v6
	v_lshlrev_b32_e32 v3, v12, v3
	v_sub_u32_e32 v7, 29, v7
	v_and_b32_e32 v3, 7, v3
	v_cmp_eq_u16_e32 vcc, 0, v6
	v_cndmask_b32_e32 v2, v2, v3, vcc
	v_cndmask_b32_e32 v3, v6, v7, vcc
	v_lshlrev_b32_e32 v6, 16, v8
	v_mov_b32_e32 v7, 0x3b800000
	v_lshlrev_b32_e32 v2, 20, v2
	v_and_b32_e32 v6, 0x80000000, v6
	v_lshl_add_u32 v3, v3, 23, v7
	v_or3_b32 v2, v6, v3, v2
.LBB2_13388:
	s_or_b64 exec, exec, s[6:7]
	v_lshrrev_b32_e32 v3, 8, v4
	s_movk_i32 s4, 0x7f
	v_cmp_gt_i16_sdwa s[6:7], v3, s4 src0_sel:BYTE_0 src1_sel:DWORD
	s_mov_b64 s[4:5], 0
                                        ; implicit-def: $sgpr10
	s_and_saveexec_b64 s[8:9], s[6:7]
	s_xor_b64 s[6:7], exec, s[8:9]
	s_cbranch_execz .LBB2_13389
; %bb.49229:
	s_getpc_b64 s[14:15]
.Lpost_getpc28198:
	s_add_u32 s14, s14, (.LBB2_27725-.Lpost_getpc28198)&4294967295
	s_addc_u32 s15, s15, (.LBB2_27725-.Lpost_getpc28198)>>32
	s_setpc_b64 s[14:15]
.LBB2_13389:
	s_or_saveexec_b64 s[6:7], s[6:7]
	v_mov_b32_e32 v6, s10
	s_xor_b64 exec, exec, s[6:7]
	s_cbranch_execz .LBB2_13390
; %bb.49231:
	s_getpc_b64 s[14:15]
.Lpost_getpc28199:
	s_add_u32 s14, s14, (.LBB2_27728-.Lpost_getpc28199)&4294967295
	s_addc_u32 s15, s15, (.LBB2_27728-.Lpost_getpc28199)>>32
	s_setpc_b64 s[14:15]
.LBB2_13390:
	s_or_b64 exec, exec, s[6:7]
	s_and_saveexec_b64 s[6:7], s[4:5]
	s_cbranch_execz .LBB2_13392
.LBB2_13391:
	v_bfe_u32 v6, v4, 8, 3
	v_ffbh_u32_e32 v12, v6
	v_min_u32_e32 v12, 32, v12
	v_lshrrev_b16_e32 v7, 3, v3
	v_subrev_u32_e32 v13, 28, v12
	v_and_b32_e32 v7, 15, v7
	v_lshlrev_b32_e32 v3, v13, v3
	v_sub_u32_e32 v12, 29, v12
	v_and_b32_e32 v3, 7, v3
	v_cmp_eq_u16_e32 vcc, 0, v7
	v_cndmask_b32_e32 v3, v6, v3, vcc
	v_cndmask_b32_e32 v6, v7, v12, vcc
	v_lshlrev_b32_e32 v7, 16, v4
	v_mov_b32_e32 v12, 0x3b800000
	v_lshlrev_b32_e32 v3, 20, v3
	v_and_b32_e32 v7, 0x80000000, v7
	v_lshl_add_u32 v6, v6, 23, v12
	v_or3_b32 v6, v7, v6, v3
.LBB2_13392:
	s_or_b64 exec, exec, s[6:7]
	s_nop 0
	v_mfma_f32_16x16x4f32 a[0:3], v2, v6, a[0:3]
	s_movk_i32 s4, 0xff
	v_and_b32_sdwa v3, v8, s4 dst_sel:DWORD dst_unused:UNUSED_PAD src0_sel:WORD_1 src1_sel:DWORD
	s_movk_i32 s4, 0x7f
	v_cmp_lt_i16_e32 vcc, s4, v3
	s_mov_b64 s[4:5], 0
                                        ; implicit-def: $sgpr10
	s_and_saveexec_b64 s[6:7], vcc
	s_xor_b64 s[6:7], exec, s[6:7]
	s_cbranch_execz .LBB2_13393
; %bb.49233:
	s_getpc_b64 s[14:15]
.Lpost_getpc28200:
	s_add_u32 s14, s14, (.LBB2_27729-.Lpost_getpc28200)&4294967295
	s_addc_u32 s15, s15, (.LBB2_27729-.Lpost_getpc28200)>>32
	s_setpc_b64 s[14:15]
.LBB2_13393:
	s_or_saveexec_b64 s[6:7], s[6:7]
	v_mov_b32_e32 v2, s10
	s_xor_b64 exec, exec, s[6:7]
	s_cbranch_execz .LBB2_13394
; %bb.49235:
	s_getpc_b64 s[14:15]
.Lpost_getpc28201:
	s_add_u32 s14, s14, (.LBB2_27732-.Lpost_getpc28201)&4294967295
	s_addc_u32 s15, s15, (.LBB2_27732-.Lpost_getpc28201)>>32
	s_setpc_b64 s[14:15]
.LBB2_13394:
	s_or_b64 exec, exec, s[6:7]
	s_and_saveexec_b64 s[6:7], s[4:5]
	s_cbranch_execz .LBB2_13396
.LBB2_13395:
	v_bfe_u32 v2, v8, 16, 3
	v_ffbh_u32_e32 v7, v2
	v_min_u32_e32 v7, 32, v7
	v_lshrrev_b32_e32 v3, 19, v8
	v_subrev_u32_e32 v12, 28, v7
	v_and_b32_e32 v3, 15, v3
	v_lshlrev_b32_sdwa v12, v12, v8 dst_sel:DWORD dst_unused:UNUSED_PAD src0_sel:DWORD src1_sel:WORD_1
	v_bfe_u32 v6, v8, 19, 4
	v_sub_u32_e32 v7, 29, v7
	v_and_b32_e32 v12, 7, v12
	v_cmp_eq_u16_e32 vcc, 0, v3
	v_cndmask_b32_e32 v2, v2, v12, vcc
	v_cndmask_b32_e32 v3, v6, v7, vcc
	v_lshlrev_b32_e32 v6, 8, v8
	v_mov_b32_e32 v7, 0x3b800000
	v_lshlrev_b32_e32 v2, 20, v2
	v_and_b32_e32 v6, 0x80000000, v6
	v_lshl_add_u32 v3, v3, 23, v7
	v_or3_b32 v2, v6, v3, v2
.LBB2_13396:
	s_or_b64 exec, exec, s[6:7]
	s_movk_i32 s4, 0xff
	v_and_b32_sdwa v3, v4, s4 dst_sel:DWORD dst_unused:UNUSED_PAD src0_sel:WORD_1 src1_sel:DWORD
	s_movk_i32 s4, 0x7f
	v_cmp_lt_i16_e32 vcc, s4, v3
	s_mov_b64 s[4:5], 0
                                        ; implicit-def: $sgpr10
	s_and_saveexec_b64 s[6:7], vcc
	s_xor_b64 s[6:7], exec, s[6:7]
	s_cbranch_execz .LBB2_13397
; %bb.49237:
	s_getpc_b64 s[14:15]
.Lpost_getpc28202:
	s_add_u32 s14, s14, (.LBB2_27733-.Lpost_getpc28202)&4294967295
	s_addc_u32 s15, s15, (.LBB2_27733-.Lpost_getpc28202)>>32
	s_setpc_b64 s[14:15]
.LBB2_13397:
	s_or_saveexec_b64 s[6:7], s[6:7]
	v_mov_b32_e32 v6, s10
	s_xor_b64 exec, exec, s[6:7]
	s_cbranch_execz .LBB2_13398
; %bb.49239:
	s_getpc_b64 s[14:15]
.Lpost_getpc28203:
	s_add_u32 s14, s14, (.LBB2_27736-.Lpost_getpc28203)&4294967295
	s_addc_u32 s15, s15, (.LBB2_27736-.Lpost_getpc28203)>>32
	s_setpc_b64 s[14:15]
.LBB2_13398:
	s_or_b64 exec, exec, s[6:7]
	s_and_saveexec_b64 s[6:7], s[4:5]
	s_cbranch_execz .LBB2_13400
.LBB2_13399:
	v_bfe_u32 v3, v4, 16, 3
	v_ffbh_u32_e32 v12, v3
	v_min_u32_e32 v12, 32, v12
	v_lshrrev_b32_e32 v6, 19, v4
	v_subrev_u32_e32 v13, 28, v12
	v_and_b32_e32 v6, 15, v6
	v_lshlrev_b32_sdwa v13, v13, v4 dst_sel:DWORD dst_unused:UNUSED_PAD src0_sel:DWORD src1_sel:WORD_1
	v_bfe_u32 v7, v4, 19, 4
	v_sub_u32_e32 v12, 29, v12
	v_and_b32_e32 v13, 7, v13
	v_cmp_eq_u16_e32 vcc, 0, v6
	v_cndmask_b32_e32 v3, v3, v13, vcc
	v_cndmask_b32_e32 v6, v7, v12, vcc
	v_lshlrev_b32_e32 v7, 8, v4
	v_mov_b32_e32 v12, 0x3b800000
	v_lshlrev_b32_e32 v3, 20, v3
	v_and_b32_e32 v7, 0x80000000, v7
	v_lshl_add_u32 v6, v6, 23, v12
	v_or3_b32 v6, v7, v6, v3
.LBB2_13400:
	s_or_b64 exec, exec, s[6:7]
	s_nop 0
	v_mfma_f32_16x16x4f32 a[0:3], v2, v6, a[0:3]
	s_movk_i32 s4, 0x7f
	v_cmp_gt_i16_sdwa s[6:7], v8, s4 src0_sel:BYTE_3 src1_sel:DWORD
	s_mov_b64 s[4:5], 0
                                        ; implicit-def: $sgpr10
	s_and_saveexec_b64 s[8:9], s[6:7]
	s_xor_b64 s[6:7], exec, s[8:9]
	s_cbranch_execz .LBB2_13401
; %bb.49241:
	s_getpc_b64 s[14:15]
.Lpost_getpc28204:
	s_add_u32 s14, s14, (.LBB2_27737-.Lpost_getpc28204)&4294967295
	s_addc_u32 s15, s15, (.LBB2_27737-.Lpost_getpc28204)>>32
	s_setpc_b64 s[14:15]
.LBB2_13401:
	s_or_saveexec_b64 s[6:7], s[6:7]
	v_mov_b32_e32 v2, s10
	s_xor_b64 exec, exec, s[6:7]
	s_cbranch_execz .LBB2_13402
; %bb.49243:
	s_getpc_b64 s[14:15]
.Lpost_getpc28205:
	s_add_u32 s14, s14, (.LBB2_27740-.Lpost_getpc28205)&4294967295
	s_addc_u32 s15, s15, (.LBB2_27740-.Lpost_getpc28205)>>32
	s_setpc_b64 s[14:15]
.LBB2_13402:
	s_or_b64 exec, exec, s[6:7]
	s_and_saveexec_b64 s[6:7], s[4:5]
	s_cbranch_execz .LBB2_13404
.LBB2_13403:
	v_bfe_u32 v2, v8, 24, 3
	v_ffbh_u32_e32 v12, v2
	v_min_u32_e32 v12, 32, v12
	v_lshrrev_b32_e32 v6, 27, v8
	v_subrev_u32_e32 v13, 28, v12
	v_and_b32_e32 v3, 0x80000000, v8
	v_and_b32_e32 v6, 15, v6
	v_bfe_u32 v7, v8, 27, 4
	v_lshlrev_b32_sdwa v8, v13, v8 dst_sel:DWORD dst_unused:UNUSED_PAD src0_sel:DWORD src1_sel:BYTE_3
	v_sub_u32_e32 v12, 29, v12
	v_and_b32_e32 v8, 7, v8
	v_cmp_eq_u16_e32 vcc, 0, v6
	v_cndmask_b32_e32 v2, v2, v8, vcc
	v_cndmask_b32_e32 v6, v7, v12, vcc
	v_mov_b32_e32 v7, 0x3b800000
	v_lshlrev_b32_e32 v2, 20, v2
	v_lshl_add_u32 v6, v6, 23, v7
	v_or3_b32 v2, v3, v6, v2
.LBB2_13404:
	s_or_b64 exec, exec, s[6:7]
	s_movk_i32 s4, 0x7f
	v_cmp_gt_i16_sdwa s[6:7], v4, s4 src0_sel:BYTE_3 src1_sel:DWORD
	s_mov_b64 s[4:5], 0
                                        ; implicit-def: $sgpr10
	s_and_saveexec_b64 s[8:9], s[6:7]
	s_xor_b64 s[6:7], exec, s[8:9]
	s_cbranch_execz .LBB2_13405
; %bb.49245:
	s_getpc_b64 s[14:15]
.Lpost_getpc28206:
	s_add_u32 s14, s14, (.LBB2_27741-.Lpost_getpc28206)&4294967295
	s_addc_u32 s15, s15, (.LBB2_27741-.Lpost_getpc28206)>>32
	s_setpc_b64 s[14:15]
.LBB2_13405:
	s_or_saveexec_b64 s[6:7], s[6:7]
	v_mov_b32_e32 v3, s10
	s_xor_b64 exec, exec, s[6:7]
	s_cbranch_execz .LBB2_13406
; %bb.49247:
	s_getpc_b64 s[14:15]
.Lpost_getpc28207:
	s_add_u32 s14, s14, (.LBB2_27744-.Lpost_getpc28207)&4294967295
	s_addc_u32 s15, s15, (.LBB2_27744-.Lpost_getpc28207)>>32
	s_setpc_b64 s[14:15]
.LBB2_13406:
	s_or_b64 exec, exec, s[6:7]
	s_and_saveexec_b64 s[6:7], s[4:5]
	s_cbranch_execz .LBB2_13408
.LBB2_13407:
	v_bfe_u32 v3, v4, 24, 3
	v_ffbh_u32_e32 v12, v3
	v_min_u32_e32 v12, 32, v12
	v_lshrrev_b32_e32 v7, 27, v4
	v_subrev_u32_e32 v13, 28, v12
	v_and_b32_e32 v6, 0x80000000, v4
	v_and_b32_e32 v7, 15, v7
	v_bfe_u32 v8, v4, 27, 4
	v_lshlrev_b32_sdwa v4, v13, v4 dst_sel:DWORD dst_unused:UNUSED_PAD src0_sel:DWORD src1_sel:BYTE_3
	v_sub_u32_e32 v12, 29, v12
	v_and_b32_e32 v4, 7, v4
	v_cmp_eq_u16_e32 vcc, 0, v7
	v_cndmask_b32_e32 v3, v3, v4, vcc
	v_cndmask_b32_e32 v4, v8, v12, vcc
	v_mov_b32_e32 v7, 0x3b800000
	v_lshlrev_b32_e32 v3, 20, v3
	v_lshl_add_u32 v4, v4, 23, v7
	v_or3_b32 v3, v6, v4, v3
.LBB2_13408:
	s_or_b64 exec, exec, s[6:7]
	s_nop 0
	v_mfma_f32_16x16x4f32 a[0:3], v2, v3, a[0:3]
	s_movk_i32 s4, 0x7f
	v_cmp_gt_i16_sdwa s[6:7], v9, s4 src0_sel:BYTE_0 src1_sel:DWORD
	s_mov_b64 s[4:5], 0
                                        ; implicit-def: $sgpr10
	s_and_saveexec_b64 s[8:9], s[6:7]
	s_xor_b64 s[6:7], exec, s[8:9]
	s_cbranch_execz .LBB2_13409
; %bb.49249:
	s_getpc_b64 s[14:15]
.Lpost_getpc28208:
	s_add_u32 s14, s14, (.LBB2_27745-.Lpost_getpc28208)&4294967295
	s_addc_u32 s15, s15, (.LBB2_27745-.Lpost_getpc28208)>>32
	s_setpc_b64 s[14:15]
.LBB2_13409:
	s_or_saveexec_b64 s[6:7], s[6:7]
	v_mov_b32_e32 v2, s10
	s_xor_b64 exec, exec, s[6:7]
	s_cbranch_execz .LBB2_13410
; %bb.49251:
	s_getpc_b64 s[14:15]
.Lpost_getpc28209:
	s_add_u32 s14, s14, (.LBB2_27748-.Lpost_getpc28209)&4294967295
	s_addc_u32 s15, s15, (.LBB2_27748-.Lpost_getpc28209)>>32
	s_setpc_b64 s[14:15]
.LBB2_13410:
	s_or_b64 exec, exec, s[6:7]
	s_and_saveexec_b64 s[6:7], s[4:5]
	s_cbranch_execz .LBB2_13412
.LBB2_13411:
	v_mov_b32_e32 v2, 8
	v_and_b32_e32 v3, 7, v9
	v_lshrrev_b32_sdwa v2, v2, v9 dst_sel:BYTE_1 dst_unused:UNUSED_PAD src0_sel:DWORD src1_sel:DWORD
	v_ffbh_u32_e32 v4, v3
	v_or_b32_sdwa v2, v9, v2 dst_sel:DWORD dst_unused:UNUSED_PAD src0_sel:BYTE_0 src1_sel:DWORD
	v_min_u32_e32 v4, 32, v4
	v_lshrrev_b16_e32 v2, 3, v2
	v_subrev_u32_e32 v6, 28, v4
	v_and_b32_e32 v2, 15, v2
	v_lshlrev_b32_e32 v6, v6, v9
	v_sub_u32_e32 v4, 29, v4
	v_and_b32_e32 v6, 7, v6
	v_cmp_eq_u16_e32 vcc, 0, v2
	v_cndmask_b32_e32 v3, v3, v6, vcc
	v_cndmask_b32_e32 v2, v2, v4, vcc
	v_lshlrev_b32_e32 v4, 24, v9
	v_mov_b32_e32 v6, 0x3b800000
	v_lshlrev_b32_e32 v3, 20, v3
	v_and_b32_e32 v4, 0x80000000, v4
	v_lshl_add_u32 v2, v2, 23, v6
	v_or3_b32 v2, v4, v2, v3
.LBB2_13412:
	s_or_b64 exec, exec, s[6:7]
	s_movk_i32 s4, 0x7f
	v_cmp_gt_i16_sdwa s[6:7], v5, s4 src0_sel:BYTE_0 src1_sel:DWORD
	s_mov_b64 s[4:5], 0
                                        ; implicit-def: $sgpr10
	s_and_saveexec_b64 s[8:9], s[6:7]
	s_xor_b64 s[6:7], exec, s[8:9]
	s_cbranch_execz .LBB2_13413
; %bb.49253:
	s_getpc_b64 s[14:15]
.Lpost_getpc28210:
	s_add_u32 s14, s14, (.LBB2_27749-.Lpost_getpc28210)&4294967295
	s_addc_u32 s15, s15, (.LBB2_27749-.Lpost_getpc28210)>>32
	s_setpc_b64 s[14:15]
.LBB2_13413:
	s_or_saveexec_b64 s[6:7], s[6:7]
	v_mov_b32_e32 v3, s10
	s_xor_b64 exec, exec, s[6:7]
	s_cbranch_execz .LBB2_13414
; %bb.49255:
	s_getpc_b64 s[14:15]
.Lpost_getpc28211:
	s_add_u32 s14, s14, (.LBB2_27752-.Lpost_getpc28211)&4294967295
	s_addc_u32 s15, s15, (.LBB2_27752-.Lpost_getpc28211)>>32
	s_setpc_b64 s[14:15]
.LBB2_13414:
	s_or_b64 exec, exec, s[6:7]
	s_and_saveexec_b64 s[6:7], s[4:5]
	s_cbranch_execz .LBB2_13416
.LBB2_13415:
	v_mov_b32_e32 v3, 8
	v_and_b32_e32 v4, 7, v5
	v_lshrrev_b32_sdwa v3, v3, v5 dst_sel:BYTE_1 dst_unused:UNUSED_PAD src0_sel:DWORD src1_sel:DWORD
	v_ffbh_u32_e32 v6, v4
	v_or_b32_sdwa v3, v5, v3 dst_sel:DWORD dst_unused:UNUSED_PAD src0_sel:BYTE_0 src1_sel:DWORD
	v_min_u32_e32 v6, 32, v6
	v_lshrrev_b16_e32 v3, 3, v3
	v_subrev_u32_e32 v7, 28, v6
	v_and_b32_e32 v3, 15, v3
	v_lshlrev_b32_e32 v7, v7, v5
	v_sub_u32_e32 v6, 29, v6
	v_and_b32_e32 v7, 7, v7
	v_cmp_eq_u16_e32 vcc, 0, v3
	v_cndmask_b32_e32 v4, v4, v7, vcc
	v_cndmask_b32_e32 v3, v3, v6, vcc
	v_lshlrev_b32_e32 v6, 24, v5
	v_mov_b32_e32 v7, 0x3b800000
	v_lshlrev_b32_e32 v4, 20, v4
	v_and_b32_e32 v6, 0x80000000, v6
	v_lshl_add_u32 v3, v3, 23, v7
	v_or3_b32 v3, v6, v3, v4
.LBB2_13416:
	s_or_b64 exec, exec, s[6:7]
	s_nop 0
	v_mfma_f32_16x16x4f32 a[0:3], v2, v3, a[0:3]
	v_lshrrev_b32_e32 v3, 8, v9
	s_movk_i32 s4, 0x7f
	v_cmp_gt_i16_sdwa s[6:7], v3, s4 src0_sel:BYTE_0 src1_sel:DWORD
	s_mov_b64 s[4:5], 0
                                        ; implicit-def: $sgpr10
	s_and_saveexec_b64 s[8:9], s[6:7]
	s_xor_b64 s[6:7], exec, s[8:9]
	s_cbranch_execz .LBB2_13417
; %bb.49257:
	s_getpc_b64 s[14:15]
.Lpost_getpc28212:
	s_add_u32 s14, s14, (.LBB2_27753-.Lpost_getpc28212)&4294967295
	s_addc_u32 s15, s15, (.LBB2_27753-.Lpost_getpc28212)>>32
	s_setpc_b64 s[14:15]
.LBB2_13417:
	s_or_saveexec_b64 s[6:7], s[6:7]
	v_mov_b32_e32 v2, s10
	s_xor_b64 exec, exec, s[6:7]
	s_cbranch_execz .LBB2_13418
; %bb.49259:
	s_getpc_b64 s[14:15]
.Lpost_getpc28213:
	s_add_u32 s14, s14, (.LBB2_27756-.Lpost_getpc28213)&4294967295
	s_addc_u32 s15, s15, (.LBB2_27756-.Lpost_getpc28213)>>32
	s_setpc_b64 s[14:15]
.LBB2_13418:
	s_or_b64 exec, exec, s[6:7]
	s_and_saveexec_b64 s[6:7], s[4:5]
	s_cbranch_execz .LBB2_13420
.LBB2_13419:
	v_bfe_u32 v2, v9, 8, 3
	v_ffbh_u32_e32 v6, v2
	v_min_u32_e32 v6, 32, v6
	v_lshrrev_b16_e32 v4, 3, v3
	v_subrev_u32_e32 v7, 28, v6
	v_and_b32_e32 v4, 15, v4
	v_lshlrev_b32_e32 v3, v7, v3
	v_sub_u32_e32 v6, 29, v6
	v_and_b32_e32 v3, 7, v3
	v_cmp_eq_u16_e32 vcc, 0, v4
	v_cndmask_b32_e32 v2, v2, v3, vcc
	v_cndmask_b32_e32 v3, v4, v6, vcc
	v_lshlrev_b32_e32 v4, 16, v9
	v_mov_b32_e32 v6, 0x3b800000
	v_lshlrev_b32_e32 v2, 20, v2
	v_and_b32_e32 v4, 0x80000000, v4
	v_lshl_add_u32 v3, v3, 23, v6
	v_or3_b32 v2, v4, v3, v2
.LBB2_13420:
	s_or_b64 exec, exec, s[6:7]
	v_lshrrev_b32_e32 v3, 8, v5
	s_movk_i32 s4, 0x7f
	v_cmp_gt_i16_sdwa s[6:7], v3, s4 src0_sel:BYTE_0 src1_sel:DWORD
	s_mov_b64 s[4:5], 0
                                        ; implicit-def: $sgpr10
	s_and_saveexec_b64 s[8:9], s[6:7]
	s_xor_b64 s[6:7], exec, s[8:9]
	s_cbranch_execz .LBB2_13421
; %bb.49261:
	s_getpc_b64 s[14:15]
.Lpost_getpc28214:
	s_add_u32 s14, s14, (.LBB2_27757-.Lpost_getpc28214)&4294967295
	s_addc_u32 s15, s15, (.LBB2_27757-.Lpost_getpc28214)>>32
	s_setpc_b64 s[14:15]
.LBB2_13421:
	s_or_saveexec_b64 s[6:7], s[6:7]
	v_mov_b32_e32 v4, s10
	s_xor_b64 exec, exec, s[6:7]
	s_cbranch_execz .LBB2_13422
; %bb.49263:
	s_getpc_b64 s[14:15]
.Lpost_getpc28215:
	s_add_u32 s14, s14, (.LBB2_27760-.Lpost_getpc28215)&4294967295
	s_addc_u32 s15, s15, (.LBB2_27760-.Lpost_getpc28215)>>32
	s_setpc_b64 s[14:15]
.LBB2_13422:
	s_or_b64 exec, exec, s[6:7]
	s_and_saveexec_b64 s[6:7], s[4:5]
	s_cbranch_execz .LBB2_13424
.LBB2_13423:
	v_bfe_u32 v4, v5, 8, 3
	v_ffbh_u32_e32 v7, v4
	v_min_u32_e32 v7, 32, v7
	v_lshrrev_b16_e32 v6, 3, v3
	v_subrev_u32_e32 v8, 28, v7
	v_and_b32_e32 v6, 15, v6
	v_lshlrev_b32_e32 v3, v8, v3
	v_sub_u32_e32 v7, 29, v7
	v_and_b32_e32 v3, 7, v3
	v_cmp_eq_u16_e32 vcc, 0, v6
	v_cndmask_b32_e32 v3, v4, v3, vcc
	v_cndmask_b32_e32 v4, v6, v7, vcc
	v_lshlrev_b32_e32 v6, 16, v5
	v_mov_b32_e32 v7, 0x3b800000
	v_lshlrev_b32_e32 v3, 20, v3
	v_and_b32_e32 v6, 0x80000000, v6
	v_lshl_add_u32 v4, v4, 23, v7
	v_or3_b32 v4, v6, v4, v3
.LBB2_13424:
	s_or_b64 exec, exec, s[6:7]
	s_nop 0
	v_mfma_f32_16x16x4f32 a[0:3], v2, v4, a[0:3]
	s_movk_i32 s4, 0xff
	v_and_b32_sdwa v3, v9, s4 dst_sel:DWORD dst_unused:UNUSED_PAD src0_sel:WORD_1 src1_sel:DWORD
	s_movk_i32 s4, 0x7f
	v_cmp_lt_i16_e32 vcc, s4, v3
	s_mov_b64 s[4:5], 0
                                        ; implicit-def: $sgpr10
	s_and_saveexec_b64 s[6:7], vcc
	s_xor_b64 s[6:7], exec, s[6:7]
	s_cbranch_execz .LBB2_13425
; %bb.49265:
	s_getpc_b64 s[14:15]
.Lpost_getpc28216:
	s_add_u32 s14, s14, (.LBB2_27761-.Lpost_getpc28216)&4294967295
	s_addc_u32 s15, s15, (.LBB2_27761-.Lpost_getpc28216)>>32
	s_setpc_b64 s[14:15]
.LBB2_13425:
	s_or_saveexec_b64 s[6:7], s[6:7]
	v_mov_b32_e32 v2, s10
	s_xor_b64 exec, exec, s[6:7]
	s_cbranch_execz .LBB2_13426
; %bb.49267:
	s_getpc_b64 s[14:15]
.Lpost_getpc28217:
	s_add_u32 s14, s14, (.LBB2_27764-.Lpost_getpc28217)&4294967295
	s_addc_u32 s15, s15, (.LBB2_27764-.Lpost_getpc28217)>>32
	s_setpc_b64 s[14:15]
.LBB2_13426:
	s_or_b64 exec, exec, s[6:7]
	s_and_saveexec_b64 s[6:7], s[4:5]
	s_cbranch_execz .LBB2_13428
.LBB2_13427:
	v_bfe_u32 v2, v9, 16, 3
	v_ffbh_u32_e32 v6, v2
	v_min_u32_e32 v6, 32, v6
	v_lshrrev_b32_e32 v3, 19, v9
	v_subrev_u32_e32 v7, 28, v6
	v_and_b32_e32 v3, 15, v3
	v_lshlrev_b32_sdwa v7, v7, v9 dst_sel:DWORD dst_unused:UNUSED_PAD src0_sel:DWORD src1_sel:WORD_1
	v_bfe_u32 v4, v9, 19, 4
	v_sub_u32_e32 v6, 29, v6
	v_and_b32_e32 v7, 7, v7
	v_cmp_eq_u16_e32 vcc, 0, v3
	v_cndmask_b32_e32 v2, v2, v7, vcc
	v_cndmask_b32_e32 v3, v4, v6, vcc
	v_lshlrev_b32_e32 v4, 8, v9
	v_mov_b32_e32 v6, 0x3b800000
	v_lshlrev_b32_e32 v2, 20, v2
	v_and_b32_e32 v4, 0x80000000, v4
	v_lshl_add_u32 v3, v3, 23, v6
	v_or3_b32 v2, v4, v3, v2
.LBB2_13428:
	s_or_b64 exec, exec, s[6:7]
	s_movk_i32 s4, 0xff
	v_and_b32_sdwa v3, v5, s4 dst_sel:DWORD dst_unused:UNUSED_PAD src0_sel:WORD_1 src1_sel:DWORD
	s_movk_i32 s4, 0x7f
	v_cmp_lt_i16_e32 vcc, s4, v3
	s_mov_b64 s[4:5], 0
                                        ; implicit-def: $sgpr10
	s_and_saveexec_b64 s[6:7], vcc
	s_xor_b64 s[6:7], exec, s[6:7]
	s_cbranch_execz .LBB2_13429
; %bb.49269:
	s_getpc_b64 s[14:15]
.Lpost_getpc28218:
	s_add_u32 s14, s14, (.LBB2_27765-.Lpost_getpc28218)&4294967295
	s_addc_u32 s15, s15, (.LBB2_27765-.Lpost_getpc28218)>>32
	s_setpc_b64 s[14:15]
.LBB2_13429:
	s_or_saveexec_b64 s[6:7], s[6:7]
	v_mov_b32_e32 v4, s10
	s_xor_b64 exec, exec, s[6:7]
	s_cbranch_execz .LBB2_13430
; %bb.49271:
	s_getpc_b64 s[14:15]
.Lpost_getpc28219:
	s_add_u32 s14, s14, (.LBB2_27768-.Lpost_getpc28219)&4294967295
	s_addc_u32 s15, s15, (.LBB2_27768-.Lpost_getpc28219)>>32
	s_setpc_b64 s[14:15]
.LBB2_13430:
	s_or_b64 exec, exec, s[6:7]
	s_and_saveexec_b64 s[6:7], s[4:5]
	s_cbranch_execz .LBB2_13432
.LBB2_13431:
	v_bfe_u32 v3, v5, 16, 3
	v_ffbh_u32_e32 v7, v3
	v_min_u32_e32 v7, 32, v7
	v_lshrrev_b32_e32 v4, 19, v5
	v_subrev_u32_e32 v8, 28, v7
	v_and_b32_e32 v4, 15, v4
	v_lshlrev_b32_sdwa v8, v8, v5 dst_sel:DWORD dst_unused:UNUSED_PAD src0_sel:DWORD src1_sel:WORD_1
	v_bfe_u32 v6, v5, 19, 4
	v_sub_u32_e32 v7, 29, v7
	v_and_b32_e32 v8, 7, v8
	v_cmp_eq_u16_e32 vcc, 0, v4
	v_cndmask_b32_e32 v3, v3, v8, vcc
	v_cndmask_b32_e32 v4, v6, v7, vcc
	v_lshlrev_b32_e32 v6, 8, v5
	v_mov_b32_e32 v7, 0x3b800000
	v_lshlrev_b32_e32 v3, 20, v3
	v_and_b32_e32 v6, 0x80000000, v6
	v_lshl_add_u32 v4, v4, 23, v7
	v_or3_b32 v4, v6, v4, v3
.LBB2_13432:
	s_or_b64 exec, exec, s[6:7]
	s_nop 0
	v_mfma_f32_16x16x4f32 a[0:3], v2, v4, a[0:3]
	s_movk_i32 s4, 0x7f
	v_cmp_gt_i16_sdwa s[6:7], v9, s4 src0_sel:BYTE_3 src1_sel:DWORD
	s_mov_b64 s[4:5], 0
                                        ; implicit-def: $sgpr10
	s_and_saveexec_b64 s[8:9], s[6:7]
	s_xor_b64 s[6:7], exec, s[8:9]
	s_cbranch_execz .LBB2_13433
; %bb.49273:
	s_getpc_b64 s[14:15]
.Lpost_getpc28220:
	s_add_u32 s14, s14, (.LBB2_27769-.Lpost_getpc28220)&4294967295
	s_addc_u32 s15, s15, (.LBB2_27769-.Lpost_getpc28220)>>32
	s_setpc_b64 s[14:15]
.LBB2_13433:
	s_or_saveexec_b64 s[6:7], s[6:7]
	v_mov_b32_e32 v2, s10
	s_xor_b64 exec, exec, s[6:7]
	s_cbranch_execz .LBB2_13434
; %bb.49275:
	s_getpc_b64 s[14:15]
.Lpost_getpc28221:
	s_add_u32 s14, s14, (.LBB2_27772-.Lpost_getpc28221)&4294967295
	s_addc_u32 s15, s15, (.LBB2_27772-.Lpost_getpc28221)>>32
	s_setpc_b64 s[14:15]
.LBB2_13434:
	s_or_b64 exec, exec, s[6:7]
	s_and_saveexec_b64 s[6:7], s[4:5]
	s_cbranch_execz .LBB2_13436
.LBB2_13435:
	v_bfe_u32 v2, v9, 24, 3
	v_ffbh_u32_e32 v7, v2
	v_min_u32_e32 v7, 32, v7
	v_lshrrev_b32_e32 v4, 27, v9
	v_subrev_u32_e32 v8, 28, v7
	v_and_b32_e32 v4, 15, v4
	v_lshlrev_b32_sdwa v8, v8, v9 dst_sel:DWORD dst_unused:UNUSED_PAD src0_sel:DWORD src1_sel:BYTE_3
	v_bfe_u32 v6, v9, 27, 4
	v_sub_u32_e32 v7, 29, v7
	v_and_b32_e32 v8, 7, v8
	v_cmp_eq_u16_e32 vcc, 0, v4
	v_cndmask_b32_e32 v2, v2, v8, vcc
	v_cndmask_b32_e32 v4, v6, v7, vcc
	v_mov_b32_e32 v6, 0x3b800000
	v_and_b32_e32 v3, 0x80000000, v9
	v_lshlrev_b32_e32 v2, 20, v2
	v_lshl_add_u32 v4, v4, 23, v6
	v_or3_b32 v2, v3, v4, v2
.LBB2_13436:
	s_or_b64 exec, exec, s[6:7]
	s_movk_i32 s4, 0x7f
	v_cmp_gt_i16_sdwa s[6:7], v5, s4 src0_sel:BYTE_3 src1_sel:DWORD
	s_mov_b64 s[4:5], 0
                                        ; implicit-def: $sgpr10
	s_and_saveexec_b64 s[8:9], s[6:7]
	s_xor_b64 s[6:7], exec, s[8:9]
	s_cbranch_execz .LBB2_13437
; %bb.49277:
	s_getpc_b64 s[14:15]
.Lpost_getpc28222:
	s_add_u32 s14, s14, (.LBB2_27773-.Lpost_getpc28222)&4294967295
	s_addc_u32 s15, s15, (.LBB2_27773-.Lpost_getpc28222)>>32
	s_setpc_b64 s[14:15]
.LBB2_13437:
	s_or_saveexec_b64 s[6:7], s[6:7]
	v_mov_b32_e32 v3, s10
	s_xor_b64 exec, exec, s[6:7]
	s_cbranch_execz .LBB2_13438
; %bb.49279:
	s_getpc_b64 s[14:15]
.Lpost_getpc28223:
	s_add_u32 s14, s14, (.LBB2_27776-.Lpost_getpc28223)&4294967295
	s_addc_u32 s15, s15, (.LBB2_27776-.Lpost_getpc28223)>>32
	s_setpc_b64 s[14:15]
.LBB2_13438:
	s_or_b64 exec, exec, s[6:7]
	s_and_saveexec_b64 s[6:7], s[4:5]
	s_cbranch_execz .LBB2_13440
.LBB2_13439:
	v_bfe_u32 v3, v5, 24, 3
	v_ffbh_u32_e32 v8, v3
	v_min_u32_e32 v8, 32, v8
	v_lshrrev_b32_e32 v6, 27, v5
	v_subrev_u32_e32 v9, 28, v8
	v_and_b32_e32 v4, 0x80000000, v5
	v_and_b32_e32 v6, 15, v6
	v_bfe_u32 v7, v5, 27, 4
	v_lshlrev_b32_sdwa v5, v9, v5 dst_sel:DWORD dst_unused:UNUSED_PAD src0_sel:DWORD src1_sel:BYTE_3
	v_sub_u32_e32 v8, 29, v8
	v_and_b32_e32 v5, 7, v5
	v_cmp_eq_u16_e32 vcc, 0, v6
	v_cndmask_b32_e32 v3, v3, v5, vcc
	v_cndmask_b32_e32 v5, v7, v8, vcc
	v_mov_b32_e32 v6, 0x3b800000
	v_lshlrev_b32_e32 v3, 20, v3
	v_lshl_add_u32 v5, v5, 23, v6
	v_or3_b32 v3, v4, v5, v3
.LBB2_13440:
	s_or_b64 exec, exec, s[6:7]
	s_nop 0
	v_mfma_f32_16x16x4f32 a[0:3], v2, v3, a[0:3]
	s_movk_i32 s4, 0x7f
                                        ; implicit-def: $sgpr10
	s_nop 7
	s_nop 1
	flat_store_dwordx4 v[10:11], a[0:3] offset:768
	flat_load_dwordx4 v[12:15], v[0:1]
	s_nop 0
	flat_load_dwordx2 v[10:11], v[0:1] offset:16
	s_waitcnt vmcnt(0) lgkmcnt(0)
	flat_load_dwordx4 v[6:9], v[12:13] offset:208
	flat_load_dwordx4 v[2:5], v[14:15] offset:144
	s_waitcnt vmcnt(0) lgkmcnt(0)
	v_cmp_gt_i16_sdwa s[6:7], v6, s4 src0_sel:BYTE_0 src1_sel:DWORD
	s_mov_b64 s[4:5], 0
	s_and_saveexec_b64 s[8:9], s[6:7]
	s_xor_b64 s[6:7], exec, s[8:9]
	s_cbranch_execz .LBB2_13441
; %bb.49281:
	s_getpc_b64 s[14:15]
.Lpost_getpc28224:
	s_add_u32 s14, s14, (.LBB2_27777-.Lpost_getpc28224)&4294967295
	s_addc_u32 s15, s15, (.LBB2_27777-.Lpost_getpc28224)>>32
	s_setpc_b64 s[14:15]
.LBB2_13441:
	s_or_saveexec_b64 s[6:7], s[6:7]
	v_mov_b32_e32 v12, s10
	s_xor_b64 exec, exec, s[6:7]
	s_cbranch_execz .LBB2_13442
; %bb.49283:
	s_getpc_b64 s[14:15]
.Lpost_getpc28225:
	s_add_u32 s14, s14, (.LBB2_27780-.Lpost_getpc28225)&4294967295
	s_addc_u32 s15, s15, (.LBB2_27780-.Lpost_getpc28225)>>32
	s_setpc_b64 s[14:15]
.LBB2_13442:
	s_or_b64 exec, exec, s[6:7]
	s_and_saveexec_b64 s[6:7], s[4:5]
	s_cbranch_execz .LBB2_13444
.LBB2_13443:
	v_and_b32_e32 v12, 7, v6
	v_ffbh_u32_e32 v14, v12
	v_min_u32_e32 v14, 32, v14
	v_lshrrev_b16_e32 v13, 3, v6
	v_subrev_u32_e32 v15, 28, v14
	v_and_b32_e32 v13, 15, v13
	v_lshlrev_b32_e32 v15, v15, v6
	v_sub_u32_e32 v14, 29, v14
	v_and_b32_e32 v15, 7, v15
	v_cmp_eq_u16_e32 vcc, 0, v13
	v_cndmask_b32_e32 v12, v12, v15, vcc
	v_cndmask_b32_e32 v13, v13, v14, vcc
	v_lshlrev_b32_e32 v14, 24, v6
	v_mov_b32_e32 v15, 0x3b800000
	v_lshlrev_b32_e32 v12, 20, v12
	v_and_b32_e32 v14, 0x80000000, v14
	v_lshl_add_u32 v13, v13, 23, v15
	v_or3_b32 v12, v14, v13, v12
.LBB2_13444:
	s_or_b64 exec, exec, s[6:7]
	s_movk_i32 s4, 0x7f
	v_cmp_gt_i16_sdwa s[6:7], v2, s4 src0_sel:BYTE_0 src1_sel:DWORD
	s_mov_b64 s[4:5], 0
                                        ; implicit-def: $sgpr10
	s_and_saveexec_b64 s[8:9], s[6:7]
	s_xor_b64 s[6:7], exec, s[8:9]
	s_cbranch_execz .LBB2_13445
; %bb.49285:
	s_getpc_b64 s[14:15]
.Lpost_getpc28226:
	s_add_u32 s14, s14, (.LBB2_27781-.Lpost_getpc28226)&4294967295
	s_addc_u32 s15, s15, (.LBB2_27781-.Lpost_getpc28226)>>32
	s_setpc_b64 s[14:15]
.LBB2_13445:
	s_or_saveexec_b64 s[6:7], s[6:7]
	v_mov_b32_e32 v13, s10
	s_xor_b64 exec, exec, s[6:7]
	s_cbranch_execz .LBB2_13446
; %bb.49287:
	s_getpc_b64 s[14:15]
.Lpost_getpc28227:
	s_add_u32 s14, s14, (.LBB2_27784-.Lpost_getpc28227)&4294967295
	s_addc_u32 s15, s15, (.LBB2_27784-.Lpost_getpc28227)>>32
	s_setpc_b64 s[14:15]
.LBB2_13446:
	s_or_b64 exec, exec, s[6:7]
	s_and_saveexec_b64 s[6:7], s[4:5]
	s_cbranch_execz .LBB2_13448
.LBB2_13447:
	v_and_b32_e32 v13, 7, v2
	v_ffbh_u32_e32 v15, v13
	v_min_u32_e32 v15, 32, v15
	v_lshrrev_b16_e32 v14, 3, v2
	v_subrev_u32_e32 v16, 28, v15
	v_and_b32_e32 v14, 15, v14
	v_lshlrev_b32_e32 v16, v16, v2
	v_sub_u32_e32 v15, 29, v15
	v_and_b32_e32 v16, 7, v16
	v_cmp_eq_u16_e32 vcc, 0, v14
	v_cndmask_b32_e32 v13, v13, v16, vcc
	v_cndmask_b32_e32 v14, v14, v15, vcc
	v_lshlrev_b32_e32 v15, 24, v2
	v_mov_b32_e32 v16, 0x3b800000
	v_lshlrev_b32_e32 v13, 20, v13
	v_and_b32_e32 v15, 0x80000000, v15
	v_lshl_add_u32 v14, v14, 23, v16
	v_or3_b32 v13, v15, v14, v13
.LBB2_13448:
	s_or_b64 exec, exec, s[6:7]
	flat_load_dwordx4 a[0:3], v[10:11] offset:784
	s_movk_i32 s4, 0x7f
                                        ; implicit-def: $sgpr10
	s_waitcnt vmcnt(0) lgkmcnt(0)
	v_mfma_f32_16x16x4f32 a[0:3], v12, v13, a[0:3]
	v_lshrrev_b32_e32 v13, 8, v6
	v_cmp_gt_i16_sdwa s[6:7], v13, s4 src0_sel:BYTE_0 src1_sel:DWORD
	s_mov_b64 s[4:5], 0
	s_and_saveexec_b64 s[8:9], s[6:7]
	s_xor_b64 s[6:7], exec, s[8:9]
	s_cbranch_execz .LBB2_13449
; %bb.49289:
	s_getpc_b64 s[14:15]
.Lpost_getpc28228:
	s_add_u32 s14, s14, (.LBB2_27785-.Lpost_getpc28228)&4294967295
	s_addc_u32 s15, s15, (.LBB2_27785-.Lpost_getpc28228)>>32
	s_setpc_b64 s[14:15]
.LBB2_13449:
	s_or_saveexec_b64 s[6:7], s[6:7]
	v_mov_b32_e32 v12, s10
	s_xor_b64 exec, exec, s[6:7]
	s_cbranch_execz .LBB2_13450
; %bb.49291:
	s_getpc_b64 s[14:15]
.Lpost_getpc28229:
	s_add_u32 s14, s14, (.LBB2_27788-.Lpost_getpc28229)&4294967295
	s_addc_u32 s15, s15, (.LBB2_27788-.Lpost_getpc28229)>>32
	s_setpc_b64 s[14:15]
.LBB2_13450:
	s_or_b64 exec, exec, s[6:7]
	s_and_saveexec_b64 s[6:7], s[4:5]
	s_cbranch_execz .LBB2_13452
.LBB2_13451:
	v_bfe_u32 v12, v6, 8, 3
	v_ffbh_u32_e32 v15, v12
	v_min_u32_e32 v15, 32, v15
	v_lshrrev_b16_e32 v14, 3, v13
	v_subrev_u32_e32 v16, 28, v15
	v_and_b32_e32 v14, 15, v14
	v_lshlrev_b32_e32 v13, v16, v13
	v_sub_u32_e32 v15, 29, v15
	v_and_b32_e32 v13, 7, v13
	v_cmp_eq_u16_e32 vcc, 0, v14
	v_cndmask_b32_e32 v12, v12, v13, vcc
	v_cndmask_b32_e32 v13, v14, v15, vcc
	v_lshlrev_b32_e32 v14, 16, v6
	v_mov_b32_e32 v15, 0x3b800000
	v_lshlrev_b32_e32 v12, 20, v12
	v_and_b32_e32 v14, 0x80000000, v14
	v_lshl_add_u32 v13, v13, 23, v15
	v_or3_b32 v12, v14, v13, v12
.LBB2_13452:
	s_or_b64 exec, exec, s[6:7]
	v_lshrrev_b32_e32 v13, 8, v2
	s_movk_i32 s4, 0x7f
	v_cmp_gt_i16_sdwa s[6:7], v13, s4 src0_sel:BYTE_0 src1_sel:DWORD
	s_mov_b64 s[4:5], 0
                                        ; implicit-def: $sgpr10
	s_and_saveexec_b64 s[8:9], s[6:7]
	s_xor_b64 s[6:7], exec, s[8:9]
	s_cbranch_execz .LBB2_13453
; %bb.49293:
	s_getpc_b64 s[14:15]
.Lpost_getpc28230:
	s_add_u32 s14, s14, (.LBB2_27789-.Lpost_getpc28230)&4294967295
	s_addc_u32 s15, s15, (.LBB2_27789-.Lpost_getpc28230)>>32
	s_setpc_b64 s[14:15]
.LBB2_13453:
	s_or_saveexec_b64 s[6:7], s[6:7]
	v_mov_b32_e32 v14, s10
	s_xor_b64 exec, exec, s[6:7]
	s_cbranch_execz .LBB2_13454
; %bb.49295:
	s_getpc_b64 s[14:15]
.Lpost_getpc28231:
	s_add_u32 s14, s14, (.LBB2_27792-.Lpost_getpc28231)&4294967295
	s_addc_u32 s15, s15, (.LBB2_27792-.Lpost_getpc28231)>>32
	s_setpc_b64 s[14:15]
.LBB2_13454:
	s_or_b64 exec, exec, s[6:7]
	s_and_saveexec_b64 s[6:7], s[4:5]
	s_cbranch_execz .LBB2_13456
.LBB2_13455:
	v_bfe_u32 v14, v2, 8, 3
	v_ffbh_u32_e32 v16, v14
	v_min_u32_e32 v16, 32, v16
	v_lshrrev_b16_e32 v15, 3, v13
	v_subrev_u32_e32 v17, 28, v16
	v_and_b32_e32 v15, 15, v15
	v_lshlrev_b32_e32 v13, v17, v13
	v_sub_u32_e32 v16, 29, v16
	v_and_b32_e32 v13, 7, v13
	v_cmp_eq_u16_e32 vcc, 0, v15
	v_cndmask_b32_e32 v13, v14, v13, vcc
	v_cndmask_b32_e32 v14, v15, v16, vcc
	v_lshlrev_b32_e32 v15, 16, v2
	v_mov_b32_e32 v16, 0x3b800000
	v_lshlrev_b32_e32 v13, 20, v13
	v_and_b32_e32 v15, 0x80000000, v15
	v_lshl_add_u32 v14, v14, 23, v16
	v_or3_b32 v14, v15, v14, v13
.LBB2_13456:
	s_or_b64 exec, exec, s[6:7]
	s_nop 0
	v_mfma_f32_16x16x4f32 a[0:3], v12, v14, a[0:3]
	s_movk_i32 s4, 0xff
	v_and_b32_sdwa v13, v6, s4 dst_sel:DWORD dst_unused:UNUSED_PAD src0_sel:WORD_1 src1_sel:DWORD
	s_movk_i32 s4, 0x7f
	v_cmp_lt_i16_e32 vcc, s4, v13
	s_mov_b64 s[4:5], 0
                                        ; implicit-def: $sgpr10
	s_and_saveexec_b64 s[6:7], vcc
	s_xor_b64 s[6:7], exec, s[6:7]
	s_cbranch_execz .LBB2_13457
; %bb.49297:
	s_getpc_b64 s[14:15]
.Lpost_getpc28232:
	s_add_u32 s14, s14, (.LBB2_27793-.Lpost_getpc28232)&4294967295
	s_addc_u32 s15, s15, (.LBB2_27793-.Lpost_getpc28232)>>32
	s_setpc_b64 s[14:15]
.LBB2_13457:
	s_or_saveexec_b64 s[6:7], s[6:7]
	v_mov_b32_e32 v12, s10
	s_xor_b64 exec, exec, s[6:7]
	s_cbranch_execz .LBB2_13458
; %bb.49299:
	s_getpc_b64 s[14:15]
.Lpost_getpc28233:
	s_add_u32 s14, s14, (.LBB2_27796-.Lpost_getpc28233)&4294967295
	s_addc_u32 s15, s15, (.LBB2_27796-.Lpost_getpc28233)>>32
	s_setpc_b64 s[14:15]
.LBB2_13458:
	s_or_b64 exec, exec, s[6:7]
	s_and_saveexec_b64 s[6:7], s[4:5]
	s_cbranch_execz .LBB2_13460
.LBB2_13459:
	v_bfe_u32 v12, v6, 16, 3
	v_ffbh_u32_e32 v15, v12
	v_min_u32_e32 v15, 32, v15
	v_lshrrev_b32_e32 v13, 19, v6
	v_subrev_u32_e32 v16, 28, v15
	v_and_b32_e32 v13, 15, v13
	v_lshlrev_b32_sdwa v16, v16, v6 dst_sel:DWORD dst_unused:UNUSED_PAD src0_sel:DWORD src1_sel:WORD_1
	v_bfe_u32 v14, v6, 19, 4
	v_sub_u32_e32 v15, 29, v15
	v_and_b32_e32 v16, 7, v16
	v_cmp_eq_u16_e32 vcc, 0, v13
	v_cndmask_b32_e32 v12, v12, v16, vcc
	v_cndmask_b32_e32 v13, v14, v15, vcc
	v_lshlrev_b32_e32 v14, 8, v6
	v_mov_b32_e32 v15, 0x3b800000
	v_lshlrev_b32_e32 v12, 20, v12
	v_and_b32_e32 v14, 0x80000000, v14
	v_lshl_add_u32 v13, v13, 23, v15
	v_or3_b32 v12, v14, v13, v12
.LBB2_13460:
	s_or_b64 exec, exec, s[6:7]
	s_movk_i32 s4, 0xff
	v_and_b32_sdwa v13, v2, s4 dst_sel:DWORD dst_unused:UNUSED_PAD src0_sel:WORD_1 src1_sel:DWORD
	s_movk_i32 s4, 0x7f
	v_cmp_lt_i16_e32 vcc, s4, v13
	s_mov_b64 s[4:5], 0
                                        ; implicit-def: $sgpr10
	s_and_saveexec_b64 s[6:7], vcc
	s_xor_b64 s[6:7], exec, s[6:7]
	s_cbranch_execz .LBB2_13461
; %bb.49301:
	s_getpc_b64 s[14:15]
.Lpost_getpc28234:
	s_add_u32 s14, s14, (.LBB2_27797-.Lpost_getpc28234)&4294967295
	s_addc_u32 s15, s15, (.LBB2_27797-.Lpost_getpc28234)>>32
	s_setpc_b64 s[14:15]
.LBB2_13461:
	s_or_saveexec_b64 s[6:7], s[6:7]
	v_mov_b32_e32 v14, s10
	s_xor_b64 exec, exec, s[6:7]
	s_cbranch_execz .LBB2_13462
; %bb.49303:
	s_getpc_b64 s[14:15]
.Lpost_getpc28235:
	s_add_u32 s14, s14, (.LBB2_27800-.Lpost_getpc28235)&4294967295
	s_addc_u32 s15, s15, (.LBB2_27800-.Lpost_getpc28235)>>32
	s_setpc_b64 s[14:15]
.LBB2_13462:
	s_or_b64 exec, exec, s[6:7]
	s_and_saveexec_b64 s[6:7], s[4:5]
	s_cbranch_execz .LBB2_13464
.LBB2_13463:
	v_bfe_u32 v13, v2, 16, 3
	v_ffbh_u32_e32 v16, v13
	v_min_u32_e32 v16, 32, v16
	v_lshrrev_b32_e32 v14, 19, v2
	v_subrev_u32_e32 v17, 28, v16
	v_and_b32_e32 v14, 15, v14
	v_lshlrev_b32_sdwa v17, v17, v2 dst_sel:DWORD dst_unused:UNUSED_PAD src0_sel:DWORD src1_sel:WORD_1
	v_bfe_u32 v15, v2, 19, 4
	v_sub_u32_e32 v16, 29, v16
	v_and_b32_e32 v17, 7, v17
	v_cmp_eq_u16_e32 vcc, 0, v14
	v_cndmask_b32_e32 v13, v13, v17, vcc
	v_cndmask_b32_e32 v14, v15, v16, vcc
	v_lshlrev_b32_e32 v15, 8, v2
	v_mov_b32_e32 v16, 0x3b800000
	v_lshlrev_b32_e32 v13, 20, v13
	v_and_b32_e32 v15, 0x80000000, v15
	v_lshl_add_u32 v14, v14, 23, v16
	v_or3_b32 v14, v15, v14, v13
.LBB2_13464:
	s_or_b64 exec, exec, s[6:7]
	s_nop 0
	v_mfma_f32_16x16x4f32 a[0:3], v12, v14, a[0:3]
	s_movk_i32 s4, 0x7f
	v_cmp_gt_i16_sdwa s[6:7], v6, s4 src0_sel:BYTE_3 src1_sel:DWORD
	s_mov_b64 s[4:5], 0
                                        ; implicit-def: $sgpr10
	s_and_saveexec_b64 s[8:9], s[6:7]
	s_xor_b64 s[6:7], exec, s[8:9]
	s_cbranch_execz .LBB2_13465
; %bb.49305:
	s_getpc_b64 s[14:15]
.Lpost_getpc28236:
	s_add_u32 s14, s14, (.LBB2_27801-.Lpost_getpc28236)&4294967295
	s_addc_u32 s15, s15, (.LBB2_27801-.Lpost_getpc28236)>>32
	s_setpc_b64 s[14:15]
.LBB2_13465:
	s_or_saveexec_b64 s[6:7], s[6:7]
	v_mov_b32_e32 v12, s10
	s_xor_b64 exec, exec, s[6:7]
	s_cbranch_execz .LBB2_13466
; %bb.49307:
	s_getpc_b64 s[14:15]
.Lpost_getpc28237:
	s_add_u32 s14, s14, (.LBB2_27804-.Lpost_getpc28237)&4294967295
	s_addc_u32 s15, s15, (.LBB2_27804-.Lpost_getpc28237)>>32
	s_setpc_b64 s[14:15]
.LBB2_13466:
	s_or_b64 exec, exec, s[6:7]
	s_and_saveexec_b64 s[6:7], s[4:5]
	s_cbranch_execz .LBB2_13468
.LBB2_13467:
	v_bfe_u32 v12, v6, 24, 3
	v_ffbh_u32_e32 v16, v12
	v_min_u32_e32 v16, 32, v16
	v_lshrrev_b32_e32 v14, 27, v6
	v_subrev_u32_e32 v17, 28, v16
	v_and_b32_e32 v13, 0x80000000, v6
	v_and_b32_e32 v14, 15, v14
	v_bfe_u32 v15, v6, 27, 4
	v_lshlrev_b32_sdwa v6, v17, v6 dst_sel:DWORD dst_unused:UNUSED_PAD src0_sel:DWORD src1_sel:BYTE_3
	v_sub_u32_e32 v16, 29, v16
	v_and_b32_e32 v6, 7, v6
	v_cmp_eq_u16_e32 vcc, 0, v14
	v_cndmask_b32_e32 v6, v12, v6, vcc
	v_cndmask_b32_e32 v12, v15, v16, vcc
	v_mov_b32_e32 v14, 0x3b800000
	v_lshlrev_b32_e32 v6, 20, v6
	v_lshl_add_u32 v12, v12, 23, v14
	v_or3_b32 v12, v13, v12, v6
.LBB2_13468:
	s_or_b64 exec, exec, s[6:7]
	s_movk_i32 s4, 0x7f
	v_cmp_gt_i16_sdwa s[6:7], v2, s4 src0_sel:BYTE_3 src1_sel:DWORD
	s_mov_b64 s[4:5], 0
                                        ; implicit-def: $sgpr10
	s_and_saveexec_b64 s[8:9], s[6:7]
	s_xor_b64 s[6:7], exec, s[8:9]
	s_cbranch_execz .LBB2_13469
; %bb.49309:
	s_getpc_b64 s[14:15]
.Lpost_getpc28238:
	s_add_u32 s14, s14, (.LBB2_27805-.Lpost_getpc28238)&4294967295
	s_addc_u32 s15, s15, (.LBB2_27805-.Lpost_getpc28238)>>32
	s_setpc_b64 s[14:15]
.LBB2_13469:
	s_or_saveexec_b64 s[6:7], s[6:7]
	v_mov_b32_e32 v6, s10
	s_xor_b64 exec, exec, s[6:7]
	s_cbranch_execz .LBB2_13470
; %bb.49311:
	s_getpc_b64 s[14:15]
.Lpost_getpc28239:
	s_add_u32 s14, s14, (.LBB2_27808-.Lpost_getpc28239)&4294967295
	s_addc_u32 s15, s15, (.LBB2_27808-.Lpost_getpc28239)>>32
	s_setpc_b64 s[14:15]
.LBB2_13470:
	s_or_b64 exec, exec, s[6:7]
	s_and_saveexec_b64 s[6:7], s[4:5]
	s_cbranch_execz .LBB2_13472
.LBB2_13471:
	v_bfe_u32 v6, v2, 24, 3
	v_ffbh_u32_e32 v16, v6
	v_min_u32_e32 v16, 32, v16
	v_lshrrev_b32_e32 v14, 27, v2
	v_subrev_u32_e32 v17, 28, v16
	v_and_b32_e32 v13, 0x80000000, v2
	v_and_b32_e32 v14, 15, v14
	v_bfe_u32 v15, v2, 27, 4
	v_lshlrev_b32_sdwa v2, v17, v2 dst_sel:DWORD dst_unused:UNUSED_PAD src0_sel:DWORD src1_sel:BYTE_3
	v_sub_u32_e32 v16, 29, v16
	v_and_b32_e32 v2, 7, v2
	v_cmp_eq_u16_e32 vcc, 0, v14
	v_cndmask_b32_e32 v2, v6, v2, vcc
	v_cndmask_b32_e32 v6, v15, v16, vcc
	v_mov_b32_e32 v14, 0x3b800000
	v_lshlrev_b32_e32 v2, 20, v2
	v_lshl_add_u32 v6, v6, 23, v14
	v_or3_b32 v6, v13, v6, v2
.LBB2_13472:
	s_or_b64 exec, exec, s[6:7]
	s_nop 0
	v_mfma_f32_16x16x4f32 a[0:3], v12, v6, a[0:3]
	s_movk_i32 s4, 0x7f
	v_cmp_gt_i16_sdwa s[6:7], v7, s4 src0_sel:BYTE_0 src1_sel:DWORD
	s_mov_b64 s[4:5], 0
                                        ; implicit-def: $sgpr10
	s_and_saveexec_b64 s[8:9], s[6:7]
	s_xor_b64 s[6:7], exec, s[8:9]
	s_cbranch_execz .LBB2_13473
; %bb.49313:
	s_getpc_b64 s[14:15]
.Lpost_getpc28240:
	s_add_u32 s14, s14, (.LBB2_27809-.Lpost_getpc28240)&4294967295
	s_addc_u32 s15, s15, (.LBB2_27809-.Lpost_getpc28240)>>32
	s_setpc_b64 s[14:15]
.LBB2_13473:
	s_or_saveexec_b64 s[6:7], s[6:7]
	v_mov_b32_e32 v2, s10
	s_xor_b64 exec, exec, s[6:7]
	s_cbranch_execz .LBB2_13474
; %bb.49315:
	s_getpc_b64 s[14:15]
.Lpost_getpc28241:
	s_add_u32 s14, s14, (.LBB2_27812-.Lpost_getpc28241)&4294967295
	s_addc_u32 s15, s15, (.LBB2_27812-.Lpost_getpc28241)>>32
	s_setpc_b64 s[14:15]
.LBB2_13474:
	s_or_b64 exec, exec, s[6:7]
	s_and_saveexec_b64 s[6:7], s[4:5]
	s_cbranch_execz .LBB2_13476
.LBB2_13475:
	v_and_b32_e32 v2, 7, v7
	v_ffbh_u32_e32 v12, v2
	v_min_u32_e32 v12, 32, v12
	v_lshrrev_b16_e32 v6, 3, v7
	v_subrev_u32_e32 v13, 28, v12
	v_and_b32_e32 v6, 15, v6
	v_lshlrev_b32_e32 v13, v13, v7
	v_sub_u32_e32 v12, 29, v12
	v_and_b32_e32 v13, 7, v13
	v_cmp_eq_u16_e32 vcc, 0, v6
	v_cndmask_b32_e32 v2, v2, v13, vcc
	v_cndmask_b32_e32 v6, v6, v12, vcc
	v_lshlrev_b32_e32 v12, 24, v7
	v_mov_b32_e32 v13, 0x3b800000
	v_lshlrev_b32_e32 v2, 20, v2
	v_and_b32_e32 v12, 0x80000000, v12
	v_lshl_add_u32 v6, v6, 23, v13
	v_or3_b32 v2, v12, v6, v2
.LBB2_13476:
	s_or_b64 exec, exec, s[6:7]
	s_movk_i32 s4, 0x7f
	v_cmp_gt_i16_sdwa s[6:7], v3, s4 src0_sel:BYTE_0 src1_sel:DWORD
	s_mov_b64 s[4:5], 0
                                        ; implicit-def: $sgpr10
	s_and_saveexec_b64 s[8:9], s[6:7]
	s_xor_b64 s[6:7], exec, s[8:9]
	s_cbranch_execz .LBB2_13477
; %bb.49317:
	s_getpc_b64 s[14:15]
.Lpost_getpc28242:
	s_add_u32 s14, s14, (.LBB2_27813-.Lpost_getpc28242)&4294967295
	s_addc_u32 s15, s15, (.LBB2_27813-.Lpost_getpc28242)>>32
	s_setpc_b64 s[14:15]
.LBB2_13477:
	s_or_saveexec_b64 s[6:7], s[6:7]
	v_mov_b32_e32 v6, s10
	s_xor_b64 exec, exec, s[6:7]
	s_cbranch_execz .LBB2_13478
; %bb.49319:
	s_getpc_b64 s[14:15]
.Lpost_getpc28243:
	s_add_u32 s14, s14, (.LBB2_27816-.Lpost_getpc28243)&4294967295
	s_addc_u32 s15, s15, (.LBB2_27816-.Lpost_getpc28243)>>32
	s_setpc_b64 s[14:15]
.LBB2_13478:
	s_or_b64 exec, exec, s[6:7]
	s_and_saveexec_b64 s[6:7], s[4:5]
	s_cbranch_execz .LBB2_13480
.LBB2_13479:
	v_and_b32_e32 v6, 7, v3
	v_ffbh_u32_e32 v13, v6
	v_min_u32_e32 v13, 32, v13
	v_lshrrev_b16_e32 v12, 3, v3
	v_subrev_u32_e32 v14, 28, v13
	v_and_b32_e32 v12, 15, v12
	v_lshlrev_b32_e32 v14, v14, v3
	v_sub_u32_e32 v13, 29, v13
	v_and_b32_e32 v14, 7, v14
	v_cmp_eq_u16_e32 vcc, 0, v12
	v_cndmask_b32_e32 v6, v6, v14, vcc
	v_cndmask_b32_e32 v12, v12, v13, vcc
	v_lshlrev_b32_e32 v13, 24, v3
	v_mov_b32_e32 v14, 0x3b800000
	v_lshlrev_b32_e32 v6, 20, v6
	v_and_b32_e32 v13, 0x80000000, v13
	v_lshl_add_u32 v12, v12, 23, v14
	v_or3_b32 v6, v13, v12, v6
.LBB2_13480:
	s_or_b64 exec, exec, s[6:7]
	s_nop 0
	v_mfma_f32_16x16x4f32 a[0:3], v2, v6, a[0:3]
	v_lshrrev_b32_e32 v6, 8, v7
	s_movk_i32 s4, 0x7f
	v_cmp_gt_i16_sdwa s[6:7], v6, s4 src0_sel:BYTE_0 src1_sel:DWORD
	s_mov_b64 s[4:5], 0
                                        ; implicit-def: $sgpr10
	s_and_saveexec_b64 s[8:9], s[6:7]
	s_xor_b64 s[6:7], exec, s[8:9]
	s_cbranch_execz .LBB2_13481
; %bb.49321:
	s_getpc_b64 s[14:15]
.Lpost_getpc28244:
	s_add_u32 s14, s14, (.LBB2_27817-.Lpost_getpc28244)&4294967295
	s_addc_u32 s15, s15, (.LBB2_27817-.Lpost_getpc28244)>>32
	s_setpc_b64 s[14:15]
.LBB2_13481:
	s_or_saveexec_b64 s[6:7], s[6:7]
	v_mov_b32_e32 v2, s10
	s_xor_b64 exec, exec, s[6:7]
	s_cbranch_execz .LBB2_13482
; %bb.49323:
	s_getpc_b64 s[14:15]
.Lpost_getpc28245:
	s_add_u32 s14, s14, (.LBB2_27820-.Lpost_getpc28245)&4294967295
	s_addc_u32 s15, s15, (.LBB2_27820-.Lpost_getpc28245)>>32
	s_setpc_b64 s[14:15]
.LBB2_13482:
	s_or_b64 exec, exec, s[6:7]
	s_and_saveexec_b64 s[6:7], s[4:5]
	s_cbranch_execz .LBB2_13484
.LBB2_13483:
	v_bfe_u32 v2, v7, 8, 3
	v_ffbh_u32_e32 v13, v2
	v_min_u32_e32 v13, 32, v13
	v_lshrrev_b16_e32 v12, 3, v6
	v_subrev_u32_e32 v14, 28, v13
	v_and_b32_e32 v12, 15, v12
	v_lshlrev_b32_e32 v6, v14, v6
	v_sub_u32_e32 v13, 29, v13
	v_and_b32_e32 v6, 7, v6
	v_cmp_eq_u16_e32 vcc, 0, v12
	v_cndmask_b32_e32 v2, v2, v6, vcc
	v_cndmask_b32_e32 v6, v12, v13, vcc
	v_lshlrev_b32_e32 v12, 16, v7
	v_mov_b32_e32 v13, 0x3b800000
	v_lshlrev_b32_e32 v2, 20, v2
	v_and_b32_e32 v12, 0x80000000, v12
	v_lshl_add_u32 v6, v6, 23, v13
	v_or3_b32 v2, v12, v6, v2
.LBB2_13484:
	s_or_b64 exec, exec, s[6:7]
	v_lshrrev_b32_e32 v6, 8, v3
	s_movk_i32 s4, 0x7f
	v_cmp_gt_i16_sdwa s[6:7], v6, s4 src0_sel:BYTE_0 src1_sel:DWORD
	s_mov_b64 s[4:5], 0
                                        ; implicit-def: $sgpr10
	s_and_saveexec_b64 s[8:9], s[6:7]
	s_xor_b64 s[6:7], exec, s[8:9]
	s_cbranch_execz .LBB2_13485
; %bb.49325:
	s_getpc_b64 s[14:15]
.Lpost_getpc28246:
	s_add_u32 s14, s14, (.LBB2_27821-.Lpost_getpc28246)&4294967295
	s_addc_u32 s15, s15, (.LBB2_27821-.Lpost_getpc28246)>>32
	s_setpc_b64 s[14:15]
.LBB2_13485:
	s_or_saveexec_b64 s[6:7], s[6:7]
	v_mov_b32_e32 v12, s10
	s_xor_b64 exec, exec, s[6:7]
	s_cbranch_execz .LBB2_13486
; %bb.49327:
	s_getpc_b64 s[14:15]
.Lpost_getpc28247:
	s_add_u32 s14, s14, (.LBB2_27824-.Lpost_getpc28247)&4294967295
	s_addc_u32 s15, s15, (.LBB2_27824-.Lpost_getpc28247)>>32
	s_setpc_b64 s[14:15]
.LBB2_13486:
	s_or_b64 exec, exec, s[6:7]
	s_and_saveexec_b64 s[6:7], s[4:5]
	s_cbranch_execz .LBB2_13488
.LBB2_13487:
	v_bfe_u32 v12, v3, 8, 3
	v_ffbh_u32_e32 v14, v12
	v_min_u32_e32 v14, 32, v14
	v_lshrrev_b16_e32 v13, 3, v6
	v_subrev_u32_e32 v15, 28, v14
	v_and_b32_e32 v13, 15, v13
	v_lshlrev_b32_e32 v6, v15, v6
	v_sub_u32_e32 v14, 29, v14
	v_and_b32_e32 v6, 7, v6
	v_cmp_eq_u16_e32 vcc, 0, v13
	v_cndmask_b32_e32 v6, v12, v6, vcc
	v_cndmask_b32_e32 v12, v13, v14, vcc
	v_lshlrev_b32_e32 v13, 16, v3
	v_mov_b32_e32 v14, 0x3b800000
	v_lshlrev_b32_e32 v6, 20, v6
	v_and_b32_e32 v13, 0x80000000, v13
	v_lshl_add_u32 v12, v12, 23, v14
	v_or3_b32 v12, v13, v12, v6
.LBB2_13488:
	s_or_b64 exec, exec, s[6:7]
	s_nop 0
	v_mfma_f32_16x16x4f32 a[0:3], v2, v12, a[0:3]
	s_movk_i32 s4, 0xff
	v_and_b32_sdwa v6, v7, s4 dst_sel:DWORD dst_unused:UNUSED_PAD src0_sel:WORD_1 src1_sel:DWORD
	s_movk_i32 s4, 0x7f
	v_cmp_lt_i16_e32 vcc, s4, v6
	s_mov_b64 s[4:5], 0
                                        ; implicit-def: $sgpr10
	s_and_saveexec_b64 s[6:7], vcc
	s_xor_b64 s[6:7], exec, s[6:7]
	s_cbranch_execz .LBB2_13489
; %bb.49329:
	s_getpc_b64 s[14:15]
.Lpost_getpc28248:
	s_add_u32 s14, s14, (.LBB2_27825-.Lpost_getpc28248)&4294967295
	s_addc_u32 s15, s15, (.LBB2_27825-.Lpost_getpc28248)>>32
	s_setpc_b64 s[14:15]
.LBB2_13489:
	s_or_saveexec_b64 s[6:7], s[6:7]
	v_mov_b32_e32 v2, s10
	s_xor_b64 exec, exec, s[6:7]
	s_cbranch_execz .LBB2_13490
; %bb.49331:
	s_getpc_b64 s[14:15]
.Lpost_getpc28249:
	s_add_u32 s14, s14, (.LBB2_27828-.Lpost_getpc28249)&4294967295
	s_addc_u32 s15, s15, (.LBB2_27828-.Lpost_getpc28249)>>32
	s_setpc_b64 s[14:15]
.LBB2_13490:
	s_or_b64 exec, exec, s[6:7]
	s_and_saveexec_b64 s[6:7], s[4:5]
	s_cbranch_execz .LBB2_13492
.LBB2_13491:
	v_bfe_u32 v2, v7, 16, 3
	v_ffbh_u32_e32 v13, v2
	v_min_u32_e32 v13, 32, v13
	v_lshrrev_b32_e32 v6, 19, v7
	v_subrev_u32_e32 v14, 28, v13
	v_and_b32_e32 v6, 15, v6
	v_lshlrev_b32_sdwa v14, v14, v7 dst_sel:DWORD dst_unused:UNUSED_PAD src0_sel:DWORD src1_sel:WORD_1
	v_bfe_u32 v12, v7, 19, 4
	v_sub_u32_e32 v13, 29, v13
	v_and_b32_e32 v14, 7, v14
	v_cmp_eq_u16_e32 vcc, 0, v6
	v_cndmask_b32_e32 v2, v2, v14, vcc
	v_cndmask_b32_e32 v6, v12, v13, vcc
	v_lshlrev_b32_e32 v12, 8, v7
	v_mov_b32_e32 v13, 0x3b800000
	v_lshlrev_b32_e32 v2, 20, v2
	v_and_b32_e32 v12, 0x80000000, v12
	v_lshl_add_u32 v6, v6, 23, v13
	v_or3_b32 v2, v12, v6, v2
.LBB2_13492:
	s_or_b64 exec, exec, s[6:7]
	s_movk_i32 s4, 0xff
	v_and_b32_sdwa v6, v3, s4 dst_sel:DWORD dst_unused:UNUSED_PAD src0_sel:WORD_1 src1_sel:DWORD
	s_movk_i32 s4, 0x7f
	v_cmp_lt_i16_e32 vcc, s4, v6
	s_mov_b64 s[4:5], 0
                                        ; implicit-def: $sgpr10
	s_and_saveexec_b64 s[6:7], vcc
	s_xor_b64 s[6:7], exec, s[6:7]
	s_cbranch_execz .LBB2_13493
; %bb.49333:
	s_getpc_b64 s[14:15]
.Lpost_getpc28250:
	s_add_u32 s14, s14, (.LBB2_27829-.Lpost_getpc28250)&4294967295
	s_addc_u32 s15, s15, (.LBB2_27829-.Lpost_getpc28250)>>32
	s_setpc_b64 s[14:15]
.LBB2_13493:
	s_or_saveexec_b64 s[6:7], s[6:7]
	v_mov_b32_e32 v12, s10
	s_xor_b64 exec, exec, s[6:7]
	s_cbranch_execz .LBB2_13494
; %bb.49335:
	s_getpc_b64 s[14:15]
.Lpost_getpc28251:
	s_add_u32 s14, s14, (.LBB2_27832-.Lpost_getpc28251)&4294967295
	s_addc_u32 s15, s15, (.LBB2_27832-.Lpost_getpc28251)>>32
	s_setpc_b64 s[14:15]
.LBB2_13494:
	s_or_b64 exec, exec, s[6:7]
	s_and_saveexec_b64 s[6:7], s[4:5]
	s_cbranch_execz .LBB2_13496
.LBB2_13495:
	v_bfe_u32 v6, v3, 16, 3
	v_ffbh_u32_e32 v14, v6
	v_min_u32_e32 v14, 32, v14
	v_lshrrev_b32_e32 v12, 19, v3
	v_subrev_u32_e32 v15, 28, v14
	v_and_b32_e32 v12, 15, v12
	v_lshlrev_b32_sdwa v15, v15, v3 dst_sel:DWORD dst_unused:UNUSED_PAD src0_sel:DWORD src1_sel:WORD_1
	v_bfe_u32 v13, v3, 19, 4
	v_sub_u32_e32 v14, 29, v14
	v_and_b32_e32 v15, 7, v15
	v_cmp_eq_u16_e32 vcc, 0, v12
	v_cndmask_b32_e32 v6, v6, v15, vcc
	v_cndmask_b32_e32 v12, v13, v14, vcc
	v_lshlrev_b32_e32 v13, 8, v3
	v_mov_b32_e32 v14, 0x3b800000
	v_lshlrev_b32_e32 v6, 20, v6
	v_and_b32_e32 v13, 0x80000000, v13
	v_lshl_add_u32 v12, v12, 23, v14
	v_or3_b32 v12, v13, v12, v6
.LBB2_13496:
	s_or_b64 exec, exec, s[6:7]
	s_nop 0
	v_mfma_f32_16x16x4f32 a[0:3], v2, v12, a[0:3]
	s_movk_i32 s4, 0x7f
	v_cmp_gt_i16_sdwa s[6:7], v7, s4 src0_sel:BYTE_3 src1_sel:DWORD
	s_mov_b64 s[4:5], 0
                                        ; implicit-def: $sgpr10
	s_and_saveexec_b64 s[8:9], s[6:7]
	s_xor_b64 s[6:7], exec, s[8:9]
	s_cbranch_execz .LBB2_13497
; %bb.49337:
	s_getpc_b64 s[14:15]
.Lpost_getpc28252:
	s_add_u32 s14, s14, (.LBB2_27833-.Lpost_getpc28252)&4294967295
	s_addc_u32 s15, s15, (.LBB2_27833-.Lpost_getpc28252)>>32
	s_setpc_b64 s[14:15]
.LBB2_13497:
	s_or_saveexec_b64 s[6:7], s[6:7]
	v_mov_b32_e32 v2, s10
	s_xor_b64 exec, exec, s[6:7]
	s_cbranch_execz .LBB2_13498
; %bb.49339:
	s_getpc_b64 s[14:15]
.Lpost_getpc28253:
	s_add_u32 s14, s14, (.LBB2_27836-.Lpost_getpc28253)&4294967295
	s_addc_u32 s15, s15, (.LBB2_27836-.Lpost_getpc28253)>>32
	s_setpc_b64 s[14:15]
.LBB2_13498:
	s_or_b64 exec, exec, s[6:7]
	s_and_saveexec_b64 s[6:7], s[4:5]
	s_cbranch_execz .LBB2_13500
.LBB2_13499:
	v_bfe_u32 v2, v7, 24, 3
	v_ffbh_u32_e32 v14, v2
	v_min_u32_e32 v14, 32, v14
	v_lshrrev_b32_e32 v12, 27, v7
	v_subrev_u32_e32 v15, 28, v14
	v_and_b32_e32 v6, 0x80000000, v7
	v_and_b32_e32 v12, 15, v12
	v_bfe_u32 v13, v7, 27, 4
	v_lshlrev_b32_sdwa v7, v15, v7 dst_sel:DWORD dst_unused:UNUSED_PAD src0_sel:DWORD src1_sel:BYTE_3
	v_sub_u32_e32 v14, 29, v14
	v_and_b32_e32 v7, 7, v7
	v_cmp_eq_u16_e32 vcc, 0, v12
	v_cndmask_b32_e32 v2, v2, v7, vcc
	v_cndmask_b32_e32 v7, v13, v14, vcc
	v_mov_b32_e32 v12, 0x3b800000
	v_lshlrev_b32_e32 v2, 20, v2
	v_lshl_add_u32 v7, v7, 23, v12
	v_or3_b32 v2, v6, v7, v2
.LBB2_13500:
	s_or_b64 exec, exec, s[6:7]
	s_movk_i32 s4, 0x7f
	v_cmp_gt_i16_sdwa s[6:7], v3, s4 src0_sel:BYTE_3 src1_sel:DWORD
	s_mov_b64 s[4:5], 0
                                        ; implicit-def: $sgpr10
	s_and_saveexec_b64 s[8:9], s[6:7]
	s_xor_b64 s[6:7], exec, s[8:9]
	s_cbranch_execz .LBB2_13501
; %bb.49341:
	s_getpc_b64 s[14:15]
.Lpost_getpc28254:
	s_add_u32 s14, s14, (.LBB2_27837-.Lpost_getpc28254)&4294967295
	s_addc_u32 s15, s15, (.LBB2_27837-.Lpost_getpc28254)>>32
	s_setpc_b64 s[14:15]
.LBB2_13501:
	s_or_saveexec_b64 s[6:7], s[6:7]
	v_mov_b32_e32 v6, s10
	s_xor_b64 exec, exec, s[6:7]
	s_cbranch_execz .LBB2_13502
; %bb.49343:
	s_getpc_b64 s[14:15]
.Lpost_getpc28255:
	s_add_u32 s14, s14, (.LBB2_27840-.Lpost_getpc28255)&4294967295
	s_addc_u32 s15, s15, (.LBB2_27840-.Lpost_getpc28255)>>32
	s_setpc_b64 s[14:15]
.LBB2_13502:
	s_or_b64 exec, exec, s[6:7]
	s_and_saveexec_b64 s[6:7], s[4:5]
	s_cbranch_execz .LBB2_13504
.LBB2_13503:
	v_bfe_u32 v6, v3, 24, 3
	v_ffbh_u32_e32 v14, v6
	v_min_u32_e32 v14, 32, v14
	v_lshrrev_b32_e32 v12, 27, v3
	v_subrev_u32_e32 v15, 28, v14
	v_and_b32_e32 v7, 0x80000000, v3
	v_and_b32_e32 v12, 15, v12
	v_bfe_u32 v13, v3, 27, 4
	v_lshlrev_b32_sdwa v3, v15, v3 dst_sel:DWORD dst_unused:UNUSED_PAD src0_sel:DWORD src1_sel:BYTE_3
	v_sub_u32_e32 v14, 29, v14
	v_and_b32_e32 v3, 7, v3
	v_cmp_eq_u16_e32 vcc, 0, v12
	v_cndmask_b32_e32 v3, v6, v3, vcc
	v_cndmask_b32_e32 v6, v13, v14, vcc
	v_mov_b32_e32 v12, 0x3b800000
	v_lshlrev_b32_e32 v3, 20, v3
	v_lshl_add_u32 v6, v6, 23, v12
	v_or3_b32 v6, v7, v6, v3
.LBB2_13504:
	s_or_b64 exec, exec, s[6:7]
	s_nop 0
	v_mfma_f32_16x16x4f32 a[0:3], v2, v6, a[0:3]
	s_movk_i32 s4, 0x7f
	v_cmp_gt_i16_sdwa s[6:7], v8, s4 src0_sel:BYTE_0 src1_sel:DWORD
	s_mov_b64 s[4:5], 0
                                        ; implicit-def: $sgpr10
	s_and_saveexec_b64 s[8:9], s[6:7]
	s_xor_b64 s[6:7], exec, s[8:9]
	s_cbranch_execz .LBB2_13505
; %bb.49345:
	s_getpc_b64 s[14:15]
.Lpost_getpc28256:
	s_add_u32 s14, s14, (.LBB2_27841-.Lpost_getpc28256)&4294967295
	s_addc_u32 s15, s15, (.LBB2_27841-.Lpost_getpc28256)>>32
	s_setpc_b64 s[14:15]
.LBB2_13505:
	s_or_saveexec_b64 s[6:7], s[6:7]
	v_mov_b32_e32 v2, s10
	s_xor_b64 exec, exec, s[6:7]
	s_cbranch_execz .LBB2_13506
; %bb.49347:
	s_getpc_b64 s[14:15]
.Lpost_getpc28257:
	s_add_u32 s14, s14, (.LBB2_27844-.Lpost_getpc28257)&4294967295
	s_addc_u32 s15, s15, (.LBB2_27844-.Lpost_getpc28257)>>32
	s_setpc_b64 s[14:15]
.LBB2_13506:
	s_or_b64 exec, exec, s[6:7]
	s_and_saveexec_b64 s[6:7], s[4:5]
	s_cbranch_execz .LBB2_13508
.LBB2_13507:
	v_and_b32_e32 v2, 7, v8
	v_ffbh_u32_e32 v6, v2
	v_min_u32_e32 v6, 32, v6
	v_lshrrev_b16_e32 v3, 3, v8
	v_subrev_u32_e32 v7, 28, v6
	v_and_b32_e32 v3, 15, v3
	v_lshlrev_b32_e32 v7, v7, v8
	v_sub_u32_e32 v6, 29, v6
	v_and_b32_e32 v7, 7, v7
	v_cmp_eq_u16_e32 vcc, 0, v3
	v_cndmask_b32_e32 v2, v2, v7, vcc
	v_cndmask_b32_e32 v3, v3, v6, vcc
	v_lshlrev_b32_e32 v6, 24, v8
	v_mov_b32_e32 v7, 0x3b800000
	v_lshlrev_b32_e32 v2, 20, v2
	v_and_b32_e32 v6, 0x80000000, v6
	v_lshl_add_u32 v3, v3, 23, v7
	v_or3_b32 v2, v6, v3, v2
.LBB2_13508:
	s_or_b64 exec, exec, s[6:7]
	s_movk_i32 s4, 0x7f
	v_cmp_gt_i16_sdwa s[6:7], v4, s4 src0_sel:BYTE_0 src1_sel:DWORD
	s_mov_b64 s[4:5], 0
                                        ; implicit-def: $sgpr10
	s_and_saveexec_b64 s[8:9], s[6:7]
	s_xor_b64 s[6:7], exec, s[8:9]
	s_cbranch_execz .LBB2_13509
; %bb.49349:
	s_getpc_b64 s[14:15]
.Lpost_getpc28258:
	s_add_u32 s14, s14, (.LBB2_27845-.Lpost_getpc28258)&4294967295
	s_addc_u32 s15, s15, (.LBB2_27845-.Lpost_getpc28258)>>32
	s_setpc_b64 s[14:15]
.LBB2_13509:
	s_or_saveexec_b64 s[6:7], s[6:7]
	v_mov_b32_e32 v3, s10
	s_xor_b64 exec, exec, s[6:7]
	s_cbranch_execz .LBB2_13510
; %bb.49351:
	s_getpc_b64 s[14:15]
.Lpost_getpc28259:
	s_add_u32 s14, s14, (.LBB2_27848-.Lpost_getpc28259)&4294967295
	s_addc_u32 s15, s15, (.LBB2_27848-.Lpost_getpc28259)>>32
	s_setpc_b64 s[14:15]
.LBB2_13510:
	s_or_b64 exec, exec, s[6:7]
	s_and_saveexec_b64 s[6:7], s[4:5]
	s_cbranch_execz .LBB2_13512
.LBB2_13511:
	v_and_b32_e32 v3, 7, v4
	v_ffbh_u32_e32 v7, v3
	v_min_u32_e32 v7, 32, v7
	v_lshrrev_b16_e32 v6, 3, v4
	v_subrev_u32_e32 v12, 28, v7
	v_and_b32_e32 v6, 15, v6
	v_lshlrev_b32_e32 v12, v12, v4
	v_sub_u32_e32 v7, 29, v7
	v_and_b32_e32 v12, 7, v12
	v_cmp_eq_u16_e32 vcc, 0, v6
	v_cndmask_b32_e32 v3, v3, v12, vcc
	v_cndmask_b32_e32 v6, v6, v7, vcc
	v_lshlrev_b32_e32 v7, 24, v4
	v_mov_b32_e32 v12, 0x3b800000
	v_lshlrev_b32_e32 v3, 20, v3
	v_and_b32_e32 v7, 0x80000000, v7
	v_lshl_add_u32 v6, v6, 23, v12
	v_or3_b32 v3, v7, v6, v3
.LBB2_13512:
	s_or_b64 exec, exec, s[6:7]
	s_nop 0
	v_mfma_f32_16x16x4f32 a[0:3], v2, v3, a[0:3]
	v_lshrrev_b32_e32 v3, 8, v8
	s_movk_i32 s4, 0x7f
	v_cmp_gt_i16_sdwa s[6:7], v3, s4 src0_sel:BYTE_0 src1_sel:DWORD
	s_mov_b64 s[4:5], 0
                                        ; implicit-def: $sgpr10
	s_and_saveexec_b64 s[8:9], s[6:7]
	s_xor_b64 s[6:7], exec, s[8:9]
	s_cbranch_execz .LBB2_13513
; %bb.49353:
	s_getpc_b64 s[14:15]
.Lpost_getpc28260:
	s_add_u32 s14, s14, (.LBB2_27849-.Lpost_getpc28260)&4294967295
	s_addc_u32 s15, s15, (.LBB2_27849-.Lpost_getpc28260)>>32
	s_setpc_b64 s[14:15]
.LBB2_13513:
	s_or_saveexec_b64 s[6:7], s[6:7]
	v_mov_b32_e32 v2, s10
	s_xor_b64 exec, exec, s[6:7]
	s_cbranch_execz .LBB2_13514
; %bb.49355:
	s_getpc_b64 s[14:15]
.Lpost_getpc28261:
	s_add_u32 s14, s14, (.LBB2_27852-.Lpost_getpc28261)&4294967295
	s_addc_u32 s15, s15, (.LBB2_27852-.Lpost_getpc28261)>>32
	s_setpc_b64 s[14:15]
.LBB2_13514:
	s_or_b64 exec, exec, s[6:7]
	s_and_saveexec_b64 s[6:7], s[4:5]
	s_cbranch_execz .LBB2_13516
.LBB2_13515:
	v_bfe_u32 v2, v8, 8, 3
	v_ffbh_u32_e32 v7, v2
	v_min_u32_e32 v7, 32, v7
	v_lshrrev_b16_e32 v6, 3, v3
	v_subrev_u32_e32 v12, 28, v7
	v_and_b32_e32 v6, 15, v6
	v_lshlrev_b32_e32 v3, v12, v3
	v_sub_u32_e32 v7, 29, v7
	v_and_b32_e32 v3, 7, v3
	v_cmp_eq_u16_e32 vcc, 0, v6
	v_cndmask_b32_e32 v2, v2, v3, vcc
	v_cndmask_b32_e32 v3, v6, v7, vcc
	v_lshlrev_b32_e32 v6, 16, v8
	v_mov_b32_e32 v7, 0x3b800000
	v_lshlrev_b32_e32 v2, 20, v2
	v_and_b32_e32 v6, 0x80000000, v6
	v_lshl_add_u32 v3, v3, 23, v7
	v_or3_b32 v2, v6, v3, v2
.LBB2_13516:
	s_or_b64 exec, exec, s[6:7]
	v_lshrrev_b32_e32 v3, 8, v4
	s_movk_i32 s4, 0x7f
	v_cmp_gt_i16_sdwa s[6:7], v3, s4 src0_sel:BYTE_0 src1_sel:DWORD
	s_mov_b64 s[4:5], 0
                                        ; implicit-def: $sgpr10
	s_and_saveexec_b64 s[8:9], s[6:7]
	s_xor_b64 s[6:7], exec, s[8:9]
	s_cbranch_execz .LBB2_13517
; %bb.49357:
	s_getpc_b64 s[14:15]
.Lpost_getpc28262:
	s_add_u32 s14, s14, (.LBB2_27853-.Lpost_getpc28262)&4294967295
	s_addc_u32 s15, s15, (.LBB2_27853-.Lpost_getpc28262)>>32
	s_setpc_b64 s[14:15]
.LBB2_13517:
	s_or_saveexec_b64 s[6:7], s[6:7]
	v_mov_b32_e32 v6, s10
	s_xor_b64 exec, exec, s[6:7]
	s_cbranch_execz .LBB2_13518
; %bb.49359:
	s_getpc_b64 s[14:15]
.Lpost_getpc28263:
	s_add_u32 s14, s14, (.LBB2_27856-.Lpost_getpc28263)&4294967295
	s_addc_u32 s15, s15, (.LBB2_27856-.Lpost_getpc28263)>>32
	s_setpc_b64 s[14:15]
.LBB2_13518:
	s_or_b64 exec, exec, s[6:7]
	s_and_saveexec_b64 s[6:7], s[4:5]
	s_cbranch_execz .LBB2_13520
.LBB2_13519:
	v_bfe_u32 v6, v4, 8, 3
	v_ffbh_u32_e32 v12, v6
	v_min_u32_e32 v12, 32, v12
	v_lshrrev_b16_e32 v7, 3, v3
	v_subrev_u32_e32 v13, 28, v12
	v_and_b32_e32 v7, 15, v7
	v_lshlrev_b32_e32 v3, v13, v3
	v_sub_u32_e32 v12, 29, v12
	v_and_b32_e32 v3, 7, v3
	v_cmp_eq_u16_e32 vcc, 0, v7
	v_cndmask_b32_e32 v3, v6, v3, vcc
	v_cndmask_b32_e32 v6, v7, v12, vcc
	v_lshlrev_b32_e32 v7, 16, v4
	v_mov_b32_e32 v12, 0x3b800000
	v_lshlrev_b32_e32 v3, 20, v3
	v_and_b32_e32 v7, 0x80000000, v7
	v_lshl_add_u32 v6, v6, 23, v12
	v_or3_b32 v6, v7, v6, v3
.LBB2_13520:
	s_or_b64 exec, exec, s[6:7]
	s_nop 0
	v_mfma_f32_16x16x4f32 a[0:3], v2, v6, a[0:3]
	s_movk_i32 s4, 0xff
	v_and_b32_sdwa v3, v8, s4 dst_sel:DWORD dst_unused:UNUSED_PAD src0_sel:WORD_1 src1_sel:DWORD
	s_movk_i32 s4, 0x7f
	v_cmp_lt_i16_e32 vcc, s4, v3
	s_mov_b64 s[4:5], 0
                                        ; implicit-def: $sgpr10
	s_and_saveexec_b64 s[6:7], vcc
	s_xor_b64 s[6:7], exec, s[6:7]
	s_cbranch_execz .LBB2_13521
; %bb.49361:
	s_getpc_b64 s[14:15]
.Lpost_getpc28264:
	s_add_u32 s14, s14, (.LBB2_27857-.Lpost_getpc28264)&4294967295
	s_addc_u32 s15, s15, (.LBB2_27857-.Lpost_getpc28264)>>32
	s_setpc_b64 s[14:15]
.LBB2_13521:
	s_or_saveexec_b64 s[6:7], s[6:7]
	v_mov_b32_e32 v2, s10
	s_xor_b64 exec, exec, s[6:7]
	s_cbranch_execz .LBB2_13522
; %bb.49363:
	s_getpc_b64 s[14:15]
.Lpost_getpc28265:
	s_add_u32 s14, s14, (.LBB2_27860-.Lpost_getpc28265)&4294967295
	s_addc_u32 s15, s15, (.LBB2_27860-.Lpost_getpc28265)>>32
	s_setpc_b64 s[14:15]
.LBB2_13522:
	s_or_b64 exec, exec, s[6:7]
	s_and_saveexec_b64 s[6:7], s[4:5]
	s_cbranch_execz .LBB2_13524
.LBB2_13523:
	v_bfe_u32 v2, v8, 16, 3
	v_ffbh_u32_e32 v7, v2
	v_min_u32_e32 v7, 32, v7
	v_lshrrev_b32_e32 v3, 19, v8
	v_subrev_u32_e32 v12, 28, v7
	v_and_b32_e32 v3, 15, v3
	v_lshlrev_b32_sdwa v12, v12, v8 dst_sel:DWORD dst_unused:UNUSED_PAD src0_sel:DWORD src1_sel:WORD_1
	v_bfe_u32 v6, v8, 19, 4
	v_sub_u32_e32 v7, 29, v7
	v_and_b32_e32 v12, 7, v12
	v_cmp_eq_u16_e32 vcc, 0, v3
	v_cndmask_b32_e32 v2, v2, v12, vcc
	v_cndmask_b32_e32 v3, v6, v7, vcc
	v_lshlrev_b32_e32 v6, 8, v8
	v_mov_b32_e32 v7, 0x3b800000
	v_lshlrev_b32_e32 v2, 20, v2
	v_and_b32_e32 v6, 0x80000000, v6
	v_lshl_add_u32 v3, v3, 23, v7
	v_or3_b32 v2, v6, v3, v2
.LBB2_13524:
	s_or_b64 exec, exec, s[6:7]
	s_movk_i32 s4, 0xff
	v_and_b32_sdwa v3, v4, s4 dst_sel:DWORD dst_unused:UNUSED_PAD src0_sel:WORD_1 src1_sel:DWORD
	s_movk_i32 s4, 0x7f
	v_cmp_lt_i16_e32 vcc, s4, v3
	s_mov_b64 s[4:5], 0
                                        ; implicit-def: $sgpr10
	s_and_saveexec_b64 s[6:7], vcc
	s_xor_b64 s[6:7], exec, s[6:7]
	s_cbranch_execz .LBB2_13525
; %bb.49365:
	s_getpc_b64 s[14:15]
.Lpost_getpc28266:
	s_add_u32 s14, s14, (.LBB2_27861-.Lpost_getpc28266)&4294967295
	s_addc_u32 s15, s15, (.LBB2_27861-.Lpost_getpc28266)>>32
	s_setpc_b64 s[14:15]
.LBB2_13525:
	s_or_saveexec_b64 s[6:7], s[6:7]
	v_mov_b32_e32 v6, s10
	s_xor_b64 exec, exec, s[6:7]
	s_cbranch_execz .LBB2_13526
; %bb.49367:
	s_getpc_b64 s[14:15]
.Lpost_getpc28267:
	s_add_u32 s14, s14, (.LBB2_27864-.Lpost_getpc28267)&4294967295
	s_addc_u32 s15, s15, (.LBB2_27864-.Lpost_getpc28267)>>32
	s_setpc_b64 s[14:15]
.LBB2_13526:
	s_or_b64 exec, exec, s[6:7]
	s_and_saveexec_b64 s[6:7], s[4:5]
	s_cbranch_execz .LBB2_13528
.LBB2_13527:
	v_bfe_u32 v3, v4, 16, 3
	v_ffbh_u32_e32 v12, v3
	v_min_u32_e32 v12, 32, v12
	v_lshrrev_b32_e32 v6, 19, v4
	v_subrev_u32_e32 v13, 28, v12
	v_and_b32_e32 v6, 15, v6
	v_lshlrev_b32_sdwa v13, v13, v4 dst_sel:DWORD dst_unused:UNUSED_PAD src0_sel:DWORD src1_sel:WORD_1
	v_bfe_u32 v7, v4, 19, 4
	v_sub_u32_e32 v12, 29, v12
	v_and_b32_e32 v13, 7, v13
	v_cmp_eq_u16_e32 vcc, 0, v6
	v_cndmask_b32_e32 v3, v3, v13, vcc
	v_cndmask_b32_e32 v6, v7, v12, vcc
	v_lshlrev_b32_e32 v7, 8, v4
	v_mov_b32_e32 v12, 0x3b800000
	v_lshlrev_b32_e32 v3, 20, v3
	v_and_b32_e32 v7, 0x80000000, v7
	v_lshl_add_u32 v6, v6, 23, v12
	v_or3_b32 v6, v7, v6, v3
.LBB2_13528:
	s_or_b64 exec, exec, s[6:7]
	s_nop 0
	v_mfma_f32_16x16x4f32 a[0:3], v2, v6, a[0:3]
	s_movk_i32 s4, 0x7f
	v_cmp_gt_i16_sdwa s[6:7], v8, s4 src0_sel:BYTE_3 src1_sel:DWORD
	s_mov_b64 s[4:5], 0
                                        ; implicit-def: $sgpr10
	s_and_saveexec_b64 s[8:9], s[6:7]
	s_xor_b64 s[6:7], exec, s[8:9]
	s_cbranch_execz .LBB2_13529
; %bb.49369:
	s_getpc_b64 s[14:15]
.Lpost_getpc28268:
	s_add_u32 s14, s14, (.LBB2_27865-.Lpost_getpc28268)&4294967295
	s_addc_u32 s15, s15, (.LBB2_27865-.Lpost_getpc28268)>>32
	s_setpc_b64 s[14:15]
.LBB2_13529:
	s_or_saveexec_b64 s[6:7], s[6:7]
	v_mov_b32_e32 v2, s10
	s_xor_b64 exec, exec, s[6:7]
	s_cbranch_execz .LBB2_13530
; %bb.49371:
	s_getpc_b64 s[14:15]
.Lpost_getpc28269:
	s_add_u32 s14, s14, (.LBB2_27868-.Lpost_getpc28269)&4294967295
	s_addc_u32 s15, s15, (.LBB2_27868-.Lpost_getpc28269)>>32
	s_setpc_b64 s[14:15]
.LBB2_13530:
	s_or_b64 exec, exec, s[6:7]
	s_and_saveexec_b64 s[6:7], s[4:5]
	s_cbranch_execz .LBB2_13532
.LBB2_13531:
	v_bfe_u32 v2, v8, 24, 3
	v_ffbh_u32_e32 v12, v2
	v_min_u32_e32 v12, 32, v12
	v_lshrrev_b32_e32 v6, 27, v8
	v_subrev_u32_e32 v13, 28, v12
	v_and_b32_e32 v3, 0x80000000, v8
	v_and_b32_e32 v6, 15, v6
	v_bfe_u32 v7, v8, 27, 4
	v_lshlrev_b32_sdwa v8, v13, v8 dst_sel:DWORD dst_unused:UNUSED_PAD src0_sel:DWORD src1_sel:BYTE_3
	v_sub_u32_e32 v12, 29, v12
	v_and_b32_e32 v8, 7, v8
	v_cmp_eq_u16_e32 vcc, 0, v6
	v_cndmask_b32_e32 v2, v2, v8, vcc
	v_cndmask_b32_e32 v6, v7, v12, vcc
	v_mov_b32_e32 v7, 0x3b800000
	v_lshlrev_b32_e32 v2, 20, v2
	v_lshl_add_u32 v6, v6, 23, v7
	v_or3_b32 v2, v3, v6, v2
.LBB2_13532:
	s_or_b64 exec, exec, s[6:7]
	s_movk_i32 s4, 0x7f
	v_cmp_gt_i16_sdwa s[6:7], v4, s4 src0_sel:BYTE_3 src1_sel:DWORD
	s_mov_b64 s[4:5], 0
                                        ; implicit-def: $sgpr10
	s_and_saveexec_b64 s[8:9], s[6:7]
	s_xor_b64 s[6:7], exec, s[8:9]
	s_cbranch_execz .LBB2_13533
; %bb.49373:
	s_getpc_b64 s[14:15]
.Lpost_getpc28270:
	s_add_u32 s14, s14, (.LBB2_27869-.Lpost_getpc28270)&4294967295
	s_addc_u32 s15, s15, (.LBB2_27869-.Lpost_getpc28270)>>32
	s_setpc_b64 s[14:15]
.LBB2_13533:
	s_or_saveexec_b64 s[6:7], s[6:7]
	v_mov_b32_e32 v3, s10
	s_xor_b64 exec, exec, s[6:7]
	s_cbranch_execz .LBB2_13534
; %bb.49375:
	s_getpc_b64 s[14:15]
.Lpost_getpc28271:
	s_add_u32 s14, s14, (.LBB2_27872-.Lpost_getpc28271)&4294967295
	s_addc_u32 s15, s15, (.LBB2_27872-.Lpost_getpc28271)>>32
	s_setpc_b64 s[14:15]
.LBB2_13534:
	s_or_b64 exec, exec, s[6:7]
	s_and_saveexec_b64 s[6:7], s[4:5]
	s_cbranch_execz .LBB2_13536
.LBB2_13535:
	v_bfe_u32 v3, v4, 24, 3
	v_ffbh_u32_e32 v12, v3
	v_min_u32_e32 v12, 32, v12
	v_lshrrev_b32_e32 v7, 27, v4
	v_subrev_u32_e32 v13, 28, v12
	v_and_b32_e32 v6, 0x80000000, v4
	v_and_b32_e32 v7, 15, v7
	v_bfe_u32 v8, v4, 27, 4
	v_lshlrev_b32_sdwa v4, v13, v4 dst_sel:DWORD dst_unused:UNUSED_PAD src0_sel:DWORD src1_sel:BYTE_3
	v_sub_u32_e32 v12, 29, v12
	v_and_b32_e32 v4, 7, v4
	v_cmp_eq_u16_e32 vcc, 0, v7
	v_cndmask_b32_e32 v3, v3, v4, vcc
	v_cndmask_b32_e32 v4, v8, v12, vcc
	v_mov_b32_e32 v7, 0x3b800000
	v_lshlrev_b32_e32 v3, 20, v3
	v_lshl_add_u32 v4, v4, 23, v7
	v_or3_b32 v3, v6, v4, v3
.LBB2_13536:
	s_or_b64 exec, exec, s[6:7]
	s_nop 0
	v_mfma_f32_16x16x4f32 a[0:3], v2, v3, a[0:3]
	s_movk_i32 s4, 0x7f
	v_cmp_gt_i16_sdwa s[6:7], v9, s4 src0_sel:BYTE_0 src1_sel:DWORD
	s_mov_b64 s[4:5], 0
                                        ; implicit-def: $sgpr10
	s_and_saveexec_b64 s[8:9], s[6:7]
	s_xor_b64 s[6:7], exec, s[8:9]
	s_cbranch_execz .LBB2_13537
; %bb.49377:
	s_getpc_b64 s[14:15]
.Lpost_getpc28272:
	s_add_u32 s14, s14, (.LBB2_27873-.Lpost_getpc28272)&4294967295
	s_addc_u32 s15, s15, (.LBB2_27873-.Lpost_getpc28272)>>32
	s_setpc_b64 s[14:15]
.LBB2_13537:
	s_or_saveexec_b64 s[6:7], s[6:7]
	v_mov_b32_e32 v2, s10
	s_xor_b64 exec, exec, s[6:7]
	s_cbranch_execz .LBB2_13538
; %bb.49379:
	s_getpc_b64 s[14:15]
.Lpost_getpc28273:
	s_add_u32 s14, s14, (.LBB2_27876-.Lpost_getpc28273)&4294967295
	s_addc_u32 s15, s15, (.LBB2_27876-.Lpost_getpc28273)>>32
	s_setpc_b64 s[14:15]
.LBB2_13538:
	s_or_b64 exec, exec, s[6:7]
	s_and_saveexec_b64 s[6:7], s[4:5]
	s_cbranch_execz .LBB2_13540
.LBB2_13539:
	v_mov_b32_e32 v2, 8
	v_and_b32_e32 v3, 7, v9
	v_lshrrev_b32_sdwa v2, v2, v9 dst_sel:BYTE_1 dst_unused:UNUSED_PAD src0_sel:DWORD src1_sel:DWORD
	v_ffbh_u32_e32 v4, v3
	v_or_b32_sdwa v2, v9, v2 dst_sel:DWORD dst_unused:UNUSED_PAD src0_sel:BYTE_0 src1_sel:DWORD
	v_min_u32_e32 v4, 32, v4
	v_lshrrev_b16_e32 v2, 3, v2
	v_subrev_u32_e32 v6, 28, v4
	v_and_b32_e32 v2, 15, v2
	v_lshlrev_b32_e32 v6, v6, v9
	v_sub_u32_e32 v4, 29, v4
	v_and_b32_e32 v6, 7, v6
	v_cmp_eq_u16_e32 vcc, 0, v2
	v_cndmask_b32_e32 v3, v3, v6, vcc
	v_cndmask_b32_e32 v2, v2, v4, vcc
	v_lshlrev_b32_e32 v4, 24, v9
	v_mov_b32_e32 v6, 0x3b800000
	v_lshlrev_b32_e32 v3, 20, v3
	v_and_b32_e32 v4, 0x80000000, v4
	v_lshl_add_u32 v2, v2, 23, v6
	v_or3_b32 v2, v4, v2, v3
.LBB2_13540:
	s_or_b64 exec, exec, s[6:7]
	s_movk_i32 s4, 0x7f
	v_cmp_gt_i16_sdwa s[6:7], v5, s4 src0_sel:BYTE_0 src1_sel:DWORD
	s_mov_b64 s[4:5], 0
                                        ; implicit-def: $sgpr10
	s_and_saveexec_b64 s[8:9], s[6:7]
	s_xor_b64 s[6:7], exec, s[8:9]
	s_cbranch_execz .LBB2_13541
; %bb.49381:
	s_getpc_b64 s[14:15]
.Lpost_getpc28274:
	s_add_u32 s14, s14, (.LBB2_27877-.Lpost_getpc28274)&4294967295
	s_addc_u32 s15, s15, (.LBB2_27877-.Lpost_getpc28274)>>32
	s_setpc_b64 s[14:15]
.LBB2_13541:
	s_or_saveexec_b64 s[6:7], s[6:7]
	v_mov_b32_e32 v3, s10
	s_xor_b64 exec, exec, s[6:7]
	s_cbranch_execz .LBB2_13542
; %bb.49383:
	s_getpc_b64 s[14:15]
.Lpost_getpc28275:
	s_add_u32 s14, s14, (.LBB2_27880-.Lpost_getpc28275)&4294967295
	s_addc_u32 s15, s15, (.LBB2_27880-.Lpost_getpc28275)>>32
	s_setpc_b64 s[14:15]
.LBB2_13542:
	s_or_b64 exec, exec, s[6:7]
	s_and_saveexec_b64 s[6:7], s[4:5]
	s_cbranch_execz .LBB2_13544
.LBB2_13543:
	v_mov_b32_e32 v3, 8
	v_and_b32_e32 v4, 7, v5
	v_lshrrev_b32_sdwa v3, v3, v5 dst_sel:BYTE_1 dst_unused:UNUSED_PAD src0_sel:DWORD src1_sel:DWORD
	v_ffbh_u32_e32 v6, v4
	v_or_b32_sdwa v3, v5, v3 dst_sel:DWORD dst_unused:UNUSED_PAD src0_sel:BYTE_0 src1_sel:DWORD
	v_min_u32_e32 v6, 32, v6
	v_lshrrev_b16_e32 v3, 3, v3
	v_subrev_u32_e32 v7, 28, v6
	v_and_b32_e32 v3, 15, v3
	v_lshlrev_b32_e32 v7, v7, v5
	v_sub_u32_e32 v6, 29, v6
	v_and_b32_e32 v7, 7, v7
	v_cmp_eq_u16_e32 vcc, 0, v3
	v_cndmask_b32_e32 v4, v4, v7, vcc
	v_cndmask_b32_e32 v3, v3, v6, vcc
	v_lshlrev_b32_e32 v6, 24, v5
	v_mov_b32_e32 v7, 0x3b800000
	v_lshlrev_b32_e32 v4, 20, v4
	v_and_b32_e32 v6, 0x80000000, v6
	v_lshl_add_u32 v3, v3, 23, v7
	v_or3_b32 v3, v6, v3, v4
.LBB2_13544:
	s_or_b64 exec, exec, s[6:7]
	s_nop 0
	v_mfma_f32_16x16x4f32 a[0:3], v2, v3, a[0:3]
	v_lshrrev_b32_e32 v3, 8, v9
	s_movk_i32 s4, 0x7f
	v_cmp_gt_i16_sdwa s[6:7], v3, s4 src0_sel:BYTE_0 src1_sel:DWORD
	s_mov_b64 s[4:5], 0
                                        ; implicit-def: $sgpr10
	s_and_saveexec_b64 s[8:9], s[6:7]
	s_xor_b64 s[6:7], exec, s[8:9]
	s_cbranch_execz .LBB2_13545
; %bb.49385:
	s_getpc_b64 s[14:15]
.Lpost_getpc28276:
	s_add_u32 s14, s14, (.LBB2_27881-.Lpost_getpc28276)&4294967295
	s_addc_u32 s15, s15, (.LBB2_27881-.Lpost_getpc28276)>>32
	s_setpc_b64 s[14:15]
.LBB2_13545:
	s_or_saveexec_b64 s[6:7], s[6:7]
	v_mov_b32_e32 v2, s10
	s_xor_b64 exec, exec, s[6:7]
	s_cbranch_execz .LBB2_13546
; %bb.49387:
	s_getpc_b64 s[14:15]
.Lpost_getpc28277:
	s_add_u32 s14, s14, (.LBB2_27884-.Lpost_getpc28277)&4294967295
	s_addc_u32 s15, s15, (.LBB2_27884-.Lpost_getpc28277)>>32
	s_setpc_b64 s[14:15]
.LBB2_13546:
	s_or_b64 exec, exec, s[6:7]
	s_and_saveexec_b64 s[6:7], s[4:5]
	s_cbranch_execz .LBB2_13548
.LBB2_13547:
	v_bfe_u32 v2, v9, 8, 3
	v_ffbh_u32_e32 v6, v2
	v_min_u32_e32 v6, 32, v6
	v_lshrrev_b16_e32 v4, 3, v3
	v_subrev_u32_e32 v7, 28, v6
	v_and_b32_e32 v4, 15, v4
	v_lshlrev_b32_e32 v3, v7, v3
	v_sub_u32_e32 v6, 29, v6
	v_and_b32_e32 v3, 7, v3
	v_cmp_eq_u16_e32 vcc, 0, v4
	v_cndmask_b32_e32 v2, v2, v3, vcc
	v_cndmask_b32_e32 v3, v4, v6, vcc
	v_lshlrev_b32_e32 v4, 16, v9
	v_mov_b32_e32 v6, 0x3b800000
	v_lshlrev_b32_e32 v2, 20, v2
	v_and_b32_e32 v4, 0x80000000, v4
	v_lshl_add_u32 v3, v3, 23, v6
	v_or3_b32 v2, v4, v3, v2
.LBB2_13548:
	s_or_b64 exec, exec, s[6:7]
	v_lshrrev_b32_e32 v3, 8, v5
	s_movk_i32 s4, 0x7f
	v_cmp_gt_i16_sdwa s[6:7], v3, s4 src0_sel:BYTE_0 src1_sel:DWORD
	s_mov_b64 s[4:5], 0
                                        ; implicit-def: $sgpr10
	s_and_saveexec_b64 s[8:9], s[6:7]
	s_xor_b64 s[6:7], exec, s[8:9]
	s_cbranch_execz .LBB2_13549
; %bb.49389:
	s_getpc_b64 s[14:15]
.Lpost_getpc28278:
	s_add_u32 s14, s14, (.LBB2_27885-.Lpost_getpc28278)&4294967295
	s_addc_u32 s15, s15, (.LBB2_27885-.Lpost_getpc28278)>>32
	s_setpc_b64 s[14:15]
.LBB2_13549:
	s_or_saveexec_b64 s[6:7], s[6:7]
	v_mov_b32_e32 v4, s10
	s_xor_b64 exec, exec, s[6:7]
	s_cbranch_execz .LBB2_13550
; %bb.49391:
	s_getpc_b64 s[14:15]
.Lpost_getpc28279:
	s_add_u32 s14, s14, (.LBB2_27888-.Lpost_getpc28279)&4294967295
	s_addc_u32 s15, s15, (.LBB2_27888-.Lpost_getpc28279)>>32
	s_setpc_b64 s[14:15]
.LBB2_13550:
	s_or_b64 exec, exec, s[6:7]
	s_and_saveexec_b64 s[6:7], s[4:5]
	s_cbranch_execz .LBB2_13552
.LBB2_13551:
	v_bfe_u32 v4, v5, 8, 3
	v_ffbh_u32_e32 v7, v4
	v_min_u32_e32 v7, 32, v7
	v_lshrrev_b16_e32 v6, 3, v3
	v_subrev_u32_e32 v8, 28, v7
	v_and_b32_e32 v6, 15, v6
	v_lshlrev_b32_e32 v3, v8, v3
	v_sub_u32_e32 v7, 29, v7
	v_and_b32_e32 v3, 7, v3
	v_cmp_eq_u16_e32 vcc, 0, v6
	v_cndmask_b32_e32 v3, v4, v3, vcc
	v_cndmask_b32_e32 v4, v6, v7, vcc
	v_lshlrev_b32_e32 v6, 16, v5
	v_mov_b32_e32 v7, 0x3b800000
	v_lshlrev_b32_e32 v3, 20, v3
	v_and_b32_e32 v6, 0x80000000, v6
	v_lshl_add_u32 v4, v4, 23, v7
	v_or3_b32 v4, v6, v4, v3
.LBB2_13552:
	s_or_b64 exec, exec, s[6:7]
	s_nop 0
	v_mfma_f32_16x16x4f32 a[0:3], v2, v4, a[0:3]
	s_movk_i32 s4, 0xff
	v_and_b32_sdwa v3, v9, s4 dst_sel:DWORD dst_unused:UNUSED_PAD src0_sel:WORD_1 src1_sel:DWORD
	s_movk_i32 s4, 0x7f
	v_cmp_lt_i16_e32 vcc, s4, v3
	s_mov_b64 s[4:5], 0
                                        ; implicit-def: $sgpr10
	s_and_saveexec_b64 s[6:7], vcc
	s_xor_b64 s[6:7], exec, s[6:7]
	s_cbranch_execz .LBB2_13553
; %bb.49393:
	s_getpc_b64 s[14:15]
.Lpost_getpc28280:
	s_add_u32 s14, s14, (.LBB2_27889-.Lpost_getpc28280)&4294967295
	s_addc_u32 s15, s15, (.LBB2_27889-.Lpost_getpc28280)>>32
	s_setpc_b64 s[14:15]
.LBB2_13553:
	s_or_saveexec_b64 s[6:7], s[6:7]
	v_mov_b32_e32 v2, s10
	s_xor_b64 exec, exec, s[6:7]
	s_cbranch_execz .LBB2_13554
; %bb.49395:
	s_getpc_b64 s[14:15]
.Lpost_getpc28281:
	s_add_u32 s14, s14, (.LBB2_27892-.Lpost_getpc28281)&4294967295
	s_addc_u32 s15, s15, (.LBB2_27892-.Lpost_getpc28281)>>32
	s_setpc_b64 s[14:15]
.LBB2_13554:
	s_or_b64 exec, exec, s[6:7]
	s_and_saveexec_b64 s[6:7], s[4:5]
	s_cbranch_execz .LBB2_13556
.LBB2_13555:
	v_bfe_u32 v2, v9, 16, 3
	v_ffbh_u32_e32 v6, v2
	v_min_u32_e32 v6, 32, v6
	v_lshrrev_b32_e32 v3, 19, v9
	v_subrev_u32_e32 v7, 28, v6
	v_and_b32_e32 v3, 15, v3
	v_lshlrev_b32_sdwa v7, v7, v9 dst_sel:DWORD dst_unused:UNUSED_PAD src0_sel:DWORD src1_sel:WORD_1
	v_bfe_u32 v4, v9, 19, 4
	v_sub_u32_e32 v6, 29, v6
	v_and_b32_e32 v7, 7, v7
	v_cmp_eq_u16_e32 vcc, 0, v3
	v_cndmask_b32_e32 v2, v2, v7, vcc
	v_cndmask_b32_e32 v3, v4, v6, vcc
	v_lshlrev_b32_e32 v4, 8, v9
	v_mov_b32_e32 v6, 0x3b800000
	v_lshlrev_b32_e32 v2, 20, v2
	v_and_b32_e32 v4, 0x80000000, v4
	v_lshl_add_u32 v3, v3, 23, v6
	v_or3_b32 v2, v4, v3, v2
.LBB2_13556:
	s_or_b64 exec, exec, s[6:7]
	s_movk_i32 s4, 0xff
	v_and_b32_sdwa v3, v5, s4 dst_sel:DWORD dst_unused:UNUSED_PAD src0_sel:WORD_1 src1_sel:DWORD
	s_movk_i32 s4, 0x7f
	v_cmp_lt_i16_e32 vcc, s4, v3
	s_mov_b64 s[4:5], 0
                                        ; implicit-def: $sgpr10
	s_and_saveexec_b64 s[6:7], vcc
	s_xor_b64 s[6:7], exec, s[6:7]
	s_cbranch_execz .LBB2_13557
; %bb.49397:
	s_getpc_b64 s[14:15]
.Lpost_getpc28282:
	s_add_u32 s14, s14, (.LBB2_27893-.Lpost_getpc28282)&4294967295
	s_addc_u32 s15, s15, (.LBB2_27893-.Lpost_getpc28282)>>32
	s_setpc_b64 s[14:15]
.LBB2_13557:
	s_or_saveexec_b64 s[6:7], s[6:7]
	v_mov_b32_e32 v4, s10
	s_xor_b64 exec, exec, s[6:7]
	s_cbranch_execz .LBB2_13558
; %bb.49399:
	s_getpc_b64 s[14:15]
.Lpost_getpc28283:
	s_add_u32 s14, s14, (.LBB2_27896-.Lpost_getpc28283)&4294967295
	s_addc_u32 s15, s15, (.LBB2_27896-.Lpost_getpc28283)>>32
	s_setpc_b64 s[14:15]
.LBB2_13558:
	s_or_b64 exec, exec, s[6:7]
	s_and_saveexec_b64 s[6:7], s[4:5]
	s_cbranch_execz .LBB2_13560
.LBB2_13559:
	v_bfe_u32 v3, v5, 16, 3
	v_ffbh_u32_e32 v7, v3
	v_min_u32_e32 v7, 32, v7
	v_lshrrev_b32_e32 v4, 19, v5
	v_subrev_u32_e32 v8, 28, v7
	v_and_b32_e32 v4, 15, v4
	v_lshlrev_b32_sdwa v8, v8, v5 dst_sel:DWORD dst_unused:UNUSED_PAD src0_sel:DWORD src1_sel:WORD_1
	v_bfe_u32 v6, v5, 19, 4
	v_sub_u32_e32 v7, 29, v7
	v_and_b32_e32 v8, 7, v8
	v_cmp_eq_u16_e32 vcc, 0, v4
	v_cndmask_b32_e32 v3, v3, v8, vcc
	v_cndmask_b32_e32 v4, v6, v7, vcc
	v_lshlrev_b32_e32 v6, 8, v5
	v_mov_b32_e32 v7, 0x3b800000
	v_lshlrev_b32_e32 v3, 20, v3
	v_and_b32_e32 v6, 0x80000000, v6
	v_lshl_add_u32 v4, v4, 23, v7
	v_or3_b32 v4, v6, v4, v3
.LBB2_13560:
	s_or_b64 exec, exec, s[6:7]
	s_nop 0
	v_mfma_f32_16x16x4f32 a[0:3], v2, v4, a[0:3]
	s_movk_i32 s4, 0x7f
	v_cmp_gt_i16_sdwa s[6:7], v9, s4 src0_sel:BYTE_3 src1_sel:DWORD
	s_mov_b64 s[4:5], 0
                                        ; implicit-def: $sgpr10
	s_and_saveexec_b64 s[8:9], s[6:7]
	s_xor_b64 s[6:7], exec, s[8:9]
	s_cbranch_execz .LBB2_13561
; %bb.49401:
	s_getpc_b64 s[14:15]
.Lpost_getpc28284:
	s_add_u32 s14, s14, (.LBB2_27897-.Lpost_getpc28284)&4294967295
	s_addc_u32 s15, s15, (.LBB2_27897-.Lpost_getpc28284)>>32
	s_setpc_b64 s[14:15]
.LBB2_13561:
	s_or_saveexec_b64 s[6:7], s[6:7]
	v_mov_b32_e32 v2, s10
	s_xor_b64 exec, exec, s[6:7]
	s_cbranch_execz .LBB2_13562
; %bb.49403:
	s_getpc_b64 s[14:15]
.Lpost_getpc28285:
	s_add_u32 s14, s14, (.LBB2_27900-.Lpost_getpc28285)&4294967295
	s_addc_u32 s15, s15, (.LBB2_27900-.Lpost_getpc28285)>>32
	s_setpc_b64 s[14:15]
.LBB2_13562:
	s_or_b64 exec, exec, s[6:7]
	s_and_saveexec_b64 s[6:7], s[4:5]
	s_cbranch_execz .LBB2_13564
.LBB2_13563:
	v_bfe_u32 v2, v9, 24, 3
	v_ffbh_u32_e32 v7, v2
	v_min_u32_e32 v7, 32, v7
	v_lshrrev_b32_e32 v4, 27, v9
	v_subrev_u32_e32 v8, 28, v7
	v_and_b32_e32 v4, 15, v4
	v_lshlrev_b32_sdwa v8, v8, v9 dst_sel:DWORD dst_unused:UNUSED_PAD src0_sel:DWORD src1_sel:BYTE_3
	v_bfe_u32 v6, v9, 27, 4
	v_sub_u32_e32 v7, 29, v7
	v_and_b32_e32 v8, 7, v8
	v_cmp_eq_u16_e32 vcc, 0, v4
	v_cndmask_b32_e32 v2, v2, v8, vcc
	v_cndmask_b32_e32 v4, v6, v7, vcc
	v_mov_b32_e32 v6, 0x3b800000
	v_and_b32_e32 v3, 0x80000000, v9
	v_lshlrev_b32_e32 v2, 20, v2
	v_lshl_add_u32 v4, v4, 23, v6
	v_or3_b32 v2, v3, v4, v2
.LBB2_13564:
	s_or_b64 exec, exec, s[6:7]
	s_movk_i32 s4, 0x7f
	v_cmp_gt_i16_sdwa s[6:7], v5, s4 src0_sel:BYTE_3 src1_sel:DWORD
	s_mov_b64 s[4:5], 0
                                        ; implicit-def: $sgpr10
	s_and_saveexec_b64 s[8:9], s[6:7]
	s_xor_b64 s[6:7], exec, s[8:9]
	s_cbranch_execz .LBB2_13565
; %bb.49405:
	s_getpc_b64 s[14:15]
.Lpost_getpc28286:
	s_add_u32 s14, s14, (.LBB2_27901-.Lpost_getpc28286)&4294967295
	s_addc_u32 s15, s15, (.LBB2_27901-.Lpost_getpc28286)>>32
	s_setpc_b64 s[14:15]
.LBB2_13565:
	s_or_saveexec_b64 s[6:7], s[6:7]
	v_mov_b32_e32 v3, s10
	s_xor_b64 exec, exec, s[6:7]
	s_cbranch_execz .LBB2_13566
; %bb.49407:
	s_getpc_b64 s[14:15]
.Lpost_getpc28287:
	s_add_u32 s14, s14, (.LBB2_27904-.Lpost_getpc28287)&4294967295
	s_addc_u32 s15, s15, (.LBB2_27904-.Lpost_getpc28287)>>32
	s_setpc_b64 s[14:15]
.LBB2_13566:
	s_or_b64 exec, exec, s[6:7]
	s_and_saveexec_b64 s[6:7], s[4:5]
	s_cbranch_execz .LBB2_13568
.LBB2_13567:
	v_bfe_u32 v3, v5, 24, 3
	v_ffbh_u32_e32 v8, v3
	v_min_u32_e32 v8, 32, v8
	v_lshrrev_b32_e32 v6, 27, v5
	v_subrev_u32_e32 v9, 28, v8
	v_and_b32_e32 v4, 0x80000000, v5
	v_and_b32_e32 v6, 15, v6
	v_bfe_u32 v7, v5, 27, 4
	v_lshlrev_b32_sdwa v5, v9, v5 dst_sel:DWORD dst_unused:UNUSED_PAD src0_sel:DWORD src1_sel:BYTE_3
	v_sub_u32_e32 v8, 29, v8
	v_and_b32_e32 v5, 7, v5
	v_cmp_eq_u16_e32 vcc, 0, v6
	v_cndmask_b32_e32 v3, v3, v5, vcc
	v_cndmask_b32_e32 v5, v7, v8, vcc
	v_mov_b32_e32 v6, 0x3b800000
	v_lshlrev_b32_e32 v3, 20, v3
	v_lshl_add_u32 v5, v5, 23, v6
	v_or3_b32 v3, v4, v5, v3
.LBB2_13568:
	s_or_b64 exec, exec, s[6:7]
	s_nop 0
	v_mfma_f32_16x16x4f32 a[0:3], v2, v3, a[0:3]
	s_movk_i32 s4, 0x7f
                                        ; implicit-def: $sgpr10
	s_nop 7
	s_nop 1
	flat_store_dwordx4 v[10:11], a[0:3] offset:784
	flat_load_dwordx4 v[12:15], v[0:1]
	s_nop 0
	flat_load_dwordx2 v[10:11], v[0:1] offset:16
	s_waitcnt vmcnt(0) lgkmcnt(0)
	flat_load_dwordx4 v[6:9], v[12:13] offset:208
	flat_load_dwordx4 v[2:5], v[14:15] offset:160
	s_waitcnt vmcnt(0) lgkmcnt(0)
	v_cmp_gt_i16_sdwa s[6:7], v6, s4 src0_sel:BYTE_0 src1_sel:DWORD
	s_mov_b64 s[4:5], 0
	s_and_saveexec_b64 s[8:9], s[6:7]
	s_xor_b64 s[6:7], exec, s[8:9]
	s_cbranch_execz .LBB2_13569
; %bb.49409:
	s_getpc_b64 s[14:15]
.Lpost_getpc28288:
	s_add_u32 s14, s14, (.LBB2_27905-.Lpost_getpc28288)&4294967295
	s_addc_u32 s15, s15, (.LBB2_27905-.Lpost_getpc28288)>>32
	s_setpc_b64 s[14:15]
.LBB2_13569:
	s_or_saveexec_b64 s[6:7], s[6:7]
	v_mov_b32_e32 v12, s10
	s_xor_b64 exec, exec, s[6:7]
	s_cbranch_execz .LBB2_13570
; %bb.49411:
	s_getpc_b64 s[14:15]
.Lpost_getpc28289:
	s_add_u32 s14, s14, (.LBB2_27908-.Lpost_getpc28289)&4294967295
	s_addc_u32 s15, s15, (.LBB2_27908-.Lpost_getpc28289)>>32
	s_setpc_b64 s[14:15]
.LBB2_13570:
	s_or_b64 exec, exec, s[6:7]
	s_and_saveexec_b64 s[6:7], s[4:5]
	s_cbranch_execz .LBB2_13572
.LBB2_13571:
	v_and_b32_e32 v12, 7, v6
	v_ffbh_u32_e32 v14, v12
	v_min_u32_e32 v14, 32, v14
	v_lshrrev_b16_e32 v13, 3, v6
	v_subrev_u32_e32 v15, 28, v14
	v_and_b32_e32 v13, 15, v13
	v_lshlrev_b32_e32 v15, v15, v6
	v_sub_u32_e32 v14, 29, v14
	v_and_b32_e32 v15, 7, v15
	v_cmp_eq_u16_e32 vcc, 0, v13
	v_cndmask_b32_e32 v12, v12, v15, vcc
	v_cndmask_b32_e32 v13, v13, v14, vcc
	v_lshlrev_b32_e32 v14, 24, v6
	v_mov_b32_e32 v15, 0x3b800000
	v_lshlrev_b32_e32 v12, 20, v12
	v_and_b32_e32 v14, 0x80000000, v14
	v_lshl_add_u32 v13, v13, 23, v15
	v_or3_b32 v12, v14, v13, v12
.LBB2_13572:
	s_or_b64 exec, exec, s[6:7]
	s_movk_i32 s4, 0x7f
	v_cmp_gt_i16_sdwa s[6:7], v2, s4 src0_sel:BYTE_0 src1_sel:DWORD
	s_mov_b64 s[4:5], 0
                                        ; implicit-def: $sgpr10
	s_and_saveexec_b64 s[8:9], s[6:7]
	s_xor_b64 s[6:7], exec, s[8:9]
	s_cbranch_execz .LBB2_13573
; %bb.49413:
	s_getpc_b64 s[14:15]
.Lpost_getpc28290:
	s_add_u32 s14, s14, (.LBB2_27909-.Lpost_getpc28290)&4294967295
	s_addc_u32 s15, s15, (.LBB2_27909-.Lpost_getpc28290)>>32
	s_setpc_b64 s[14:15]
.LBB2_13573:
	s_or_saveexec_b64 s[6:7], s[6:7]
	v_mov_b32_e32 v13, s10
	s_xor_b64 exec, exec, s[6:7]
	s_cbranch_execz .LBB2_13574
; %bb.49415:
	s_getpc_b64 s[14:15]
.Lpost_getpc28291:
	s_add_u32 s14, s14, (.LBB2_27912-.Lpost_getpc28291)&4294967295
	s_addc_u32 s15, s15, (.LBB2_27912-.Lpost_getpc28291)>>32
	s_setpc_b64 s[14:15]
.LBB2_13574:
	s_or_b64 exec, exec, s[6:7]
	s_and_saveexec_b64 s[6:7], s[4:5]
	s_cbranch_execz .LBB2_13576
.LBB2_13575:
	v_and_b32_e32 v13, 7, v2
	v_ffbh_u32_e32 v15, v13
	v_min_u32_e32 v15, 32, v15
	v_lshrrev_b16_e32 v14, 3, v2
	v_subrev_u32_e32 v16, 28, v15
	v_and_b32_e32 v14, 15, v14
	v_lshlrev_b32_e32 v16, v16, v2
	v_sub_u32_e32 v15, 29, v15
	v_and_b32_e32 v16, 7, v16
	v_cmp_eq_u16_e32 vcc, 0, v14
	v_cndmask_b32_e32 v13, v13, v16, vcc
	v_cndmask_b32_e32 v14, v14, v15, vcc
	v_lshlrev_b32_e32 v15, 24, v2
	v_mov_b32_e32 v16, 0x3b800000
	v_lshlrev_b32_e32 v13, 20, v13
	v_and_b32_e32 v15, 0x80000000, v15
	v_lshl_add_u32 v14, v14, 23, v16
	v_or3_b32 v13, v15, v14, v13
.LBB2_13576:
	s_or_b64 exec, exec, s[6:7]
	flat_load_dwordx4 a[0:3], v[10:11] offset:800
	s_movk_i32 s4, 0x7f
                                        ; implicit-def: $sgpr10
	s_waitcnt vmcnt(0) lgkmcnt(0)
	v_mfma_f32_16x16x4f32 a[0:3], v12, v13, a[0:3]
	v_lshrrev_b32_e32 v13, 8, v6
	v_cmp_gt_i16_sdwa s[6:7], v13, s4 src0_sel:BYTE_0 src1_sel:DWORD
	s_mov_b64 s[4:5], 0
	s_and_saveexec_b64 s[8:9], s[6:7]
	s_xor_b64 s[6:7], exec, s[8:9]
	s_cbranch_execz .LBB2_13577
; %bb.49417:
	s_getpc_b64 s[14:15]
.Lpost_getpc28292:
	s_add_u32 s14, s14, (.LBB2_27913-.Lpost_getpc28292)&4294967295
	s_addc_u32 s15, s15, (.LBB2_27913-.Lpost_getpc28292)>>32
	s_setpc_b64 s[14:15]
.LBB2_13577:
	s_or_saveexec_b64 s[6:7], s[6:7]
	v_mov_b32_e32 v12, s10
	s_xor_b64 exec, exec, s[6:7]
	s_cbranch_execz .LBB2_13578
; %bb.49419:
	s_getpc_b64 s[14:15]
.Lpost_getpc28293:
	s_add_u32 s14, s14, (.LBB2_27916-.Lpost_getpc28293)&4294967295
	s_addc_u32 s15, s15, (.LBB2_27916-.Lpost_getpc28293)>>32
	s_setpc_b64 s[14:15]
.LBB2_13578:
	s_or_b64 exec, exec, s[6:7]
	s_and_saveexec_b64 s[6:7], s[4:5]
	s_cbranch_execz .LBB2_13580
.LBB2_13579:
	v_bfe_u32 v12, v6, 8, 3
	v_ffbh_u32_e32 v15, v12
	v_min_u32_e32 v15, 32, v15
	v_lshrrev_b16_e32 v14, 3, v13
	v_subrev_u32_e32 v16, 28, v15
	v_and_b32_e32 v14, 15, v14
	v_lshlrev_b32_e32 v13, v16, v13
	v_sub_u32_e32 v15, 29, v15
	v_and_b32_e32 v13, 7, v13
	v_cmp_eq_u16_e32 vcc, 0, v14
	v_cndmask_b32_e32 v12, v12, v13, vcc
	v_cndmask_b32_e32 v13, v14, v15, vcc
	v_lshlrev_b32_e32 v14, 16, v6
	v_mov_b32_e32 v15, 0x3b800000
	v_lshlrev_b32_e32 v12, 20, v12
	v_and_b32_e32 v14, 0x80000000, v14
	v_lshl_add_u32 v13, v13, 23, v15
	v_or3_b32 v12, v14, v13, v12
.LBB2_13580:
	s_or_b64 exec, exec, s[6:7]
	v_lshrrev_b32_e32 v13, 8, v2
	s_movk_i32 s4, 0x7f
	v_cmp_gt_i16_sdwa s[6:7], v13, s4 src0_sel:BYTE_0 src1_sel:DWORD
	s_mov_b64 s[4:5], 0
                                        ; implicit-def: $sgpr10
	s_and_saveexec_b64 s[8:9], s[6:7]
	s_xor_b64 s[6:7], exec, s[8:9]
	s_cbranch_execz .LBB2_13581
; %bb.49421:
	s_getpc_b64 s[14:15]
.Lpost_getpc28294:
	s_add_u32 s14, s14, (.LBB2_27917-.Lpost_getpc28294)&4294967295
	s_addc_u32 s15, s15, (.LBB2_27917-.Lpost_getpc28294)>>32
	s_setpc_b64 s[14:15]
.LBB2_13581:
	s_or_saveexec_b64 s[6:7], s[6:7]
	v_mov_b32_e32 v14, s10
	s_xor_b64 exec, exec, s[6:7]
	s_cbranch_execz .LBB2_13582
; %bb.49423:
	s_getpc_b64 s[14:15]
.Lpost_getpc28295:
	s_add_u32 s14, s14, (.LBB2_27920-.Lpost_getpc28295)&4294967295
	s_addc_u32 s15, s15, (.LBB2_27920-.Lpost_getpc28295)>>32
	s_setpc_b64 s[14:15]
.LBB2_13582:
	s_or_b64 exec, exec, s[6:7]
	s_and_saveexec_b64 s[6:7], s[4:5]
	s_cbranch_execz .LBB2_13584
.LBB2_13583:
	v_bfe_u32 v14, v2, 8, 3
	v_ffbh_u32_e32 v16, v14
	v_min_u32_e32 v16, 32, v16
	v_lshrrev_b16_e32 v15, 3, v13
	v_subrev_u32_e32 v17, 28, v16
	v_and_b32_e32 v15, 15, v15
	v_lshlrev_b32_e32 v13, v17, v13
	v_sub_u32_e32 v16, 29, v16
	v_and_b32_e32 v13, 7, v13
	v_cmp_eq_u16_e32 vcc, 0, v15
	v_cndmask_b32_e32 v13, v14, v13, vcc
	v_cndmask_b32_e32 v14, v15, v16, vcc
	v_lshlrev_b32_e32 v15, 16, v2
	v_mov_b32_e32 v16, 0x3b800000
	v_lshlrev_b32_e32 v13, 20, v13
	v_and_b32_e32 v15, 0x80000000, v15
	v_lshl_add_u32 v14, v14, 23, v16
	v_or3_b32 v14, v15, v14, v13
.LBB2_13584:
	s_or_b64 exec, exec, s[6:7]
	s_nop 0
	v_mfma_f32_16x16x4f32 a[0:3], v12, v14, a[0:3]
	s_movk_i32 s4, 0xff
	v_and_b32_sdwa v13, v6, s4 dst_sel:DWORD dst_unused:UNUSED_PAD src0_sel:WORD_1 src1_sel:DWORD
	s_movk_i32 s4, 0x7f
	v_cmp_lt_i16_e32 vcc, s4, v13
	s_mov_b64 s[4:5], 0
                                        ; implicit-def: $sgpr10
	s_and_saveexec_b64 s[6:7], vcc
	s_xor_b64 s[6:7], exec, s[6:7]
	s_cbranch_execz .LBB2_13585
; %bb.49425:
	s_getpc_b64 s[14:15]
.Lpost_getpc28296:
	s_add_u32 s14, s14, (.LBB2_27921-.Lpost_getpc28296)&4294967295
	s_addc_u32 s15, s15, (.LBB2_27921-.Lpost_getpc28296)>>32
	s_setpc_b64 s[14:15]
.LBB2_13585:
	s_or_saveexec_b64 s[6:7], s[6:7]
	v_mov_b32_e32 v12, s10
	s_xor_b64 exec, exec, s[6:7]
	s_cbranch_execz .LBB2_13586
; %bb.49427:
	s_getpc_b64 s[14:15]
.Lpost_getpc28297:
	s_add_u32 s14, s14, (.LBB2_27924-.Lpost_getpc28297)&4294967295
	s_addc_u32 s15, s15, (.LBB2_27924-.Lpost_getpc28297)>>32
	s_setpc_b64 s[14:15]
.LBB2_13586:
	s_or_b64 exec, exec, s[6:7]
	s_and_saveexec_b64 s[6:7], s[4:5]
	s_cbranch_execz .LBB2_13588
.LBB2_13587:
	v_bfe_u32 v12, v6, 16, 3
	v_ffbh_u32_e32 v15, v12
	v_min_u32_e32 v15, 32, v15
	v_lshrrev_b32_e32 v13, 19, v6
	v_subrev_u32_e32 v16, 28, v15
	v_and_b32_e32 v13, 15, v13
	v_lshlrev_b32_sdwa v16, v16, v6 dst_sel:DWORD dst_unused:UNUSED_PAD src0_sel:DWORD src1_sel:WORD_1
	v_bfe_u32 v14, v6, 19, 4
	v_sub_u32_e32 v15, 29, v15
	v_and_b32_e32 v16, 7, v16
	v_cmp_eq_u16_e32 vcc, 0, v13
	v_cndmask_b32_e32 v12, v12, v16, vcc
	v_cndmask_b32_e32 v13, v14, v15, vcc
	v_lshlrev_b32_e32 v14, 8, v6
	v_mov_b32_e32 v15, 0x3b800000
	v_lshlrev_b32_e32 v12, 20, v12
	v_and_b32_e32 v14, 0x80000000, v14
	v_lshl_add_u32 v13, v13, 23, v15
	v_or3_b32 v12, v14, v13, v12
.LBB2_13588:
	s_or_b64 exec, exec, s[6:7]
	s_movk_i32 s4, 0xff
	v_and_b32_sdwa v13, v2, s4 dst_sel:DWORD dst_unused:UNUSED_PAD src0_sel:WORD_1 src1_sel:DWORD
	s_movk_i32 s4, 0x7f
	v_cmp_lt_i16_e32 vcc, s4, v13
	s_mov_b64 s[4:5], 0
                                        ; implicit-def: $sgpr10
	s_and_saveexec_b64 s[6:7], vcc
	s_xor_b64 s[6:7], exec, s[6:7]
	s_cbranch_execz .LBB2_13589
; %bb.49429:
	s_getpc_b64 s[14:15]
.Lpost_getpc28298:
	s_add_u32 s14, s14, (.LBB2_27925-.Lpost_getpc28298)&4294967295
	s_addc_u32 s15, s15, (.LBB2_27925-.Lpost_getpc28298)>>32
	s_setpc_b64 s[14:15]
.LBB2_13589:
	s_or_saveexec_b64 s[6:7], s[6:7]
	v_mov_b32_e32 v14, s10
	s_xor_b64 exec, exec, s[6:7]
	s_cbranch_execz .LBB2_13590
; %bb.49431:
	s_getpc_b64 s[14:15]
.Lpost_getpc28299:
	s_add_u32 s14, s14, (.LBB2_27928-.Lpost_getpc28299)&4294967295
	s_addc_u32 s15, s15, (.LBB2_27928-.Lpost_getpc28299)>>32
	s_setpc_b64 s[14:15]
.LBB2_13590:
	s_or_b64 exec, exec, s[6:7]
	s_and_saveexec_b64 s[6:7], s[4:5]
	s_cbranch_execz .LBB2_13592
.LBB2_13591:
	v_bfe_u32 v13, v2, 16, 3
	v_ffbh_u32_e32 v16, v13
	v_min_u32_e32 v16, 32, v16
	v_lshrrev_b32_e32 v14, 19, v2
	v_subrev_u32_e32 v17, 28, v16
	v_and_b32_e32 v14, 15, v14
	v_lshlrev_b32_sdwa v17, v17, v2 dst_sel:DWORD dst_unused:UNUSED_PAD src0_sel:DWORD src1_sel:WORD_1
	v_bfe_u32 v15, v2, 19, 4
	v_sub_u32_e32 v16, 29, v16
	v_and_b32_e32 v17, 7, v17
	v_cmp_eq_u16_e32 vcc, 0, v14
	v_cndmask_b32_e32 v13, v13, v17, vcc
	v_cndmask_b32_e32 v14, v15, v16, vcc
	v_lshlrev_b32_e32 v15, 8, v2
	v_mov_b32_e32 v16, 0x3b800000
	v_lshlrev_b32_e32 v13, 20, v13
	v_and_b32_e32 v15, 0x80000000, v15
	v_lshl_add_u32 v14, v14, 23, v16
	v_or3_b32 v14, v15, v14, v13
.LBB2_13592:
	s_or_b64 exec, exec, s[6:7]
	s_nop 0
	v_mfma_f32_16x16x4f32 a[0:3], v12, v14, a[0:3]
	s_movk_i32 s4, 0x7f
	v_cmp_gt_i16_sdwa s[6:7], v6, s4 src0_sel:BYTE_3 src1_sel:DWORD
	s_mov_b64 s[4:5], 0
                                        ; implicit-def: $sgpr10
	s_and_saveexec_b64 s[8:9], s[6:7]
	s_xor_b64 s[6:7], exec, s[8:9]
	s_cbranch_execz .LBB2_13593
; %bb.49433:
	s_getpc_b64 s[14:15]
.Lpost_getpc28300:
	s_add_u32 s14, s14, (.LBB2_27929-.Lpost_getpc28300)&4294967295
	s_addc_u32 s15, s15, (.LBB2_27929-.Lpost_getpc28300)>>32
	s_setpc_b64 s[14:15]
.LBB2_13593:
	s_or_saveexec_b64 s[6:7], s[6:7]
	v_mov_b32_e32 v12, s10
	s_xor_b64 exec, exec, s[6:7]
	s_cbranch_execz .LBB2_13594
; %bb.49435:
	s_getpc_b64 s[14:15]
.Lpost_getpc28301:
	s_add_u32 s14, s14, (.LBB2_27932-.Lpost_getpc28301)&4294967295
	s_addc_u32 s15, s15, (.LBB2_27932-.Lpost_getpc28301)>>32
	s_setpc_b64 s[14:15]
.LBB2_13594:
	s_or_b64 exec, exec, s[6:7]
	s_and_saveexec_b64 s[6:7], s[4:5]
	s_cbranch_execz .LBB2_13596
.LBB2_13595:
	v_bfe_u32 v12, v6, 24, 3
	v_ffbh_u32_e32 v16, v12
	v_min_u32_e32 v16, 32, v16
	v_lshrrev_b32_e32 v14, 27, v6
	v_subrev_u32_e32 v17, 28, v16
	v_and_b32_e32 v13, 0x80000000, v6
	v_and_b32_e32 v14, 15, v14
	v_bfe_u32 v15, v6, 27, 4
	v_lshlrev_b32_sdwa v6, v17, v6 dst_sel:DWORD dst_unused:UNUSED_PAD src0_sel:DWORD src1_sel:BYTE_3
	v_sub_u32_e32 v16, 29, v16
	v_and_b32_e32 v6, 7, v6
	v_cmp_eq_u16_e32 vcc, 0, v14
	v_cndmask_b32_e32 v6, v12, v6, vcc
	v_cndmask_b32_e32 v12, v15, v16, vcc
	v_mov_b32_e32 v14, 0x3b800000
	v_lshlrev_b32_e32 v6, 20, v6
	v_lshl_add_u32 v12, v12, 23, v14
	v_or3_b32 v12, v13, v12, v6
.LBB2_13596:
	s_or_b64 exec, exec, s[6:7]
	s_movk_i32 s4, 0x7f
	v_cmp_gt_i16_sdwa s[6:7], v2, s4 src0_sel:BYTE_3 src1_sel:DWORD
	s_mov_b64 s[4:5], 0
                                        ; implicit-def: $sgpr10
	s_and_saveexec_b64 s[8:9], s[6:7]
	s_xor_b64 s[6:7], exec, s[8:9]
	s_cbranch_execz .LBB2_13597
; %bb.49437:
	s_getpc_b64 s[14:15]
.Lpost_getpc28302:
	s_add_u32 s14, s14, (.LBB2_27933-.Lpost_getpc28302)&4294967295
	s_addc_u32 s15, s15, (.LBB2_27933-.Lpost_getpc28302)>>32
	s_setpc_b64 s[14:15]
.LBB2_13597:
	s_or_saveexec_b64 s[6:7], s[6:7]
	v_mov_b32_e32 v6, s10
	s_xor_b64 exec, exec, s[6:7]
	s_cbranch_execz .LBB2_13598
; %bb.49439:
	s_getpc_b64 s[14:15]
.Lpost_getpc28303:
	s_add_u32 s14, s14, (.LBB2_27936-.Lpost_getpc28303)&4294967295
	s_addc_u32 s15, s15, (.LBB2_27936-.Lpost_getpc28303)>>32
	s_setpc_b64 s[14:15]
.LBB2_13598:
	s_or_b64 exec, exec, s[6:7]
	s_and_saveexec_b64 s[6:7], s[4:5]
	s_cbranch_execz .LBB2_13600
.LBB2_13599:
	v_bfe_u32 v6, v2, 24, 3
	v_ffbh_u32_e32 v16, v6
	v_min_u32_e32 v16, 32, v16
	v_lshrrev_b32_e32 v14, 27, v2
	v_subrev_u32_e32 v17, 28, v16
	v_and_b32_e32 v13, 0x80000000, v2
	v_and_b32_e32 v14, 15, v14
	v_bfe_u32 v15, v2, 27, 4
	v_lshlrev_b32_sdwa v2, v17, v2 dst_sel:DWORD dst_unused:UNUSED_PAD src0_sel:DWORD src1_sel:BYTE_3
	v_sub_u32_e32 v16, 29, v16
	v_and_b32_e32 v2, 7, v2
	v_cmp_eq_u16_e32 vcc, 0, v14
	v_cndmask_b32_e32 v2, v6, v2, vcc
	v_cndmask_b32_e32 v6, v15, v16, vcc
	v_mov_b32_e32 v14, 0x3b800000
	v_lshlrev_b32_e32 v2, 20, v2
	v_lshl_add_u32 v6, v6, 23, v14
	v_or3_b32 v6, v13, v6, v2
.LBB2_13600:
	s_or_b64 exec, exec, s[6:7]
	s_nop 0
	v_mfma_f32_16x16x4f32 a[0:3], v12, v6, a[0:3]
	s_movk_i32 s4, 0x7f
	v_cmp_gt_i16_sdwa s[6:7], v7, s4 src0_sel:BYTE_0 src1_sel:DWORD
	s_mov_b64 s[4:5], 0
                                        ; implicit-def: $sgpr10
	s_and_saveexec_b64 s[8:9], s[6:7]
	s_xor_b64 s[6:7], exec, s[8:9]
	s_cbranch_execz .LBB2_13601
; %bb.49441:
	s_getpc_b64 s[14:15]
.Lpost_getpc28304:
	s_add_u32 s14, s14, (.LBB2_27937-.Lpost_getpc28304)&4294967295
	s_addc_u32 s15, s15, (.LBB2_27937-.Lpost_getpc28304)>>32
	s_setpc_b64 s[14:15]
.LBB2_13601:
	s_or_saveexec_b64 s[6:7], s[6:7]
	v_mov_b32_e32 v2, s10
	s_xor_b64 exec, exec, s[6:7]
	s_cbranch_execz .LBB2_13602
; %bb.49443:
	s_getpc_b64 s[14:15]
.Lpost_getpc28305:
	s_add_u32 s14, s14, (.LBB2_27940-.Lpost_getpc28305)&4294967295
	s_addc_u32 s15, s15, (.LBB2_27940-.Lpost_getpc28305)>>32
	s_setpc_b64 s[14:15]
.LBB2_13602:
	s_or_b64 exec, exec, s[6:7]
	s_and_saveexec_b64 s[6:7], s[4:5]
	s_cbranch_execz .LBB2_13604
.LBB2_13603:
	v_and_b32_e32 v2, 7, v7
	v_ffbh_u32_e32 v12, v2
	v_min_u32_e32 v12, 32, v12
	v_lshrrev_b16_e32 v6, 3, v7
	v_subrev_u32_e32 v13, 28, v12
	v_and_b32_e32 v6, 15, v6
	v_lshlrev_b32_e32 v13, v13, v7
	v_sub_u32_e32 v12, 29, v12
	v_and_b32_e32 v13, 7, v13
	v_cmp_eq_u16_e32 vcc, 0, v6
	v_cndmask_b32_e32 v2, v2, v13, vcc
	v_cndmask_b32_e32 v6, v6, v12, vcc
	v_lshlrev_b32_e32 v12, 24, v7
	v_mov_b32_e32 v13, 0x3b800000
	v_lshlrev_b32_e32 v2, 20, v2
	v_and_b32_e32 v12, 0x80000000, v12
	v_lshl_add_u32 v6, v6, 23, v13
	v_or3_b32 v2, v12, v6, v2
.LBB2_13604:
	s_or_b64 exec, exec, s[6:7]
	s_movk_i32 s4, 0x7f
	v_cmp_gt_i16_sdwa s[6:7], v3, s4 src0_sel:BYTE_0 src1_sel:DWORD
	s_mov_b64 s[4:5], 0
                                        ; implicit-def: $sgpr10
	s_and_saveexec_b64 s[8:9], s[6:7]
	s_xor_b64 s[6:7], exec, s[8:9]
	s_cbranch_execz .LBB2_13605
; %bb.49445:
	s_getpc_b64 s[14:15]
.Lpost_getpc28306:
	s_add_u32 s14, s14, (.LBB2_27941-.Lpost_getpc28306)&4294967295
	s_addc_u32 s15, s15, (.LBB2_27941-.Lpost_getpc28306)>>32
	s_setpc_b64 s[14:15]
.LBB2_13605:
	s_or_saveexec_b64 s[6:7], s[6:7]
	v_mov_b32_e32 v6, s10
	s_xor_b64 exec, exec, s[6:7]
	s_cbranch_execz .LBB2_13606
; %bb.49447:
	s_getpc_b64 s[14:15]
.Lpost_getpc28307:
	s_add_u32 s14, s14, (.LBB2_27944-.Lpost_getpc28307)&4294967295
	s_addc_u32 s15, s15, (.LBB2_27944-.Lpost_getpc28307)>>32
	s_setpc_b64 s[14:15]
.LBB2_13606:
	s_or_b64 exec, exec, s[6:7]
	s_and_saveexec_b64 s[6:7], s[4:5]
	s_cbranch_execz .LBB2_13608
.LBB2_13607:
	v_and_b32_e32 v6, 7, v3
	v_ffbh_u32_e32 v13, v6
	v_min_u32_e32 v13, 32, v13
	v_lshrrev_b16_e32 v12, 3, v3
	v_subrev_u32_e32 v14, 28, v13
	v_and_b32_e32 v12, 15, v12
	v_lshlrev_b32_e32 v14, v14, v3
	v_sub_u32_e32 v13, 29, v13
	v_and_b32_e32 v14, 7, v14
	v_cmp_eq_u16_e32 vcc, 0, v12
	v_cndmask_b32_e32 v6, v6, v14, vcc
	v_cndmask_b32_e32 v12, v12, v13, vcc
	v_lshlrev_b32_e32 v13, 24, v3
	v_mov_b32_e32 v14, 0x3b800000
	v_lshlrev_b32_e32 v6, 20, v6
	v_and_b32_e32 v13, 0x80000000, v13
	v_lshl_add_u32 v12, v12, 23, v14
	v_or3_b32 v6, v13, v12, v6
.LBB2_13608:
	s_or_b64 exec, exec, s[6:7]
	s_nop 0
	v_mfma_f32_16x16x4f32 a[0:3], v2, v6, a[0:3]
	v_lshrrev_b32_e32 v6, 8, v7
	s_movk_i32 s4, 0x7f
	v_cmp_gt_i16_sdwa s[6:7], v6, s4 src0_sel:BYTE_0 src1_sel:DWORD
	s_mov_b64 s[4:5], 0
                                        ; implicit-def: $sgpr10
	s_and_saveexec_b64 s[8:9], s[6:7]
	s_xor_b64 s[6:7], exec, s[8:9]
	s_cbranch_execz .LBB2_13609
; %bb.49449:
	s_getpc_b64 s[14:15]
.Lpost_getpc28308:
	s_add_u32 s14, s14, (.LBB2_27945-.Lpost_getpc28308)&4294967295
	s_addc_u32 s15, s15, (.LBB2_27945-.Lpost_getpc28308)>>32
	s_setpc_b64 s[14:15]
.LBB2_13609:
	s_or_saveexec_b64 s[6:7], s[6:7]
	v_mov_b32_e32 v2, s10
	s_xor_b64 exec, exec, s[6:7]
	s_cbranch_execz .LBB2_13610
; %bb.49451:
	s_getpc_b64 s[14:15]
.Lpost_getpc28309:
	s_add_u32 s14, s14, (.LBB2_27948-.Lpost_getpc28309)&4294967295
	s_addc_u32 s15, s15, (.LBB2_27948-.Lpost_getpc28309)>>32
	s_setpc_b64 s[14:15]
.LBB2_13610:
	s_or_b64 exec, exec, s[6:7]
	s_and_saveexec_b64 s[6:7], s[4:5]
	s_cbranch_execz .LBB2_13612
.LBB2_13611:
	v_bfe_u32 v2, v7, 8, 3
	v_ffbh_u32_e32 v13, v2
	v_min_u32_e32 v13, 32, v13
	v_lshrrev_b16_e32 v12, 3, v6
	v_subrev_u32_e32 v14, 28, v13
	v_and_b32_e32 v12, 15, v12
	v_lshlrev_b32_e32 v6, v14, v6
	v_sub_u32_e32 v13, 29, v13
	v_and_b32_e32 v6, 7, v6
	v_cmp_eq_u16_e32 vcc, 0, v12
	v_cndmask_b32_e32 v2, v2, v6, vcc
	v_cndmask_b32_e32 v6, v12, v13, vcc
	v_lshlrev_b32_e32 v12, 16, v7
	v_mov_b32_e32 v13, 0x3b800000
	v_lshlrev_b32_e32 v2, 20, v2
	v_and_b32_e32 v12, 0x80000000, v12
	v_lshl_add_u32 v6, v6, 23, v13
	v_or3_b32 v2, v12, v6, v2
.LBB2_13612:
	s_or_b64 exec, exec, s[6:7]
	v_lshrrev_b32_e32 v6, 8, v3
	s_movk_i32 s4, 0x7f
	v_cmp_gt_i16_sdwa s[6:7], v6, s4 src0_sel:BYTE_0 src1_sel:DWORD
	s_mov_b64 s[4:5], 0
                                        ; implicit-def: $sgpr10
	s_and_saveexec_b64 s[8:9], s[6:7]
	s_xor_b64 s[6:7], exec, s[8:9]
	s_cbranch_execz .LBB2_13613
; %bb.49453:
	s_getpc_b64 s[14:15]
.Lpost_getpc28310:
	s_add_u32 s14, s14, (.LBB2_27949-.Lpost_getpc28310)&4294967295
	s_addc_u32 s15, s15, (.LBB2_27949-.Lpost_getpc28310)>>32
	s_setpc_b64 s[14:15]
.LBB2_13613:
	s_or_saveexec_b64 s[6:7], s[6:7]
	v_mov_b32_e32 v12, s10
	s_xor_b64 exec, exec, s[6:7]
	s_cbranch_execz .LBB2_13614
; %bb.49455:
	s_getpc_b64 s[14:15]
.Lpost_getpc28311:
	s_add_u32 s14, s14, (.LBB2_27952-.Lpost_getpc28311)&4294967295
	s_addc_u32 s15, s15, (.LBB2_27952-.Lpost_getpc28311)>>32
	s_setpc_b64 s[14:15]
.LBB2_13614:
	s_or_b64 exec, exec, s[6:7]
	s_and_saveexec_b64 s[6:7], s[4:5]
	s_cbranch_execz .LBB2_13616
.LBB2_13615:
	v_bfe_u32 v12, v3, 8, 3
	v_ffbh_u32_e32 v14, v12
	v_min_u32_e32 v14, 32, v14
	v_lshrrev_b16_e32 v13, 3, v6
	v_subrev_u32_e32 v15, 28, v14
	v_and_b32_e32 v13, 15, v13
	v_lshlrev_b32_e32 v6, v15, v6
	v_sub_u32_e32 v14, 29, v14
	v_and_b32_e32 v6, 7, v6
	v_cmp_eq_u16_e32 vcc, 0, v13
	v_cndmask_b32_e32 v6, v12, v6, vcc
	v_cndmask_b32_e32 v12, v13, v14, vcc
	v_lshlrev_b32_e32 v13, 16, v3
	v_mov_b32_e32 v14, 0x3b800000
	v_lshlrev_b32_e32 v6, 20, v6
	v_and_b32_e32 v13, 0x80000000, v13
	v_lshl_add_u32 v12, v12, 23, v14
	v_or3_b32 v12, v13, v12, v6
.LBB2_13616:
	s_or_b64 exec, exec, s[6:7]
	s_nop 0
	v_mfma_f32_16x16x4f32 a[0:3], v2, v12, a[0:3]
	s_movk_i32 s4, 0xff
	v_and_b32_sdwa v6, v7, s4 dst_sel:DWORD dst_unused:UNUSED_PAD src0_sel:WORD_1 src1_sel:DWORD
	s_movk_i32 s4, 0x7f
	v_cmp_lt_i16_e32 vcc, s4, v6
	s_mov_b64 s[4:5], 0
                                        ; implicit-def: $sgpr10
	s_and_saveexec_b64 s[6:7], vcc
	s_xor_b64 s[6:7], exec, s[6:7]
	s_cbranch_execz .LBB2_13617
; %bb.49457:
	s_getpc_b64 s[14:15]
.Lpost_getpc28312:
	s_add_u32 s14, s14, (.LBB2_27953-.Lpost_getpc28312)&4294967295
	s_addc_u32 s15, s15, (.LBB2_27953-.Lpost_getpc28312)>>32
	s_setpc_b64 s[14:15]
.LBB2_13617:
	s_or_saveexec_b64 s[6:7], s[6:7]
	v_mov_b32_e32 v2, s10
	s_xor_b64 exec, exec, s[6:7]
	s_cbranch_execz .LBB2_13618
; %bb.49459:
	s_getpc_b64 s[14:15]
.Lpost_getpc28313:
	s_add_u32 s14, s14, (.LBB2_27956-.Lpost_getpc28313)&4294967295
	s_addc_u32 s15, s15, (.LBB2_27956-.Lpost_getpc28313)>>32
	s_setpc_b64 s[14:15]
.LBB2_13618:
	s_or_b64 exec, exec, s[6:7]
	s_and_saveexec_b64 s[6:7], s[4:5]
	s_cbranch_execz .LBB2_13620
.LBB2_13619:
	v_bfe_u32 v2, v7, 16, 3
	v_ffbh_u32_e32 v13, v2
	v_min_u32_e32 v13, 32, v13
	v_lshrrev_b32_e32 v6, 19, v7
	v_subrev_u32_e32 v14, 28, v13
	v_and_b32_e32 v6, 15, v6
	v_lshlrev_b32_sdwa v14, v14, v7 dst_sel:DWORD dst_unused:UNUSED_PAD src0_sel:DWORD src1_sel:WORD_1
	v_bfe_u32 v12, v7, 19, 4
	v_sub_u32_e32 v13, 29, v13
	v_and_b32_e32 v14, 7, v14
	v_cmp_eq_u16_e32 vcc, 0, v6
	v_cndmask_b32_e32 v2, v2, v14, vcc
	v_cndmask_b32_e32 v6, v12, v13, vcc
	v_lshlrev_b32_e32 v12, 8, v7
	v_mov_b32_e32 v13, 0x3b800000
	v_lshlrev_b32_e32 v2, 20, v2
	v_and_b32_e32 v12, 0x80000000, v12
	v_lshl_add_u32 v6, v6, 23, v13
	v_or3_b32 v2, v12, v6, v2
.LBB2_13620:
	s_or_b64 exec, exec, s[6:7]
	s_movk_i32 s4, 0xff
	v_and_b32_sdwa v6, v3, s4 dst_sel:DWORD dst_unused:UNUSED_PAD src0_sel:WORD_1 src1_sel:DWORD
	s_movk_i32 s4, 0x7f
	v_cmp_lt_i16_e32 vcc, s4, v6
	s_mov_b64 s[4:5], 0
                                        ; implicit-def: $sgpr10
	s_and_saveexec_b64 s[6:7], vcc
	s_xor_b64 s[6:7], exec, s[6:7]
	s_cbranch_execz .LBB2_13621
; %bb.49461:
	s_getpc_b64 s[14:15]
.Lpost_getpc28314:
	s_add_u32 s14, s14, (.LBB2_27957-.Lpost_getpc28314)&4294967295
	s_addc_u32 s15, s15, (.LBB2_27957-.Lpost_getpc28314)>>32
	s_setpc_b64 s[14:15]
.LBB2_13621:
	s_or_saveexec_b64 s[6:7], s[6:7]
	v_mov_b32_e32 v12, s10
	s_xor_b64 exec, exec, s[6:7]
	s_cbranch_execz .LBB2_13622
; %bb.49463:
	s_getpc_b64 s[14:15]
.Lpost_getpc28315:
	s_add_u32 s14, s14, (.LBB2_27960-.Lpost_getpc28315)&4294967295
	s_addc_u32 s15, s15, (.LBB2_27960-.Lpost_getpc28315)>>32
	s_setpc_b64 s[14:15]
.LBB2_13622:
	s_or_b64 exec, exec, s[6:7]
	s_and_saveexec_b64 s[6:7], s[4:5]
	s_cbranch_execz .LBB2_13624
.LBB2_13623:
	v_bfe_u32 v6, v3, 16, 3
	v_ffbh_u32_e32 v14, v6
	v_min_u32_e32 v14, 32, v14
	v_lshrrev_b32_e32 v12, 19, v3
	v_subrev_u32_e32 v15, 28, v14
	v_and_b32_e32 v12, 15, v12
	v_lshlrev_b32_sdwa v15, v15, v3 dst_sel:DWORD dst_unused:UNUSED_PAD src0_sel:DWORD src1_sel:WORD_1
	v_bfe_u32 v13, v3, 19, 4
	v_sub_u32_e32 v14, 29, v14
	v_and_b32_e32 v15, 7, v15
	v_cmp_eq_u16_e32 vcc, 0, v12
	v_cndmask_b32_e32 v6, v6, v15, vcc
	v_cndmask_b32_e32 v12, v13, v14, vcc
	v_lshlrev_b32_e32 v13, 8, v3
	v_mov_b32_e32 v14, 0x3b800000
	v_lshlrev_b32_e32 v6, 20, v6
	v_and_b32_e32 v13, 0x80000000, v13
	v_lshl_add_u32 v12, v12, 23, v14
	v_or3_b32 v12, v13, v12, v6
.LBB2_13624:
	s_or_b64 exec, exec, s[6:7]
	s_nop 0
	v_mfma_f32_16x16x4f32 a[0:3], v2, v12, a[0:3]
	s_movk_i32 s4, 0x7f
	v_cmp_gt_i16_sdwa s[6:7], v7, s4 src0_sel:BYTE_3 src1_sel:DWORD
	s_mov_b64 s[4:5], 0
                                        ; implicit-def: $sgpr10
	s_and_saveexec_b64 s[8:9], s[6:7]
	s_xor_b64 s[6:7], exec, s[8:9]
	s_cbranch_execz .LBB2_13625
; %bb.49465:
	s_getpc_b64 s[14:15]
.Lpost_getpc28316:
	s_add_u32 s14, s14, (.LBB2_27961-.Lpost_getpc28316)&4294967295
	s_addc_u32 s15, s15, (.LBB2_27961-.Lpost_getpc28316)>>32
	s_setpc_b64 s[14:15]
.LBB2_13625:
	s_or_saveexec_b64 s[6:7], s[6:7]
	v_mov_b32_e32 v2, s10
	s_xor_b64 exec, exec, s[6:7]
	s_cbranch_execz .LBB2_13626
; %bb.49467:
	s_getpc_b64 s[14:15]
.Lpost_getpc28317:
	s_add_u32 s14, s14, (.LBB2_27964-.Lpost_getpc28317)&4294967295
	s_addc_u32 s15, s15, (.LBB2_27964-.Lpost_getpc28317)>>32
	s_setpc_b64 s[14:15]
.LBB2_13626:
	s_or_b64 exec, exec, s[6:7]
	s_and_saveexec_b64 s[6:7], s[4:5]
	s_cbranch_execz .LBB2_13628
.LBB2_13627:
	v_bfe_u32 v2, v7, 24, 3
	v_ffbh_u32_e32 v14, v2
	v_min_u32_e32 v14, 32, v14
	v_lshrrev_b32_e32 v12, 27, v7
	v_subrev_u32_e32 v15, 28, v14
	v_and_b32_e32 v6, 0x80000000, v7
	v_and_b32_e32 v12, 15, v12
	v_bfe_u32 v13, v7, 27, 4
	v_lshlrev_b32_sdwa v7, v15, v7 dst_sel:DWORD dst_unused:UNUSED_PAD src0_sel:DWORD src1_sel:BYTE_3
	v_sub_u32_e32 v14, 29, v14
	v_and_b32_e32 v7, 7, v7
	v_cmp_eq_u16_e32 vcc, 0, v12
	v_cndmask_b32_e32 v2, v2, v7, vcc
	v_cndmask_b32_e32 v7, v13, v14, vcc
	v_mov_b32_e32 v12, 0x3b800000
	v_lshlrev_b32_e32 v2, 20, v2
	v_lshl_add_u32 v7, v7, 23, v12
	v_or3_b32 v2, v6, v7, v2
.LBB2_13628:
	s_or_b64 exec, exec, s[6:7]
	s_movk_i32 s4, 0x7f
	v_cmp_gt_i16_sdwa s[6:7], v3, s4 src0_sel:BYTE_3 src1_sel:DWORD
	s_mov_b64 s[4:5], 0
                                        ; implicit-def: $sgpr10
	s_and_saveexec_b64 s[8:9], s[6:7]
	s_xor_b64 s[6:7], exec, s[8:9]
	s_cbranch_execz .LBB2_13629
; %bb.49469:
	s_getpc_b64 s[14:15]
.Lpost_getpc28318:
	s_add_u32 s14, s14, (.LBB2_27965-.Lpost_getpc28318)&4294967295
	s_addc_u32 s15, s15, (.LBB2_27965-.Lpost_getpc28318)>>32
	s_setpc_b64 s[14:15]
.LBB2_13629:
	s_or_saveexec_b64 s[6:7], s[6:7]
	v_mov_b32_e32 v6, s10
	s_xor_b64 exec, exec, s[6:7]
	s_cbranch_execz .LBB2_13630
; %bb.49471:
	s_getpc_b64 s[14:15]
.Lpost_getpc28319:
	s_add_u32 s14, s14, (.LBB2_27968-.Lpost_getpc28319)&4294967295
	s_addc_u32 s15, s15, (.LBB2_27968-.Lpost_getpc28319)>>32
	s_setpc_b64 s[14:15]
.LBB2_13630:
	s_or_b64 exec, exec, s[6:7]
	s_and_saveexec_b64 s[6:7], s[4:5]
	s_cbranch_execz .LBB2_13632
.LBB2_13631:
	v_bfe_u32 v6, v3, 24, 3
	v_ffbh_u32_e32 v14, v6
	v_min_u32_e32 v14, 32, v14
	v_lshrrev_b32_e32 v12, 27, v3
	v_subrev_u32_e32 v15, 28, v14
	v_and_b32_e32 v7, 0x80000000, v3
	v_and_b32_e32 v12, 15, v12
	v_bfe_u32 v13, v3, 27, 4
	v_lshlrev_b32_sdwa v3, v15, v3 dst_sel:DWORD dst_unused:UNUSED_PAD src0_sel:DWORD src1_sel:BYTE_3
	v_sub_u32_e32 v14, 29, v14
	v_and_b32_e32 v3, 7, v3
	v_cmp_eq_u16_e32 vcc, 0, v12
	v_cndmask_b32_e32 v3, v6, v3, vcc
	v_cndmask_b32_e32 v6, v13, v14, vcc
	v_mov_b32_e32 v12, 0x3b800000
	v_lshlrev_b32_e32 v3, 20, v3
	v_lshl_add_u32 v6, v6, 23, v12
	v_or3_b32 v6, v7, v6, v3
.LBB2_13632:
	s_or_b64 exec, exec, s[6:7]
	s_nop 0
	v_mfma_f32_16x16x4f32 a[0:3], v2, v6, a[0:3]
	s_movk_i32 s4, 0x7f
	v_cmp_gt_i16_sdwa s[6:7], v8, s4 src0_sel:BYTE_0 src1_sel:DWORD
	s_mov_b64 s[4:5], 0
                                        ; implicit-def: $sgpr10
	s_and_saveexec_b64 s[8:9], s[6:7]
	s_xor_b64 s[6:7], exec, s[8:9]
	s_cbranch_execz .LBB2_13633
; %bb.49473:
	s_getpc_b64 s[14:15]
.Lpost_getpc28320:
	s_add_u32 s14, s14, (.LBB2_27969-.Lpost_getpc28320)&4294967295
	s_addc_u32 s15, s15, (.LBB2_27969-.Lpost_getpc28320)>>32
	s_setpc_b64 s[14:15]
.LBB2_13633:
	s_or_saveexec_b64 s[6:7], s[6:7]
	v_mov_b32_e32 v2, s10
	s_xor_b64 exec, exec, s[6:7]
	s_cbranch_execz .LBB2_13634
; %bb.49475:
	s_getpc_b64 s[14:15]
.Lpost_getpc28321:
	s_add_u32 s14, s14, (.LBB2_27972-.Lpost_getpc28321)&4294967295
	s_addc_u32 s15, s15, (.LBB2_27972-.Lpost_getpc28321)>>32
	s_setpc_b64 s[14:15]
.LBB2_13634:
	s_or_b64 exec, exec, s[6:7]
	s_and_saveexec_b64 s[6:7], s[4:5]
	s_cbranch_execz .LBB2_13636
.LBB2_13635:
	v_and_b32_e32 v2, 7, v8
	v_ffbh_u32_e32 v6, v2
	v_min_u32_e32 v6, 32, v6
	v_lshrrev_b16_e32 v3, 3, v8
	v_subrev_u32_e32 v7, 28, v6
	v_and_b32_e32 v3, 15, v3
	v_lshlrev_b32_e32 v7, v7, v8
	v_sub_u32_e32 v6, 29, v6
	v_and_b32_e32 v7, 7, v7
	v_cmp_eq_u16_e32 vcc, 0, v3
	v_cndmask_b32_e32 v2, v2, v7, vcc
	v_cndmask_b32_e32 v3, v3, v6, vcc
	v_lshlrev_b32_e32 v6, 24, v8
	v_mov_b32_e32 v7, 0x3b800000
	v_lshlrev_b32_e32 v2, 20, v2
	v_and_b32_e32 v6, 0x80000000, v6
	v_lshl_add_u32 v3, v3, 23, v7
	v_or3_b32 v2, v6, v3, v2
.LBB2_13636:
	s_or_b64 exec, exec, s[6:7]
	s_movk_i32 s4, 0x7f
	v_cmp_gt_i16_sdwa s[6:7], v4, s4 src0_sel:BYTE_0 src1_sel:DWORD
	s_mov_b64 s[4:5], 0
                                        ; implicit-def: $sgpr10
	s_and_saveexec_b64 s[8:9], s[6:7]
	s_xor_b64 s[6:7], exec, s[8:9]
	s_cbranch_execz .LBB2_13637
; %bb.49477:
	s_getpc_b64 s[14:15]
.Lpost_getpc28322:
	s_add_u32 s14, s14, (.LBB2_27973-.Lpost_getpc28322)&4294967295
	s_addc_u32 s15, s15, (.LBB2_27973-.Lpost_getpc28322)>>32
	s_setpc_b64 s[14:15]
.LBB2_13637:
	s_or_saveexec_b64 s[6:7], s[6:7]
	v_mov_b32_e32 v3, s10
	s_xor_b64 exec, exec, s[6:7]
	s_cbranch_execz .LBB2_13638
; %bb.49479:
	s_getpc_b64 s[14:15]
.Lpost_getpc28323:
	s_add_u32 s14, s14, (.LBB2_27976-.Lpost_getpc28323)&4294967295
	s_addc_u32 s15, s15, (.LBB2_27976-.Lpost_getpc28323)>>32
	s_setpc_b64 s[14:15]
.LBB2_13638:
	s_or_b64 exec, exec, s[6:7]
	s_and_saveexec_b64 s[6:7], s[4:5]
	s_cbranch_execz .LBB2_13640
.LBB2_13639:
	v_and_b32_e32 v3, 7, v4
	v_ffbh_u32_e32 v7, v3
	v_min_u32_e32 v7, 32, v7
	v_lshrrev_b16_e32 v6, 3, v4
	v_subrev_u32_e32 v12, 28, v7
	v_and_b32_e32 v6, 15, v6
	v_lshlrev_b32_e32 v12, v12, v4
	v_sub_u32_e32 v7, 29, v7
	v_and_b32_e32 v12, 7, v12
	v_cmp_eq_u16_e32 vcc, 0, v6
	v_cndmask_b32_e32 v3, v3, v12, vcc
	v_cndmask_b32_e32 v6, v6, v7, vcc
	v_lshlrev_b32_e32 v7, 24, v4
	v_mov_b32_e32 v12, 0x3b800000
	v_lshlrev_b32_e32 v3, 20, v3
	v_and_b32_e32 v7, 0x80000000, v7
	v_lshl_add_u32 v6, v6, 23, v12
	v_or3_b32 v3, v7, v6, v3
.LBB2_13640:
	s_or_b64 exec, exec, s[6:7]
	s_nop 0
	v_mfma_f32_16x16x4f32 a[0:3], v2, v3, a[0:3]
	v_lshrrev_b32_e32 v3, 8, v8
	s_movk_i32 s4, 0x7f
	v_cmp_gt_i16_sdwa s[6:7], v3, s4 src0_sel:BYTE_0 src1_sel:DWORD
	s_mov_b64 s[4:5], 0
                                        ; implicit-def: $sgpr10
	s_and_saveexec_b64 s[8:9], s[6:7]
	s_xor_b64 s[6:7], exec, s[8:9]
	s_cbranch_execz .LBB2_13641
; %bb.49481:
	s_getpc_b64 s[14:15]
.Lpost_getpc28324:
	s_add_u32 s14, s14, (.LBB2_27977-.Lpost_getpc28324)&4294967295
	s_addc_u32 s15, s15, (.LBB2_27977-.Lpost_getpc28324)>>32
	s_setpc_b64 s[14:15]
.LBB2_13641:
	s_or_saveexec_b64 s[6:7], s[6:7]
	v_mov_b32_e32 v2, s10
	s_xor_b64 exec, exec, s[6:7]
	s_cbranch_execz .LBB2_13642
; %bb.49483:
	s_getpc_b64 s[14:15]
.Lpost_getpc28325:
	s_add_u32 s14, s14, (.LBB2_27980-.Lpost_getpc28325)&4294967295
	s_addc_u32 s15, s15, (.LBB2_27980-.Lpost_getpc28325)>>32
	s_setpc_b64 s[14:15]
.LBB2_13642:
	s_or_b64 exec, exec, s[6:7]
	s_and_saveexec_b64 s[6:7], s[4:5]
	s_cbranch_execz .LBB2_13644
.LBB2_13643:
	v_bfe_u32 v2, v8, 8, 3
	v_ffbh_u32_e32 v7, v2
	v_min_u32_e32 v7, 32, v7
	v_lshrrev_b16_e32 v6, 3, v3
	v_subrev_u32_e32 v12, 28, v7
	v_and_b32_e32 v6, 15, v6
	v_lshlrev_b32_e32 v3, v12, v3
	v_sub_u32_e32 v7, 29, v7
	v_and_b32_e32 v3, 7, v3
	v_cmp_eq_u16_e32 vcc, 0, v6
	v_cndmask_b32_e32 v2, v2, v3, vcc
	v_cndmask_b32_e32 v3, v6, v7, vcc
	v_lshlrev_b32_e32 v6, 16, v8
	v_mov_b32_e32 v7, 0x3b800000
	v_lshlrev_b32_e32 v2, 20, v2
	v_and_b32_e32 v6, 0x80000000, v6
	v_lshl_add_u32 v3, v3, 23, v7
	v_or3_b32 v2, v6, v3, v2
.LBB2_13644:
	s_or_b64 exec, exec, s[6:7]
	v_lshrrev_b32_e32 v3, 8, v4
	s_movk_i32 s4, 0x7f
	v_cmp_gt_i16_sdwa s[6:7], v3, s4 src0_sel:BYTE_0 src1_sel:DWORD
	s_mov_b64 s[4:5], 0
                                        ; implicit-def: $sgpr10
	s_and_saveexec_b64 s[8:9], s[6:7]
	s_xor_b64 s[6:7], exec, s[8:9]
	s_cbranch_execz .LBB2_13645
; %bb.49485:
	s_getpc_b64 s[14:15]
.Lpost_getpc28326:
	s_add_u32 s14, s14, (.LBB2_27981-.Lpost_getpc28326)&4294967295
	s_addc_u32 s15, s15, (.LBB2_27981-.Lpost_getpc28326)>>32
	s_setpc_b64 s[14:15]
.LBB2_13645:
	s_or_saveexec_b64 s[6:7], s[6:7]
	v_mov_b32_e32 v6, s10
	s_xor_b64 exec, exec, s[6:7]
	s_cbranch_execz .LBB2_13646
; %bb.49487:
	s_getpc_b64 s[14:15]
.Lpost_getpc28327:
	s_add_u32 s14, s14, (.LBB2_27984-.Lpost_getpc28327)&4294967295
	s_addc_u32 s15, s15, (.LBB2_27984-.Lpost_getpc28327)>>32
	s_setpc_b64 s[14:15]
.LBB2_13646:
	s_or_b64 exec, exec, s[6:7]
	s_and_saveexec_b64 s[6:7], s[4:5]
	s_cbranch_execz .LBB2_13648
.LBB2_13647:
	v_bfe_u32 v6, v4, 8, 3
	v_ffbh_u32_e32 v12, v6
	v_min_u32_e32 v12, 32, v12
	v_lshrrev_b16_e32 v7, 3, v3
	v_subrev_u32_e32 v13, 28, v12
	v_and_b32_e32 v7, 15, v7
	v_lshlrev_b32_e32 v3, v13, v3
	v_sub_u32_e32 v12, 29, v12
	v_and_b32_e32 v3, 7, v3
	v_cmp_eq_u16_e32 vcc, 0, v7
	v_cndmask_b32_e32 v3, v6, v3, vcc
	v_cndmask_b32_e32 v6, v7, v12, vcc
	v_lshlrev_b32_e32 v7, 16, v4
	v_mov_b32_e32 v12, 0x3b800000
	v_lshlrev_b32_e32 v3, 20, v3
	v_and_b32_e32 v7, 0x80000000, v7
	v_lshl_add_u32 v6, v6, 23, v12
	v_or3_b32 v6, v7, v6, v3
.LBB2_13648:
	s_or_b64 exec, exec, s[6:7]
	s_nop 0
	v_mfma_f32_16x16x4f32 a[0:3], v2, v6, a[0:3]
	s_movk_i32 s4, 0xff
	v_and_b32_sdwa v3, v8, s4 dst_sel:DWORD dst_unused:UNUSED_PAD src0_sel:WORD_1 src1_sel:DWORD
	s_movk_i32 s4, 0x7f
	v_cmp_lt_i16_e32 vcc, s4, v3
	s_mov_b64 s[4:5], 0
                                        ; implicit-def: $sgpr10
	s_and_saveexec_b64 s[6:7], vcc
	s_xor_b64 s[6:7], exec, s[6:7]
	s_cbranch_execz .LBB2_13649
; %bb.49489:
	s_getpc_b64 s[14:15]
.Lpost_getpc28328:
	s_add_u32 s14, s14, (.LBB2_27985-.Lpost_getpc28328)&4294967295
	s_addc_u32 s15, s15, (.LBB2_27985-.Lpost_getpc28328)>>32
	s_setpc_b64 s[14:15]
.LBB2_13649:
	s_or_saveexec_b64 s[6:7], s[6:7]
	v_mov_b32_e32 v2, s10
	s_xor_b64 exec, exec, s[6:7]
	s_cbranch_execz .LBB2_13650
; %bb.49491:
	s_getpc_b64 s[14:15]
.Lpost_getpc28329:
	s_add_u32 s14, s14, (.LBB2_27988-.Lpost_getpc28329)&4294967295
	s_addc_u32 s15, s15, (.LBB2_27988-.Lpost_getpc28329)>>32
	s_setpc_b64 s[14:15]
.LBB2_13650:
	s_or_b64 exec, exec, s[6:7]
	s_and_saveexec_b64 s[6:7], s[4:5]
	s_cbranch_execz .LBB2_13652
.LBB2_13651:
	v_bfe_u32 v2, v8, 16, 3
	v_ffbh_u32_e32 v7, v2
	v_min_u32_e32 v7, 32, v7
	v_lshrrev_b32_e32 v3, 19, v8
	v_subrev_u32_e32 v12, 28, v7
	v_and_b32_e32 v3, 15, v3
	v_lshlrev_b32_sdwa v12, v12, v8 dst_sel:DWORD dst_unused:UNUSED_PAD src0_sel:DWORD src1_sel:WORD_1
	v_bfe_u32 v6, v8, 19, 4
	v_sub_u32_e32 v7, 29, v7
	v_and_b32_e32 v12, 7, v12
	v_cmp_eq_u16_e32 vcc, 0, v3
	v_cndmask_b32_e32 v2, v2, v12, vcc
	v_cndmask_b32_e32 v3, v6, v7, vcc
	v_lshlrev_b32_e32 v6, 8, v8
	v_mov_b32_e32 v7, 0x3b800000
	v_lshlrev_b32_e32 v2, 20, v2
	v_and_b32_e32 v6, 0x80000000, v6
	v_lshl_add_u32 v3, v3, 23, v7
	v_or3_b32 v2, v6, v3, v2
.LBB2_13652:
	s_or_b64 exec, exec, s[6:7]
	s_movk_i32 s4, 0xff
	v_and_b32_sdwa v3, v4, s4 dst_sel:DWORD dst_unused:UNUSED_PAD src0_sel:WORD_1 src1_sel:DWORD
	s_movk_i32 s4, 0x7f
	v_cmp_lt_i16_e32 vcc, s4, v3
	s_mov_b64 s[4:5], 0
                                        ; implicit-def: $sgpr10
	s_and_saveexec_b64 s[6:7], vcc
	s_xor_b64 s[6:7], exec, s[6:7]
	s_cbranch_execz .LBB2_13653
; %bb.49493:
	s_getpc_b64 s[14:15]
.Lpost_getpc28330:
	s_add_u32 s14, s14, (.LBB2_27989-.Lpost_getpc28330)&4294967295
	s_addc_u32 s15, s15, (.LBB2_27989-.Lpost_getpc28330)>>32
	s_setpc_b64 s[14:15]
.LBB2_13653:
	s_or_saveexec_b64 s[6:7], s[6:7]
	v_mov_b32_e32 v6, s10
	s_xor_b64 exec, exec, s[6:7]
	s_cbranch_execz .LBB2_13654
; %bb.49495:
	s_getpc_b64 s[14:15]
.Lpost_getpc28331:
	s_add_u32 s14, s14, (.LBB2_27992-.Lpost_getpc28331)&4294967295
	s_addc_u32 s15, s15, (.LBB2_27992-.Lpost_getpc28331)>>32
	s_setpc_b64 s[14:15]
.LBB2_13654:
	s_or_b64 exec, exec, s[6:7]
	s_and_saveexec_b64 s[6:7], s[4:5]
	s_cbranch_execz .LBB2_13656
.LBB2_13655:
	v_bfe_u32 v3, v4, 16, 3
	v_ffbh_u32_e32 v12, v3
	v_min_u32_e32 v12, 32, v12
	v_lshrrev_b32_e32 v6, 19, v4
	v_subrev_u32_e32 v13, 28, v12
	v_and_b32_e32 v6, 15, v6
	v_lshlrev_b32_sdwa v13, v13, v4 dst_sel:DWORD dst_unused:UNUSED_PAD src0_sel:DWORD src1_sel:WORD_1
	v_bfe_u32 v7, v4, 19, 4
	v_sub_u32_e32 v12, 29, v12
	v_and_b32_e32 v13, 7, v13
	v_cmp_eq_u16_e32 vcc, 0, v6
	v_cndmask_b32_e32 v3, v3, v13, vcc
	v_cndmask_b32_e32 v6, v7, v12, vcc
	v_lshlrev_b32_e32 v7, 8, v4
	v_mov_b32_e32 v12, 0x3b800000
	v_lshlrev_b32_e32 v3, 20, v3
	v_and_b32_e32 v7, 0x80000000, v7
	v_lshl_add_u32 v6, v6, 23, v12
	v_or3_b32 v6, v7, v6, v3
.LBB2_13656:
	s_or_b64 exec, exec, s[6:7]
	s_nop 0
	v_mfma_f32_16x16x4f32 a[0:3], v2, v6, a[0:3]
	s_movk_i32 s4, 0x7f
	v_cmp_gt_i16_sdwa s[6:7], v8, s4 src0_sel:BYTE_3 src1_sel:DWORD
	s_mov_b64 s[4:5], 0
                                        ; implicit-def: $sgpr10
	s_and_saveexec_b64 s[8:9], s[6:7]
	s_xor_b64 s[6:7], exec, s[8:9]
	s_cbranch_execz .LBB2_13657
; %bb.49497:
	s_getpc_b64 s[14:15]
.Lpost_getpc28332:
	s_add_u32 s14, s14, (.LBB2_27993-.Lpost_getpc28332)&4294967295
	s_addc_u32 s15, s15, (.LBB2_27993-.Lpost_getpc28332)>>32
	s_setpc_b64 s[14:15]
.LBB2_13657:
	s_or_saveexec_b64 s[6:7], s[6:7]
	v_mov_b32_e32 v2, s10
	s_xor_b64 exec, exec, s[6:7]
	s_cbranch_execz .LBB2_13658
; %bb.49499:
	s_getpc_b64 s[14:15]
.Lpost_getpc28333:
	s_add_u32 s14, s14, (.LBB2_27996-.Lpost_getpc28333)&4294967295
	s_addc_u32 s15, s15, (.LBB2_27996-.Lpost_getpc28333)>>32
	s_setpc_b64 s[14:15]
.LBB2_13658:
	s_or_b64 exec, exec, s[6:7]
	s_and_saveexec_b64 s[6:7], s[4:5]
	s_cbranch_execz .LBB2_13660
.LBB2_13659:
	v_bfe_u32 v2, v8, 24, 3
	v_ffbh_u32_e32 v12, v2
	v_min_u32_e32 v12, 32, v12
	v_lshrrev_b32_e32 v6, 27, v8
	v_subrev_u32_e32 v13, 28, v12
	v_and_b32_e32 v3, 0x80000000, v8
	v_and_b32_e32 v6, 15, v6
	v_bfe_u32 v7, v8, 27, 4
	v_lshlrev_b32_sdwa v8, v13, v8 dst_sel:DWORD dst_unused:UNUSED_PAD src0_sel:DWORD src1_sel:BYTE_3
	v_sub_u32_e32 v12, 29, v12
	v_and_b32_e32 v8, 7, v8
	v_cmp_eq_u16_e32 vcc, 0, v6
	v_cndmask_b32_e32 v2, v2, v8, vcc
	v_cndmask_b32_e32 v6, v7, v12, vcc
	v_mov_b32_e32 v7, 0x3b800000
	v_lshlrev_b32_e32 v2, 20, v2
	v_lshl_add_u32 v6, v6, 23, v7
	v_or3_b32 v2, v3, v6, v2
.LBB2_13660:
	s_or_b64 exec, exec, s[6:7]
	s_movk_i32 s4, 0x7f
	v_cmp_gt_i16_sdwa s[6:7], v4, s4 src0_sel:BYTE_3 src1_sel:DWORD
	s_mov_b64 s[4:5], 0
                                        ; implicit-def: $sgpr10
	s_and_saveexec_b64 s[8:9], s[6:7]
	s_xor_b64 s[6:7], exec, s[8:9]
	s_cbranch_execz .LBB2_13661
; %bb.49501:
	s_getpc_b64 s[14:15]
.Lpost_getpc28334:
	s_add_u32 s14, s14, (.LBB2_27997-.Lpost_getpc28334)&4294967295
	s_addc_u32 s15, s15, (.LBB2_27997-.Lpost_getpc28334)>>32
	s_setpc_b64 s[14:15]
.LBB2_13661:
	s_or_saveexec_b64 s[6:7], s[6:7]
	v_mov_b32_e32 v3, s10
	s_xor_b64 exec, exec, s[6:7]
	s_cbranch_execz .LBB2_13662
; %bb.49503:
	s_getpc_b64 s[14:15]
.Lpost_getpc28335:
	s_add_u32 s14, s14, (.LBB2_28000-.Lpost_getpc28335)&4294967295
	s_addc_u32 s15, s15, (.LBB2_28000-.Lpost_getpc28335)>>32
	s_setpc_b64 s[14:15]
.LBB2_13662:
	s_or_b64 exec, exec, s[6:7]
	s_and_saveexec_b64 s[6:7], s[4:5]
	s_cbranch_execz .LBB2_13664
.LBB2_13663:
	v_bfe_u32 v3, v4, 24, 3
	v_ffbh_u32_e32 v12, v3
	v_min_u32_e32 v12, 32, v12
	v_lshrrev_b32_e32 v7, 27, v4
	v_subrev_u32_e32 v13, 28, v12
	v_and_b32_e32 v6, 0x80000000, v4
	v_and_b32_e32 v7, 15, v7
	v_bfe_u32 v8, v4, 27, 4
	v_lshlrev_b32_sdwa v4, v13, v4 dst_sel:DWORD dst_unused:UNUSED_PAD src0_sel:DWORD src1_sel:BYTE_3
	v_sub_u32_e32 v12, 29, v12
	v_and_b32_e32 v4, 7, v4
	v_cmp_eq_u16_e32 vcc, 0, v7
	v_cndmask_b32_e32 v3, v3, v4, vcc
	v_cndmask_b32_e32 v4, v8, v12, vcc
	v_mov_b32_e32 v7, 0x3b800000
	v_lshlrev_b32_e32 v3, 20, v3
	v_lshl_add_u32 v4, v4, 23, v7
	v_or3_b32 v3, v6, v4, v3
.LBB2_13664:
	s_or_b64 exec, exec, s[6:7]
	s_nop 0
	v_mfma_f32_16x16x4f32 a[0:3], v2, v3, a[0:3]
	s_movk_i32 s4, 0x7f
	v_cmp_gt_i16_sdwa s[6:7], v9, s4 src0_sel:BYTE_0 src1_sel:DWORD
	s_mov_b64 s[4:5], 0
                                        ; implicit-def: $sgpr10
	s_and_saveexec_b64 s[8:9], s[6:7]
	s_xor_b64 s[6:7], exec, s[8:9]
	s_cbranch_execz .LBB2_13665
; %bb.49505:
	s_getpc_b64 s[14:15]
.Lpost_getpc28336:
	s_add_u32 s14, s14, (.LBB2_28001-.Lpost_getpc28336)&4294967295
	s_addc_u32 s15, s15, (.LBB2_28001-.Lpost_getpc28336)>>32
	s_setpc_b64 s[14:15]
.LBB2_13665:
	s_or_saveexec_b64 s[6:7], s[6:7]
	v_mov_b32_e32 v2, s10
	s_xor_b64 exec, exec, s[6:7]
	s_cbranch_execz .LBB2_13666
; %bb.49507:
	s_getpc_b64 s[14:15]
.Lpost_getpc28337:
	s_add_u32 s14, s14, (.LBB2_28004-.Lpost_getpc28337)&4294967295
	s_addc_u32 s15, s15, (.LBB2_28004-.Lpost_getpc28337)>>32
	s_setpc_b64 s[14:15]
.LBB2_13666:
	s_or_b64 exec, exec, s[6:7]
	s_and_saveexec_b64 s[6:7], s[4:5]
	s_cbranch_execz .LBB2_13668
.LBB2_13667:
	v_mov_b32_e32 v2, 8
	v_and_b32_e32 v3, 7, v9
	v_lshrrev_b32_sdwa v2, v2, v9 dst_sel:BYTE_1 dst_unused:UNUSED_PAD src0_sel:DWORD src1_sel:DWORD
	v_ffbh_u32_e32 v4, v3
	v_or_b32_sdwa v2, v9, v2 dst_sel:DWORD dst_unused:UNUSED_PAD src0_sel:BYTE_0 src1_sel:DWORD
	v_min_u32_e32 v4, 32, v4
	v_lshrrev_b16_e32 v2, 3, v2
	v_subrev_u32_e32 v6, 28, v4
	v_and_b32_e32 v2, 15, v2
	v_lshlrev_b32_e32 v6, v6, v9
	v_sub_u32_e32 v4, 29, v4
	v_and_b32_e32 v6, 7, v6
	v_cmp_eq_u16_e32 vcc, 0, v2
	v_cndmask_b32_e32 v3, v3, v6, vcc
	v_cndmask_b32_e32 v2, v2, v4, vcc
	v_lshlrev_b32_e32 v4, 24, v9
	v_mov_b32_e32 v6, 0x3b800000
	v_lshlrev_b32_e32 v3, 20, v3
	v_and_b32_e32 v4, 0x80000000, v4
	v_lshl_add_u32 v2, v2, 23, v6
	v_or3_b32 v2, v4, v2, v3
.LBB2_13668:
	s_or_b64 exec, exec, s[6:7]
	s_movk_i32 s4, 0x7f
	v_cmp_gt_i16_sdwa s[6:7], v5, s4 src0_sel:BYTE_0 src1_sel:DWORD
	s_mov_b64 s[4:5], 0
                                        ; implicit-def: $sgpr10
	s_and_saveexec_b64 s[8:9], s[6:7]
	s_xor_b64 s[6:7], exec, s[8:9]
	s_cbranch_execz .LBB2_13669
; %bb.49509:
	s_getpc_b64 s[14:15]
.Lpost_getpc28338:
	s_add_u32 s14, s14, (.LBB2_28005-.Lpost_getpc28338)&4294967295
	s_addc_u32 s15, s15, (.LBB2_28005-.Lpost_getpc28338)>>32
	s_setpc_b64 s[14:15]
.LBB2_13669:
	s_or_saveexec_b64 s[6:7], s[6:7]
	v_mov_b32_e32 v3, s10
	s_xor_b64 exec, exec, s[6:7]
	s_cbranch_execz .LBB2_13670
; %bb.49511:
	s_getpc_b64 s[14:15]
.Lpost_getpc28339:
	s_add_u32 s14, s14, (.LBB2_28008-.Lpost_getpc28339)&4294967295
	s_addc_u32 s15, s15, (.LBB2_28008-.Lpost_getpc28339)>>32
	s_setpc_b64 s[14:15]
.LBB2_13670:
	s_or_b64 exec, exec, s[6:7]
	s_and_saveexec_b64 s[6:7], s[4:5]
	s_cbranch_execz .LBB2_13672
.LBB2_13671:
	v_mov_b32_e32 v3, 8
	v_and_b32_e32 v4, 7, v5
	v_lshrrev_b32_sdwa v3, v3, v5 dst_sel:BYTE_1 dst_unused:UNUSED_PAD src0_sel:DWORD src1_sel:DWORD
	v_ffbh_u32_e32 v6, v4
	v_or_b32_sdwa v3, v5, v3 dst_sel:DWORD dst_unused:UNUSED_PAD src0_sel:BYTE_0 src1_sel:DWORD
	v_min_u32_e32 v6, 32, v6
	v_lshrrev_b16_e32 v3, 3, v3
	v_subrev_u32_e32 v7, 28, v6
	v_and_b32_e32 v3, 15, v3
	v_lshlrev_b32_e32 v7, v7, v5
	v_sub_u32_e32 v6, 29, v6
	v_and_b32_e32 v7, 7, v7
	v_cmp_eq_u16_e32 vcc, 0, v3
	v_cndmask_b32_e32 v4, v4, v7, vcc
	v_cndmask_b32_e32 v3, v3, v6, vcc
	v_lshlrev_b32_e32 v6, 24, v5
	v_mov_b32_e32 v7, 0x3b800000
	v_lshlrev_b32_e32 v4, 20, v4
	v_and_b32_e32 v6, 0x80000000, v6
	v_lshl_add_u32 v3, v3, 23, v7
	v_or3_b32 v3, v6, v3, v4
.LBB2_13672:
	s_or_b64 exec, exec, s[6:7]
	s_nop 0
	v_mfma_f32_16x16x4f32 a[0:3], v2, v3, a[0:3]
	v_lshrrev_b32_e32 v3, 8, v9
	s_movk_i32 s4, 0x7f
	v_cmp_gt_i16_sdwa s[6:7], v3, s4 src0_sel:BYTE_0 src1_sel:DWORD
	s_mov_b64 s[4:5], 0
                                        ; implicit-def: $sgpr10
	s_and_saveexec_b64 s[8:9], s[6:7]
	s_xor_b64 s[6:7], exec, s[8:9]
	s_cbranch_execz .LBB2_13673
; %bb.49513:
	s_getpc_b64 s[14:15]
.Lpost_getpc28340:
	s_add_u32 s14, s14, (.LBB2_28009-.Lpost_getpc28340)&4294967295
	s_addc_u32 s15, s15, (.LBB2_28009-.Lpost_getpc28340)>>32
	s_setpc_b64 s[14:15]
.LBB2_13673:
	s_or_saveexec_b64 s[6:7], s[6:7]
	v_mov_b32_e32 v2, s10
	s_xor_b64 exec, exec, s[6:7]
	s_cbranch_execz .LBB2_13674
; %bb.49515:
	s_getpc_b64 s[14:15]
.Lpost_getpc28341:
	s_add_u32 s14, s14, (.LBB2_28012-.Lpost_getpc28341)&4294967295
	s_addc_u32 s15, s15, (.LBB2_28012-.Lpost_getpc28341)>>32
	s_setpc_b64 s[14:15]
.LBB2_13674:
	s_or_b64 exec, exec, s[6:7]
	s_and_saveexec_b64 s[6:7], s[4:5]
	s_cbranch_execz .LBB2_13676
.LBB2_13675:
	v_bfe_u32 v2, v9, 8, 3
	v_ffbh_u32_e32 v6, v2
	v_min_u32_e32 v6, 32, v6
	v_lshrrev_b16_e32 v4, 3, v3
	v_subrev_u32_e32 v7, 28, v6
	v_and_b32_e32 v4, 15, v4
	v_lshlrev_b32_e32 v3, v7, v3
	v_sub_u32_e32 v6, 29, v6
	v_and_b32_e32 v3, 7, v3
	v_cmp_eq_u16_e32 vcc, 0, v4
	v_cndmask_b32_e32 v2, v2, v3, vcc
	v_cndmask_b32_e32 v3, v4, v6, vcc
	v_lshlrev_b32_e32 v4, 16, v9
	v_mov_b32_e32 v6, 0x3b800000
	v_lshlrev_b32_e32 v2, 20, v2
	v_and_b32_e32 v4, 0x80000000, v4
	v_lshl_add_u32 v3, v3, 23, v6
	v_or3_b32 v2, v4, v3, v2
.LBB2_13676:
	s_or_b64 exec, exec, s[6:7]
	v_lshrrev_b32_e32 v3, 8, v5
	s_movk_i32 s4, 0x7f
	v_cmp_gt_i16_sdwa s[6:7], v3, s4 src0_sel:BYTE_0 src1_sel:DWORD
	s_mov_b64 s[4:5], 0
                                        ; implicit-def: $sgpr10
	s_and_saveexec_b64 s[8:9], s[6:7]
	s_xor_b64 s[6:7], exec, s[8:9]
	s_cbranch_execz .LBB2_13677
; %bb.49517:
	s_getpc_b64 s[14:15]
.Lpost_getpc28342:
	s_add_u32 s14, s14, (.LBB2_28013-.Lpost_getpc28342)&4294967295
	s_addc_u32 s15, s15, (.LBB2_28013-.Lpost_getpc28342)>>32
	s_setpc_b64 s[14:15]
.LBB2_13677:
	s_or_saveexec_b64 s[6:7], s[6:7]
	v_mov_b32_e32 v4, s10
	s_xor_b64 exec, exec, s[6:7]
	s_cbranch_execz .LBB2_13678
; %bb.49519:
	s_getpc_b64 s[14:15]
.Lpost_getpc28343:
	s_add_u32 s14, s14, (.LBB2_28016-.Lpost_getpc28343)&4294967295
	s_addc_u32 s15, s15, (.LBB2_28016-.Lpost_getpc28343)>>32
	s_setpc_b64 s[14:15]
.LBB2_13678:
	s_or_b64 exec, exec, s[6:7]
	s_and_saveexec_b64 s[6:7], s[4:5]
	s_cbranch_execz .LBB2_13680
.LBB2_13679:
	v_bfe_u32 v4, v5, 8, 3
	v_ffbh_u32_e32 v7, v4
	v_min_u32_e32 v7, 32, v7
	v_lshrrev_b16_e32 v6, 3, v3
	v_subrev_u32_e32 v8, 28, v7
	v_and_b32_e32 v6, 15, v6
	v_lshlrev_b32_e32 v3, v8, v3
	v_sub_u32_e32 v7, 29, v7
	v_and_b32_e32 v3, 7, v3
	v_cmp_eq_u16_e32 vcc, 0, v6
	v_cndmask_b32_e32 v3, v4, v3, vcc
	v_cndmask_b32_e32 v4, v6, v7, vcc
	v_lshlrev_b32_e32 v6, 16, v5
	v_mov_b32_e32 v7, 0x3b800000
	v_lshlrev_b32_e32 v3, 20, v3
	v_and_b32_e32 v6, 0x80000000, v6
	v_lshl_add_u32 v4, v4, 23, v7
	v_or3_b32 v4, v6, v4, v3
.LBB2_13680:
	s_or_b64 exec, exec, s[6:7]
	s_nop 0
	v_mfma_f32_16x16x4f32 a[0:3], v2, v4, a[0:3]
	s_movk_i32 s4, 0xff
	v_and_b32_sdwa v3, v9, s4 dst_sel:DWORD dst_unused:UNUSED_PAD src0_sel:WORD_1 src1_sel:DWORD
	s_movk_i32 s4, 0x7f
	v_cmp_lt_i16_e32 vcc, s4, v3
	s_mov_b64 s[4:5], 0
                                        ; implicit-def: $sgpr10
	s_and_saveexec_b64 s[6:7], vcc
	s_xor_b64 s[6:7], exec, s[6:7]
	s_cbranch_execz .LBB2_13681
; %bb.49521:
	s_getpc_b64 s[14:15]
.Lpost_getpc28344:
	s_add_u32 s14, s14, (.LBB2_28017-.Lpost_getpc28344)&4294967295
	s_addc_u32 s15, s15, (.LBB2_28017-.Lpost_getpc28344)>>32
	s_setpc_b64 s[14:15]
.LBB2_13681:
	s_or_saveexec_b64 s[6:7], s[6:7]
	v_mov_b32_e32 v2, s10
	s_xor_b64 exec, exec, s[6:7]
	s_cbranch_execz .LBB2_13682
; %bb.49523:
	s_getpc_b64 s[14:15]
.Lpost_getpc28345:
	s_add_u32 s14, s14, (.LBB2_28020-.Lpost_getpc28345)&4294967295
	s_addc_u32 s15, s15, (.LBB2_28020-.Lpost_getpc28345)>>32
	s_setpc_b64 s[14:15]
.LBB2_13682:
	s_or_b64 exec, exec, s[6:7]
	s_and_saveexec_b64 s[6:7], s[4:5]
	s_cbranch_execz .LBB2_13684
.LBB2_13683:
	v_bfe_u32 v2, v9, 16, 3
	v_ffbh_u32_e32 v6, v2
	v_min_u32_e32 v6, 32, v6
	v_lshrrev_b32_e32 v3, 19, v9
	v_subrev_u32_e32 v7, 28, v6
	v_and_b32_e32 v3, 15, v3
	v_lshlrev_b32_sdwa v7, v7, v9 dst_sel:DWORD dst_unused:UNUSED_PAD src0_sel:DWORD src1_sel:WORD_1
	v_bfe_u32 v4, v9, 19, 4
	v_sub_u32_e32 v6, 29, v6
	v_and_b32_e32 v7, 7, v7
	v_cmp_eq_u16_e32 vcc, 0, v3
	v_cndmask_b32_e32 v2, v2, v7, vcc
	v_cndmask_b32_e32 v3, v4, v6, vcc
	v_lshlrev_b32_e32 v4, 8, v9
	v_mov_b32_e32 v6, 0x3b800000
	v_lshlrev_b32_e32 v2, 20, v2
	v_and_b32_e32 v4, 0x80000000, v4
	v_lshl_add_u32 v3, v3, 23, v6
	v_or3_b32 v2, v4, v3, v2
.LBB2_13684:
	s_or_b64 exec, exec, s[6:7]
	s_movk_i32 s4, 0xff
	v_and_b32_sdwa v3, v5, s4 dst_sel:DWORD dst_unused:UNUSED_PAD src0_sel:WORD_1 src1_sel:DWORD
	s_movk_i32 s4, 0x7f
	v_cmp_lt_i16_e32 vcc, s4, v3
	s_mov_b64 s[4:5], 0
                                        ; implicit-def: $sgpr10
	s_and_saveexec_b64 s[6:7], vcc
	s_xor_b64 s[6:7], exec, s[6:7]
	s_cbranch_execz .LBB2_13685
; %bb.49525:
	s_getpc_b64 s[14:15]
.Lpost_getpc28346:
	s_add_u32 s14, s14, (.LBB2_28021-.Lpost_getpc28346)&4294967295
	s_addc_u32 s15, s15, (.LBB2_28021-.Lpost_getpc28346)>>32
	s_setpc_b64 s[14:15]
.LBB2_13685:
	s_or_saveexec_b64 s[6:7], s[6:7]
	v_mov_b32_e32 v4, s10
	s_xor_b64 exec, exec, s[6:7]
	s_cbranch_execz .LBB2_13686
; %bb.49527:
	s_getpc_b64 s[14:15]
.Lpost_getpc28347:
	s_add_u32 s14, s14, (.LBB2_28024-.Lpost_getpc28347)&4294967295
	s_addc_u32 s15, s15, (.LBB2_28024-.Lpost_getpc28347)>>32
	s_setpc_b64 s[14:15]
.LBB2_13686:
	s_or_b64 exec, exec, s[6:7]
	s_and_saveexec_b64 s[6:7], s[4:5]
	s_cbranch_execz .LBB2_13688
.LBB2_13687:
	v_bfe_u32 v3, v5, 16, 3
	v_ffbh_u32_e32 v7, v3
	v_min_u32_e32 v7, 32, v7
	v_lshrrev_b32_e32 v4, 19, v5
	v_subrev_u32_e32 v8, 28, v7
	v_and_b32_e32 v4, 15, v4
	v_lshlrev_b32_sdwa v8, v8, v5 dst_sel:DWORD dst_unused:UNUSED_PAD src0_sel:DWORD src1_sel:WORD_1
	v_bfe_u32 v6, v5, 19, 4
	v_sub_u32_e32 v7, 29, v7
	v_and_b32_e32 v8, 7, v8
	v_cmp_eq_u16_e32 vcc, 0, v4
	v_cndmask_b32_e32 v3, v3, v8, vcc
	v_cndmask_b32_e32 v4, v6, v7, vcc
	v_lshlrev_b32_e32 v6, 8, v5
	v_mov_b32_e32 v7, 0x3b800000
	v_lshlrev_b32_e32 v3, 20, v3
	v_and_b32_e32 v6, 0x80000000, v6
	v_lshl_add_u32 v4, v4, 23, v7
	v_or3_b32 v4, v6, v4, v3
.LBB2_13688:
	s_or_b64 exec, exec, s[6:7]
	s_nop 0
	v_mfma_f32_16x16x4f32 a[0:3], v2, v4, a[0:3]
	s_movk_i32 s4, 0x7f
	v_cmp_gt_i16_sdwa s[6:7], v9, s4 src0_sel:BYTE_3 src1_sel:DWORD
	s_mov_b64 s[4:5], 0
                                        ; implicit-def: $sgpr10
	s_and_saveexec_b64 s[8:9], s[6:7]
	s_xor_b64 s[6:7], exec, s[8:9]
	s_cbranch_execz .LBB2_13689
; %bb.49529:
	s_getpc_b64 s[14:15]
.Lpost_getpc28348:
	s_add_u32 s14, s14, (.LBB2_28025-.Lpost_getpc28348)&4294967295
	s_addc_u32 s15, s15, (.LBB2_28025-.Lpost_getpc28348)>>32
	s_setpc_b64 s[14:15]
.LBB2_13689:
	s_or_saveexec_b64 s[6:7], s[6:7]
	v_mov_b32_e32 v2, s10
	s_xor_b64 exec, exec, s[6:7]
	s_cbranch_execz .LBB2_13690
; %bb.49531:
	s_getpc_b64 s[14:15]
.Lpost_getpc28349:
	s_add_u32 s14, s14, (.LBB2_28028-.Lpost_getpc28349)&4294967295
	s_addc_u32 s15, s15, (.LBB2_28028-.Lpost_getpc28349)>>32
	s_setpc_b64 s[14:15]
.LBB2_13690:
	s_or_b64 exec, exec, s[6:7]
	s_and_saveexec_b64 s[6:7], s[4:5]
	s_cbranch_execz .LBB2_13692
.LBB2_13691:
	v_bfe_u32 v2, v9, 24, 3
	v_ffbh_u32_e32 v7, v2
	v_min_u32_e32 v7, 32, v7
	v_lshrrev_b32_e32 v4, 27, v9
	v_subrev_u32_e32 v8, 28, v7
	v_and_b32_e32 v4, 15, v4
	v_lshlrev_b32_sdwa v8, v8, v9 dst_sel:DWORD dst_unused:UNUSED_PAD src0_sel:DWORD src1_sel:BYTE_3
	v_bfe_u32 v6, v9, 27, 4
	v_sub_u32_e32 v7, 29, v7
	v_and_b32_e32 v8, 7, v8
	v_cmp_eq_u16_e32 vcc, 0, v4
	v_cndmask_b32_e32 v2, v2, v8, vcc
	v_cndmask_b32_e32 v4, v6, v7, vcc
	v_mov_b32_e32 v6, 0x3b800000
	v_and_b32_e32 v3, 0x80000000, v9
	v_lshlrev_b32_e32 v2, 20, v2
	v_lshl_add_u32 v4, v4, 23, v6
	v_or3_b32 v2, v3, v4, v2
.LBB2_13692:
	s_or_b64 exec, exec, s[6:7]
	s_movk_i32 s4, 0x7f
	v_cmp_gt_i16_sdwa s[6:7], v5, s4 src0_sel:BYTE_3 src1_sel:DWORD
	s_mov_b64 s[4:5], 0
                                        ; implicit-def: $sgpr10
	s_and_saveexec_b64 s[8:9], s[6:7]
	s_xor_b64 s[6:7], exec, s[8:9]
	s_cbranch_execz .LBB2_13693
; %bb.49533:
	s_getpc_b64 s[14:15]
.Lpost_getpc28350:
	s_add_u32 s14, s14, (.LBB2_28029-.Lpost_getpc28350)&4294967295
	s_addc_u32 s15, s15, (.LBB2_28029-.Lpost_getpc28350)>>32
	s_setpc_b64 s[14:15]
.LBB2_13693:
	s_or_saveexec_b64 s[6:7], s[6:7]
	v_mov_b32_e32 v3, s10
	s_xor_b64 exec, exec, s[6:7]
	s_cbranch_execz .LBB2_13694
; %bb.49535:
	s_getpc_b64 s[14:15]
.Lpost_getpc28351:
	s_add_u32 s14, s14, (.LBB2_28032-.Lpost_getpc28351)&4294967295
	s_addc_u32 s15, s15, (.LBB2_28032-.Lpost_getpc28351)>>32
	s_setpc_b64 s[14:15]
.LBB2_13694:
	s_or_b64 exec, exec, s[6:7]
	s_and_saveexec_b64 s[6:7], s[4:5]
	s_cbranch_execz .LBB2_13696
.LBB2_13695:
	v_bfe_u32 v3, v5, 24, 3
	v_ffbh_u32_e32 v8, v3
	v_min_u32_e32 v8, 32, v8
	v_lshrrev_b32_e32 v6, 27, v5
	v_subrev_u32_e32 v9, 28, v8
	v_and_b32_e32 v4, 0x80000000, v5
	v_and_b32_e32 v6, 15, v6
	v_bfe_u32 v7, v5, 27, 4
	v_lshlrev_b32_sdwa v5, v9, v5 dst_sel:DWORD dst_unused:UNUSED_PAD src0_sel:DWORD src1_sel:BYTE_3
	v_sub_u32_e32 v8, 29, v8
	v_and_b32_e32 v5, 7, v5
	v_cmp_eq_u16_e32 vcc, 0, v6
	v_cndmask_b32_e32 v3, v3, v5, vcc
	v_cndmask_b32_e32 v5, v7, v8, vcc
	v_mov_b32_e32 v6, 0x3b800000
	v_lshlrev_b32_e32 v3, 20, v3
	v_lshl_add_u32 v5, v5, 23, v6
	v_or3_b32 v3, v4, v5, v3
.LBB2_13696:
	s_or_b64 exec, exec, s[6:7]
	s_nop 0
	v_mfma_f32_16x16x4f32 a[0:3], v2, v3, a[0:3]
	s_movk_i32 s4, 0x7f
                                        ; implicit-def: $sgpr10
	s_nop 7
	s_nop 1
	flat_store_dwordx4 v[10:11], a[0:3] offset:800
	flat_load_dwordx4 v[12:15], v[0:1]
	s_nop 0
	flat_load_dwordx2 v[10:11], v[0:1] offset:16
	s_waitcnt vmcnt(0) lgkmcnt(0)
	flat_load_dwordx4 v[6:9], v[12:13] offset:208
	flat_load_dwordx4 v[2:5], v[14:15] offset:176
	s_waitcnt vmcnt(0) lgkmcnt(0)
	v_cmp_gt_i16_sdwa s[6:7], v6, s4 src0_sel:BYTE_0 src1_sel:DWORD
	s_mov_b64 s[4:5], 0
	s_and_saveexec_b64 s[8:9], s[6:7]
	s_xor_b64 s[6:7], exec, s[8:9]
	s_cbranch_execz .LBB2_13697
; %bb.49537:
	s_getpc_b64 s[14:15]
.Lpost_getpc28352:
	s_add_u32 s14, s14, (.LBB2_28033-.Lpost_getpc28352)&4294967295
	s_addc_u32 s15, s15, (.LBB2_28033-.Lpost_getpc28352)>>32
	s_setpc_b64 s[14:15]
.LBB2_13697:
	s_or_saveexec_b64 s[6:7], s[6:7]
	v_mov_b32_e32 v12, s10
	s_xor_b64 exec, exec, s[6:7]
	s_cbranch_execz .LBB2_13698
; %bb.49539:
	s_getpc_b64 s[14:15]
.Lpost_getpc28353:
	s_add_u32 s14, s14, (.LBB2_28036-.Lpost_getpc28353)&4294967295
	s_addc_u32 s15, s15, (.LBB2_28036-.Lpost_getpc28353)>>32
	s_setpc_b64 s[14:15]
.LBB2_13698:
	s_or_b64 exec, exec, s[6:7]
	s_and_saveexec_b64 s[6:7], s[4:5]
	s_cbranch_execz .LBB2_13700
.LBB2_13699:
	v_and_b32_e32 v12, 7, v6
	v_ffbh_u32_e32 v14, v12
	v_min_u32_e32 v14, 32, v14
	v_lshrrev_b16_e32 v13, 3, v6
	v_subrev_u32_e32 v15, 28, v14
	v_and_b32_e32 v13, 15, v13
	v_lshlrev_b32_e32 v15, v15, v6
	v_sub_u32_e32 v14, 29, v14
	v_and_b32_e32 v15, 7, v15
	v_cmp_eq_u16_e32 vcc, 0, v13
	v_cndmask_b32_e32 v12, v12, v15, vcc
	v_cndmask_b32_e32 v13, v13, v14, vcc
	v_lshlrev_b32_e32 v14, 24, v6
	v_mov_b32_e32 v15, 0x3b800000
	v_lshlrev_b32_e32 v12, 20, v12
	v_and_b32_e32 v14, 0x80000000, v14
	v_lshl_add_u32 v13, v13, 23, v15
	v_or3_b32 v12, v14, v13, v12
.LBB2_13700:
	s_or_b64 exec, exec, s[6:7]
	s_movk_i32 s4, 0x7f
	v_cmp_gt_i16_sdwa s[6:7], v2, s4 src0_sel:BYTE_0 src1_sel:DWORD
	s_mov_b64 s[4:5], 0
                                        ; implicit-def: $sgpr10
	s_and_saveexec_b64 s[8:9], s[6:7]
	s_xor_b64 s[6:7], exec, s[8:9]
	s_cbranch_execz .LBB2_13701
; %bb.49541:
	s_getpc_b64 s[14:15]
.Lpost_getpc28354:
	s_add_u32 s14, s14, (.LBB2_28037-.Lpost_getpc28354)&4294967295
	s_addc_u32 s15, s15, (.LBB2_28037-.Lpost_getpc28354)>>32
	s_setpc_b64 s[14:15]
.LBB2_13701:
	s_or_saveexec_b64 s[6:7], s[6:7]
	v_mov_b32_e32 v13, s10
	s_xor_b64 exec, exec, s[6:7]
	s_cbranch_execz .LBB2_13702
; %bb.49543:
	s_getpc_b64 s[14:15]
.Lpost_getpc28355:
	s_add_u32 s14, s14, (.LBB2_28040-.Lpost_getpc28355)&4294967295
	s_addc_u32 s15, s15, (.LBB2_28040-.Lpost_getpc28355)>>32
	s_setpc_b64 s[14:15]
.LBB2_13702:
	s_or_b64 exec, exec, s[6:7]
	s_and_saveexec_b64 s[6:7], s[4:5]
	s_cbranch_execz .LBB2_13704
.LBB2_13703:
	v_and_b32_e32 v13, 7, v2
	v_ffbh_u32_e32 v15, v13
	v_min_u32_e32 v15, 32, v15
	v_lshrrev_b16_e32 v14, 3, v2
	v_subrev_u32_e32 v16, 28, v15
	v_and_b32_e32 v14, 15, v14
	v_lshlrev_b32_e32 v16, v16, v2
	v_sub_u32_e32 v15, 29, v15
	v_and_b32_e32 v16, 7, v16
	v_cmp_eq_u16_e32 vcc, 0, v14
	v_cndmask_b32_e32 v13, v13, v16, vcc
	v_cndmask_b32_e32 v14, v14, v15, vcc
	v_lshlrev_b32_e32 v15, 24, v2
	v_mov_b32_e32 v16, 0x3b800000
	v_lshlrev_b32_e32 v13, 20, v13
	v_and_b32_e32 v15, 0x80000000, v15
	v_lshl_add_u32 v14, v14, 23, v16
	v_or3_b32 v13, v15, v14, v13
.LBB2_13704:
	s_or_b64 exec, exec, s[6:7]
	flat_load_dwordx4 a[0:3], v[10:11] offset:816
	s_movk_i32 s4, 0x7f
                                        ; implicit-def: $sgpr10
	s_waitcnt vmcnt(0) lgkmcnt(0)
	v_mfma_f32_16x16x4f32 a[0:3], v12, v13, a[0:3]
	v_lshrrev_b32_e32 v13, 8, v6
	v_cmp_gt_i16_sdwa s[6:7], v13, s4 src0_sel:BYTE_0 src1_sel:DWORD
	s_mov_b64 s[4:5], 0
	s_and_saveexec_b64 s[8:9], s[6:7]
	s_xor_b64 s[6:7], exec, s[8:9]
	s_cbranch_execz .LBB2_13705
; %bb.49545:
	s_getpc_b64 s[14:15]
.Lpost_getpc28356:
	s_add_u32 s14, s14, (.LBB2_28041-.Lpost_getpc28356)&4294967295
	s_addc_u32 s15, s15, (.LBB2_28041-.Lpost_getpc28356)>>32
	s_setpc_b64 s[14:15]
.LBB2_13705:
	s_or_saveexec_b64 s[6:7], s[6:7]
	v_mov_b32_e32 v12, s10
	s_xor_b64 exec, exec, s[6:7]
	s_cbranch_execz .LBB2_13706
; %bb.49547:
	s_getpc_b64 s[14:15]
.Lpost_getpc28357:
	s_add_u32 s14, s14, (.LBB2_28044-.Lpost_getpc28357)&4294967295
	s_addc_u32 s15, s15, (.LBB2_28044-.Lpost_getpc28357)>>32
	s_setpc_b64 s[14:15]
.LBB2_13706:
	s_or_b64 exec, exec, s[6:7]
	s_and_saveexec_b64 s[6:7], s[4:5]
	s_cbranch_execz .LBB2_13708
.LBB2_13707:
	v_bfe_u32 v12, v6, 8, 3
	v_ffbh_u32_e32 v15, v12
	v_min_u32_e32 v15, 32, v15
	v_lshrrev_b16_e32 v14, 3, v13
	v_subrev_u32_e32 v16, 28, v15
	v_and_b32_e32 v14, 15, v14
	v_lshlrev_b32_e32 v13, v16, v13
	v_sub_u32_e32 v15, 29, v15
	v_and_b32_e32 v13, 7, v13
	v_cmp_eq_u16_e32 vcc, 0, v14
	v_cndmask_b32_e32 v12, v12, v13, vcc
	v_cndmask_b32_e32 v13, v14, v15, vcc
	v_lshlrev_b32_e32 v14, 16, v6
	v_mov_b32_e32 v15, 0x3b800000
	v_lshlrev_b32_e32 v12, 20, v12
	v_and_b32_e32 v14, 0x80000000, v14
	v_lshl_add_u32 v13, v13, 23, v15
	v_or3_b32 v12, v14, v13, v12
.LBB2_13708:
	s_or_b64 exec, exec, s[6:7]
	v_lshrrev_b32_e32 v13, 8, v2
	s_movk_i32 s4, 0x7f
	v_cmp_gt_i16_sdwa s[6:7], v13, s4 src0_sel:BYTE_0 src1_sel:DWORD
	s_mov_b64 s[4:5], 0
                                        ; implicit-def: $sgpr10
	s_and_saveexec_b64 s[8:9], s[6:7]
	s_xor_b64 s[6:7], exec, s[8:9]
	s_cbranch_execz .LBB2_13709
; %bb.49549:
	s_getpc_b64 s[14:15]
.Lpost_getpc28358:
	s_add_u32 s14, s14, (.LBB2_28045-.Lpost_getpc28358)&4294967295
	s_addc_u32 s15, s15, (.LBB2_28045-.Lpost_getpc28358)>>32
	s_setpc_b64 s[14:15]
.LBB2_13709:
	s_or_saveexec_b64 s[6:7], s[6:7]
	v_mov_b32_e32 v14, s10
	s_xor_b64 exec, exec, s[6:7]
	s_cbranch_execz .LBB2_13710
; %bb.49551:
	s_getpc_b64 s[14:15]
.Lpost_getpc28359:
	s_add_u32 s14, s14, (.LBB2_28048-.Lpost_getpc28359)&4294967295
	s_addc_u32 s15, s15, (.LBB2_28048-.Lpost_getpc28359)>>32
	s_setpc_b64 s[14:15]
.LBB2_13710:
	s_or_b64 exec, exec, s[6:7]
	s_and_saveexec_b64 s[6:7], s[4:5]
	s_cbranch_execz .LBB2_13712
.LBB2_13711:
	v_bfe_u32 v14, v2, 8, 3
	v_ffbh_u32_e32 v16, v14
	v_min_u32_e32 v16, 32, v16
	v_lshrrev_b16_e32 v15, 3, v13
	v_subrev_u32_e32 v17, 28, v16
	v_and_b32_e32 v15, 15, v15
	v_lshlrev_b32_e32 v13, v17, v13
	v_sub_u32_e32 v16, 29, v16
	v_and_b32_e32 v13, 7, v13
	v_cmp_eq_u16_e32 vcc, 0, v15
	v_cndmask_b32_e32 v13, v14, v13, vcc
	v_cndmask_b32_e32 v14, v15, v16, vcc
	v_lshlrev_b32_e32 v15, 16, v2
	v_mov_b32_e32 v16, 0x3b800000
	v_lshlrev_b32_e32 v13, 20, v13
	v_and_b32_e32 v15, 0x80000000, v15
	v_lshl_add_u32 v14, v14, 23, v16
	v_or3_b32 v14, v15, v14, v13
.LBB2_13712:
	s_or_b64 exec, exec, s[6:7]
	s_nop 0
	v_mfma_f32_16x16x4f32 a[0:3], v12, v14, a[0:3]
	s_movk_i32 s4, 0xff
	v_and_b32_sdwa v13, v6, s4 dst_sel:DWORD dst_unused:UNUSED_PAD src0_sel:WORD_1 src1_sel:DWORD
	s_movk_i32 s4, 0x7f
	v_cmp_lt_i16_e32 vcc, s4, v13
	s_mov_b64 s[4:5], 0
                                        ; implicit-def: $sgpr10
	s_and_saveexec_b64 s[6:7], vcc
	s_xor_b64 s[6:7], exec, s[6:7]
	s_cbranch_execz .LBB2_13713
; %bb.49553:
	s_getpc_b64 s[14:15]
.Lpost_getpc28360:
	s_add_u32 s14, s14, (.LBB2_28049-.Lpost_getpc28360)&4294967295
	s_addc_u32 s15, s15, (.LBB2_28049-.Lpost_getpc28360)>>32
	s_setpc_b64 s[14:15]
.LBB2_13713:
	s_or_saveexec_b64 s[6:7], s[6:7]
	v_mov_b32_e32 v12, s10
	s_xor_b64 exec, exec, s[6:7]
	s_cbranch_execz .LBB2_13714
; %bb.49555:
	s_getpc_b64 s[14:15]
.Lpost_getpc28361:
	s_add_u32 s14, s14, (.LBB2_28052-.Lpost_getpc28361)&4294967295
	s_addc_u32 s15, s15, (.LBB2_28052-.Lpost_getpc28361)>>32
	s_setpc_b64 s[14:15]
.LBB2_13714:
	s_or_b64 exec, exec, s[6:7]
	s_and_saveexec_b64 s[6:7], s[4:5]
	s_cbranch_execz .LBB2_13716
.LBB2_13715:
	v_bfe_u32 v12, v6, 16, 3
	v_ffbh_u32_e32 v15, v12
	v_min_u32_e32 v15, 32, v15
	v_lshrrev_b32_e32 v13, 19, v6
	v_subrev_u32_e32 v16, 28, v15
	v_and_b32_e32 v13, 15, v13
	v_lshlrev_b32_sdwa v16, v16, v6 dst_sel:DWORD dst_unused:UNUSED_PAD src0_sel:DWORD src1_sel:WORD_1
	v_bfe_u32 v14, v6, 19, 4
	v_sub_u32_e32 v15, 29, v15
	v_and_b32_e32 v16, 7, v16
	v_cmp_eq_u16_e32 vcc, 0, v13
	v_cndmask_b32_e32 v12, v12, v16, vcc
	v_cndmask_b32_e32 v13, v14, v15, vcc
	v_lshlrev_b32_e32 v14, 8, v6
	v_mov_b32_e32 v15, 0x3b800000
	v_lshlrev_b32_e32 v12, 20, v12
	v_and_b32_e32 v14, 0x80000000, v14
	v_lshl_add_u32 v13, v13, 23, v15
	v_or3_b32 v12, v14, v13, v12
.LBB2_13716:
	s_or_b64 exec, exec, s[6:7]
	s_movk_i32 s4, 0xff
	v_and_b32_sdwa v13, v2, s4 dst_sel:DWORD dst_unused:UNUSED_PAD src0_sel:WORD_1 src1_sel:DWORD
	s_movk_i32 s4, 0x7f
	v_cmp_lt_i16_e32 vcc, s4, v13
	s_mov_b64 s[4:5], 0
                                        ; implicit-def: $sgpr10
	s_and_saveexec_b64 s[6:7], vcc
	s_xor_b64 s[6:7], exec, s[6:7]
	s_cbranch_execz .LBB2_13717
; %bb.49557:
	s_getpc_b64 s[14:15]
.Lpost_getpc28362:
	s_add_u32 s14, s14, (.LBB2_28053-.Lpost_getpc28362)&4294967295
	s_addc_u32 s15, s15, (.LBB2_28053-.Lpost_getpc28362)>>32
	s_setpc_b64 s[14:15]
.LBB2_13717:
	s_or_saveexec_b64 s[6:7], s[6:7]
	v_mov_b32_e32 v14, s10
	s_xor_b64 exec, exec, s[6:7]
	s_cbranch_execz .LBB2_13718
; %bb.49559:
	s_getpc_b64 s[14:15]
.Lpost_getpc28363:
	s_add_u32 s14, s14, (.LBB2_28056-.Lpost_getpc28363)&4294967295
	s_addc_u32 s15, s15, (.LBB2_28056-.Lpost_getpc28363)>>32
	s_setpc_b64 s[14:15]
.LBB2_13718:
	s_or_b64 exec, exec, s[6:7]
	s_and_saveexec_b64 s[6:7], s[4:5]
	s_cbranch_execz .LBB2_13720
.LBB2_13719:
	v_bfe_u32 v13, v2, 16, 3
	v_ffbh_u32_e32 v16, v13
	v_min_u32_e32 v16, 32, v16
	v_lshrrev_b32_e32 v14, 19, v2
	v_subrev_u32_e32 v17, 28, v16
	v_and_b32_e32 v14, 15, v14
	v_lshlrev_b32_sdwa v17, v17, v2 dst_sel:DWORD dst_unused:UNUSED_PAD src0_sel:DWORD src1_sel:WORD_1
	v_bfe_u32 v15, v2, 19, 4
	v_sub_u32_e32 v16, 29, v16
	v_and_b32_e32 v17, 7, v17
	v_cmp_eq_u16_e32 vcc, 0, v14
	v_cndmask_b32_e32 v13, v13, v17, vcc
	v_cndmask_b32_e32 v14, v15, v16, vcc
	v_lshlrev_b32_e32 v15, 8, v2
	v_mov_b32_e32 v16, 0x3b800000
	v_lshlrev_b32_e32 v13, 20, v13
	v_and_b32_e32 v15, 0x80000000, v15
	v_lshl_add_u32 v14, v14, 23, v16
	v_or3_b32 v14, v15, v14, v13
.LBB2_13720:
	s_or_b64 exec, exec, s[6:7]
	s_nop 0
	v_mfma_f32_16x16x4f32 a[0:3], v12, v14, a[0:3]
	s_movk_i32 s4, 0x7f
	v_cmp_gt_i16_sdwa s[6:7], v6, s4 src0_sel:BYTE_3 src1_sel:DWORD
	s_mov_b64 s[4:5], 0
                                        ; implicit-def: $sgpr10
	s_and_saveexec_b64 s[8:9], s[6:7]
	s_xor_b64 s[6:7], exec, s[8:9]
	s_cbranch_execz .LBB2_13721
; %bb.49561:
	s_getpc_b64 s[14:15]
.Lpost_getpc28364:
	s_add_u32 s14, s14, (.LBB2_28057-.Lpost_getpc28364)&4294967295
	s_addc_u32 s15, s15, (.LBB2_28057-.Lpost_getpc28364)>>32
	s_setpc_b64 s[14:15]
.LBB2_13721:
	s_or_saveexec_b64 s[6:7], s[6:7]
	v_mov_b32_e32 v12, s10
	s_xor_b64 exec, exec, s[6:7]
	s_cbranch_execz .LBB2_13722
; %bb.49563:
	s_getpc_b64 s[14:15]
.Lpost_getpc28365:
	s_add_u32 s14, s14, (.LBB2_28060-.Lpost_getpc28365)&4294967295
	s_addc_u32 s15, s15, (.LBB2_28060-.Lpost_getpc28365)>>32
	s_setpc_b64 s[14:15]
.LBB2_13722:
	s_or_b64 exec, exec, s[6:7]
	s_and_saveexec_b64 s[6:7], s[4:5]
	s_cbranch_execz .LBB2_13724
.LBB2_13723:
	v_bfe_u32 v12, v6, 24, 3
	v_ffbh_u32_e32 v16, v12
	v_min_u32_e32 v16, 32, v16
	v_lshrrev_b32_e32 v14, 27, v6
	v_subrev_u32_e32 v17, 28, v16
	v_and_b32_e32 v13, 0x80000000, v6
	v_and_b32_e32 v14, 15, v14
	v_bfe_u32 v15, v6, 27, 4
	v_lshlrev_b32_sdwa v6, v17, v6 dst_sel:DWORD dst_unused:UNUSED_PAD src0_sel:DWORD src1_sel:BYTE_3
	v_sub_u32_e32 v16, 29, v16
	v_and_b32_e32 v6, 7, v6
	v_cmp_eq_u16_e32 vcc, 0, v14
	v_cndmask_b32_e32 v6, v12, v6, vcc
	v_cndmask_b32_e32 v12, v15, v16, vcc
	v_mov_b32_e32 v14, 0x3b800000
	v_lshlrev_b32_e32 v6, 20, v6
	v_lshl_add_u32 v12, v12, 23, v14
	v_or3_b32 v12, v13, v12, v6
.LBB2_13724:
	s_or_b64 exec, exec, s[6:7]
	s_movk_i32 s4, 0x7f
	v_cmp_gt_i16_sdwa s[6:7], v2, s4 src0_sel:BYTE_3 src1_sel:DWORD
	s_mov_b64 s[4:5], 0
                                        ; implicit-def: $sgpr10
	s_and_saveexec_b64 s[8:9], s[6:7]
	s_xor_b64 s[6:7], exec, s[8:9]
	s_cbranch_execz .LBB2_13725
; %bb.49565:
	s_getpc_b64 s[14:15]
.Lpost_getpc28366:
	s_add_u32 s14, s14, (.LBB2_28061-.Lpost_getpc28366)&4294967295
	s_addc_u32 s15, s15, (.LBB2_28061-.Lpost_getpc28366)>>32
	s_setpc_b64 s[14:15]
.LBB2_13725:
	s_or_saveexec_b64 s[6:7], s[6:7]
	v_mov_b32_e32 v6, s10
	s_xor_b64 exec, exec, s[6:7]
	s_cbranch_execz .LBB2_13726
; %bb.49567:
	s_getpc_b64 s[14:15]
.Lpost_getpc28367:
	s_add_u32 s14, s14, (.LBB2_28064-.Lpost_getpc28367)&4294967295
	s_addc_u32 s15, s15, (.LBB2_28064-.Lpost_getpc28367)>>32
	s_setpc_b64 s[14:15]
.LBB2_13726:
	s_or_b64 exec, exec, s[6:7]
	s_and_saveexec_b64 s[6:7], s[4:5]
	s_cbranch_execz .LBB2_13728
.LBB2_13727:
	v_bfe_u32 v6, v2, 24, 3
	v_ffbh_u32_e32 v16, v6
	v_min_u32_e32 v16, 32, v16
	v_lshrrev_b32_e32 v14, 27, v2
	v_subrev_u32_e32 v17, 28, v16
	v_and_b32_e32 v13, 0x80000000, v2
	v_and_b32_e32 v14, 15, v14
	v_bfe_u32 v15, v2, 27, 4
	v_lshlrev_b32_sdwa v2, v17, v2 dst_sel:DWORD dst_unused:UNUSED_PAD src0_sel:DWORD src1_sel:BYTE_3
	v_sub_u32_e32 v16, 29, v16
	v_and_b32_e32 v2, 7, v2
	v_cmp_eq_u16_e32 vcc, 0, v14
	v_cndmask_b32_e32 v2, v6, v2, vcc
	v_cndmask_b32_e32 v6, v15, v16, vcc
	v_mov_b32_e32 v14, 0x3b800000
	v_lshlrev_b32_e32 v2, 20, v2
	v_lshl_add_u32 v6, v6, 23, v14
	v_or3_b32 v6, v13, v6, v2
.LBB2_13728:
	s_or_b64 exec, exec, s[6:7]
	s_nop 0
	v_mfma_f32_16x16x4f32 a[0:3], v12, v6, a[0:3]
	s_movk_i32 s4, 0x7f
	v_cmp_gt_i16_sdwa s[6:7], v7, s4 src0_sel:BYTE_0 src1_sel:DWORD
	s_mov_b64 s[4:5], 0
                                        ; implicit-def: $sgpr10
	s_and_saveexec_b64 s[8:9], s[6:7]
	s_xor_b64 s[6:7], exec, s[8:9]
	s_cbranch_execz .LBB2_13729
; %bb.49569:
	s_getpc_b64 s[14:15]
.Lpost_getpc28368:
	s_add_u32 s14, s14, (.LBB2_28065-.Lpost_getpc28368)&4294967295
	s_addc_u32 s15, s15, (.LBB2_28065-.Lpost_getpc28368)>>32
	s_setpc_b64 s[14:15]
.LBB2_13729:
	s_or_saveexec_b64 s[6:7], s[6:7]
	v_mov_b32_e32 v2, s10
	s_xor_b64 exec, exec, s[6:7]
	s_cbranch_execz .LBB2_13730
; %bb.49571:
	s_getpc_b64 s[14:15]
.Lpost_getpc28369:
	s_add_u32 s14, s14, (.LBB2_28068-.Lpost_getpc28369)&4294967295
	s_addc_u32 s15, s15, (.LBB2_28068-.Lpost_getpc28369)>>32
	s_setpc_b64 s[14:15]
.LBB2_13730:
	s_or_b64 exec, exec, s[6:7]
	s_and_saveexec_b64 s[6:7], s[4:5]
	s_cbranch_execz .LBB2_13732
.LBB2_13731:
	v_and_b32_e32 v2, 7, v7
	v_ffbh_u32_e32 v12, v2
	v_min_u32_e32 v12, 32, v12
	v_lshrrev_b16_e32 v6, 3, v7
	v_subrev_u32_e32 v13, 28, v12
	v_and_b32_e32 v6, 15, v6
	v_lshlrev_b32_e32 v13, v13, v7
	v_sub_u32_e32 v12, 29, v12
	v_and_b32_e32 v13, 7, v13
	v_cmp_eq_u16_e32 vcc, 0, v6
	v_cndmask_b32_e32 v2, v2, v13, vcc
	v_cndmask_b32_e32 v6, v6, v12, vcc
	v_lshlrev_b32_e32 v12, 24, v7
	v_mov_b32_e32 v13, 0x3b800000
	v_lshlrev_b32_e32 v2, 20, v2
	v_and_b32_e32 v12, 0x80000000, v12
	v_lshl_add_u32 v6, v6, 23, v13
	v_or3_b32 v2, v12, v6, v2
.LBB2_13732:
	s_or_b64 exec, exec, s[6:7]
	s_movk_i32 s4, 0x7f
	v_cmp_gt_i16_sdwa s[6:7], v3, s4 src0_sel:BYTE_0 src1_sel:DWORD
	s_mov_b64 s[4:5], 0
                                        ; implicit-def: $sgpr10
	s_and_saveexec_b64 s[8:9], s[6:7]
	s_xor_b64 s[6:7], exec, s[8:9]
	s_cbranch_execz .LBB2_13733
; %bb.49573:
	s_getpc_b64 s[14:15]
.Lpost_getpc28370:
	s_add_u32 s14, s14, (.LBB2_28069-.Lpost_getpc28370)&4294967295
	s_addc_u32 s15, s15, (.LBB2_28069-.Lpost_getpc28370)>>32
	s_setpc_b64 s[14:15]
.LBB2_13733:
	s_or_saveexec_b64 s[6:7], s[6:7]
	v_mov_b32_e32 v6, s10
	s_xor_b64 exec, exec, s[6:7]
	s_cbranch_execz .LBB2_13734
; %bb.49575:
	s_getpc_b64 s[14:15]
.Lpost_getpc28371:
	s_add_u32 s14, s14, (.LBB2_28072-.Lpost_getpc28371)&4294967295
	s_addc_u32 s15, s15, (.LBB2_28072-.Lpost_getpc28371)>>32
	s_setpc_b64 s[14:15]
.LBB2_13734:
	s_or_b64 exec, exec, s[6:7]
	s_and_saveexec_b64 s[6:7], s[4:5]
	s_cbranch_execz .LBB2_13736
.LBB2_13735:
	v_and_b32_e32 v6, 7, v3
	v_ffbh_u32_e32 v13, v6
	v_min_u32_e32 v13, 32, v13
	v_lshrrev_b16_e32 v12, 3, v3
	v_subrev_u32_e32 v14, 28, v13
	v_and_b32_e32 v12, 15, v12
	v_lshlrev_b32_e32 v14, v14, v3
	v_sub_u32_e32 v13, 29, v13
	v_and_b32_e32 v14, 7, v14
	v_cmp_eq_u16_e32 vcc, 0, v12
	v_cndmask_b32_e32 v6, v6, v14, vcc
	v_cndmask_b32_e32 v12, v12, v13, vcc
	v_lshlrev_b32_e32 v13, 24, v3
	v_mov_b32_e32 v14, 0x3b800000
	v_lshlrev_b32_e32 v6, 20, v6
	v_and_b32_e32 v13, 0x80000000, v13
	v_lshl_add_u32 v12, v12, 23, v14
	v_or3_b32 v6, v13, v12, v6
.LBB2_13736:
	s_or_b64 exec, exec, s[6:7]
	s_nop 0
	v_mfma_f32_16x16x4f32 a[0:3], v2, v6, a[0:3]
	v_lshrrev_b32_e32 v6, 8, v7
	s_movk_i32 s4, 0x7f
	v_cmp_gt_i16_sdwa s[6:7], v6, s4 src0_sel:BYTE_0 src1_sel:DWORD
	s_mov_b64 s[4:5], 0
                                        ; implicit-def: $sgpr10
	s_and_saveexec_b64 s[8:9], s[6:7]
	s_xor_b64 s[6:7], exec, s[8:9]
	s_cbranch_execz .LBB2_13737
; %bb.49577:
	s_getpc_b64 s[14:15]
.Lpost_getpc28372:
	s_add_u32 s14, s14, (.LBB2_28073-.Lpost_getpc28372)&4294967295
	s_addc_u32 s15, s15, (.LBB2_28073-.Lpost_getpc28372)>>32
	s_setpc_b64 s[14:15]
.LBB2_13737:
	s_or_saveexec_b64 s[6:7], s[6:7]
	v_mov_b32_e32 v2, s10
	s_xor_b64 exec, exec, s[6:7]
	s_cbranch_execz .LBB2_13738
; %bb.49579:
	s_getpc_b64 s[14:15]
.Lpost_getpc28373:
	s_add_u32 s14, s14, (.LBB2_28076-.Lpost_getpc28373)&4294967295
	s_addc_u32 s15, s15, (.LBB2_28076-.Lpost_getpc28373)>>32
	s_setpc_b64 s[14:15]
.LBB2_13738:
	s_or_b64 exec, exec, s[6:7]
	s_and_saveexec_b64 s[6:7], s[4:5]
	s_cbranch_execz .LBB2_13740
.LBB2_13739:
	v_bfe_u32 v2, v7, 8, 3
	v_ffbh_u32_e32 v13, v2
	v_min_u32_e32 v13, 32, v13
	v_lshrrev_b16_e32 v12, 3, v6
	v_subrev_u32_e32 v14, 28, v13
	v_and_b32_e32 v12, 15, v12
	v_lshlrev_b32_e32 v6, v14, v6
	v_sub_u32_e32 v13, 29, v13
	v_and_b32_e32 v6, 7, v6
	v_cmp_eq_u16_e32 vcc, 0, v12
	v_cndmask_b32_e32 v2, v2, v6, vcc
	v_cndmask_b32_e32 v6, v12, v13, vcc
	v_lshlrev_b32_e32 v12, 16, v7
	v_mov_b32_e32 v13, 0x3b800000
	v_lshlrev_b32_e32 v2, 20, v2
	v_and_b32_e32 v12, 0x80000000, v12
	v_lshl_add_u32 v6, v6, 23, v13
	v_or3_b32 v2, v12, v6, v2
.LBB2_13740:
	s_or_b64 exec, exec, s[6:7]
	v_lshrrev_b32_e32 v6, 8, v3
	s_movk_i32 s4, 0x7f
	v_cmp_gt_i16_sdwa s[6:7], v6, s4 src0_sel:BYTE_0 src1_sel:DWORD
	s_mov_b64 s[4:5], 0
                                        ; implicit-def: $sgpr10
	s_and_saveexec_b64 s[8:9], s[6:7]
	s_xor_b64 s[6:7], exec, s[8:9]
	s_cbranch_execz .LBB2_13741
; %bb.49581:
	s_getpc_b64 s[14:15]
.Lpost_getpc28374:
	s_add_u32 s14, s14, (.LBB2_28077-.Lpost_getpc28374)&4294967295
	s_addc_u32 s15, s15, (.LBB2_28077-.Lpost_getpc28374)>>32
	s_setpc_b64 s[14:15]
.LBB2_13741:
	s_or_saveexec_b64 s[6:7], s[6:7]
	v_mov_b32_e32 v12, s10
	s_xor_b64 exec, exec, s[6:7]
	s_cbranch_execz .LBB2_13742
; %bb.49583:
	s_getpc_b64 s[14:15]
.Lpost_getpc28375:
	s_add_u32 s14, s14, (.LBB2_28080-.Lpost_getpc28375)&4294967295
	s_addc_u32 s15, s15, (.LBB2_28080-.Lpost_getpc28375)>>32
	s_setpc_b64 s[14:15]
.LBB2_13742:
	s_or_b64 exec, exec, s[6:7]
	s_and_saveexec_b64 s[6:7], s[4:5]
	s_cbranch_execz .LBB2_13744
.LBB2_13743:
	v_bfe_u32 v12, v3, 8, 3
	v_ffbh_u32_e32 v14, v12
	v_min_u32_e32 v14, 32, v14
	v_lshrrev_b16_e32 v13, 3, v6
	v_subrev_u32_e32 v15, 28, v14
	v_and_b32_e32 v13, 15, v13
	v_lshlrev_b32_e32 v6, v15, v6
	v_sub_u32_e32 v14, 29, v14
	v_and_b32_e32 v6, 7, v6
	v_cmp_eq_u16_e32 vcc, 0, v13
	v_cndmask_b32_e32 v6, v12, v6, vcc
	v_cndmask_b32_e32 v12, v13, v14, vcc
	v_lshlrev_b32_e32 v13, 16, v3
	v_mov_b32_e32 v14, 0x3b800000
	v_lshlrev_b32_e32 v6, 20, v6
	v_and_b32_e32 v13, 0x80000000, v13
	v_lshl_add_u32 v12, v12, 23, v14
	v_or3_b32 v12, v13, v12, v6
.LBB2_13744:
	s_or_b64 exec, exec, s[6:7]
	s_nop 0
	v_mfma_f32_16x16x4f32 a[0:3], v2, v12, a[0:3]
	s_movk_i32 s4, 0xff
	v_and_b32_sdwa v6, v7, s4 dst_sel:DWORD dst_unused:UNUSED_PAD src0_sel:WORD_1 src1_sel:DWORD
	s_movk_i32 s4, 0x7f
	v_cmp_lt_i16_e32 vcc, s4, v6
	s_mov_b64 s[4:5], 0
                                        ; implicit-def: $sgpr10
	s_and_saveexec_b64 s[6:7], vcc
	s_xor_b64 s[6:7], exec, s[6:7]
	s_cbranch_execz .LBB2_13745
; %bb.49585:
	s_getpc_b64 s[14:15]
.Lpost_getpc28376:
	s_add_u32 s14, s14, (.LBB2_28081-.Lpost_getpc28376)&4294967295
	s_addc_u32 s15, s15, (.LBB2_28081-.Lpost_getpc28376)>>32
	s_setpc_b64 s[14:15]
.LBB2_13745:
	s_or_saveexec_b64 s[6:7], s[6:7]
	v_mov_b32_e32 v2, s10
	s_xor_b64 exec, exec, s[6:7]
	s_cbranch_execz .LBB2_13746
; %bb.49587:
	s_getpc_b64 s[14:15]
.Lpost_getpc28377:
	s_add_u32 s14, s14, (.LBB2_28084-.Lpost_getpc28377)&4294967295
	s_addc_u32 s15, s15, (.LBB2_28084-.Lpost_getpc28377)>>32
	s_setpc_b64 s[14:15]
.LBB2_13746:
	s_or_b64 exec, exec, s[6:7]
	s_and_saveexec_b64 s[6:7], s[4:5]
	s_cbranch_execz .LBB2_13748
.LBB2_13747:
	v_bfe_u32 v2, v7, 16, 3
	v_ffbh_u32_e32 v13, v2
	v_min_u32_e32 v13, 32, v13
	v_lshrrev_b32_e32 v6, 19, v7
	v_subrev_u32_e32 v14, 28, v13
	v_and_b32_e32 v6, 15, v6
	v_lshlrev_b32_sdwa v14, v14, v7 dst_sel:DWORD dst_unused:UNUSED_PAD src0_sel:DWORD src1_sel:WORD_1
	v_bfe_u32 v12, v7, 19, 4
	v_sub_u32_e32 v13, 29, v13
	v_and_b32_e32 v14, 7, v14
	v_cmp_eq_u16_e32 vcc, 0, v6
	v_cndmask_b32_e32 v2, v2, v14, vcc
	v_cndmask_b32_e32 v6, v12, v13, vcc
	v_lshlrev_b32_e32 v12, 8, v7
	v_mov_b32_e32 v13, 0x3b800000
	v_lshlrev_b32_e32 v2, 20, v2
	v_and_b32_e32 v12, 0x80000000, v12
	v_lshl_add_u32 v6, v6, 23, v13
	v_or3_b32 v2, v12, v6, v2
.LBB2_13748:
	s_or_b64 exec, exec, s[6:7]
	s_movk_i32 s4, 0xff
	v_and_b32_sdwa v6, v3, s4 dst_sel:DWORD dst_unused:UNUSED_PAD src0_sel:WORD_1 src1_sel:DWORD
	s_movk_i32 s4, 0x7f
	v_cmp_lt_i16_e32 vcc, s4, v6
	s_mov_b64 s[4:5], 0
                                        ; implicit-def: $sgpr10
	s_and_saveexec_b64 s[6:7], vcc
	s_xor_b64 s[6:7], exec, s[6:7]
	s_cbranch_execz .LBB2_13749
; %bb.49589:
	s_getpc_b64 s[14:15]
.Lpost_getpc28378:
	s_add_u32 s14, s14, (.LBB2_28085-.Lpost_getpc28378)&4294967295
	s_addc_u32 s15, s15, (.LBB2_28085-.Lpost_getpc28378)>>32
	s_setpc_b64 s[14:15]
.LBB2_13749:
	s_or_saveexec_b64 s[6:7], s[6:7]
	v_mov_b32_e32 v12, s10
	s_xor_b64 exec, exec, s[6:7]
	s_cbranch_execz .LBB2_13750
; %bb.49591:
	s_getpc_b64 s[14:15]
.Lpost_getpc28379:
	s_add_u32 s14, s14, (.LBB2_28088-.Lpost_getpc28379)&4294967295
	s_addc_u32 s15, s15, (.LBB2_28088-.Lpost_getpc28379)>>32
	s_setpc_b64 s[14:15]
.LBB2_13750:
	s_or_b64 exec, exec, s[6:7]
	s_and_saveexec_b64 s[6:7], s[4:5]
	s_cbranch_execz .LBB2_13752
.LBB2_13751:
	v_bfe_u32 v6, v3, 16, 3
	v_ffbh_u32_e32 v14, v6
	v_min_u32_e32 v14, 32, v14
	v_lshrrev_b32_e32 v12, 19, v3
	v_subrev_u32_e32 v15, 28, v14
	v_and_b32_e32 v12, 15, v12
	v_lshlrev_b32_sdwa v15, v15, v3 dst_sel:DWORD dst_unused:UNUSED_PAD src0_sel:DWORD src1_sel:WORD_1
	v_bfe_u32 v13, v3, 19, 4
	v_sub_u32_e32 v14, 29, v14
	v_and_b32_e32 v15, 7, v15
	v_cmp_eq_u16_e32 vcc, 0, v12
	v_cndmask_b32_e32 v6, v6, v15, vcc
	v_cndmask_b32_e32 v12, v13, v14, vcc
	v_lshlrev_b32_e32 v13, 8, v3
	v_mov_b32_e32 v14, 0x3b800000
	v_lshlrev_b32_e32 v6, 20, v6
	v_and_b32_e32 v13, 0x80000000, v13
	v_lshl_add_u32 v12, v12, 23, v14
	v_or3_b32 v12, v13, v12, v6
.LBB2_13752:
	s_or_b64 exec, exec, s[6:7]
	s_nop 0
	v_mfma_f32_16x16x4f32 a[0:3], v2, v12, a[0:3]
	s_movk_i32 s4, 0x7f
	v_cmp_gt_i16_sdwa s[6:7], v7, s4 src0_sel:BYTE_3 src1_sel:DWORD
	s_mov_b64 s[4:5], 0
                                        ; implicit-def: $sgpr10
	s_and_saveexec_b64 s[8:9], s[6:7]
	s_xor_b64 s[6:7], exec, s[8:9]
	s_cbranch_execz .LBB2_13753
; %bb.49593:
	s_getpc_b64 s[14:15]
.Lpost_getpc28380:
	s_add_u32 s14, s14, (.LBB2_28089-.Lpost_getpc28380)&4294967295
	s_addc_u32 s15, s15, (.LBB2_28089-.Lpost_getpc28380)>>32
	s_setpc_b64 s[14:15]
.LBB2_13753:
	s_or_saveexec_b64 s[6:7], s[6:7]
	v_mov_b32_e32 v2, s10
	s_xor_b64 exec, exec, s[6:7]
	s_cbranch_execz .LBB2_13754
; %bb.49595:
	s_getpc_b64 s[14:15]
.Lpost_getpc28381:
	s_add_u32 s14, s14, (.LBB2_28092-.Lpost_getpc28381)&4294967295
	s_addc_u32 s15, s15, (.LBB2_28092-.Lpost_getpc28381)>>32
	s_setpc_b64 s[14:15]
.LBB2_13754:
	s_or_b64 exec, exec, s[6:7]
	s_and_saveexec_b64 s[6:7], s[4:5]
	s_cbranch_execz .LBB2_13756
.LBB2_13755:
	v_bfe_u32 v2, v7, 24, 3
	v_ffbh_u32_e32 v14, v2
	v_min_u32_e32 v14, 32, v14
	v_lshrrev_b32_e32 v12, 27, v7
	v_subrev_u32_e32 v15, 28, v14
	v_and_b32_e32 v6, 0x80000000, v7
	v_and_b32_e32 v12, 15, v12
	v_bfe_u32 v13, v7, 27, 4
	v_lshlrev_b32_sdwa v7, v15, v7 dst_sel:DWORD dst_unused:UNUSED_PAD src0_sel:DWORD src1_sel:BYTE_3
	v_sub_u32_e32 v14, 29, v14
	v_and_b32_e32 v7, 7, v7
	v_cmp_eq_u16_e32 vcc, 0, v12
	v_cndmask_b32_e32 v2, v2, v7, vcc
	v_cndmask_b32_e32 v7, v13, v14, vcc
	v_mov_b32_e32 v12, 0x3b800000
	v_lshlrev_b32_e32 v2, 20, v2
	v_lshl_add_u32 v7, v7, 23, v12
	v_or3_b32 v2, v6, v7, v2
.LBB2_13756:
	s_or_b64 exec, exec, s[6:7]
	s_movk_i32 s4, 0x7f
	v_cmp_gt_i16_sdwa s[6:7], v3, s4 src0_sel:BYTE_3 src1_sel:DWORD
	s_mov_b64 s[4:5], 0
                                        ; implicit-def: $sgpr10
	s_and_saveexec_b64 s[8:9], s[6:7]
	s_xor_b64 s[6:7], exec, s[8:9]
	s_cbranch_execz .LBB2_13757
; %bb.49597:
	s_getpc_b64 s[14:15]
.Lpost_getpc28382:
	s_add_u32 s14, s14, (.LBB2_28093-.Lpost_getpc28382)&4294967295
	s_addc_u32 s15, s15, (.LBB2_28093-.Lpost_getpc28382)>>32
	s_setpc_b64 s[14:15]
.LBB2_13757:
	s_or_saveexec_b64 s[6:7], s[6:7]
	v_mov_b32_e32 v6, s10
	s_xor_b64 exec, exec, s[6:7]
	s_cbranch_execz .LBB2_13758
; %bb.49599:
	s_getpc_b64 s[14:15]
.Lpost_getpc28383:
	s_add_u32 s14, s14, (.LBB2_28096-.Lpost_getpc28383)&4294967295
	s_addc_u32 s15, s15, (.LBB2_28096-.Lpost_getpc28383)>>32
	s_setpc_b64 s[14:15]
.LBB2_13758:
	s_or_b64 exec, exec, s[6:7]
	s_and_saveexec_b64 s[6:7], s[4:5]
	s_cbranch_execz .LBB2_13760
.LBB2_13759:
	v_bfe_u32 v6, v3, 24, 3
	v_ffbh_u32_e32 v14, v6
	v_min_u32_e32 v14, 32, v14
	v_lshrrev_b32_e32 v12, 27, v3
	v_subrev_u32_e32 v15, 28, v14
	v_and_b32_e32 v7, 0x80000000, v3
	v_and_b32_e32 v12, 15, v12
	v_bfe_u32 v13, v3, 27, 4
	v_lshlrev_b32_sdwa v3, v15, v3 dst_sel:DWORD dst_unused:UNUSED_PAD src0_sel:DWORD src1_sel:BYTE_3
	v_sub_u32_e32 v14, 29, v14
	v_and_b32_e32 v3, 7, v3
	v_cmp_eq_u16_e32 vcc, 0, v12
	v_cndmask_b32_e32 v3, v6, v3, vcc
	v_cndmask_b32_e32 v6, v13, v14, vcc
	v_mov_b32_e32 v12, 0x3b800000
	v_lshlrev_b32_e32 v3, 20, v3
	v_lshl_add_u32 v6, v6, 23, v12
	v_or3_b32 v6, v7, v6, v3
.LBB2_13760:
	s_or_b64 exec, exec, s[6:7]
	s_nop 0
	v_mfma_f32_16x16x4f32 a[0:3], v2, v6, a[0:3]
	s_movk_i32 s4, 0x7f
	v_cmp_gt_i16_sdwa s[6:7], v8, s4 src0_sel:BYTE_0 src1_sel:DWORD
	s_mov_b64 s[4:5], 0
                                        ; implicit-def: $sgpr10
	s_and_saveexec_b64 s[8:9], s[6:7]
	s_xor_b64 s[6:7], exec, s[8:9]
	s_cbranch_execz .LBB2_13761
; %bb.49601:
	s_getpc_b64 s[14:15]
.Lpost_getpc28384:
	s_add_u32 s14, s14, (.LBB2_28097-.Lpost_getpc28384)&4294967295
	s_addc_u32 s15, s15, (.LBB2_28097-.Lpost_getpc28384)>>32
	s_setpc_b64 s[14:15]
.LBB2_13761:
	s_or_saveexec_b64 s[6:7], s[6:7]
	v_mov_b32_e32 v2, s10
	s_xor_b64 exec, exec, s[6:7]
	s_cbranch_execz .LBB2_13762
; %bb.49603:
	s_getpc_b64 s[14:15]
.Lpost_getpc28385:
	s_add_u32 s14, s14, (.LBB2_28100-.Lpost_getpc28385)&4294967295
	s_addc_u32 s15, s15, (.LBB2_28100-.Lpost_getpc28385)>>32
	s_setpc_b64 s[14:15]
.LBB2_13762:
	s_or_b64 exec, exec, s[6:7]
	s_and_saveexec_b64 s[6:7], s[4:5]
	s_cbranch_execz .LBB2_13764
.LBB2_13763:
	v_and_b32_e32 v2, 7, v8
	v_ffbh_u32_e32 v6, v2
	v_min_u32_e32 v6, 32, v6
	v_lshrrev_b16_e32 v3, 3, v8
	v_subrev_u32_e32 v7, 28, v6
	v_and_b32_e32 v3, 15, v3
	v_lshlrev_b32_e32 v7, v7, v8
	v_sub_u32_e32 v6, 29, v6
	v_and_b32_e32 v7, 7, v7
	v_cmp_eq_u16_e32 vcc, 0, v3
	v_cndmask_b32_e32 v2, v2, v7, vcc
	v_cndmask_b32_e32 v3, v3, v6, vcc
	v_lshlrev_b32_e32 v6, 24, v8
	v_mov_b32_e32 v7, 0x3b800000
	v_lshlrev_b32_e32 v2, 20, v2
	v_and_b32_e32 v6, 0x80000000, v6
	v_lshl_add_u32 v3, v3, 23, v7
	v_or3_b32 v2, v6, v3, v2
.LBB2_13764:
	s_or_b64 exec, exec, s[6:7]
	s_movk_i32 s4, 0x7f
	v_cmp_gt_i16_sdwa s[6:7], v4, s4 src0_sel:BYTE_0 src1_sel:DWORD
	s_mov_b64 s[4:5], 0
                                        ; implicit-def: $sgpr10
	s_and_saveexec_b64 s[8:9], s[6:7]
	s_xor_b64 s[6:7], exec, s[8:9]
	s_cbranch_execz .LBB2_13765
; %bb.49605:
	s_getpc_b64 s[14:15]
.Lpost_getpc28386:
	s_add_u32 s14, s14, (.LBB2_28101-.Lpost_getpc28386)&4294967295
	s_addc_u32 s15, s15, (.LBB2_28101-.Lpost_getpc28386)>>32
	s_setpc_b64 s[14:15]
.LBB2_13765:
	s_or_saveexec_b64 s[6:7], s[6:7]
	v_mov_b32_e32 v3, s10
	s_xor_b64 exec, exec, s[6:7]
	s_cbranch_execz .LBB2_13766
; %bb.49607:
	s_getpc_b64 s[14:15]
.Lpost_getpc28387:
	s_add_u32 s14, s14, (.LBB2_28104-.Lpost_getpc28387)&4294967295
	s_addc_u32 s15, s15, (.LBB2_28104-.Lpost_getpc28387)>>32
	s_setpc_b64 s[14:15]
.LBB2_13766:
	s_or_b64 exec, exec, s[6:7]
	s_and_saveexec_b64 s[6:7], s[4:5]
	s_cbranch_execz .LBB2_13768
.LBB2_13767:
	v_and_b32_e32 v3, 7, v4
	v_ffbh_u32_e32 v7, v3
	v_min_u32_e32 v7, 32, v7
	v_lshrrev_b16_e32 v6, 3, v4
	v_subrev_u32_e32 v12, 28, v7
	v_and_b32_e32 v6, 15, v6
	v_lshlrev_b32_e32 v12, v12, v4
	v_sub_u32_e32 v7, 29, v7
	v_and_b32_e32 v12, 7, v12
	v_cmp_eq_u16_e32 vcc, 0, v6
	v_cndmask_b32_e32 v3, v3, v12, vcc
	v_cndmask_b32_e32 v6, v6, v7, vcc
	v_lshlrev_b32_e32 v7, 24, v4
	v_mov_b32_e32 v12, 0x3b800000
	v_lshlrev_b32_e32 v3, 20, v3
	v_and_b32_e32 v7, 0x80000000, v7
	v_lshl_add_u32 v6, v6, 23, v12
	v_or3_b32 v3, v7, v6, v3
.LBB2_13768:
	s_or_b64 exec, exec, s[6:7]
	s_nop 0
	v_mfma_f32_16x16x4f32 a[0:3], v2, v3, a[0:3]
	v_lshrrev_b32_e32 v3, 8, v8
	s_movk_i32 s4, 0x7f
	v_cmp_gt_i16_sdwa s[6:7], v3, s4 src0_sel:BYTE_0 src1_sel:DWORD
	s_mov_b64 s[4:5], 0
                                        ; implicit-def: $sgpr10
	s_and_saveexec_b64 s[8:9], s[6:7]
	s_xor_b64 s[6:7], exec, s[8:9]
	s_cbranch_execz .LBB2_13769
; %bb.49609:
	s_getpc_b64 s[14:15]
.Lpost_getpc28388:
	s_add_u32 s14, s14, (.LBB2_28105-.Lpost_getpc28388)&4294967295
	s_addc_u32 s15, s15, (.LBB2_28105-.Lpost_getpc28388)>>32
	s_setpc_b64 s[14:15]
.LBB2_13769:
	s_or_saveexec_b64 s[6:7], s[6:7]
	v_mov_b32_e32 v2, s10
	s_xor_b64 exec, exec, s[6:7]
	s_cbranch_execz .LBB2_13770
; %bb.49611:
	s_getpc_b64 s[14:15]
.Lpost_getpc28389:
	s_add_u32 s14, s14, (.LBB2_28108-.Lpost_getpc28389)&4294967295
	s_addc_u32 s15, s15, (.LBB2_28108-.Lpost_getpc28389)>>32
	s_setpc_b64 s[14:15]
.LBB2_13770:
	s_or_b64 exec, exec, s[6:7]
	s_and_saveexec_b64 s[6:7], s[4:5]
	s_cbranch_execz .LBB2_13772
.LBB2_13771:
	v_bfe_u32 v2, v8, 8, 3
	v_ffbh_u32_e32 v7, v2
	v_min_u32_e32 v7, 32, v7
	v_lshrrev_b16_e32 v6, 3, v3
	v_subrev_u32_e32 v12, 28, v7
	v_and_b32_e32 v6, 15, v6
	v_lshlrev_b32_e32 v3, v12, v3
	v_sub_u32_e32 v7, 29, v7
	v_and_b32_e32 v3, 7, v3
	v_cmp_eq_u16_e32 vcc, 0, v6
	v_cndmask_b32_e32 v2, v2, v3, vcc
	v_cndmask_b32_e32 v3, v6, v7, vcc
	v_lshlrev_b32_e32 v6, 16, v8
	v_mov_b32_e32 v7, 0x3b800000
	v_lshlrev_b32_e32 v2, 20, v2
	v_and_b32_e32 v6, 0x80000000, v6
	v_lshl_add_u32 v3, v3, 23, v7
	v_or3_b32 v2, v6, v3, v2
.LBB2_13772:
	s_or_b64 exec, exec, s[6:7]
	v_lshrrev_b32_e32 v3, 8, v4
	s_movk_i32 s4, 0x7f
	v_cmp_gt_i16_sdwa s[6:7], v3, s4 src0_sel:BYTE_0 src1_sel:DWORD
	s_mov_b64 s[4:5], 0
                                        ; implicit-def: $sgpr10
	s_and_saveexec_b64 s[8:9], s[6:7]
	s_xor_b64 s[6:7], exec, s[8:9]
	s_cbranch_execz .LBB2_13773
; %bb.49613:
	s_getpc_b64 s[14:15]
.Lpost_getpc28390:
	s_add_u32 s14, s14, (.LBB2_28109-.Lpost_getpc28390)&4294967295
	s_addc_u32 s15, s15, (.LBB2_28109-.Lpost_getpc28390)>>32
	s_setpc_b64 s[14:15]
.LBB2_13773:
	s_or_saveexec_b64 s[6:7], s[6:7]
	v_mov_b32_e32 v6, s10
	s_xor_b64 exec, exec, s[6:7]
	s_cbranch_execz .LBB2_13774
; %bb.49615:
	s_getpc_b64 s[14:15]
.Lpost_getpc28391:
	s_add_u32 s14, s14, (.LBB2_28112-.Lpost_getpc28391)&4294967295
	s_addc_u32 s15, s15, (.LBB2_28112-.Lpost_getpc28391)>>32
	s_setpc_b64 s[14:15]
.LBB2_13774:
	s_or_b64 exec, exec, s[6:7]
	s_and_saveexec_b64 s[6:7], s[4:5]
	s_cbranch_execz .LBB2_13776
.LBB2_13775:
	v_bfe_u32 v6, v4, 8, 3
	v_ffbh_u32_e32 v12, v6
	v_min_u32_e32 v12, 32, v12
	v_lshrrev_b16_e32 v7, 3, v3
	v_subrev_u32_e32 v13, 28, v12
	v_and_b32_e32 v7, 15, v7
	v_lshlrev_b32_e32 v3, v13, v3
	v_sub_u32_e32 v12, 29, v12
	v_and_b32_e32 v3, 7, v3
	v_cmp_eq_u16_e32 vcc, 0, v7
	v_cndmask_b32_e32 v3, v6, v3, vcc
	v_cndmask_b32_e32 v6, v7, v12, vcc
	v_lshlrev_b32_e32 v7, 16, v4
	v_mov_b32_e32 v12, 0x3b800000
	v_lshlrev_b32_e32 v3, 20, v3
	v_and_b32_e32 v7, 0x80000000, v7
	v_lshl_add_u32 v6, v6, 23, v12
	v_or3_b32 v6, v7, v6, v3
.LBB2_13776:
	s_or_b64 exec, exec, s[6:7]
	s_nop 0
	v_mfma_f32_16x16x4f32 a[0:3], v2, v6, a[0:3]
	s_movk_i32 s4, 0xff
	v_and_b32_sdwa v3, v8, s4 dst_sel:DWORD dst_unused:UNUSED_PAD src0_sel:WORD_1 src1_sel:DWORD
	s_movk_i32 s4, 0x7f
	v_cmp_lt_i16_e32 vcc, s4, v3
	s_mov_b64 s[4:5], 0
                                        ; implicit-def: $sgpr10
	s_and_saveexec_b64 s[6:7], vcc
	s_xor_b64 s[6:7], exec, s[6:7]
	s_cbranch_execz .LBB2_13777
; %bb.49617:
	s_getpc_b64 s[14:15]
.Lpost_getpc28392:
	s_add_u32 s14, s14, (.LBB2_28113-.Lpost_getpc28392)&4294967295
	s_addc_u32 s15, s15, (.LBB2_28113-.Lpost_getpc28392)>>32
	s_setpc_b64 s[14:15]
.LBB2_13777:
	s_or_saveexec_b64 s[6:7], s[6:7]
	v_mov_b32_e32 v2, s10
	s_xor_b64 exec, exec, s[6:7]
	s_cbranch_execz .LBB2_13778
; %bb.49619:
	s_getpc_b64 s[14:15]
.Lpost_getpc28393:
	s_add_u32 s14, s14, (.LBB2_28116-.Lpost_getpc28393)&4294967295
	s_addc_u32 s15, s15, (.LBB2_28116-.Lpost_getpc28393)>>32
	s_setpc_b64 s[14:15]
.LBB2_13778:
	s_or_b64 exec, exec, s[6:7]
	s_and_saveexec_b64 s[6:7], s[4:5]
	s_cbranch_execz .LBB2_13780
.LBB2_13779:
	v_bfe_u32 v2, v8, 16, 3
	v_ffbh_u32_e32 v7, v2
	v_min_u32_e32 v7, 32, v7
	v_lshrrev_b32_e32 v3, 19, v8
	v_subrev_u32_e32 v12, 28, v7
	v_and_b32_e32 v3, 15, v3
	v_lshlrev_b32_sdwa v12, v12, v8 dst_sel:DWORD dst_unused:UNUSED_PAD src0_sel:DWORD src1_sel:WORD_1
	v_bfe_u32 v6, v8, 19, 4
	v_sub_u32_e32 v7, 29, v7
	v_and_b32_e32 v12, 7, v12
	v_cmp_eq_u16_e32 vcc, 0, v3
	v_cndmask_b32_e32 v2, v2, v12, vcc
	v_cndmask_b32_e32 v3, v6, v7, vcc
	v_lshlrev_b32_e32 v6, 8, v8
	v_mov_b32_e32 v7, 0x3b800000
	v_lshlrev_b32_e32 v2, 20, v2
	v_and_b32_e32 v6, 0x80000000, v6
	v_lshl_add_u32 v3, v3, 23, v7
	v_or3_b32 v2, v6, v3, v2
.LBB2_13780:
	s_or_b64 exec, exec, s[6:7]
	s_movk_i32 s4, 0xff
	v_and_b32_sdwa v3, v4, s4 dst_sel:DWORD dst_unused:UNUSED_PAD src0_sel:WORD_1 src1_sel:DWORD
	s_movk_i32 s4, 0x7f
	v_cmp_lt_i16_e32 vcc, s4, v3
	s_mov_b64 s[4:5], 0
                                        ; implicit-def: $sgpr10
	s_and_saveexec_b64 s[6:7], vcc
	s_xor_b64 s[6:7], exec, s[6:7]
	s_cbranch_execz .LBB2_13781
; %bb.49621:
	s_getpc_b64 s[14:15]
.Lpost_getpc28394:
	s_add_u32 s14, s14, (.LBB2_28117-.Lpost_getpc28394)&4294967295
	s_addc_u32 s15, s15, (.LBB2_28117-.Lpost_getpc28394)>>32
	s_setpc_b64 s[14:15]
.LBB2_13781:
	s_or_saveexec_b64 s[6:7], s[6:7]
	v_mov_b32_e32 v6, s10
	s_xor_b64 exec, exec, s[6:7]
	s_cbranch_execz .LBB2_13782
; %bb.49623:
	s_getpc_b64 s[14:15]
.Lpost_getpc28395:
	s_add_u32 s14, s14, (.LBB2_28120-.Lpost_getpc28395)&4294967295
	s_addc_u32 s15, s15, (.LBB2_28120-.Lpost_getpc28395)>>32
	s_setpc_b64 s[14:15]
.LBB2_13782:
	s_or_b64 exec, exec, s[6:7]
	s_and_saveexec_b64 s[6:7], s[4:5]
	s_cbranch_execz .LBB2_13784
.LBB2_13783:
	v_bfe_u32 v3, v4, 16, 3
	v_ffbh_u32_e32 v12, v3
	v_min_u32_e32 v12, 32, v12
	v_lshrrev_b32_e32 v6, 19, v4
	v_subrev_u32_e32 v13, 28, v12
	v_and_b32_e32 v6, 15, v6
	v_lshlrev_b32_sdwa v13, v13, v4 dst_sel:DWORD dst_unused:UNUSED_PAD src0_sel:DWORD src1_sel:WORD_1
	v_bfe_u32 v7, v4, 19, 4
	v_sub_u32_e32 v12, 29, v12
	v_and_b32_e32 v13, 7, v13
	v_cmp_eq_u16_e32 vcc, 0, v6
	v_cndmask_b32_e32 v3, v3, v13, vcc
	v_cndmask_b32_e32 v6, v7, v12, vcc
	v_lshlrev_b32_e32 v7, 8, v4
	v_mov_b32_e32 v12, 0x3b800000
	v_lshlrev_b32_e32 v3, 20, v3
	v_and_b32_e32 v7, 0x80000000, v7
	v_lshl_add_u32 v6, v6, 23, v12
	v_or3_b32 v6, v7, v6, v3
.LBB2_13784:
	s_or_b64 exec, exec, s[6:7]
	s_nop 0
	v_mfma_f32_16x16x4f32 a[0:3], v2, v6, a[0:3]
	s_movk_i32 s4, 0x7f
	v_cmp_gt_i16_sdwa s[6:7], v8, s4 src0_sel:BYTE_3 src1_sel:DWORD
	s_mov_b64 s[4:5], 0
                                        ; implicit-def: $sgpr10
	s_and_saveexec_b64 s[8:9], s[6:7]
	s_xor_b64 s[6:7], exec, s[8:9]
	s_cbranch_execz .LBB2_13785
; %bb.49625:
	s_getpc_b64 s[14:15]
.Lpost_getpc28396:
	s_add_u32 s14, s14, (.LBB2_28121-.Lpost_getpc28396)&4294967295
	s_addc_u32 s15, s15, (.LBB2_28121-.Lpost_getpc28396)>>32
	s_setpc_b64 s[14:15]
.LBB2_13785:
	s_or_saveexec_b64 s[6:7], s[6:7]
	v_mov_b32_e32 v2, s10
	s_xor_b64 exec, exec, s[6:7]
	s_cbranch_execz .LBB2_13786
; %bb.49627:
	s_getpc_b64 s[14:15]
.Lpost_getpc28397:
	s_add_u32 s14, s14, (.LBB2_28124-.Lpost_getpc28397)&4294967295
	s_addc_u32 s15, s15, (.LBB2_28124-.Lpost_getpc28397)>>32
	s_setpc_b64 s[14:15]
.LBB2_13786:
	s_or_b64 exec, exec, s[6:7]
	s_and_saveexec_b64 s[6:7], s[4:5]
	s_cbranch_execz .LBB2_13788
.LBB2_13787:
	v_bfe_u32 v2, v8, 24, 3
	v_ffbh_u32_e32 v12, v2
	v_min_u32_e32 v12, 32, v12
	v_lshrrev_b32_e32 v6, 27, v8
	v_subrev_u32_e32 v13, 28, v12
	v_and_b32_e32 v3, 0x80000000, v8
	v_and_b32_e32 v6, 15, v6
	v_bfe_u32 v7, v8, 27, 4
	v_lshlrev_b32_sdwa v8, v13, v8 dst_sel:DWORD dst_unused:UNUSED_PAD src0_sel:DWORD src1_sel:BYTE_3
	v_sub_u32_e32 v12, 29, v12
	v_and_b32_e32 v8, 7, v8
	v_cmp_eq_u16_e32 vcc, 0, v6
	v_cndmask_b32_e32 v2, v2, v8, vcc
	v_cndmask_b32_e32 v6, v7, v12, vcc
	v_mov_b32_e32 v7, 0x3b800000
	v_lshlrev_b32_e32 v2, 20, v2
	v_lshl_add_u32 v6, v6, 23, v7
	v_or3_b32 v2, v3, v6, v2
.LBB2_13788:
	s_or_b64 exec, exec, s[6:7]
	s_movk_i32 s4, 0x7f
	v_cmp_gt_i16_sdwa s[6:7], v4, s4 src0_sel:BYTE_3 src1_sel:DWORD
	s_mov_b64 s[4:5], 0
                                        ; implicit-def: $sgpr10
	s_and_saveexec_b64 s[8:9], s[6:7]
	s_xor_b64 s[6:7], exec, s[8:9]
	s_cbranch_execz .LBB2_13789
; %bb.49629:
	s_getpc_b64 s[14:15]
.Lpost_getpc28398:
	s_add_u32 s14, s14, (.LBB2_28125-.Lpost_getpc28398)&4294967295
	s_addc_u32 s15, s15, (.LBB2_28125-.Lpost_getpc28398)>>32
	s_setpc_b64 s[14:15]
.LBB2_13789:
	s_or_saveexec_b64 s[6:7], s[6:7]
	v_mov_b32_e32 v3, s10
	s_xor_b64 exec, exec, s[6:7]
	s_cbranch_execz .LBB2_13790
; %bb.49631:
	s_getpc_b64 s[14:15]
.Lpost_getpc28399:
	s_add_u32 s14, s14, (.LBB2_28128-.Lpost_getpc28399)&4294967295
	s_addc_u32 s15, s15, (.LBB2_28128-.Lpost_getpc28399)>>32
	s_setpc_b64 s[14:15]
.LBB2_13790:
	s_or_b64 exec, exec, s[6:7]
	s_and_saveexec_b64 s[6:7], s[4:5]
	s_cbranch_execz .LBB2_13792
.LBB2_13791:
	v_bfe_u32 v3, v4, 24, 3
	v_ffbh_u32_e32 v12, v3
	v_min_u32_e32 v12, 32, v12
	v_lshrrev_b32_e32 v7, 27, v4
	v_subrev_u32_e32 v13, 28, v12
	v_and_b32_e32 v6, 0x80000000, v4
	v_and_b32_e32 v7, 15, v7
	v_bfe_u32 v8, v4, 27, 4
	v_lshlrev_b32_sdwa v4, v13, v4 dst_sel:DWORD dst_unused:UNUSED_PAD src0_sel:DWORD src1_sel:BYTE_3
	v_sub_u32_e32 v12, 29, v12
	v_and_b32_e32 v4, 7, v4
	v_cmp_eq_u16_e32 vcc, 0, v7
	v_cndmask_b32_e32 v3, v3, v4, vcc
	v_cndmask_b32_e32 v4, v8, v12, vcc
	v_mov_b32_e32 v7, 0x3b800000
	v_lshlrev_b32_e32 v3, 20, v3
	v_lshl_add_u32 v4, v4, 23, v7
	v_or3_b32 v3, v6, v4, v3
.LBB2_13792:
	s_or_b64 exec, exec, s[6:7]
	s_nop 0
	v_mfma_f32_16x16x4f32 a[0:3], v2, v3, a[0:3]
	s_movk_i32 s4, 0x7f
	v_cmp_gt_i16_sdwa s[6:7], v9, s4 src0_sel:BYTE_0 src1_sel:DWORD
	s_mov_b64 s[4:5], 0
                                        ; implicit-def: $sgpr10
	s_and_saveexec_b64 s[8:9], s[6:7]
	s_xor_b64 s[6:7], exec, s[8:9]
	s_cbranch_execz .LBB2_13793
; %bb.49633:
	s_getpc_b64 s[14:15]
.Lpost_getpc28400:
	s_add_u32 s14, s14, (.LBB2_28129-.Lpost_getpc28400)&4294967295
	s_addc_u32 s15, s15, (.LBB2_28129-.Lpost_getpc28400)>>32
	s_setpc_b64 s[14:15]
.LBB2_13793:
	s_or_saveexec_b64 s[6:7], s[6:7]
	v_mov_b32_e32 v2, s10
	s_xor_b64 exec, exec, s[6:7]
	s_cbranch_execz .LBB2_13794
; %bb.49635:
	s_getpc_b64 s[14:15]
.Lpost_getpc28401:
	s_add_u32 s14, s14, (.LBB2_28132-.Lpost_getpc28401)&4294967295
	s_addc_u32 s15, s15, (.LBB2_28132-.Lpost_getpc28401)>>32
	s_setpc_b64 s[14:15]
.LBB2_13794:
	s_or_b64 exec, exec, s[6:7]
	s_and_saveexec_b64 s[6:7], s[4:5]
	s_cbranch_execz .LBB2_13796
.LBB2_13795:
	v_mov_b32_e32 v2, 8
	v_and_b32_e32 v3, 7, v9
	v_lshrrev_b32_sdwa v2, v2, v9 dst_sel:BYTE_1 dst_unused:UNUSED_PAD src0_sel:DWORD src1_sel:DWORD
	v_ffbh_u32_e32 v4, v3
	v_or_b32_sdwa v2, v9, v2 dst_sel:DWORD dst_unused:UNUSED_PAD src0_sel:BYTE_0 src1_sel:DWORD
	v_min_u32_e32 v4, 32, v4
	v_lshrrev_b16_e32 v2, 3, v2
	v_subrev_u32_e32 v6, 28, v4
	v_and_b32_e32 v2, 15, v2
	v_lshlrev_b32_e32 v6, v6, v9
	v_sub_u32_e32 v4, 29, v4
	v_and_b32_e32 v6, 7, v6
	v_cmp_eq_u16_e32 vcc, 0, v2
	v_cndmask_b32_e32 v3, v3, v6, vcc
	v_cndmask_b32_e32 v2, v2, v4, vcc
	v_lshlrev_b32_e32 v4, 24, v9
	v_mov_b32_e32 v6, 0x3b800000
	v_lshlrev_b32_e32 v3, 20, v3
	v_and_b32_e32 v4, 0x80000000, v4
	v_lshl_add_u32 v2, v2, 23, v6
	v_or3_b32 v2, v4, v2, v3
.LBB2_13796:
	s_or_b64 exec, exec, s[6:7]
	s_movk_i32 s4, 0x7f
	v_cmp_gt_i16_sdwa s[6:7], v5, s4 src0_sel:BYTE_0 src1_sel:DWORD
	s_mov_b64 s[4:5], 0
                                        ; implicit-def: $sgpr10
	s_and_saveexec_b64 s[8:9], s[6:7]
	s_xor_b64 s[6:7], exec, s[8:9]
	s_cbranch_execz .LBB2_13797
; %bb.49637:
	s_getpc_b64 s[14:15]
.Lpost_getpc28402:
	s_add_u32 s14, s14, (.LBB2_28133-.Lpost_getpc28402)&4294967295
	s_addc_u32 s15, s15, (.LBB2_28133-.Lpost_getpc28402)>>32
	s_setpc_b64 s[14:15]
.LBB2_13797:
	s_or_saveexec_b64 s[6:7], s[6:7]
	v_mov_b32_e32 v3, s10
	s_xor_b64 exec, exec, s[6:7]
	s_cbranch_execz .LBB2_13798
; %bb.49639:
	s_getpc_b64 s[14:15]
.Lpost_getpc28403:
	s_add_u32 s14, s14, (.LBB2_28136-.Lpost_getpc28403)&4294967295
	s_addc_u32 s15, s15, (.LBB2_28136-.Lpost_getpc28403)>>32
	s_setpc_b64 s[14:15]
.LBB2_13798:
	s_or_b64 exec, exec, s[6:7]
	s_and_saveexec_b64 s[6:7], s[4:5]
	s_cbranch_execz .LBB2_13800
.LBB2_13799:
	v_mov_b32_e32 v3, 8
	v_and_b32_e32 v4, 7, v5
	v_lshrrev_b32_sdwa v3, v3, v5 dst_sel:BYTE_1 dst_unused:UNUSED_PAD src0_sel:DWORD src1_sel:DWORD
	v_ffbh_u32_e32 v6, v4
	v_or_b32_sdwa v3, v5, v3 dst_sel:DWORD dst_unused:UNUSED_PAD src0_sel:BYTE_0 src1_sel:DWORD
	v_min_u32_e32 v6, 32, v6
	v_lshrrev_b16_e32 v3, 3, v3
	v_subrev_u32_e32 v7, 28, v6
	v_and_b32_e32 v3, 15, v3
	v_lshlrev_b32_e32 v7, v7, v5
	v_sub_u32_e32 v6, 29, v6
	v_and_b32_e32 v7, 7, v7
	v_cmp_eq_u16_e32 vcc, 0, v3
	v_cndmask_b32_e32 v4, v4, v7, vcc
	v_cndmask_b32_e32 v3, v3, v6, vcc
	v_lshlrev_b32_e32 v6, 24, v5
	v_mov_b32_e32 v7, 0x3b800000
	v_lshlrev_b32_e32 v4, 20, v4
	v_and_b32_e32 v6, 0x80000000, v6
	v_lshl_add_u32 v3, v3, 23, v7
	v_or3_b32 v3, v6, v3, v4
.LBB2_13800:
	s_or_b64 exec, exec, s[6:7]
	s_nop 0
	v_mfma_f32_16x16x4f32 a[0:3], v2, v3, a[0:3]
	v_lshrrev_b32_e32 v3, 8, v9
	s_movk_i32 s4, 0x7f
	v_cmp_gt_i16_sdwa s[6:7], v3, s4 src0_sel:BYTE_0 src1_sel:DWORD
	s_mov_b64 s[4:5], 0
                                        ; implicit-def: $sgpr10
	s_and_saveexec_b64 s[8:9], s[6:7]
	s_xor_b64 s[6:7], exec, s[8:9]
	s_cbranch_execz .LBB2_13801
; %bb.49641:
	s_getpc_b64 s[14:15]
.Lpost_getpc28404:
	s_add_u32 s14, s14, (.LBB2_28137-.Lpost_getpc28404)&4294967295
	s_addc_u32 s15, s15, (.LBB2_28137-.Lpost_getpc28404)>>32
	s_setpc_b64 s[14:15]
.LBB2_13801:
	s_or_saveexec_b64 s[6:7], s[6:7]
	v_mov_b32_e32 v2, s10
	s_xor_b64 exec, exec, s[6:7]
	s_cbranch_execz .LBB2_13802
; %bb.49643:
	s_getpc_b64 s[14:15]
.Lpost_getpc28405:
	s_add_u32 s14, s14, (.LBB2_28140-.Lpost_getpc28405)&4294967295
	s_addc_u32 s15, s15, (.LBB2_28140-.Lpost_getpc28405)>>32
	s_setpc_b64 s[14:15]
.LBB2_13802:
	s_or_b64 exec, exec, s[6:7]
	s_and_saveexec_b64 s[6:7], s[4:5]
	s_cbranch_execz .LBB2_13804
.LBB2_13803:
	v_bfe_u32 v2, v9, 8, 3
	v_ffbh_u32_e32 v6, v2
	v_min_u32_e32 v6, 32, v6
	v_lshrrev_b16_e32 v4, 3, v3
	v_subrev_u32_e32 v7, 28, v6
	v_and_b32_e32 v4, 15, v4
	v_lshlrev_b32_e32 v3, v7, v3
	v_sub_u32_e32 v6, 29, v6
	v_and_b32_e32 v3, 7, v3
	v_cmp_eq_u16_e32 vcc, 0, v4
	v_cndmask_b32_e32 v2, v2, v3, vcc
	v_cndmask_b32_e32 v3, v4, v6, vcc
	v_lshlrev_b32_e32 v4, 16, v9
	v_mov_b32_e32 v6, 0x3b800000
	v_lshlrev_b32_e32 v2, 20, v2
	v_and_b32_e32 v4, 0x80000000, v4
	v_lshl_add_u32 v3, v3, 23, v6
	v_or3_b32 v2, v4, v3, v2
.LBB2_13804:
	s_or_b64 exec, exec, s[6:7]
	v_lshrrev_b32_e32 v3, 8, v5
	s_movk_i32 s4, 0x7f
	v_cmp_gt_i16_sdwa s[6:7], v3, s4 src0_sel:BYTE_0 src1_sel:DWORD
	s_mov_b64 s[4:5], 0
                                        ; implicit-def: $sgpr10
	s_and_saveexec_b64 s[8:9], s[6:7]
	s_xor_b64 s[6:7], exec, s[8:9]
	s_cbranch_execz .LBB2_13805
; %bb.49645:
	s_getpc_b64 s[14:15]
.Lpost_getpc28406:
	s_add_u32 s14, s14, (.LBB2_28141-.Lpost_getpc28406)&4294967295
	s_addc_u32 s15, s15, (.LBB2_28141-.Lpost_getpc28406)>>32
	s_setpc_b64 s[14:15]
.LBB2_13805:
	s_or_saveexec_b64 s[6:7], s[6:7]
	v_mov_b32_e32 v4, s10
	s_xor_b64 exec, exec, s[6:7]
	s_cbranch_execz .LBB2_13806
; %bb.49647:
	s_getpc_b64 s[14:15]
.Lpost_getpc28407:
	s_add_u32 s14, s14, (.LBB2_28144-.Lpost_getpc28407)&4294967295
	s_addc_u32 s15, s15, (.LBB2_28144-.Lpost_getpc28407)>>32
	s_setpc_b64 s[14:15]
.LBB2_13806:
	s_or_b64 exec, exec, s[6:7]
	s_and_saveexec_b64 s[6:7], s[4:5]
	s_cbranch_execz .LBB2_13808
.LBB2_13807:
	v_bfe_u32 v4, v5, 8, 3
	v_ffbh_u32_e32 v7, v4
	v_min_u32_e32 v7, 32, v7
	v_lshrrev_b16_e32 v6, 3, v3
	v_subrev_u32_e32 v8, 28, v7
	v_and_b32_e32 v6, 15, v6
	v_lshlrev_b32_e32 v3, v8, v3
	v_sub_u32_e32 v7, 29, v7
	v_and_b32_e32 v3, 7, v3
	v_cmp_eq_u16_e32 vcc, 0, v6
	v_cndmask_b32_e32 v3, v4, v3, vcc
	v_cndmask_b32_e32 v4, v6, v7, vcc
	v_lshlrev_b32_e32 v6, 16, v5
	v_mov_b32_e32 v7, 0x3b800000
	v_lshlrev_b32_e32 v3, 20, v3
	v_and_b32_e32 v6, 0x80000000, v6
	v_lshl_add_u32 v4, v4, 23, v7
	v_or3_b32 v4, v6, v4, v3
.LBB2_13808:
	s_or_b64 exec, exec, s[6:7]
	s_nop 0
	v_mfma_f32_16x16x4f32 a[0:3], v2, v4, a[0:3]
	s_movk_i32 s4, 0xff
	v_and_b32_sdwa v3, v9, s4 dst_sel:DWORD dst_unused:UNUSED_PAD src0_sel:WORD_1 src1_sel:DWORD
	s_movk_i32 s4, 0x7f
	v_cmp_lt_i16_e32 vcc, s4, v3
	s_mov_b64 s[4:5], 0
                                        ; implicit-def: $sgpr10
	s_and_saveexec_b64 s[6:7], vcc
	s_xor_b64 s[6:7], exec, s[6:7]
	s_cbranch_execz .LBB2_13809
; %bb.49649:
	s_getpc_b64 s[14:15]
.Lpost_getpc28408:
	s_add_u32 s14, s14, (.LBB2_28145-.Lpost_getpc28408)&4294967295
	s_addc_u32 s15, s15, (.LBB2_28145-.Lpost_getpc28408)>>32
	s_setpc_b64 s[14:15]
.LBB2_13809:
	s_or_saveexec_b64 s[6:7], s[6:7]
	v_mov_b32_e32 v2, s10
	s_xor_b64 exec, exec, s[6:7]
	s_cbranch_execz .LBB2_13810
; %bb.49651:
	s_getpc_b64 s[14:15]
.Lpost_getpc28409:
	s_add_u32 s14, s14, (.LBB2_28148-.Lpost_getpc28409)&4294967295
	s_addc_u32 s15, s15, (.LBB2_28148-.Lpost_getpc28409)>>32
	s_setpc_b64 s[14:15]
.LBB2_13810:
	s_or_b64 exec, exec, s[6:7]
	s_and_saveexec_b64 s[6:7], s[4:5]
	s_cbranch_execz .LBB2_13812
.LBB2_13811:
	v_bfe_u32 v2, v9, 16, 3
	v_ffbh_u32_e32 v6, v2
	v_min_u32_e32 v6, 32, v6
	v_lshrrev_b32_e32 v3, 19, v9
	v_subrev_u32_e32 v7, 28, v6
	v_and_b32_e32 v3, 15, v3
	v_lshlrev_b32_sdwa v7, v7, v9 dst_sel:DWORD dst_unused:UNUSED_PAD src0_sel:DWORD src1_sel:WORD_1
	v_bfe_u32 v4, v9, 19, 4
	v_sub_u32_e32 v6, 29, v6
	v_and_b32_e32 v7, 7, v7
	v_cmp_eq_u16_e32 vcc, 0, v3
	v_cndmask_b32_e32 v2, v2, v7, vcc
	v_cndmask_b32_e32 v3, v4, v6, vcc
	v_lshlrev_b32_e32 v4, 8, v9
	v_mov_b32_e32 v6, 0x3b800000
	v_lshlrev_b32_e32 v2, 20, v2
	v_and_b32_e32 v4, 0x80000000, v4
	v_lshl_add_u32 v3, v3, 23, v6
	v_or3_b32 v2, v4, v3, v2
.LBB2_13812:
	s_or_b64 exec, exec, s[6:7]
	s_movk_i32 s4, 0xff
	v_and_b32_sdwa v3, v5, s4 dst_sel:DWORD dst_unused:UNUSED_PAD src0_sel:WORD_1 src1_sel:DWORD
	s_movk_i32 s4, 0x7f
	v_cmp_lt_i16_e32 vcc, s4, v3
	s_mov_b64 s[4:5], 0
                                        ; implicit-def: $sgpr10
	s_and_saveexec_b64 s[6:7], vcc
	s_xor_b64 s[6:7], exec, s[6:7]
	s_cbranch_execz .LBB2_13813
; %bb.49653:
	s_getpc_b64 s[14:15]
.Lpost_getpc28410:
	s_add_u32 s14, s14, (.LBB2_28149-.Lpost_getpc28410)&4294967295
	s_addc_u32 s15, s15, (.LBB2_28149-.Lpost_getpc28410)>>32
	s_setpc_b64 s[14:15]
.LBB2_13813:
	s_or_saveexec_b64 s[6:7], s[6:7]
	v_mov_b32_e32 v4, s10
	s_xor_b64 exec, exec, s[6:7]
	s_cbranch_execz .LBB2_13814
; %bb.49655:
	s_getpc_b64 s[14:15]
.Lpost_getpc28411:
	s_add_u32 s14, s14, (.LBB2_28152-.Lpost_getpc28411)&4294967295
	s_addc_u32 s15, s15, (.LBB2_28152-.Lpost_getpc28411)>>32
	s_setpc_b64 s[14:15]
.LBB2_13814:
	s_or_b64 exec, exec, s[6:7]
	s_and_saveexec_b64 s[6:7], s[4:5]
	s_cbranch_execz .LBB2_13816
.LBB2_13815:
	v_bfe_u32 v3, v5, 16, 3
	v_ffbh_u32_e32 v7, v3
	v_min_u32_e32 v7, 32, v7
	v_lshrrev_b32_e32 v4, 19, v5
	v_subrev_u32_e32 v8, 28, v7
	v_and_b32_e32 v4, 15, v4
	v_lshlrev_b32_sdwa v8, v8, v5 dst_sel:DWORD dst_unused:UNUSED_PAD src0_sel:DWORD src1_sel:WORD_1
	v_bfe_u32 v6, v5, 19, 4
	v_sub_u32_e32 v7, 29, v7
	v_and_b32_e32 v8, 7, v8
	v_cmp_eq_u16_e32 vcc, 0, v4
	v_cndmask_b32_e32 v3, v3, v8, vcc
	v_cndmask_b32_e32 v4, v6, v7, vcc
	v_lshlrev_b32_e32 v6, 8, v5
	v_mov_b32_e32 v7, 0x3b800000
	v_lshlrev_b32_e32 v3, 20, v3
	v_and_b32_e32 v6, 0x80000000, v6
	v_lshl_add_u32 v4, v4, 23, v7
	v_or3_b32 v4, v6, v4, v3
.LBB2_13816:
	s_or_b64 exec, exec, s[6:7]
	s_nop 0
	v_mfma_f32_16x16x4f32 a[0:3], v2, v4, a[0:3]
	s_movk_i32 s4, 0x7f
	v_cmp_gt_i16_sdwa s[6:7], v9, s4 src0_sel:BYTE_3 src1_sel:DWORD
	s_mov_b64 s[4:5], 0
                                        ; implicit-def: $sgpr10
	s_and_saveexec_b64 s[8:9], s[6:7]
	s_xor_b64 s[6:7], exec, s[8:9]
	s_cbranch_execz .LBB2_13817
; %bb.49657:
	s_getpc_b64 s[14:15]
.Lpost_getpc28412:
	s_add_u32 s14, s14, (.LBB2_28153-.Lpost_getpc28412)&4294967295
	s_addc_u32 s15, s15, (.LBB2_28153-.Lpost_getpc28412)>>32
	s_setpc_b64 s[14:15]
.LBB2_13817:
	s_or_saveexec_b64 s[6:7], s[6:7]
	v_mov_b32_e32 v2, s10
	s_xor_b64 exec, exec, s[6:7]
	s_cbranch_execz .LBB2_13818
; %bb.49659:
	s_getpc_b64 s[14:15]
.Lpost_getpc28413:
	s_add_u32 s14, s14, (.LBB2_28156-.Lpost_getpc28413)&4294967295
	s_addc_u32 s15, s15, (.LBB2_28156-.Lpost_getpc28413)>>32
	s_setpc_b64 s[14:15]
.LBB2_13818:
	s_or_b64 exec, exec, s[6:7]
	s_and_saveexec_b64 s[6:7], s[4:5]
	s_cbranch_execz .LBB2_13820
.LBB2_13819:
	v_bfe_u32 v2, v9, 24, 3
	v_ffbh_u32_e32 v7, v2
	v_min_u32_e32 v7, 32, v7
	v_lshrrev_b32_e32 v4, 27, v9
	v_subrev_u32_e32 v8, 28, v7
	v_and_b32_e32 v4, 15, v4
	v_lshlrev_b32_sdwa v8, v8, v9 dst_sel:DWORD dst_unused:UNUSED_PAD src0_sel:DWORD src1_sel:BYTE_3
	v_bfe_u32 v6, v9, 27, 4
	v_sub_u32_e32 v7, 29, v7
	v_and_b32_e32 v8, 7, v8
	v_cmp_eq_u16_e32 vcc, 0, v4
	v_cndmask_b32_e32 v2, v2, v8, vcc
	v_cndmask_b32_e32 v4, v6, v7, vcc
	v_mov_b32_e32 v6, 0x3b800000
	v_and_b32_e32 v3, 0x80000000, v9
	v_lshlrev_b32_e32 v2, 20, v2
	v_lshl_add_u32 v4, v4, 23, v6
	v_or3_b32 v2, v3, v4, v2
.LBB2_13820:
	s_or_b64 exec, exec, s[6:7]
	s_movk_i32 s4, 0x7f
	v_cmp_gt_i16_sdwa s[6:7], v5, s4 src0_sel:BYTE_3 src1_sel:DWORD
	s_mov_b64 s[4:5], 0
                                        ; implicit-def: $sgpr10
	s_and_saveexec_b64 s[8:9], s[6:7]
	s_xor_b64 s[6:7], exec, s[8:9]
	s_cbranch_execz .LBB2_13821
; %bb.49661:
	s_getpc_b64 s[14:15]
.Lpost_getpc28414:
	s_add_u32 s14, s14, (.LBB2_28157-.Lpost_getpc28414)&4294967295
	s_addc_u32 s15, s15, (.LBB2_28157-.Lpost_getpc28414)>>32
	s_setpc_b64 s[14:15]
.LBB2_13821:
	s_or_saveexec_b64 s[6:7], s[6:7]
	v_mov_b32_e32 v3, s10
	s_xor_b64 exec, exec, s[6:7]
	s_cbranch_execz .LBB2_13822
; %bb.49663:
	s_getpc_b64 s[14:15]
.Lpost_getpc28415:
	s_add_u32 s14, s14, (.LBB2_28160-.Lpost_getpc28415)&4294967295
	s_addc_u32 s15, s15, (.LBB2_28160-.Lpost_getpc28415)>>32
	s_setpc_b64 s[14:15]
.LBB2_13822:
	s_or_b64 exec, exec, s[6:7]
	s_and_saveexec_b64 s[6:7], s[4:5]
	s_cbranch_execz .LBB2_13824
.LBB2_13823:
	v_bfe_u32 v3, v5, 24, 3
	v_ffbh_u32_e32 v8, v3
	v_min_u32_e32 v8, 32, v8
	v_lshrrev_b32_e32 v6, 27, v5
	v_subrev_u32_e32 v9, 28, v8
	v_and_b32_e32 v4, 0x80000000, v5
	v_and_b32_e32 v6, 15, v6
	v_bfe_u32 v7, v5, 27, 4
	v_lshlrev_b32_sdwa v5, v9, v5 dst_sel:DWORD dst_unused:UNUSED_PAD src0_sel:DWORD src1_sel:BYTE_3
	v_sub_u32_e32 v8, 29, v8
	v_and_b32_e32 v5, 7, v5
	v_cmp_eq_u16_e32 vcc, 0, v6
	v_cndmask_b32_e32 v3, v3, v5, vcc
	v_cndmask_b32_e32 v5, v7, v8, vcc
	v_mov_b32_e32 v6, 0x3b800000
	v_lshlrev_b32_e32 v3, 20, v3
	v_lshl_add_u32 v5, v5, 23, v6
	v_or3_b32 v3, v4, v5, v3
.LBB2_13824:
	s_or_b64 exec, exec, s[6:7]
	s_nop 0
	v_mfma_f32_16x16x4f32 a[0:3], v2, v3, a[0:3]
	s_movk_i32 s4, 0x7f
                                        ; implicit-def: $sgpr10
	s_nop 7
	s_nop 1
	flat_store_dwordx4 v[10:11], a[0:3] offset:816
	flat_load_dwordx4 v[12:15], v[0:1]
	s_nop 0
	flat_load_dwordx2 v[10:11], v[0:1] offset:16
	s_waitcnt vmcnt(0) lgkmcnt(0)
	flat_load_dwordx4 v[6:9], v[12:13] offset:208
	flat_load_dwordx4 v[2:5], v[14:15] offset:192
	s_waitcnt vmcnt(0) lgkmcnt(0)
	v_cmp_gt_i16_sdwa s[6:7], v6, s4 src0_sel:BYTE_0 src1_sel:DWORD
	s_mov_b64 s[4:5], 0
	s_and_saveexec_b64 s[8:9], s[6:7]
	s_xor_b64 s[6:7], exec, s[8:9]
	s_cbranch_execz .LBB2_13825
; %bb.49665:
	s_getpc_b64 s[14:15]
.Lpost_getpc28416:
	s_add_u32 s14, s14, (.LBB2_28161-.Lpost_getpc28416)&4294967295
	s_addc_u32 s15, s15, (.LBB2_28161-.Lpost_getpc28416)>>32
	s_setpc_b64 s[14:15]
.LBB2_13825:
	s_or_saveexec_b64 s[6:7], s[6:7]
	v_mov_b32_e32 v12, s10
	s_xor_b64 exec, exec, s[6:7]
	s_cbranch_execz .LBB2_13826
; %bb.49667:
	s_getpc_b64 s[14:15]
.Lpost_getpc28417:
	s_add_u32 s14, s14, (.LBB2_28164-.Lpost_getpc28417)&4294967295
	s_addc_u32 s15, s15, (.LBB2_28164-.Lpost_getpc28417)>>32
	s_setpc_b64 s[14:15]
.LBB2_13826:
	s_or_b64 exec, exec, s[6:7]
	s_and_saveexec_b64 s[6:7], s[4:5]
	s_cbranch_execz .LBB2_13828
.LBB2_13827:
	v_and_b32_e32 v12, 7, v6
	v_ffbh_u32_e32 v14, v12
	v_min_u32_e32 v14, 32, v14
	v_lshrrev_b16_e32 v13, 3, v6
	v_subrev_u32_e32 v15, 28, v14
	v_and_b32_e32 v13, 15, v13
	v_lshlrev_b32_e32 v15, v15, v6
	v_sub_u32_e32 v14, 29, v14
	v_and_b32_e32 v15, 7, v15
	v_cmp_eq_u16_e32 vcc, 0, v13
	v_cndmask_b32_e32 v12, v12, v15, vcc
	v_cndmask_b32_e32 v13, v13, v14, vcc
	v_lshlrev_b32_e32 v14, 24, v6
	v_mov_b32_e32 v15, 0x3b800000
	v_lshlrev_b32_e32 v12, 20, v12
	v_and_b32_e32 v14, 0x80000000, v14
	v_lshl_add_u32 v13, v13, 23, v15
	v_or3_b32 v12, v14, v13, v12
.LBB2_13828:
	s_or_b64 exec, exec, s[6:7]
	s_movk_i32 s4, 0x7f
	v_cmp_gt_i16_sdwa s[6:7], v2, s4 src0_sel:BYTE_0 src1_sel:DWORD
	s_mov_b64 s[4:5], 0
                                        ; implicit-def: $sgpr10
	s_and_saveexec_b64 s[8:9], s[6:7]
	s_xor_b64 s[6:7], exec, s[8:9]
	s_cbranch_execz .LBB2_13829
; %bb.49669:
	s_getpc_b64 s[14:15]
.Lpost_getpc28418:
	s_add_u32 s14, s14, (.LBB2_28165-.Lpost_getpc28418)&4294967295
	s_addc_u32 s15, s15, (.LBB2_28165-.Lpost_getpc28418)>>32
	s_setpc_b64 s[14:15]
.LBB2_13829:
	s_or_saveexec_b64 s[6:7], s[6:7]
	v_mov_b32_e32 v13, s10
	s_xor_b64 exec, exec, s[6:7]
	s_cbranch_execz .LBB2_13830
; %bb.49671:
	s_getpc_b64 s[14:15]
.Lpost_getpc28419:
	s_add_u32 s14, s14, (.LBB2_28168-.Lpost_getpc28419)&4294967295
	s_addc_u32 s15, s15, (.LBB2_28168-.Lpost_getpc28419)>>32
	s_setpc_b64 s[14:15]
.LBB2_13830:
	s_or_b64 exec, exec, s[6:7]
	s_and_saveexec_b64 s[6:7], s[4:5]
	s_cbranch_execz .LBB2_13832
.LBB2_13831:
	v_and_b32_e32 v13, 7, v2
	v_ffbh_u32_e32 v15, v13
	v_min_u32_e32 v15, 32, v15
	v_lshrrev_b16_e32 v14, 3, v2
	v_subrev_u32_e32 v16, 28, v15
	v_and_b32_e32 v14, 15, v14
	v_lshlrev_b32_e32 v16, v16, v2
	v_sub_u32_e32 v15, 29, v15
	v_and_b32_e32 v16, 7, v16
	v_cmp_eq_u16_e32 vcc, 0, v14
	v_cndmask_b32_e32 v13, v13, v16, vcc
	v_cndmask_b32_e32 v14, v14, v15, vcc
	v_lshlrev_b32_e32 v15, 24, v2
	v_mov_b32_e32 v16, 0x3b800000
	v_lshlrev_b32_e32 v13, 20, v13
	v_and_b32_e32 v15, 0x80000000, v15
	v_lshl_add_u32 v14, v14, 23, v16
	v_or3_b32 v13, v15, v14, v13
.LBB2_13832:
	s_or_b64 exec, exec, s[6:7]
	flat_load_dwordx4 a[0:3], v[10:11] offset:832
	s_movk_i32 s4, 0x7f
                                        ; implicit-def: $sgpr10
	s_waitcnt vmcnt(0) lgkmcnt(0)
	v_mfma_f32_16x16x4f32 a[0:3], v12, v13, a[0:3]
	v_lshrrev_b32_e32 v13, 8, v6
	v_cmp_gt_i16_sdwa s[6:7], v13, s4 src0_sel:BYTE_0 src1_sel:DWORD
	s_mov_b64 s[4:5], 0
	s_and_saveexec_b64 s[8:9], s[6:7]
	s_xor_b64 s[6:7], exec, s[8:9]
	s_cbranch_execz .LBB2_13833
; %bb.49673:
	s_getpc_b64 s[14:15]
.Lpost_getpc28420:
	s_add_u32 s14, s14, (.LBB2_28169-.Lpost_getpc28420)&4294967295
	s_addc_u32 s15, s15, (.LBB2_28169-.Lpost_getpc28420)>>32
	s_setpc_b64 s[14:15]
.LBB2_13833:
	s_or_saveexec_b64 s[6:7], s[6:7]
	v_mov_b32_e32 v12, s10
	s_xor_b64 exec, exec, s[6:7]
	s_cbranch_execz .LBB2_13834
; %bb.49675:
	s_getpc_b64 s[14:15]
.Lpost_getpc28421:
	s_add_u32 s14, s14, (.LBB2_28172-.Lpost_getpc28421)&4294967295
	s_addc_u32 s15, s15, (.LBB2_28172-.Lpost_getpc28421)>>32
	s_setpc_b64 s[14:15]
.LBB2_13834:
	s_or_b64 exec, exec, s[6:7]
	s_and_saveexec_b64 s[6:7], s[4:5]
	s_cbranch_execz .LBB2_13836
.LBB2_13835:
	v_bfe_u32 v12, v6, 8, 3
	v_ffbh_u32_e32 v15, v12
	v_min_u32_e32 v15, 32, v15
	v_lshrrev_b16_e32 v14, 3, v13
	v_subrev_u32_e32 v16, 28, v15
	v_and_b32_e32 v14, 15, v14
	v_lshlrev_b32_e32 v13, v16, v13
	v_sub_u32_e32 v15, 29, v15
	v_and_b32_e32 v13, 7, v13
	v_cmp_eq_u16_e32 vcc, 0, v14
	v_cndmask_b32_e32 v12, v12, v13, vcc
	v_cndmask_b32_e32 v13, v14, v15, vcc
	v_lshlrev_b32_e32 v14, 16, v6
	v_mov_b32_e32 v15, 0x3b800000
	v_lshlrev_b32_e32 v12, 20, v12
	v_and_b32_e32 v14, 0x80000000, v14
	v_lshl_add_u32 v13, v13, 23, v15
	v_or3_b32 v12, v14, v13, v12
.LBB2_13836:
	s_or_b64 exec, exec, s[6:7]
	v_lshrrev_b32_e32 v13, 8, v2
	s_movk_i32 s4, 0x7f
	v_cmp_gt_i16_sdwa s[6:7], v13, s4 src0_sel:BYTE_0 src1_sel:DWORD
	s_mov_b64 s[4:5], 0
                                        ; implicit-def: $sgpr10
	s_and_saveexec_b64 s[8:9], s[6:7]
	s_xor_b64 s[6:7], exec, s[8:9]
	s_cbranch_execz .LBB2_13837
; %bb.49677:
	s_getpc_b64 s[14:15]
.Lpost_getpc28422:
	s_add_u32 s14, s14, (.LBB2_28173-.Lpost_getpc28422)&4294967295
	s_addc_u32 s15, s15, (.LBB2_28173-.Lpost_getpc28422)>>32
	s_setpc_b64 s[14:15]
.LBB2_13837:
	s_or_saveexec_b64 s[6:7], s[6:7]
	v_mov_b32_e32 v14, s10
	s_xor_b64 exec, exec, s[6:7]
	s_cbranch_execz .LBB2_13838
; %bb.49679:
	s_getpc_b64 s[14:15]
.Lpost_getpc28423:
	s_add_u32 s14, s14, (.LBB2_28176-.Lpost_getpc28423)&4294967295
	s_addc_u32 s15, s15, (.LBB2_28176-.Lpost_getpc28423)>>32
	s_setpc_b64 s[14:15]
.LBB2_13838:
	s_or_b64 exec, exec, s[6:7]
	s_and_saveexec_b64 s[6:7], s[4:5]
	s_cbranch_execz .LBB2_13840
.LBB2_13839:
	v_bfe_u32 v14, v2, 8, 3
	v_ffbh_u32_e32 v16, v14
	v_min_u32_e32 v16, 32, v16
	v_lshrrev_b16_e32 v15, 3, v13
	v_subrev_u32_e32 v17, 28, v16
	v_and_b32_e32 v15, 15, v15
	v_lshlrev_b32_e32 v13, v17, v13
	v_sub_u32_e32 v16, 29, v16
	v_and_b32_e32 v13, 7, v13
	v_cmp_eq_u16_e32 vcc, 0, v15
	v_cndmask_b32_e32 v13, v14, v13, vcc
	v_cndmask_b32_e32 v14, v15, v16, vcc
	v_lshlrev_b32_e32 v15, 16, v2
	v_mov_b32_e32 v16, 0x3b800000
	v_lshlrev_b32_e32 v13, 20, v13
	v_and_b32_e32 v15, 0x80000000, v15
	v_lshl_add_u32 v14, v14, 23, v16
	v_or3_b32 v14, v15, v14, v13
.LBB2_13840:
	s_or_b64 exec, exec, s[6:7]
	s_nop 0
	v_mfma_f32_16x16x4f32 a[0:3], v12, v14, a[0:3]
	s_movk_i32 s4, 0xff
	v_and_b32_sdwa v13, v6, s4 dst_sel:DWORD dst_unused:UNUSED_PAD src0_sel:WORD_1 src1_sel:DWORD
	s_movk_i32 s4, 0x7f
	v_cmp_lt_i16_e32 vcc, s4, v13
	s_mov_b64 s[4:5], 0
                                        ; implicit-def: $sgpr10
	s_and_saveexec_b64 s[6:7], vcc
	s_xor_b64 s[6:7], exec, s[6:7]
	s_cbranch_execz .LBB2_13841
; %bb.49681:
	s_getpc_b64 s[14:15]
.Lpost_getpc28424:
	s_add_u32 s14, s14, (.LBB2_28177-.Lpost_getpc28424)&4294967295
	s_addc_u32 s15, s15, (.LBB2_28177-.Lpost_getpc28424)>>32
	s_setpc_b64 s[14:15]
.LBB2_13841:
	s_or_saveexec_b64 s[6:7], s[6:7]
	v_mov_b32_e32 v12, s10
	s_xor_b64 exec, exec, s[6:7]
	s_cbranch_execz .LBB2_13842
; %bb.49683:
	s_getpc_b64 s[14:15]
.Lpost_getpc28425:
	s_add_u32 s14, s14, (.LBB2_28180-.Lpost_getpc28425)&4294967295
	s_addc_u32 s15, s15, (.LBB2_28180-.Lpost_getpc28425)>>32
	s_setpc_b64 s[14:15]
.LBB2_13842:
	s_or_b64 exec, exec, s[6:7]
	s_and_saveexec_b64 s[6:7], s[4:5]
	s_cbranch_execz .LBB2_13844
.LBB2_13843:
	v_bfe_u32 v12, v6, 16, 3
	v_ffbh_u32_e32 v15, v12
	v_min_u32_e32 v15, 32, v15
	v_lshrrev_b32_e32 v13, 19, v6
	v_subrev_u32_e32 v16, 28, v15
	v_and_b32_e32 v13, 15, v13
	v_lshlrev_b32_sdwa v16, v16, v6 dst_sel:DWORD dst_unused:UNUSED_PAD src0_sel:DWORD src1_sel:WORD_1
	v_bfe_u32 v14, v6, 19, 4
	v_sub_u32_e32 v15, 29, v15
	v_and_b32_e32 v16, 7, v16
	v_cmp_eq_u16_e32 vcc, 0, v13
	v_cndmask_b32_e32 v12, v12, v16, vcc
	v_cndmask_b32_e32 v13, v14, v15, vcc
	v_lshlrev_b32_e32 v14, 8, v6
	v_mov_b32_e32 v15, 0x3b800000
	v_lshlrev_b32_e32 v12, 20, v12
	v_and_b32_e32 v14, 0x80000000, v14
	v_lshl_add_u32 v13, v13, 23, v15
	v_or3_b32 v12, v14, v13, v12
.LBB2_13844:
	s_or_b64 exec, exec, s[6:7]
	s_movk_i32 s4, 0xff
	v_and_b32_sdwa v13, v2, s4 dst_sel:DWORD dst_unused:UNUSED_PAD src0_sel:WORD_1 src1_sel:DWORD
	s_movk_i32 s4, 0x7f
	v_cmp_lt_i16_e32 vcc, s4, v13
	s_mov_b64 s[4:5], 0
                                        ; implicit-def: $sgpr10
	s_and_saveexec_b64 s[6:7], vcc
	s_xor_b64 s[6:7], exec, s[6:7]
	s_cbranch_execz .LBB2_13845
; %bb.49685:
	s_getpc_b64 s[14:15]
.Lpost_getpc28426:
	s_add_u32 s14, s14, (.LBB2_28181-.Lpost_getpc28426)&4294967295
	s_addc_u32 s15, s15, (.LBB2_28181-.Lpost_getpc28426)>>32
	s_setpc_b64 s[14:15]
.LBB2_13845:
	s_or_saveexec_b64 s[6:7], s[6:7]
	v_mov_b32_e32 v14, s10
	s_xor_b64 exec, exec, s[6:7]
	s_cbranch_execz .LBB2_13846
; %bb.49687:
	s_getpc_b64 s[14:15]
.Lpost_getpc28427:
	s_add_u32 s14, s14, (.LBB2_28184-.Lpost_getpc28427)&4294967295
	s_addc_u32 s15, s15, (.LBB2_28184-.Lpost_getpc28427)>>32
	s_setpc_b64 s[14:15]
.LBB2_13846:
	s_or_b64 exec, exec, s[6:7]
	s_and_saveexec_b64 s[6:7], s[4:5]
	s_cbranch_execz .LBB2_13848
.LBB2_13847:
	v_bfe_u32 v13, v2, 16, 3
	v_ffbh_u32_e32 v16, v13
	v_min_u32_e32 v16, 32, v16
	v_lshrrev_b32_e32 v14, 19, v2
	v_subrev_u32_e32 v17, 28, v16
	v_and_b32_e32 v14, 15, v14
	v_lshlrev_b32_sdwa v17, v17, v2 dst_sel:DWORD dst_unused:UNUSED_PAD src0_sel:DWORD src1_sel:WORD_1
	v_bfe_u32 v15, v2, 19, 4
	v_sub_u32_e32 v16, 29, v16
	v_and_b32_e32 v17, 7, v17
	v_cmp_eq_u16_e32 vcc, 0, v14
	v_cndmask_b32_e32 v13, v13, v17, vcc
	v_cndmask_b32_e32 v14, v15, v16, vcc
	v_lshlrev_b32_e32 v15, 8, v2
	v_mov_b32_e32 v16, 0x3b800000
	v_lshlrev_b32_e32 v13, 20, v13
	v_and_b32_e32 v15, 0x80000000, v15
	v_lshl_add_u32 v14, v14, 23, v16
	v_or3_b32 v14, v15, v14, v13
.LBB2_13848:
	s_or_b64 exec, exec, s[6:7]
	s_nop 0
	v_mfma_f32_16x16x4f32 a[0:3], v12, v14, a[0:3]
	s_movk_i32 s4, 0x7f
	v_cmp_gt_i16_sdwa s[6:7], v6, s4 src0_sel:BYTE_3 src1_sel:DWORD
	s_mov_b64 s[4:5], 0
                                        ; implicit-def: $sgpr10
	s_and_saveexec_b64 s[8:9], s[6:7]
	s_xor_b64 s[6:7], exec, s[8:9]
	s_cbranch_execz .LBB2_13849
; %bb.49689:
	s_getpc_b64 s[14:15]
.Lpost_getpc28428:
	s_add_u32 s14, s14, (.LBB2_28185-.Lpost_getpc28428)&4294967295
	s_addc_u32 s15, s15, (.LBB2_28185-.Lpost_getpc28428)>>32
	s_setpc_b64 s[14:15]
.LBB2_13849:
	s_or_saveexec_b64 s[6:7], s[6:7]
	v_mov_b32_e32 v12, s10
	s_xor_b64 exec, exec, s[6:7]
	s_cbranch_execz .LBB2_13850
; %bb.49691:
	s_getpc_b64 s[14:15]
.Lpost_getpc28429:
	s_add_u32 s14, s14, (.LBB2_28188-.Lpost_getpc28429)&4294967295
	s_addc_u32 s15, s15, (.LBB2_28188-.Lpost_getpc28429)>>32
	s_setpc_b64 s[14:15]
.LBB2_13850:
	s_or_b64 exec, exec, s[6:7]
	s_and_saveexec_b64 s[6:7], s[4:5]
	s_cbranch_execz .LBB2_13852
.LBB2_13851:
	v_bfe_u32 v12, v6, 24, 3
	v_ffbh_u32_e32 v16, v12
	v_min_u32_e32 v16, 32, v16
	v_lshrrev_b32_e32 v14, 27, v6
	v_subrev_u32_e32 v17, 28, v16
	v_and_b32_e32 v13, 0x80000000, v6
	v_and_b32_e32 v14, 15, v14
	v_bfe_u32 v15, v6, 27, 4
	v_lshlrev_b32_sdwa v6, v17, v6 dst_sel:DWORD dst_unused:UNUSED_PAD src0_sel:DWORD src1_sel:BYTE_3
	v_sub_u32_e32 v16, 29, v16
	v_and_b32_e32 v6, 7, v6
	v_cmp_eq_u16_e32 vcc, 0, v14
	v_cndmask_b32_e32 v6, v12, v6, vcc
	v_cndmask_b32_e32 v12, v15, v16, vcc
	v_mov_b32_e32 v14, 0x3b800000
	v_lshlrev_b32_e32 v6, 20, v6
	v_lshl_add_u32 v12, v12, 23, v14
	v_or3_b32 v12, v13, v12, v6
.LBB2_13852:
	s_or_b64 exec, exec, s[6:7]
	s_movk_i32 s4, 0x7f
	v_cmp_gt_i16_sdwa s[6:7], v2, s4 src0_sel:BYTE_3 src1_sel:DWORD
	s_mov_b64 s[4:5], 0
                                        ; implicit-def: $sgpr10
	s_and_saveexec_b64 s[8:9], s[6:7]
	s_xor_b64 s[6:7], exec, s[8:9]
	s_cbranch_execz .LBB2_13853
; %bb.49693:
	s_getpc_b64 s[14:15]
.Lpost_getpc28430:
	s_add_u32 s14, s14, (.LBB2_28189-.Lpost_getpc28430)&4294967295
	s_addc_u32 s15, s15, (.LBB2_28189-.Lpost_getpc28430)>>32
	s_setpc_b64 s[14:15]
.LBB2_13853:
	s_or_saveexec_b64 s[6:7], s[6:7]
	v_mov_b32_e32 v6, s10
	s_xor_b64 exec, exec, s[6:7]
	s_cbranch_execz .LBB2_13854
; %bb.49695:
	s_getpc_b64 s[14:15]
.Lpost_getpc28431:
	s_add_u32 s14, s14, (.LBB2_28192-.Lpost_getpc28431)&4294967295
	s_addc_u32 s15, s15, (.LBB2_28192-.Lpost_getpc28431)>>32
	s_setpc_b64 s[14:15]
.LBB2_13854:
	s_or_b64 exec, exec, s[6:7]
	s_and_saveexec_b64 s[6:7], s[4:5]
	s_cbranch_execz .LBB2_13856
.LBB2_13855:
	v_bfe_u32 v6, v2, 24, 3
	v_ffbh_u32_e32 v16, v6
	v_min_u32_e32 v16, 32, v16
	v_lshrrev_b32_e32 v14, 27, v2
	v_subrev_u32_e32 v17, 28, v16
	v_and_b32_e32 v13, 0x80000000, v2
	v_and_b32_e32 v14, 15, v14
	v_bfe_u32 v15, v2, 27, 4
	v_lshlrev_b32_sdwa v2, v17, v2 dst_sel:DWORD dst_unused:UNUSED_PAD src0_sel:DWORD src1_sel:BYTE_3
	v_sub_u32_e32 v16, 29, v16
	v_and_b32_e32 v2, 7, v2
	v_cmp_eq_u16_e32 vcc, 0, v14
	v_cndmask_b32_e32 v2, v6, v2, vcc
	v_cndmask_b32_e32 v6, v15, v16, vcc
	v_mov_b32_e32 v14, 0x3b800000
	v_lshlrev_b32_e32 v2, 20, v2
	v_lshl_add_u32 v6, v6, 23, v14
	v_or3_b32 v6, v13, v6, v2
.LBB2_13856:
	s_or_b64 exec, exec, s[6:7]
	s_nop 0
	v_mfma_f32_16x16x4f32 a[0:3], v12, v6, a[0:3]
	s_movk_i32 s4, 0x7f
	v_cmp_gt_i16_sdwa s[6:7], v7, s4 src0_sel:BYTE_0 src1_sel:DWORD
	s_mov_b64 s[4:5], 0
                                        ; implicit-def: $sgpr10
	s_and_saveexec_b64 s[8:9], s[6:7]
	s_xor_b64 s[6:7], exec, s[8:9]
	s_cbranch_execz .LBB2_13857
; %bb.49697:
	s_getpc_b64 s[14:15]
.Lpost_getpc28432:
	s_add_u32 s14, s14, (.LBB2_28193-.Lpost_getpc28432)&4294967295
	s_addc_u32 s15, s15, (.LBB2_28193-.Lpost_getpc28432)>>32
	s_setpc_b64 s[14:15]
.LBB2_13857:
	s_or_saveexec_b64 s[6:7], s[6:7]
	v_mov_b32_e32 v2, s10
	s_xor_b64 exec, exec, s[6:7]
	s_cbranch_execz .LBB2_13858
; %bb.49699:
	s_getpc_b64 s[14:15]
.Lpost_getpc28433:
	s_add_u32 s14, s14, (.LBB2_28196-.Lpost_getpc28433)&4294967295
	s_addc_u32 s15, s15, (.LBB2_28196-.Lpost_getpc28433)>>32
	s_setpc_b64 s[14:15]
.LBB2_13858:
	s_or_b64 exec, exec, s[6:7]
	s_and_saveexec_b64 s[6:7], s[4:5]
	s_cbranch_execz .LBB2_13860
.LBB2_13859:
	v_and_b32_e32 v2, 7, v7
	v_ffbh_u32_e32 v12, v2
	v_min_u32_e32 v12, 32, v12
	v_lshrrev_b16_e32 v6, 3, v7
	v_subrev_u32_e32 v13, 28, v12
	v_and_b32_e32 v6, 15, v6
	v_lshlrev_b32_e32 v13, v13, v7
	v_sub_u32_e32 v12, 29, v12
	v_and_b32_e32 v13, 7, v13
	v_cmp_eq_u16_e32 vcc, 0, v6
	v_cndmask_b32_e32 v2, v2, v13, vcc
	v_cndmask_b32_e32 v6, v6, v12, vcc
	v_lshlrev_b32_e32 v12, 24, v7
	v_mov_b32_e32 v13, 0x3b800000
	v_lshlrev_b32_e32 v2, 20, v2
	v_and_b32_e32 v12, 0x80000000, v12
	v_lshl_add_u32 v6, v6, 23, v13
	v_or3_b32 v2, v12, v6, v2
.LBB2_13860:
	s_or_b64 exec, exec, s[6:7]
	s_movk_i32 s4, 0x7f
	v_cmp_gt_i16_sdwa s[6:7], v3, s4 src0_sel:BYTE_0 src1_sel:DWORD
	s_mov_b64 s[4:5], 0
                                        ; implicit-def: $sgpr10
	s_and_saveexec_b64 s[8:9], s[6:7]
	s_xor_b64 s[6:7], exec, s[8:9]
	s_cbranch_execz .LBB2_13861
; %bb.49701:
	s_getpc_b64 s[14:15]
.Lpost_getpc28434:
	s_add_u32 s14, s14, (.LBB2_28197-.Lpost_getpc28434)&4294967295
	s_addc_u32 s15, s15, (.LBB2_28197-.Lpost_getpc28434)>>32
	s_setpc_b64 s[14:15]
.LBB2_13861:
	s_or_saveexec_b64 s[6:7], s[6:7]
	v_mov_b32_e32 v6, s10
	s_xor_b64 exec, exec, s[6:7]
	s_cbranch_execz .LBB2_13862
; %bb.49703:
	s_getpc_b64 s[14:15]
.Lpost_getpc28435:
	s_add_u32 s14, s14, (.LBB2_28200-.Lpost_getpc28435)&4294967295
	s_addc_u32 s15, s15, (.LBB2_28200-.Lpost_getpc28435)>>32
	s_setpc_b64 s[14:15]
.LBB2_13862:
	s_or_b64 exec, exec, s[6:7]
	s_and_saveexec_b64 s[6:7], s[4:5]
	s_cbranch_execz .LBB2_13864
.LBB2_13863:
	v_and_b32_e32 v6, 7, v3
	v_ffbh_u32_e32 v13, v6
	v_min_u32_e32 v13, 32, v13
	v_lshrrev_b16_e32 v12, 3, v3
	v_subrev_u32_e32 v14, 28, v13
	v_and_b32_e32 v12, 15, v12
	v_lshlrev_b32_e32 v14, v14, v3
	v_sub_u32_e32 v13, 29, v13
	v_and_b32_e32 v14, 7, v14
	v_cmp_eq_u16_e32 vcc, 0, v12
	v_cndmask_b32_e32 v6, v6, v14, vcc
	v_cndmask_b32_e32 v12, v12, v13, vcc
	v_lshlrev_b32_e32 v13, 24, v3
	v_mov_b32_e32 v14, 0x3b800000
	v_lshlrev_b32_e32 v6, 20, v6
	v_and_b32_e32 v13, 0x80000000, v13
	v_lshl_add_u32 v12, v12, 23, v14
	v_or3_b32 v6, v13, v12, v6
.LBB2_13864:
	s_or_b64 exec, exec, s[6:7]
	s_nop 0
	v_mfma_f32_16x16x4f32 a[0:3], v2, v6, a[0:3]
	v_lshrrev_b32_e32 v6, 8, v7
	s_movk_i32 s4, 0x7f
	v_cmp_gt_i16_sdwa s[6:7], v6, s4 src0_sel:BYTE_0 src1_sel:DWORD
	s_mov_b64 s[4:5], 0
                                        ; implicit-def: $sgpr10
	s_and_saveexec_b64 s[8:9], s[6:7]
	s_xor_b64 s[6:7], exec, s[8:9]
	s_cbranch_execz .LBB2_13865
; %bb.49705:
	s_getpc_b64 s[14:15]
.Lpost_getpc28436:
	s_add_u32 s14, s14, (.LBB2_28201-.Lpost_getpc28436)&4294967295
	s_addc_u32 s15, s15, (.LBB2_28201-.Lpost_getpc28436)>>32
	s_setpc_b64 s[14:15]
.LBB2_13865:
	s_or_saveexec_b64 s[6:7], s[6:7]
	v_mov_b32_e32 v2, s10
	s_xor_b64 exec, exec, s[6:7]
	s_cbranch_execz .LBB2_13866
; %bb.49707:
	s_getpc_b64 s[14:15]
.Lpost_getpc28437:
	s_add_u32 s14, s14, (.LBB2_28204-.Lpost_getpc28437)&4294967295
	s_addc_u32 s15, s15, (.LBB2_28204-.Lpost_getpc28437)>>32
	s_setpc_b64 s[14:15]
.LBB2_13866:
	s_or_b64 exec, exec, s[6:7]
	s_and_saveexec_b64 s[6:7], s[4:5]
	s_cbranch_execz .LBB2_13868
.LBB2_13867:
	v_bfe_u32 v2, v7, 8, 3
	v_ffbh_u32_e32 v13, v2
	v_min_u32_e32 v13, 32, v13
	v_lshrrev_b16_e32 v12, 3, v6
	v_subrev_u32_e32 v14, 28, v13
	v_and_b32_e32 v12, 15, v12
	v_lshlrev_b32_e32 v6, v14, v6
	v_sub_u32_e32 v13, 29, v13
	v_and_b32_e32 v6, 7, v6
	v_cmp_eq_u16_e32 vcc, 0, v12
	v_cndmask_b32_e32 v2, v2, v6, vcc
	v_cndmask_b32_e32 v6, v12, v13, vcc
	v_lshlrev_b32_e32 v12, 16, v7
	v_mov_b32_e32 v13, 0x3b800000
	v_lshlrev_b32_e32 v2, 20, v2
	v_and_b32_e32 v12, 0x80000000, v12
	v_lshl_add_u32 v6, v6, 23, v13
	v_or3_b32 v2, v12, v6, v2
.LBB2_13868:
	s_or_b64 exec, exec, s[6:7]
	v_lshrrev_b32_e32 v6, 8, v3
	s_movk_i32 s4, 0x7f
	v_cmp_gt_i16_sdwa s[6:7], v6, s4 src0_sel:BYTE_0 src1_sel:DWORD
	s_mov_b64 s[4:5], 0
                                        ; implicit-def: $sgpr10
	s_and_saveexec_b64 s[8:9], s[6:7]
	s_xor_b64 s[6:7], exec, s[8:9]
	s_cbranch_execz .LBB2_13869
; %bb.49709:
	s_getpc_b64 s[14:15]
.Lpost_getpc28438:
	s_add_u32 s14, s14, (.LBB2_28205-.Lpost_getpc28438)&4294967295
	s_addc_u32 s15, s15, (.LBB2_28205-.Lpost_getpc28438)>>32
	s_setpc_b64 s[14:15]
.LBB2_13869:
	s_or_saveexec_b64 s[6:7], s[6:7]
	v_mov_b32_e32 v12, s10
	s_xor_b64 exec, exec, s[6:7]
	s_cbranch_execz .LBB2_13870
; %bb.49711:
	s_getpc_b64 s[14:15]
.Lpost_getpc28439:
	s_add_u32 s14, s14, (.LBB2_28208-.Lpost_getpc28439)&4294967295
	s_addc_u32 s15, s15, (.LBB2_28208-.Lpost_getpc28439)>>32
	s_setpc_b64 s[14:15]
.LBB2_13870:
	s_or_b64 exec, exec, s[6:7]
	s_and_saveexec_b64 s[6:7], s[4:5]
	s_cbranch_execz .LBB2_13872
.LBB2_13871:
	v_bfe_u32 v12, v3, 8, 3
	v_ffbh_u32_e32 v14, v12
	v_min_u32_e32 v14, 32, v14
	v_lshrrev_b16_e32 v13, 3, v6
	v_subrev_u32_e32 v15, 28, v14
	v_and_b32_e32 v13, 15, v13
	v_lshlrev_b32_e32 v6, v15, v6
	v_sub_u32_e32 v14, 29, v14
	v_and_b32_e32 v6, 7, v6
	v_cmp_eq_u16_e32 vcc, 0, v13
	v_cndmask_b32_e32 v6, v12, v6, vcc
	v_cndmask_b32_e32 v12, v13, v14, vcc
	v_lshlrev_b32_e32 v13, 16, v3
	v_mov_b32_e32 v14, 0x3b800000
	v_lshlrev_b32_e32 v6, 20, v6
	v_and_b32_e32 v13, 0x80000000, v13
	v_lshl_add_u32 v12, v12, 23, v14
	v_or3_b32 v12, v13, v12, v6
.LBB2_13872:
	s_or_b64 exec, exec, s[6:7]
	s_nop 0
	v_mfma_f32_16x16x4f32 a[0:3], v2, v12, a[0:3]
	s_movk_i32 s4, 0xff
	v_and_b32_sdwa v6, v7, s4 dst_sel:DWORD dst_unused:UNUSED_PAD src0_sel:WORD_1 src1_sel:DWORD
	s_movk_i32 s4, 0x7f
	v_cmp_lt_i16_e32 vcc, s4, v6
	s_mov_b64 s[4:5], 0
                                        ; implicit-def: $sgpr10
	s_and_saveexec_b64 s[6:7], vcc
	s_xor_b64 s[6:7], exec, s[6:7]
	s_cbranch_execz .LBB2_13873
; %bb.49713:
	s_getpc_b64 s[14:15]
.Lpost_getpc28440:
	s_add_u32 s14, s14, (.LBB2_28209-.Lpost_getpc28440)&4294967295
	s_addc_u32 s15, s15, (.LBB2_28209-.Lpost_getpc28440)>>32
	s_setpc_b64 s[14:15]
.LBB2_13873:
	s_or_saveexec_b64 s[6:7], s[6:7]
	v_mov_b32_e32 v2, s10
	s_xor_b64 exec, exec, s[6:7]
	s_cbranch_execz .LBB2_13874
; %bb.49715:
	s_getpc_b64 s[14:15]
.Lpost_getpc28441:
	s_add_u32 s14, s14, (.LBB2_28212-.Lpost_getpc28441)&4294967295
	s_addc_u32 s15, s15, (.LBB2_28212-.Lpost_getpc28441)>>32
	s_setpc_b64 s[14:15]
.LBB2_13874:
	s_or_b64 exec, exec, s[6:7]
	s_and_saveexec_b64 s[6:7], s[4:5]
	s_cbranch_execz .LBB2_13876
.LBB2_13875:
	v_bfe_u32 v2, v7, 16, 3
	v_ffbh_u32_e32 v13, v2
	v_min_u32_e32 v13, 32, v13
	v_lshrrev_b32_e32 v6, 19, v7
	v_subrev_u32_e32 v14, 28, v13
	v_and_b32_e32 v6, 15, v6
	v_lshlrev_b32_sdwa v14, v14, v7 dst_sel:DWORD dst_unused:UNUSED_PAD src0_sel:DWORD src1_sel:WORD_1
	v_bfe_u32 v12, v7, 19, 4
	v_sub_u32_e32 v13, 29, v13
	v_and_b32_e32 v14, 7, v14
	v_cmp_eq_u16_e32 vcc, 0, v6
	v_cndmask_b32_e32 v2, v2, v14, vcc
	v_cndmask_b32_e32 v6, v12, v13, vcc
	v_lshlrev_b32_e32 v12, 8, v7
	v_mov_b32_e32 v13, 0x3b800000
	v_lshlrev_b32_e32 v2, 20, v2
	v_and_b32_e32 v12, 0x80000000, v12
	v_lshl_add_u32 v6, v6, 23, v13
	v_or3_b32 v2, v12, v6, v2
.LBB2_13876:
	s_or_b64 exec, exec, s[6:7]
	s_movk_i32 s4, 0xff
	v_and_b32_sdwa v6, v3, s4 dst_sel:DWORD dst_unused:UNUSED_PAD src0_sel:WORD_1 src1_sel:DWORD
	s_movk_i32 s4, 0x7f
	v_cmp_lt_i16_e32 vcc, s4, v6
	s_mov_b64 s[4:5], 0
                                        ; implicit-def: $sgpr10
	s_and_saveexec_b64 s[6:7], vcc
	s_xor_b64 s[6:7], exec, s[6:7]
	s_cbranch_execz .LBB2_13877
; %bb.49717:
	s_getpc_b64 s[14:15]
.Lpost_getpc28442:
	s_add_u32 s14, s14, (.LBB2_28213-.Lpost_getpc28442)&4294967295
	s_addc_u32 s15, s15, (.LBB2_28213-.Lpost_getpc28442)>>32
	s_setpc_b64 s[14:15]
.LBB2_13877:
	s_or_saveexec_b64 s[6:7], s[6:7]
	v_mov_b32_e32 v12, s10
	s_xor_b64 exec, exec, s[6:7]
	s_cbranch_execz .LBB2_13878
; %bb.49719:
	s_getpc_b64 s[14:15]
.Lpost_getpc28443:
	s_add_u32 s14, s14, (.LBB2_28216-.Lpost_getpc28443)&4294967295
	s_addc_u32 s15, s15, (.LBB2_28216-.Lpost_getpc28443)>>32
	s_setpc_b64 s[14:15]
.LBB2_13878:
	s_or_b64 exec, exec, s[6:7]
	s_and_saveexec_b64 s[6:7], s[4:5]
	s_cbranch_execz .LBB2_13880
.LBB2_13879:
	v_bfe_u32 v6, v3, 16, 3
	v_ffbh_u32_e32 v14, v6
	v_min_u32_e32 v14, 32, v14
	v_lshrrev_b32_e32 v12, 19, v3
	v_subrev_u32_e32 v15, 28, v14
	v_and_b32_e32 v12, 15, v12
	v_lshlrev_b32_sdwa v15, v15, v3 dst_sel:DWORD dst_unused:UNUSED_PAD src0_sel:DWORD src1_sel:WORD_1
	v_bfe_u32 v13, v3, 19, 4
	v_sub_u32_e32 v14, 29, v14
	v_and_b32_e32 v15, 7, v15
	v_cmp_eq_u16_e32 vcc, 0, v12
	v_cndmask_b32_e32 v6, v6, v15, vcc
	v_cndmask_b32_e32 v12, v13, v14, vcc
	v_lshlrev_b32_e32 v13, 8, v3
	v_mov_b32_e32 v14, 0x3b800000
	v_lshlrev_b32_e32 v6, 20, v6
	v_and_b32_e32 v13, 0x80000000, v13
	v_lshl_add_u32 v12, v12, 23, v14
	v_or3_b32 v12, v13, v12, v6
.LBB2_13880:
	s_or_b64 exec, exec, s[6:7]
	s_nop 0
	v_mfma_f32_16x16x4f32 a[0:3], v2, v12, a[0:3]
	s_movk_i32 s4, 0x7f
	v_cmp_gt_i16_sdwa s[6:7], v7, s4 src0_sel:BYTE_3 src1_sel:DWORD
	s_mov_b64 s[4:5], 0
                                        ; implicit-def: $sgpr10
	s_and_saveexec_b64 s[8:9], s[6:7]
	s_xor_b64 s[6:7], exec, s[8:9]
	s_cbranch_execz .LBB2_13881
; %bb.49721:
	s_getpc_b64 s[14:15]
.Lpost_getpc28444:
	s_add_u32 s14, s14, (.LBB2_28217-.Lpost_getpc28444)&4294967295
	s_addc_u32 s15, s15, (.LBB2_28217-.Lpost_getpc28444)>>32
	s_setpc_b64 s[14:15]
.LBB2_13881:
	s_or_saveexec_b64 s[6:7], s[6:7]
	v_mov_b32_e32 v2, s10
	s_xor_b64 exec, exec, s[6:7]
	s_cbranch_execz .LBB2_13882
; %bb.49723:
	s_getpc_b64 s[14:15]
.Lpost_getpc28445:
	s_add_u32 s14, s14, (.LBB2_28220-.Lpost_getpc28445)&4294967295
	s_addc_u32 s15, s15, (.LBB2_28220-.Lpost_getpc28445)>>32
	s_setpc_b64 s[14:15]
.LBB2_13882:
	s_or_b64 exec, exec, s[6:7]
	s_and_saveexec_b64 s[6:7], s[4:5]
	s_cbranch_execz .LBB2_13884
.LBB2_13883:
	v_bfe_u32 v2, v7, 24, 3
	v_ffbh_u32_e32 v14, v2
	v_min_u32_e32 v14, 32, v14
	v_lshrrev_b32_e32 v12, 27, v7
	v_subrev_u32_e32 v15, 28, v14
	v_and_b32_e32 v6, 0x80000000, v7
	v_and_b32_e32 v12, 15, v12
	v_bfe_u32 v13, v7, 27, 4
	v_lshlrev_b32_sdwa v7, v15, v7 dst_sel:DWORD dst_unused:UNUSED_PAD src0_sel:DWORD src1_sel:BYTE_3
	v_sub_u32_e32 v14, 29, v14
	v_and_b32_e32 v7, 7, v7
	v_cmp_eq_u16_e32 vcc, 0, v12
	v_cndmask_b32_e32 v2, v2, v7, vcc
	v_cndmask_b32_e32 v7, v13, v14, vcc
	v_mov_b32_e32 v12, 0x3b800000
	v_lshlrev_b32_e32 v2, 20, v2
	v_lshl_add_u32 v7, v7, 23, v12
	v_or3_b32 v2, v6, v7, v2
.LBB2_13884:
	s_or_b64 exec, exec, s[6:7]
	s_movk_i32 s4, 0x7f
	v_cmp_gt_i16_sdwa s[6:7], v3, s4 src0_sel:BYTE_3 src1_sel:DWORD
	s_mov_b64 s[4:5], 0
                                        ; implicit-def: $sgpr10
	s_and_saveexec_b64 s[8:9], s[6:7]
	s_xor_b64 s[6:7], exec, s[8:9]
	s_cbranch_execz .LBB2_13885
; %bb.49725:
	s_getpc_b64 s[14:15]
.Lpost_getpc28446:
	s_add_u32 s14, s14, (.LBB2_28221-.Lpost_getpc28446)&4294967295
	s_addc_u32 s15, s15, (.LBB2_28221-.Lpost_getpc28446)>>32
	s_setpc_b64 s[14:15]
.LBB2_13885:
	s_or_saveexec_b64 s[6:7], s[6:7]
	v_mov_b32_e32 v6, s10
	s_xor_b64 exec, exec, s[6:7]
	s_cbranch_execz .LBB2_13886
; %bb.49727:
	s_getpc_b64 s[14:15]
.Lpost_getpc28447:
	s_add_u32 s14, s14, (.LBB2_28224-.Lpost_getpc28447)&4294967295
	s_addc_u32 s15, s15, (.LBB2_28224-.Lpost_getpc28447)>>32
	s_setpc_b64 s[14:15]
.LBB2_13886:
	s_or_b64 exec, exec, s[6:7]
	s_and_saveexec_b64 s[6:7], s[4:5]
	s_cbranch_execz .LBB2_13888
.LBB2_13887:
	v_bfe_u32 v6, v3, 24, 3
	v_ffbh_u32_e32 v14, v6
	v_min_u32_e32 v14, 32, v14
	v_lshrrev_b32_e32 v12, 27, v3
	v_subrev_u32_e32 v15, 28, v14
	v_and_b32_e32 v7, 0x80000000, v3
	v_and_b32_e32 v12, 15, v12
	v_bfe_u32 v13, v3, 27, 4
	v_lshlrev_b32_sdwa v3, v15, v3 dst_sel:DWORD dst_unused:UNUSED_PAD src0_sel:DWORD src1_sel:BYTE_3
	v_sub_u32_e32 v14, 29, v14
	v_and_b32_e32 v3, 7, v3
	v_cmp_eq_u16_e32 vcc, 0, v12
	v_cndmask_b32_e32 v3, v6, v3, vcc
	v_cndmask_b32_e32 v6, v13, v14, vcc
	v_mov_b32_e32 v12, 0x3b800000
	v_lshlrev_b32_e32 v3, 20, v3
	v_lshl_add_u32 v6, v6, 23, v12
	v_or3_b32 v6, v7, v6, v3
.LBB2_13888:
	s_or_b64 exec, exec, s[6:7]
	s_nop 0
	v_mfma_f32_16x16x4f32 a[0:3], v2, v6, a[0:3]
	s_movk_i32 s4, 0x7f
	v_cmp_gt_i16_sdwa s[6:7], v8, s4 src0_sel:BYTE_0 src1_sel:DWORD
	s_mov_b64 s[4:5], 0
                                        ; implicit-def: $sgpr10
	s_and_saveexec_b64 s[8:9], s[6:7]
	s_xor_b64 s[6:7], exec, s[8:9]
	s_cbranch_execz .LBB2_13889
; %bb.49729:
	s_getpc_b64 s[14:15]
.Lpost_getpc28448:
	s_add_u32 s14, s14, (.LBB2_28225-.Lpost_getpc28448)&4294967295
	s_addc_u32 s15, s15, (.LBB2_28225-.Lpost_getpc28448)>>32
	s_setpc_b64 s[14:15]
.LBB2_13889:
	s_or_saveexec_b64 s[6:7], s[6:7]
	v_mov_b32_e32 v2, s10
	s_xor_b64 exec, exec, s[6:7]
	s_cbranch_execz .LBB2_13890
; %bb.49731:
	s_getpc_b64 s[14:15]
.Lpost_getpc28449:
	s_add_u32 s14, s14, (.LBB2_28228-.Lpost_getpc28449)&4294967295
	s_addc_u32 s15, s15, (.LBB2_28228-.Lpost_getpc28449)>>32
	s_setpc_b64 s[14:15]
.LBB2_13890:
	s_or_b64 exec, exec, s[6:7]
	s_and_saveexec_b64 s[6:7], s[4:5]
	s_cbranch_execz .LBB2_13892
.LBB2_13891:
	v_and_b32_e32 v2, 7, v8
	v_ffbh_u32_e32 v6, v2
	v_min_u32_e32 v6, 32, v6
	v_lshrrev_b16_e32 v3, 3, v8
	v_subrev_u32_e32 v7, 28, v6
	v_and_b32_e32 v3, 15, v3
	v_lshlrev_b32_e32 v7, v7, v8
	v_sub_u32_e32 v6, 29, v6
	v_and_b32_e32 v7, 7, v7
	v_cmp_eq_u16_e32 vcc, 0, v3
	v_cndmask_b32_e32 v2, v2, v7, vcc
	v_cndmask_b32_e32 v3, v3, v6, vcc
	v_lshlrev_b32_e32 v6, 24, v8
	v_mov_b32_e32 v7, 0x3b800000
	v_lshlrev_b32_e32 v2, 20, v2
	v_and_b32_e32 v6, 0x80000000, v6
	v_lshl_add_u32 v3, v3, 23, v7
	v_or3_b32 v2, v6, v3, v2
.LBB2_13892:
	s_or_b64 exec, exec, s[6:7]
	s_movk_i32 s4, 0x7f
	v_cmp_gt_i16_sdwa s[6:7], v4, s4 src0_sel:BYTE_0 src1_sel:DWORD
	s_mov_b64 s[4:5], 0
                                        ; implicit-def: $sgpr10
	s_and_saveexec_b64 s[8:9], s[6:7]
	s_xor_b64 s[6:7], exec, s[8:9]
	s_cbranch_execz .LBB2_13893
; %bb.49733:
	s_getpc_b64 s[14:15]
.Lpost_getpc28450:
	s_add_u32 s14, s14, (.LBB2_28229-.Lpost_getpc28450)&4294967295
	s_addc_u32 s15, s15, (.LBB2_28229-.Lpost_getpc28450)>>32
	s_setpc_b64 s[14:15]
.LBB2_13893:
	s_or_saveexec_b64 s[6:7], s[6:7]
	v_mov_b32_e32 v3, s10
	s_xor_b64 exec, exec, s[6:7]
	s_cbranch_execz .LBB2_13894
; %bb.49735:
	s_getpc_b64 s[14:15]
.Lpost_getpc28451:
	s_add_u32 s14, s14, (.LBB2_28232-.Lpost_getpc28451)&4294967295
	s_addc_u32 s15, s15, (.LBB2_28232-.Lpost_getpc28451)>>32
	s_setpc_b64 s[14:15]
.LBB2_13894:
	s_or_b64 exec, exec, s[6:7]
	s_and_saveexec_b64 s[6:7], s[4:5]
	s_cbranch_execz .LBB2_13896
.LBB2_13895:
	v_and_b32_e32 v3, 7, v4
	v_ffbh_u32_e32 v7, v3
	v_min_u32_e32 v7, 32, v7
	v_lshrrev_b16_e32 v6, 3, v4
	v_subrev_u32_e32 v12, 28, v7
	v_and_b32_e32 v6, 15, v6
	v_lshlrev_b32_e32 v12, v12, v4
	v_sub_u32_e32 v7, 29, v7
	v_and_b32_e32 v12, 7, v12
	v_cmp_eq_u16_e32 vcc, 0, v6
	v_cndmask_b32_e32 v3, v3, v12, vcc
	v_cndmask_b32_e32 v6, v6, v7, vcc
	v_lshlrev_b32_e32 v7, 24, v4
	v_mov_b32_e32 v12, 0x3b800000
	v_lshlrev_b32_e32 v3, 20, v3
	v_and_b32_e32 v7, 0x80000000, v7
	v_lshl_add_u32 v6, v6, 23, v12
	v_or3_b32 v3, v7, v6, v3
.LBB2_13896:
	s_or_b64 exec, exec, s[6:7]
	s_nop 0
	v_mfma_f32_16x16x4f32 a[0:3], v2, v3, a[0:3]
	v_lshrrev_b32_e32 v3, 8, v8
	s_movk_i32 s4, 0x7f
	v_cmp_gt_i16_sdwa s[6:7], v3, s4 src0_sel:BYTE_0 src1_sel:DWORD
	s_mov_b64 s[4:5], 0
                                        ; implicit-def: $sgpr10
	s_and_saveexec_b64 s[8:9], s[6:7]
	s_xor_b64 s[6:7], exec, s[8:9]
	s_cbranch_execz .LBB2_13897
; %bb.49737:
	s_getpc_b64 s[14:15]
.Lpost_getpc28452:
	s_add_u32 s14, s14, (.LBB2_28233-.Lpost_getpc28452)&4294967295
	s_addc_u32 s15, s15, (.LBB2_28233-.Lpost_getpc28452)>>32
	s_setpc_b64 s[14:15]
.LBB2_13897:
	s_or_saveexec_b64 s[6:7], s[6:7]
	v_mov_b32_e32 v2, s10
	s_xor_b64 exec, exec, s[6:7]
	s_cbranch_execz .LBB2_13898
; %bb.49739:
	s_getpc_b64 s[14:15]
.Lpost_getpc28453:
	s_add_u32 s14, s14, (.LBB2_28236-.Lpost_getpc28453)&4294967295
	s_addc_u32 s15, s15, (.LBB2_28236-.Lpost_getpc28453)>>32
	s_setpc_b64 s[14:15]
.LBB2_13898:
	s_or_b64 exec, exec, s[6:7]
	s_and_saveexec_b64 s[6:7], s[4:5]
	s_cbranch_execz .LBB2_13900
.LBB2_13899:
	v_bfe_u32 v2, v8, 8, 3
	v_ffbh_u32_e32 v7, v2
	v_min_u32_e32 v7, 32, v7
	v_lshrrev_b16_e32 v6, 3, v3
	v_subrev_u32_e32 v12, 28, v7
	v_and_b32_e32 v6, 15, v6
	v_lshlrev_b32_e32 v3, v12, v3
	v_sub_u32_e32 v7, 29, v7
	v_and_b32_e32 v3, 7, v3
	v_cmp_eq_u16_e32 vcc, 0, v6
	v_cndmask_b32_e32 v2, v2, v3, vcc
	v_cndmask_b32_e32 v3, v6, v7, vcc
	v_lshlrev_b32_e32 v6, 16, v8
	v_mov_b32_e32 v7, 0x3b800000
	v_lshlrev_b32_e32 v2, 20, v2
	v_and_b32_e32 v6, 0x80000000, v6
	v_lshl_add_u32 v3, v3, 23, v7
	v_or3_b32 v2, v6, v3, v2
.LBB2_13900:
	s_or_b64 exec, exec, s[6:7]
	v_lshrrev_b32_e32 v3, 8, v4
	s_movk_i32 s4, 0x7f
	v_cmp_gt_i16_sdwa s[6:7], v3, s4 src0_sel:BYTE_0 src1_sel:DWORD
	s_mov_b64 s[4:5], 0
                                        ; implicit-def: $sgpr10
	s_and_saveexec_b64 s[8:9], s[6:7]
	s_xor_b64 s[6:7], exec, s[8:9]
	s_cbranch_execz .LBB2_13901
; %bb.49741:
	s_getpc_b64 s[14:15]
.Lpost_getpc28454:
	s_add_u32 s14, s14, (.LBB2_28237-.Lpost_getpc28454)&4294967295
	s_addc_u32 s15, s15, (.LBB2_28237-.Lpost_getpc28454)>>32
	s_setpc_b64 s[14:15]
.LBB2_13901:
	s_or_saveexec_b64 s[6:7], s[6:7]
	v_mov_b32_e32 v6, s10
	s_xor_b64 exec, exec, s[6:7]
	s_cbranch_execz .LBB2_13902
; %bb.49743:
	s_getpc_b64 s[14:15]
.Lpost_getpc28455:
	s_add_u32 s14, s14, (.LBB2_28240-.Lpost_getpc28455)&4294967295
	s_addc_u32 s15, s15, (.LBB2_28240-.Lpost_getpc28455)>>32
	s_setpc_b64 s[14:15]
.LBB2_13902:
	s_or_b64 exec, exec, s[6:7]
	s_and_saveexec_b64 s[6:7], s[4:5]
	s_cbranch_execz .LBB2_13904
.LBB2_13903:
	v_bfe_u32 v6, v4, 8, 3
	v_ffbh_u32_e32 v12, v6
	v_min_u32_e32 v12, 32, v12
	v_lshrrev_b16_e32 v7, 3, v3
	v_subrev_u32_e32 v13, 28, v12
	v_and_b32_e32 v7, 15, v7
	v_lshlrev_b32_e32 v3, v13, v3
	v_sub_u32_e32 v12, 29, v12
	v_and_b32_e32 v3, 7, v3
	v_cmp_eq_u16_e32 vcc, 0, v7
	v_cndmask_b32_e32 v3, v6, v3, vcc
	v_cndmask_b32_e32 v6, v7, v12, vcc
	v_lshlrev_b32_e32 v7, 16, v4
	v_mov_b32_e32 v12, 0x3b800000
	v_lshlrev_b32_e32 v3, 20, v3
	v_and_b32_e32 v7, 0x80000000, v7
	v_lshl_add_u32 v6, v6, 23, v12
	v_or3_b32 v6, v7, v6, v3
.LBB2_13904:
	s_or_b64 exec, exec, s[6:7]
	s_nop 0
	v_mfma_f32_16x16x4f32 a[0:3], v2, v6, a[0:3]
	s_movk_i32 s4, 0xff
	v_and_b32_sdwa v3, v8, s4 dst_sel:DWORD dst_unused:UNUSED_PAD src0_sel:WORD_1 src1_sel:DWORD
	s_movk_i32 s4, 0x7f
	v_cmp_lt_i16_e32 vcc, s4, v3
	s_mov_b64 s[4:5], 0
                                        ; implicit-def: $sgpr10
	s_and_saveexec_b64 s[6:7], vcc
	s_xor_b64 s[6:7], exec, s[6:7]
	s_cbranch_execz .LBB2_13905
; %bb.49745:
	s_getpc_b64 s[14:15]
.Lpost_getpc28456:
	s_add_u32 s14, s14, (.LBB2_28241-.Lpost_getpc28456)&4294967295
	s_addc_u32 s15, s15, (.LBB2_28241-.Lpost_getpc28456)>>32
	s_setpc_b64 s[14:15]
.LBB2_13905:
	s_or_saveexec_b64 s[6:7], s[6:7]
	v_mov_b32_e32 v2, s10
	s_xor_b64 exec, exec, s[6:7]
	s_cbranch_execz .LBB2_13906
; %bb.49747:
	s_getpc_b64 s[14:15]
.Lpost_getpc28457:
	s_add_u32 s14, s14, (.LBB2_28244-.Lpost_getpc28457)&4294967295
	s_addc_u32 s15, s15, (.LBB2_28244-.Lpost_getpc28457)>>32
	s_setpc_b64 s[14:15]
.LBB2_13906:
	s_or_b64 exec, exec, s[6:7]
	s_and_saveexec_b64 s[6:7], s[4:5]
	s_cbranch_execz .LBB2_13908
.LBB2_13907:
	v_bfe_u32 v2, v8, 16, 3
	v_ffbh_u32_e32 v7, v2
	v_min_u32_e32 v7, 32, v7
	v_lshrrev_b32_e32 v3, 19, v8
	v_subrev_u32_e32 v12, 28, v7
	v_and_b32_e32 v3, 15, v3
	v_lshlrev_b32_sdwa v12, v12, v8 dst_sel:DWORD dst_unused:UNUSED_PAD src0_sel:DWORD src1_sel:WORD_1
	v_bfe_u32 v6, v8, 19, 4
	v_sub_u32_e32 v7, 29, v7
	v_and_b32_e32 v12, 7, v12
	v_cmp_eq_u16_e32 vcc, 0, v3
	v_cndmask_b32_e32 v2, v2, v12, vcc
	v_cndmask_b32_e32 v3, v6, v7, vcc
	v_lshlrev_b32_e32 v6, 8, v8
	v_mov_b32_e32 v7, 0x3b800000
	v_lshlrev_b32_e32 v2, 20, v2
	v_and_b32_e32 v6, 0x80000000, v6
	v_lshl_add_u32 v3, v3, 23, v7
	v_or3_b32 v2, v6, v3, v2
.LBB2_13908:
	s_or_b64 exec, exec, s[6:7]
	s_movk_i32 s4, 0xff
	v_and_b32_sdwa v3, v4, s4 dst_sel:DWORD dst_unused:UNUSED_PAD src0_sel:WORD_1 src1_sel:DWORD
	s_movk_i32 s4, 0x7f
	v_cmp_lt_i16_e32 vcc, s4, v3
	s_mov_b64 s[4:5], 0
                                        ; implicit-def: $sgpr10
	s_and_saveexec_b64 s[6:7], vcc
	s_xor_b64 s[6:7], exec, s[6:7]
	s_cbranch_execz .LBB2_13909
; %bb.49749:
	s_getpc_b64 s[14:15]
.Lpost_getpc28458:
	s_add_u32 s14, s14, (.LBB2_28245-.Lpost_getpc28458)&4294967295
	s_addc_u32 s15, s15, (.LBB2_28245-.Lpost_getpc28458)>>32
	s_setpc_b64 s[14:15]
.LBB2_13909:
	s_or_saveexec_b64 s[6:7], s[6:7]
	v_mov_b32_e32 v6, s10
	s_xor_b64 exec, exec, s[6:7]
	s_cbranch_execz .LBB2_13910
; %bb.49751:
	s_getpc_b64 s[14:15]
.Lpost_getpc28459:
	s_add_u32 s14, s14, (.LBB2_28248-.Lpost_getpc28459)&4294967295
	s_addc_u32 s15, s15, (.LBB2_28248-.Lpost_getpc28459)>>32
	s_setpc_b64 s[14:15]
.LBB2_13910:
	s_or_b64 exec, exec, s[6:7]
	s_and_saveexec_b64 s[6:7], s[4:5]
	s_cbranch_execz .LBB2_13912
.LBB2_13911:
	v_bfe_u32 v3, v4, 16, 3
	v_ffbh_u32_e32 v12, v3
	v_min_u32_e32 v12, 32, v12
	v_lshrrev_b32_e32 v6, 19, v4
	v_subrev_u32_e32 v13, 28, v12
	v_and_b32_e32 v6, 15, v6
	v_lshlrev_b32_sdwa v13, v13, v4 dst_sel:DWORD dst_unused:UNUSED_PAD src0_sel:DWORD src1_sel:WORD_1
	v_bfe_u32 v7, v4, 19, 4
	v_sub_u32_e32 v12, 29, v12
	v_and_b32_e32 v13, 7, v13
	v_cmp_eq_u16_e32 vcc, 0, v6
	v_cndmask_b32_e32 v3, v3, v13, vcc
	v_cndmask_b32_e32 v6, v7, v12, vcc
	v_lshlrev_b32_e32 v7, 8, v4
	v_mov_b32_e32 v12, 0x3b800000
	v_lshlrev_b32_e32 v3, 20, v3
	v_and_b32_e32 v7, 0x80000000, v7
	v_lshl_add_u32 v6, v6, 23, v12
	v_or3_b32 v6, v7, v6, v3
.LBB2_13912:
	s_or_b64 exec, exec, s[6:7]
	s_nop 0
	v_mfma_f32_16x16x4f32 a[0:3], v2, v6, a[0:3]
	s_movk_i32 s4, 0x7f
	v_cmp_gt_i16_sdwa s[6:7], v8, s4 src0_sel:BYTE_3 src1_sel:DWORD
	s_mov_b64 s[4:5], 0
                                        ; implicit-def: $sgpr10
	s_and_saveexec_b64 s[8:9], s[6:7]
	s_xor_b64 s[6:7], exec, s[8:9]
	s_cbranch_execz .LBB2_13913
; %bb.49753:
	s_getpc_b64 s[14:15]
.Lpost_getpc28460:
	s_add_u32 s14, s14, (.LBB2_28249-.Lpost_getpc28460)&4294967295
	s_addc_u32 s15, s15, (.LBB2_28249-.Lpost_getpc28460)>>32
	s_setpc_b64 s[14:15]
.LBB2_13913:
	s_or_saveexec_b64 s[6:7], s[6:7]
	v_mov_b32_e32 v2, s10
	s_xor_b64 exec, exec, s[6:7]
	s_cbranch_execz .LBB2_13914
; %bb.49755:
	s_getpc_b64 s[14:15]
.Lpost_getpc28461:
	s_add_u32 s14, s14, (.LBB2_28252-.Lpost_getpc28461)&4294967295
	s_addc_u32 s15, s15, (.LBB2_28252-.Lpost_getpc28461)>>32
	s_setpc_b64 s[14:15]
.LBB2_13914:
	s_or_b64 exec, exec, s[6:7]
	s_and_saveexec_b64 s[6:7], s[4:5]
	s_cbranch_execz .LBB2_13916
.LBB2_13915:
	v_bfe_u32 v2, v8, 24, 3
	v_ffbh_u32_e32 v12, v2
	v_min_u32_e32 v12, 32, v12
	v_lshrrev_b32_e32 v6, 27, v8
	v_subrev_u32_e32 v13, 28, v12
	v_and_b32_e32 v3, 0x80000000, v8
	v_and_b32_e32 v6, 15, v6
	v_bfe_u32 v7, v8, 27, 4
	v_lshlrev_b32_sdwa v8, v13, v8 dst_sel:DWORD dst_unused:UNUSED_PAD src0_sel:DWORD src1_sel:BYTE_3
	v_sub_u32_e32 v12, 29, v12
	v_and_b32_e32 v8, 7, v8
	v_cmp_eq_u16_e32 vcc, 0, v6
	v_cndmask_b32_e32 v2, v2, v8, vcc
	v_cndmask_b32_e32 v6, v7, v12, vcc
	v_mov_b32_e32 v7, 0x3b800000
	v_lshlrev_b32_e32 v2, 20, v2
	v_lshl_add_u32 v6, v6, 23, v7
	v_or3_b32 v2, v3, v6, v2
.LBB2_13916:
	s_or_b64 exec, exec, s[6:7]
	s_movk_i32 s4, 0x7f
	v_cmp_gt_i16_sdwa s[6:7], v4, s4 src0_sel:BYTE_3 src1_sel:DWORD
	s_mov_b64 s[4:5], 0
                                        ; implicit-def: $sgpr10
	s_and_saveexec_b64 s[8:9], s[6:7]
	s_xor_b64 s[6:7], exec, s[8:9]
	s_cbranch_execz .LBB2_13917
; %bb.49757:
	s_getpc_b64 s[14:15]
.Lpost_getpc28462:
	s_add_u32 s14, s14, (.LBB2_28253-.Lpost_getpc28462)&4294967295
	s_addc_u32 s15, s15, (.LBB2_28253-.Lpost_getpc28462)>>32
	s_setpc_b64 s[14:15]
.LBB2_13917:
	s_or_saveexec_b64 s[6:7], s[6:7]
	v_mov_b32_e32 v3, s10
	s_xor_b64 exec, exec, s[6:7]
	s_cbranch_execz .LBB2_13918
; %bb.49759:
	s_getpc_b64 s[14:15]
.Lpost_getpc28463:
	s_add_u32 s14, s14, (.LBB2_28256-.Lpost_getpc28463)&4294967295
	s_addc_u32 s15, s15, (.LBB2_28256-.Lpost_getpc28463)>>32
	s_setpc_b64 s[14:15]
.LBB2_13918:
	s_or_b64 exec, exec, s[6:7]
	s_and_saveexec_b64 s[6:7], s[4:5]
	s_cbranch_execz .LBB2_13920
.LBB2_13919:
	v_bfe_u32 v3, v4, 24, 3
	v_ffbh_u32_e32 v12, v3
	v_min_u32_e32 v12, 32, v12
	v_lshrrev_b32_e32 v7, 27, v4
	v_subrev_u32_e32 v13, 28, v12
	v_and_b32_e32 v6, 0x80000000, v4
	v_and_b32_e32 v7, 15, v7
	v_bfe_u32 v8, v4, 27, 4
	v_lshlrev_b32_sdwa v4, v13, v4 dst_sel:DWORD dst_unused:UNUSED_PAD src0_sel:DWORD src1_sel:BYTE_3
	v_sub_u32_e32 v12, 29, v12
	v_and_b32_e32 v4, 7, v4
	v_cmp_eq_u16_e32 vcc, 0, v7
	v_cndmask_b32_e32 v3, v3, v4, vcc
	v_cndmask_b32_e32 v4, v8, v12, vcc
	v_mov_b32_e32 v7, 0x3b800000
	v_lshlrev_b32_e32 v3, 20, v3
	v_lshl_add_u32 v4, v4, 23, v7
	v_or3_b32 v3, v6, v4, v3
.LBB2_13920:
	s_or_b64 exec, exec, s[6:7]
	s_nop 0
	v_mfma_f32_16x16x4f32 a[0:3], v2, v3, a[0:3]
	s_movk_i32 s4, 0x7f
	v_cmp_gt_i16_sdwa s[6:7], v9, s4 src0_sel:BYTE_0 src1_sel:DWORD
	s_mov_b64 s[4:5], 0
                                        ; implicit-def: $sgpr10
	s_and_saveexec_b64 s[8:9], s[6:7]
	s_xor_b64 s[6:7], exec, s[8:9]
	s_cbranch_execz .LBB2_13921
; %bb.49761:
	s_getpc_b64 s[14:15]
.Lpost_getpc28464:
	s_add_u32 s14, s14, (.LBB2_28257-.Lpost_getpc28464)&4294967295
	s_addc_u32 s15, s15, (.LBB2_28257-.Lpost_getpc28464)>>32
	s_setpc_b64 s[14:15]
.LBB2_13921:
	s_or_saveexec_b64 s[6:7], s[6:7]
	v_mov_b32_e32 v2, s10
	s_xor_b64 exec, exec, s[6:7]
	s_cbranch_execz .LBB2_13922
; %bb.49763:
	s_getpc_b64 s[14:15]
.Lpost_getpc28465:
	s_add_u32 s14, s14, (.LBB2_28260-.Lpost_getpc28465)&4294967295
	s_addc_u32 s15, s15, (.LBB2_28260-.Lpost_getpc28465)>>32
	s_setpc_b64 s[14:15]
.LBB2_13922:
	s_or_b64 exec, exec, s[6:7]
	s_and_saveexec_b64 s[6:7], s[4:5]
	s_cbranch_execz .LBB2_13924
.LBB2_13923:
	v_mov_b32_e32 v2, 8
	v_and_b32_e32 v3, 7, v9
	v_lshrrev_b32_sdwa v2, v2, v9 dst_sel:BYTE_1 dst_unused:UNUSED_PAD src0_sel:DWORD src1_sel:DWORD
	v_ffbh_u32_e32 v4, v3
	v_or_b32_sdwa v2, v9, v2 dst_sel:DWORD dst_unused:UNUSED_PAD src0_sel:BYTE_0 src1_sel:DWORD
	v_min_u32_e32 v4, 32, v4
	v_lshrrev_b16_e32 v2, 3, v2
	v_subrev_u32_e32 v6, 28, v4
	v_and_b32_e32 v2, 15, v2
	v_lshlrev_b32_e32 v6, v6, v9
	v_sub_u32_e32 v4, 29, v4
	v_and_b32_e32 v6, 7, v6
	v_cmp_eq_u16_e32 vcc, 0, v2
	v_cndmask_b32_e32 v3, v3, v6, vcc
	v_cndmask_b32_e32 v2, v2, v4, vcc
	v_lshlrev_b32_e32 v4, 24, v9
	v_mov_b32_e32 v6, 0x3b800000
	v_lshlrev_b32_e32 v3, 20, v3
	v_and_b32_e32 v4, 0x80000000, v4
	v_lshl_add_u32 v2, v2, 23, v6
	v_or3_b32 v2, v4, v2, v3
.LBB2_13924:
	s_or_b64 exec, exec, s[6:7]
	s_movk_i32 s4, 0x7f
	v_cmp_gt_i16_sdwa s[6:7], v5, s4 src0_sel:BYTE_0 src1_sel:DWORD
	s_mov_b64 s[4:5], 0
                                        ; implicit-def: $sgpr10
	s_and_saveexec_b64 s[8:9], s[6:7]
	s_xor_b64 s[6:7], exec, s[8:9]
	s_cbranch_execz .LBB2_13925
; %bb.49765:
	s_getpc_b64 s[14:15]
.Lpost_getpc28466:
	s_add_u32 s14, s14, (.LBB2_28261-.Lpost_getpc28466)&4294967295
	s_addc_u32 s15, s15, (.LBB2_28261-.Lpost_getpc28466)>>32
	s_setpc_b64 s[14:15]
.LBB2_13925:
	s_or_saveexec_b64 s[6:7], s[6:7]
	v_mov_b32_e32 v3, s10
	s_xor_b64 exec, exec, s[6:7]
	s_cbranch_execz .LBB2_13926
; %bb.49767:
	s_getpc_b64 s[14:15]
.Lpost_getpc28467:
	s_add_u32 s14, s14, (.LBB2_28264-.Lpost_getpc28467)&4294967295
	s_addc_u32 s15, s15, (.LBB2_28264-.Lpost_getpc28467)>>32
	s_setpc_b64 s[14:15]
.LBB2_13926:
	s_or_b64 exec, exec, s[6:7]
	s_and_saveexec_b64 s[6:7], s[4:5]
	s_cbranch_execz .LBB2_13928
.LBB2_13927:
	v_mov_b32_e32 v3, 8
	v_and_b32_e32 v4, 7, v5
	v_lshrrev_b32_sdwa v3, v3, v5 dst_sel:BYTE_1 dst_unused:UNUSED_PAD src0_sel:DWORD src1_sel:DWORD
	v_ffbh_u32_e32 v6, v4
	v_or_b32_sdwa v3, v5, v3 dst_sel:DWORD dst_unused:UNUSED_PAD src0_sel:BYTE_0 src1_sel:DWORD
	v_min_u32_e32 v6, 32, v6
	v_lshrrev_b16_e32 v3, 3, v3
	v_subrev_u32_e32 v7, 28, v6
	v_and_b32_e32 v3, 15, v3
	v_lshlrev_b32_e32 v7, v7, v5
	v_sub_u32_e32 v6, 29, v6
	v_and_b32_e32 v7, 7, v7
	v_cmp_eq_u16_e32 vcc, 0, v3
	v_cndmask_b32_e32 v4, v4, v7, vcc
	v_cndmask_b32_e32 v3, v3, v6, vcc
	v_lshlrev_b32_e32 v6, 24, v5
	v_mov_b32_e32 v7, 0x3b800000
	v_lshlrev_b32_e32 v4, 20, v4
	v_and_b32_e32 v6, 0x80000000, v6
	v_lshl_add_u32 v3, v3, 23, v7
	v_or3_b32 v3, v6, v3, v4
.LBB2_13928:
	s_or_b64 exec, exec, s[6:7]
	s_nop 0
	v_mfma_f32_16x16x4f32 a[0:3], v2, v3, a[0:3]
	v_lshrrev_b32_e32 v3, 8, v9
	s_movk_i32 s4, 0x7f
	v_cmp_gt_i16_sdwa s[6:7], v3, s4 src0_sel:BYTE_0 src1_sel:DWORD
	s_mov_b64 s[4:5], 0
                                        ; implicit-def: $sgpr10
	s_and_saveexec_b64 s[8:9], s[6:7]
	s_xor_b64 s[6:7], exec, s[8:9]
	s_cbranch_execz .LBB2_13929
; %bb.49769:
	s_getpc_b64 s[14:15]
.Lpost_getpc28468:
	s_add_u32 s14, s14, (.LBB2_28265-.Lpost_getpc28468)&4294967295
	s_addc_u32 s15, s15, (.LBB2_28265-.Lpost_getpc28468)>>32
	s_setpc_b64 s[14:15]
.LBB2_13929:
	s_or_saveexec_b64 s[6:7], s[6:7]
	v_mov_b32_e32 v2, s10
	s_xor_b64 exec, exec, s[6:7]
	s_cbranch_execz .LBB2_13930
; %bb.49771:
	s_getpc_b64 s[14:15]
.Lpost_getpc28469:
	s_add_u32 s14, s14, (.LBB2_28268-.Lpost_getpc28469)&4294967295
	s_addc_u32 s15, s15, (.LBB2_28268-.Lpost_getpc28469)>>32
	s_setpc_b64 s[14:15]
.LBB2_13930:
	s_or_b64 exec, exec, s[6:7]
	s_and_saveexec_b64 s[6:7], s[4:5]
	s_cbranch_execz .LBB2_13932
.LBB2_13931:
	v_bfe_u32 v2, v9, 8, 3
	v_ffbh_u32_e32 v6, v2
	v_min_u32_e32 v6, 32, v6
	v_lshrrev_b16_e32 v4, 3, v3
	v_subrev_u32_e32 v7, 28, v6
	v_and_b32_e32 v4, 15, v4
	v_lshlrev_b32_e32 v3, v7, v3
	v_sub_u32_e32 v6, 29, v6
	v_and_b32_e32 v3, 7, v3
	v_cmp_eq_u16_e32 vcc, 0, v4
	v_cndmask_b32_e32 v2, v2, v3, vcc
	v_cndmask_b32_e32 v3, v4, v6, vcc
	v_lshlrev_b32_e32 v4, 16, v9
	v_mov_b32_e32 v6, 0x3b800000
	v_lshlrev_b32_e32 v2, 20, v2
	v_and_b32_e32 v4, 0x80000000, v4
	v_lshl_add_u32 v3, v3, 23, v6
	v_or3_b32 v2, v4, v3, v2
.LBB2_13932:
	s_or_b64 exec, exec, s[6:7]
	v_lshrrev_b32_e32 v3, 8, v5
	s_movk_i32 s4, 0x7f
	v_cmp_gt_i16_sdwa s[6:7], v3, s4 src0_sel:BYTE_0 src1_sel:DWORD
	s_mov_b64 s[4:5], 0
                                        ; implicit-def: $sgpr10
	s_and_saveexec_b64 s[8:9], s[6:7]
	s_xor_b64 s[6:7], exec, s[8:9]
	s_cbranch_execz .LBB2_13933
; %bb.49773:
	s_getpc_b64 s[14:15]
.Lpost_getpc28470:
	s_add_u32 s14, s14, (.LBB2_28269-.Lpost_getpc28470)&4294967295
	s_addc_u32 s15, s15, (.LBB2_28269-.Lpost_getpc28470)>>32
	s_setpc_b64 s[14:15]
.LBB2_13933:
	s_or_saveexec_b64 s[6:7], s[6:7]
	v_mov_b32_e32 v4, s10
	s_xor_b64 exec, exec, s[6:7]
	s_cbranch_execz .LBB2_13934
; %bb.49775:
	s_getpc_b64 s[14:15]
.Lpost_getpc28471:
	s_add_u32 s14, s14, (.LBB2_28272-.Lpost_getpc28471)&4294967295
	s_addc_u32 s15, s15, (.LBB2_28272-.Lpost_getpc28471)>>32
	s_setpc_b64 s[14:15]
.LBB2_13934:
	s_or_b64 exec, exec, s[6:7]
	s_and_saveexec_b64 s[6:7], s[4:5]
	s_cbranch_execz .LBB2_13936
.LBB2_13935:
	v_bfe_u32 v4, v5, 8, 3
	v_ffbh_u32_e32 v7, v4
	v_min_u32_e32 v7, 32, v7
	v_lshrrev_b16_e32 v6, 3, v3
	v_subrev_u32_e32 v8, 28, v7
	v_and_b32_e32 v6, 15, v6
	v_lshlrev_b32_e32 v3, v8, v3
	v_sub_u32_e32 v7, 29, v7
	v_and_b32_e32 v3, 7, v3
	v_cmp_eq_u16_e32 vcc, 0, v6
	v_cndmask_b32_e32 v3, v4, v3, vcc
	v_cndmask_b32_e32 v4, v6, v7, vcc
	v_lshlrev_b32_e32 v6, 16, v5
	v_mov_b32_e32 v7, 0x3b800000
	v_lshlrev_b32_e32 v3, 20, v3
	v_and_b32_e32 v6, 0x80000000, v6
	v_lshl_add_u32 v4, v4, 23, v7
	v_or3_b32 v4, v6, v4, v3
.LBB2_13936:
	s_or_b64 exec, exec, s[6:7]
	s_nop 0
	v_mfma_f32_16x16x4f32 a[0:3], v2, v4, a[0:3]
	s_movk_i32 s4, 0xff
	v_and_b32_sdwa v3, v9, s4 dst_sel:DWORD dst_unused:UNUSED_PAD src0_sel:WORD_1 src1_sel:DWORD
	s_movk_i32 s4, 0x7f
	v_cmp_lt_i16_e32 vcc, s4, v3
	s_mov_b64 s[4:5], 0
                                        ; implicit-def: $sgpr10
	s_and_saveexec_b64 s[6:7], vcc
	s_xor_b64 s[6:7], exec, s[6:7]
	s_cbranch_execz .LBB2_13937
; %bb.49777:
	s_getpc_b64 s[14:15]
.Lpost_getpc28472:
	s_add_u32 s14, s14, (.LBB2_28273-.Lpost_getpc28472)&4294967295
	s_addc_u32 s15, s15, (.LBB2_28273-.Lpost_getpc28472)>>32
	s_setpc_b64 s[14:15]
.LBB2_13937:
	s_or_saveexec_b64 s[6:7], s[6:7]
	v_mov_b32_e32 v2, s10
	s_xor_b64 exec, exec, s[6:7]
	s_cbranch_execz .LBB2_13938
; %bb.49779:
	s_getpc_b64 s[14:15]
.Lpost_getpc28473:
	s_add_u32 s14, s14, (.LBB2_28276-.Lpost_getpc28473)&4294967295
	s_addc_u32 s15, s15, (.LBB2_28276-.Lpost_getpc28473)>>32
	s_setpc_b64 s[14:15]
.LBB2_13938:
	s_or_b64 exec, exec, s[6:7]
	s_and_saveexec_b64 s[6:7], s[4:5]
	s_cbranch_execz .LBB2_13940
.LBB2_13939:
	v_bfe_u32 v2, v9, 16, 3
	v_ffbh_u32_e32 v6, v2
	v_min_u32_e32 v6, 32, v6
	v_lshrrev_b32_e32 v3, 19, v9
	v_subrev_u32_e32 v7, 28, v6
	v_and_b32_e32 v3, 15, v3
	v_lshlrev_b32_sdwa v7, v7, v9 dst_sel:DWORD dst_unused:UNUSED_PAD src0_sel:DWORD src1_sel:WORD_1
	v_bfe_u32 v4, v9, 19, 4
	v_sub_u32_e32 v6, 29, v6
	v_and_b32_e32 v7, 7, v7
	v_cmp_eq_u16_e32 vcc, 0, v3
	v_cndmask_b32_e32 v2, v2, v7, vcc
	v_cndmask_b32_e32 v3, v4, v6, vcc
	v_lshlrev_b32_e32 v4, 8, v9
	v_mov_b32_e32 v6, 0x3b800000
	v_lshlrev_b32_e32 v2, 20, v2
	v_and_b32_e32 v4, 0x80000000, v4
	v_lshl_add_u32 v3, v3, 23, v6
	v_or3_b32 v2, v4, v3, v2
.LBB2_13940:
	s_or_b64 exec, exec, s[6:7]
	s_movk_i32 s4, 0xff
	v_and_b32_sdwa v3, v5, s4 dst_sel:DWORD dst_unused:UNUSED_PAD src0_sel:WORD_1 src1_sel:DWORD
	s_movk_i32 s4, 0x7f
	v_cmp_lt_i16_e32 vcc, s4, v3
	s_mov_b64 s[4:5], 0
                                        ; implicit-def: $sgpr10
	s_and_saveexec_b64 s[6:7], vcc
	s_xor_b64 s[6:7], exec, s[6:7]
	s_cbranch_execz .LBB2_13941
; %bb.49781:
	s_getpc_b64 s[14:15]
.Lpost_getpc28474:
	s_add_u32 s14, s14, (.LBB2_28277-.Lpost_getpc28474)&4294967295
	s_addc_u32 s15, s15, (.LBB2_28277-.Lpost_getpc28474)>>32
	s_setpc_b64 s[14:15]
.LBB2_13941:
	s_or_saveexec_b64 s[6:7], s[6:7]
	v_mov_b32_e32 v4, s10
	s_xor_b64 exec, exec, s[6:7]
	s_cbranch_execz .LBB2_13942
; %bb.49783:
	s_getpc_b64 s[14:15]
.Lpost_getpc28475:
	s_add_u32 s14, s14, (.LBB2_28280-.Lpost_getpc28475)&4294967295
	s_addc_u32 s15, s15, (.LBB2_28280-.Lpost_getpc28475)>>32
	s_setpc_b64 s[14:15]
.LBB2_13942:
	s_or_b64 exec, exec, s[6:7]
	s_and_saveexec_b64 s[6:7], s[4:5]
	s_cbranch_execz .LBB2_13944
.LBB2_13943:
	v_bfe_u32 v3, v5, 16, 3
	v_ffbh_u32_e32 v7, v3
	v_min_u32_e32 v7, 32, v7
	v_lshrrev_b32_e32 v4, 19, v5
	v_subrev_u32_e32 v8, 28, v7
	v_and_b32_e32 v4, 15, v4
	v_lshlrev_b32_sdwa v8, v8, v5 dst_sel:DWORD dst_unused:UNUSED_PAD src0_sel:DWORD src1_sel:WORD_1
	v_bfe_u32 v6, v5, 19, 4
	v_sub_u32_e32 v7, 29, v7
	v_and_b32_e32 v8, 7, v8
	v_cmp_eq_u16_e32 vcc, 0, v4
	v_cndmask_b32_e32 v3, v3, v8, vcc
	v_cndmask_b32_e32 v4, v6, v7, vcc
	v_lshlrev_b32_e32 v6, 8, v5
	v_mov_b32_e32 v7, 0x3b800000
	v_lshlrev_b32_e32 v3, 20, v3
	v_and_b32_e32 v6, 0x80000000, v6
	v_lshl_add_u32 v4, v4, 23, v7
	v_or3_b32 v4, v6, v4, v3
.LBB2_13944:
	s_or_b64 exec, exec, s[6:7]
	s_nop 0
	v_mfma_f32_16x16x4f32 a[0:3], v2, v4, a[0:3]
	s_movk_i32 s4, 0x7f
	v_cmp_gt_i16_sdwa s[6:7], v9, s4 src0_sel:BYTE_3 src1_sel:DWORD
	s_mov_b64 s[4:5], 0
                                        ; implicit-def: $sgpr10
	s_and_saveexec_b64 s[8:9], s[6:7]
	s_xor_b64 s[6:7], exec, s[8:9]
	s_cbranch_execz .LBB2_13945
; %bb.49785:
	s_getpc_b64 s[14:15]
.Lpost_getpc28476:
	s_add_u32 s14, s14, (.LBB2_28281-.Lpost_getpc28476)&4294967295
	s_addc_u32 s15, s15, (.LBB2_28281-.Lpost_getpc28476)>>32
	s_setpc_b64 s[14:15]
.LBB2_13945:
	s_or_saveexec_b64 s[6:7], s[6:7]
	v_mov_b32_e32 v2, s10
	s_xor_b64 exec, exec, s[6:7]
	s_cbranch_execz .LBB2_13946
; %bb.49787:
	s_getpc_b64 s[14:15]
.Lpost_getpc28477:
	s_add_u32 s14, s14, (.LBB2_28284-.Lpost_getpc28477)&4294967295
	s_addc_u32 s15, s15, (.LBB2_28284-.Lpost_getpc28477)>>32
	s_setpc_b64 s[14:15]
.LBB2_13946:
	s_or_b64 exec, exec, s[6:7]
	s_and_saveexec_b64 s[6:7], s[4:5]
	s_cbranch_execz .LBB2_13948
.LBB2_13947:
	v_bfe_u32 v2, v9, 24, 3
	v_ffbh_u32_e32 v7, v2
	v_min_u32_e32 v7, 32, v7
	v_lshrrev_b32_e32 v4, 27, v9
	v_subrev_u32_e32 v8, 28, v7
	v_and_b32_e32 v4, 15, v4
	v_lshlrev_b32_sdwa v8, v8, v9 dst_sel:DWORD dst_unused:UNUSED_PAD src0_sel:DWORD src1_sel:BYTE_3
	v_bfe_u32 v6, v9, 27, 4
	v_sub_u32_e32 v7, 29, v7
	v_and_b32_e32 v8, 7, v8
	v_cmp_eq_u16_e32 vcc, 0, v4
	v_cndmask_b32_e32 v2, v2, v8, vcc
	v_cndmask_b32_e32 v4, v6, v7, vcc
	v_mov_b32_e32 v6, 0x3b800000
	v_and_b32_e32 v3, 0x80000000, v9
	v_lshlrev_b32_e32 v2, 20, v2
	v_lshl_add_u32 v4, v4, 23, v6
	v_or3_b32 v2, v3, v4, v2
.LBB2_13948:
	s_or_b64 exec, exec, s[6:7]
	s_movk_i32 s4, 0x7f
	v_cmp_gt_i16_sdwa s[6:7], v5, s4 src0_sel:BYTE_3 src1_sel:DWORD
	s_mov_b64 s[4:5], 0
                                        ; implicit-def: $sgpr10
	s_and_saveexec_b64 s[8:9], s[6:7]
	s_xor_b64 s[6:7], exec, s[8:9]
	s_cbranch_execz .LBB2_13949
; %bb.49789:
	s_getpc_b64 s[14:15]
.Lpost_getpc28478:
	s_add_u32 s14, s14, (.LBB2_28285-.Lpost_getpc28478)&4294967295
	s_addc_u32 s15, s15, (.LBB2_28285-.Lpost_getpc28478)>>32
	s_setpc_b64 s[14:15]
.LBB2_13949:
	s_or_saveexec_b64 s[6:7], s[6:7]
	v_mov_b32_e32 v3, s10
	s_xor_b64 exec, exec, s[6:7]
	s_cbranch_execz .LBB2_13950
; %bb.49791:
	s_getpc_b64 s[14:15]
.Lpost_getpc28479:
	s_add_u32 s14, s14, (.LBB2_28288-.Lpost_getpc28479)&4294967295
	s_addc_u32 s15, s15, (.LBB2_28288-.Lpost_getpc28479)>>32
	s_setpc_b64 s[14:15]
.LBB2_13950:
	s_or_b64 exec, exec, s[6:7]
	s_and_saveexec_b64 s[6:7], s[4:5]
	s_cbranch_execz .LBB2_13952
.LBB2_13951:
	v_bfe_u32 v3, v5, 24, 3
	v_ffbh_u32_e32 v8, v3
	v_min_u32_e32 v8, 32, v8
	v_lshrrev_b32_e32 v6, 27, v5
	v_subrev_u32_e32 v9, 28, v8
	v_and_b32_e32 v4, 0x80000000, v5
	v_and_b32_e32 v6, 15, v6
	v_bfe_u32 v7, v5, 27, 4
	v_lshlrev_b32_sdwa v5, v9, v5 dst_sel:DWORD dst_unused:UNUSED_PAD src0_sel:DWORD src1_sel:BYTE_3
	v_sub_u32_e32 v8, 29, v8
	v_and_b32_e32 v5, 7, v5
	v_cmp_eq_u16_e32 vcc, 0, v6
	v_cndmask_b32_e32 v3, v3, v5, vcc
	v_cndmask_b32_e32 v5, v7, v8, vcc
	v_mov_b32_e32 v6, 0x3b800000
	v_lshlrev_b32_e32 v3, 20, v3
	v_lshl_add_u32 v5, v5, 23, v6
	v_or3_b32 v3, v4, v5, v3
.LBB2_13952:
	s_or_b64 exec, exec, s[6:7]
	s_nop 0
	v_mfma_f32_16x16x4f32 a[0:3], v2, v3, a[0:3]
	s_movk_i32 s4, 0x7f
                                        ; implicit-def: $sgpr10
	s_nop 7
	s_nop 1
	flat_store_dwordx4 v[10:11], a[0:3] offset:832
	flat_load_dwordx4 v[12:15], v[0:1]
	s_nop 0
	flat_load_dwordx2 v[10:11], v[0:1] offset:16
	s_waitcnt vmcnt(0) lgkmcnt(0)
	flat_load_dwordx4 v[6:9], v[12:13] offset:208
	flat_load_dwordx4 v[2:5], v[14:15] offset:208
	s_waitcnt vmcnt(0) lgkmcnt(0)
	v_cmp_gt_i16_sdwa s[6:7], v6, s4 src0_sel:BYTE_0 src1_sel:DWORD
	s_mov_b64 s[4:5], 0
	s_and_saveexec_b64 s[8:9], s[6:7]
	s_xor_b64 s[6:7], exec, s[8:9]
	s_cbranch_execz .LBB2_13953
; %bb.49793:
	s_getpc_b64 s[14:15]
.Lpost_getpc28480:
	s_add_u32 s14, s14, (.LBB2_28289-.Lpost_getpc28480)&4294967295
	s_addc_u32 s15, s15, (.LBB2_28289-.Lpost_getpc28480)>>32
	s_setpc_b64 s[14:15]
.LBB2_13953:
	s_or_saveexec_b64 s[6:7], s[6:7]
	v_mov_b32_e32 v12, s10
	s_xor_b64 exec, exec, s[6:7]
	s_cbranch_execz .LBB2_13954
; %bb.49795:
	s_getpc_b64 s[14:15]
.Lpost_getpc28481:
	s_add_u32 s14, s14, (.LBB2_28292-.Lpost_getpc28481)&4294967295
	s_addc_u32 s15, s15, (.LBB2_28292-.Lpost_getpc28481)>>32
	s_setpc_b64 s[14:15]
.LBB2_13954:
	s_or_b64 exec, exec, s[6:7]
	s_and_saveexec_b64 s[6:7], s[4:5]
	s_cbranch_execz .LBB2_13956
.LBB2_13955:
	v_and_b32_e32 v12, 7, v6
	v_ffbh_u32_e32 v14, v12
	v_min_u32_e32 v14, 32, v14
	v_lshrrev_b16_e32 v13, 3, v6
	v_subrev_u32_e32 v15, 28, v14
	v_and_b32_e32 v13, 15, v13
	v_lshlrev_b32_e32 v15, v15, v6
	v_sub_u32_e32 v14, 29, v14
	v_and_b32_e32 v15, 7, v15
	v_cmp_eq_u16_e32 vcc, 0, v13
	v_cndmask_b32_e32 v12, v12, v15, vcc
	v_cndmask_b32_e32 v13, v13, v14, vcc
	v_lshlrev_b32_e32 v14, 24, v6
	v_mov_b32_e32 v15, 0x3b800000
	v_lshlrev_b32_e32 v12, 20, v12
	v_and_b32_e32 v14, 0x80000000, v14
	v_lshl_add_u32 v13, v13, 23, v15
	v_or3_b32 v12, v14, v13, v12
.LBB2_13956:
	s_or_b64 exec, exec, s[6:7]
	s_movk_i32 s4, 0x7f
	v_cmp_gt_i16_sdwa s[6:7], v2, s4 src0_sel:BYTE_0 src1_sel:DWORD
	s_mov_b64 s[4:5], 0
                                        ; implicit-def: $sgpr10
	s_and_saveexec_b64 s[8:9], s[6:7]
	s_xor_b64 s[6:7], exec, s[8:9]
	s_cbranch_execz .LBB2_13957
; %bb.49797:
	s_getpc_b64 s[14:15]
.Lpost_getpc28482:
	s_add_u32 s14, s14, (.LBB2_28293-.Lpost_getpc28482)&4294967295
	s_addc_u32 s15, s15, (.LBB2_28293-.Lpost_getpc28482)>>32
	s_setpc_b64 s[14:15]
.LBB2_13957:
	s_or_saveexec_b64 s[6:7], s[6:7]
	v_mov_b32_e32 v13, s10
	s_xor_b64 exec, exec, s[6:7]
	s_cbranch_execz .LBB2_13958
; %bb.49799:
	s_getpc_b64 s[14:15]
.Lpost_getpc28483:
	s_add_u32 s14, s14, (.LBB2_28296-.Lpost_getpc28483)&4294967295
	s_addc_u32 s15, s15, (.LBB2_28296-.Lpost_getpc28483)>>32
	s_setpc_b64 s[14:15]
.LBB2_13958:
	s_or_b64 exec, exec, s[6:7]
	s_and_saveexec_b64 s[6:7], s[4:5]
	s_cbranch_execz .LBB2_13960
.LBB2_13959:
	v_and_b32_e32 v13, 7, v2
	v_ffbh_u32_e32 v15, v13
	v_min_u32_e32 v15, 32, v15
	v_lshrrev_b16_e32 v14, 3, v2
	v_subrev_u32_e32 v16, 28, v15
	v_and_b32_e32 v14, 15, v14
	v_lshlrev_b32_e32 v16, v16, v2
	v_sub_u32_e32 v15, 29, v15
	v_and_b32_e32 v16, 7, v16
	v_cmp_eq_u16_e32 vcc, 0, v14
	v_cndmask_b32_e32 v13, v13, v16, vcc
	v_cndmask_b32_e32 v14, v14, v15, vcc
	v_lshlrev_b32_e32 v15, 24, v2
	v_mov_b32_e32 v16, 0x3b800000
	v_lshlrev_b32_e32 v13, 20, v13
	v_and_b32_e32 v15, 0x80000000, v15
	v_lshl_add_u32 v14, v14, 23, v16
	v_or3_b32 v13, v15, v14, v13
.LBB2_13960:
	s_or_b64 exec, exec, s[6:7]
	flat_load_dwordx4 a[0:3], v[10:11] offset:848
	s_movk_i32 s4, 0x7f
                                        ; implicit-def: $sgpr10
	s_waitcnt vmcnt(0) lgkmcnt(0)
	v_mfma_f32_16x16x4f32 a[0:3], v12, v13, a[0:3]
	v_lshrrev_b32_e32 v13, 8, v6
	v_cmp_gt_i16_sdwa s[6:7], v13, s4 src0_sel:BYTE_0 src1_sel:DWORD
	s_mov_b64 s[4:5], 0
	s_and_saveexec_b64 s[8:9], s[6:7]
	s_xor_b64 s[6:7], exec, s[8:9]
	s_cbranch_execz .LBB2_13961
; %bb.49801:
	s_getpc_b64 s[14:15]
.Lpost_getpc28484:
	s_add_u32 s14, s14, (.LBB2_28297-.Lpost_getpc28484)&4294967295
	s_addc_u32 s15, s15, (.LBB2_28297-.Lpost_getpc28484)>>32
	s_setpc_b64 s[14:15]
.LBB2_13961:
	s_or_saveexec_b64 s[6:7], s[6:7]
	v_mov_b32_e32 v12, s10
	s_xor_b64 exec, exec, s[6:7]
	s_cbranch_execz .LBB2_13962
; %bb.49803:
	s_getpc_b64 s[14:15]
.Lpost_getpc28485:
	s_add_u32 s14, s14, (.LBB2_28300-.Lpost_getpc28485)&4294967295
	s_addc_u32 s15, s15, (.LBB2_28300-.Lpost_getpc28485)>>32
	s_setpc_b64 s[14:15]
.LBB2_13962:
	s_or_b64 exec, exec, s[6:7]
	s_and_saveexec_b64 s[6:7], s[4:5]
	s_cbranch_execz .LBB2_13964
.LBB2_13963:
	v_bfe_u32 v12, v6, 8, 3
	v_ffbh_u32_e32 v15, v12
	v_min_u32_e32 v15, 32, v15
	v_lshrrev_b16_e32 v14, 3, v13
	v_subrev_u32_e32 v16, 28, v15
	v_and_b32_e32 v14, 15, v14
	v_lshlrev_b32_e32 v13, v16, v13
	v_sub_u32_e32 v15, 29, v15
	v_and_b32_e32 v13, 7, v13
	v_cmp_eq_u16_e32 vcc, 0, v14
	v_cndmask_b32_e32 v12, v12, v13, vcc
	v_cndmask_b32_e32 v13, v14, v15, vcc
	v_lshlrev_b32_e32 v14, 16, v6
	v_mov_b32_e32 v15, 0x3b800000
	v_lshlrev_b32_e32 v12, 20, v12
	v_and_b32_e32 v14, 0x80000000, v14
	v_lshl_add_u32 v13, v13, 23, v15
	v_or3_b32 v12, v14, v13, v12
.LBB2_13964:
	s_or_b64 exec, exec, s[6:7]
	v_lshrrev_b32_e32 v13, 8, v2
	s_movk_i32 s4, 0x7f
	v_cmp_gt_i16_sdwa s[6:7], v13, s4 src0_sel:BYTE_0 src1_sel:DWORD
	s_mov_b64 s[4:5], 0
                                        ; implicit-def: $sgpr10
	s_and_saveexec_b64 s[8:9], s[6:7]
	s_xor_b64 s[6:7], exec, s[8:9]
	s_cbranch_execz .LBB2_13965
; %bb.49805:
	s_getpc_b64 s[14:15]
.Lpost_getpc28486:
	s_add_u32 s14, s14, (.LBB2_28301-.Lpost_getpc28486)&4294967295
	s_addc_u32 s15, s15, (.LBB2_28301-.Lpost_getpc28486)>>32
	s_setpc_b64 s[14:15]
.LBB2_13965:
	s_or_saveexec_b64 s[6:7], s[6:7]
	v_mov_b32_e32 v14, s10
	s_xor_b64 exec, exec, s[6:7]
	s_cbranch_execz .LBB2_13966
; %bb.49807:
	s_getpc_b64 s[14:15]
.Lpost_getpc28487:
	s_add_u32 s14, s14, (.LBB2_28304-.Lpost_getpc28487)&4294967295
	s_addc_u32 s15, s15, (.LBB2_28304-.Lpost_getpc28487)>>32
	s_setpc_b64 s[14:15]
.LBB2_13966:
	s_or_b64 exec, exec, s[6:7]
	s_and_saveexec_b64 s[6:7], s[4:5]
	s_cbranch_execz .LBB2_13968
.LBB2_13967:
	v_bfe_u32 v14, v2, 8, 3
	v_ffbh_u32_e32 v16, v14
	v_min_u32_e32 v16, 32, v16
	v_lshrrev_b16_e32 v15, 3, v13
	v_subrev_u32_e32 v17, 28, v16
	v_and_b32_e32 v15, 15, v15
	v_lshlrev_b32_e32 v13, v17, v13
	v_sub_u32_e32 v16, 29, v16
	v_and_b32_e32 v13, 7, v13
	v_cmp_eq_u16_e32 vcc, 0, v15
	v_cndmask_b32_e32 v13, v14, v13, vcc
	v_cndmask_b32_e32 v14, v15, v16, vcc
	v_lshlrev_b32_e32 v15, 16, v2
	v_mov_b32_e32 v16, 0x3b800000
	v_lshlrev_b32_e32 v13, 20, v13
	v_and_b32_e32 v15, 0x80000000, v15
	v_lshl_add_u32 v14, v14, 23, v16
	v_or3_b32 v14, v15, v14, v13
.LBB2_13968:
	s_or_b64 exec, exec, s[6:7]
	s_nop 0
	v_mfma_f32_16x16x4f32 a[0:3], v12, v14, a[0:3]
	s_movk_i32 s4, 0xff
	v_and_b32_sdwa v13, v6, s4 dst_sel:DWORD dst_unused:UNUSED_PAD src0_sel:WORD_1 src1_sel:DWORD
	s_movk_i32 s4, 0x7f
	v_cmp_lt_i16_e32 vcc, s4, v13
	s_mov_b64 s[4:5], 0
                                        ; implicit-def: $sgpr10
	s_and_saveexec_b64 s[6:7], vcc
	s_xor_b64 s[6:7], exec, s[6:7]
	s_cbranch_execz .LBB2_13969
; %bb.49809:
	s_getpc_b64 s[14:15]
.Lpost_getpc28488:
	s_add_u32 s14, s14, (.LBB2_28305-.Lpost_getpc28488)&4294967295
	s_addc_u32 s15, s15, (.LBB2_28305-.Lpost_getpc28488)>>32
	s_setpc_b64 s[14:15]
.LBB2_13969:
	s_or_saveexec_b64 s[6:7], s[6:7]
	v_mov_b32_e32 v12, s10
	s_xor_b64 exec, exec, s[6:7]
	s_cbranch_execz .LBB2_13970
; %bb.49811:
	s_getpc_b64 s[14:15]
.Lpost_getpc28489:
	s_add_u32 s14, s14, (.LBB2_28308-.Lpost_getpc28489)&4294967295
	s_addc_u32 s15, s15, (.LBB2_28308-.Lpost_getpc28489)>>32
	s_setpc_b64 s[14:15]
.LBB2_13970:
	s_or_b64 exec, exec, s[6:7]
	s_and_saveexec_b64 s[6:7], s[4:5]
	s_cbranch_execz .LBB2_13972
.LBB2_13971:
	v_bfe_u32 v12, v6, 16, 3
	v_ffbh_u32_e32 v15, v12
	v_min_u32_e32 v15, 32, v15
	v_lshrrev_b32_e32 v13, 19, v6
	v_subrev_u32_e32 v16, 28, v15
	v_and_b32_e32 v13, 15, v13
	v_lshlrev_b32_sdwa v16, v16, v6 dst_sel:DWORD dst_unused:UNUSED_PAD src0_sel:DWORD src1_sel:WORD_1
	v_bfe_u32 v14, v6, 19, 4
	v_sub_u32_e32 v15, 29, v15
	v_and_b32_e32 v16, 7, v16
	v_cmp_eq_u16_e32 vcc, 0, v13
	v_cndmask_b32_e32 v12, v12, v16, vcc
	v_cndmask_b32_e32 v13, v14, v15, vcc
	v_lshlrev_b32_e32 v14, 8, v6
	v_mov_b32_e32 v15, 0x3b800000
	v_lshlrev_b32_e32 v12, 20, v12
	v_and_b32_e32 v14, 0x80000000, v14
	v_lshl_add_u32 v13, v13, 23, v15
	v_or3_b32 v12, v14, v13, v12
.LBB2_13972:
	s_or_b64 exec, exec, s[6:7]
	s_movk_i32 s4, 0xff
	v_and_b32_sdwa v13, v2, s4 dst_sel:DWORD dst_unused:UNUSED_PAD src0_sel:WORD_1 src1_sel:DWORD
	s_movk_i32 s4, 0x7f
	v_cmp_lt_i16_e32 vcc, s4, v13
	s_mov_b64 s[4:5], 0
                                        ; implicit-def: $sgpr10
	s_and_saveexec_b64 s[6:7], vcc
	s_xor_b64 s[6:7], exec, s[6:7]
	s_cbranch_execz .LBB2_13973
; %bb.49813:
	s_getpc_b64 s[14:15]
.Lpost_getpc28490:
	s_add_u32 s14, s14, (.LBB2_28309-.Lpost_getpc28490)&4294967295
	s_addc_u32 s15, s15, (.LBB2_28309-.Lpost_getpc28490)>>32
	s_setpc_b64 s[14:15]
.LBB2_13973:
	s_or_saveexec_b64 s[6:7], s[6:7]
	v_mov_b32_e32 v14, s10
	s_xor_b64 exec, exec, s[6:7]
	s_cbranch_execz .LBB2_13974
; %bb.49815:
	s_getpc_b64 s[14:15]
.Lpost_getpc28491:
	s_add_u32 s14, s14, (.LBB2_28312-.Lpost_getpc28491)&4294967295
	s_addc_u32 s15, s15, (.LBB2_28312-.Lpost_getpc28491)>>32
	s_setpc_b64 s[14:15]
.LBB2_13974:
	s_or_b64 exec, exec, s[6:7]
	s_and_saveexec_b64 s[6:7], s[4:5]
	s_cbranch_execz .LBB2_13976
.LBB2_13975:
	v_bfe_u32 v13, v2, 16, 3
	v_ffbh_u32_e32 v16, v13
	v_min_u32_e32 v16, 32, v16
	v_lshrrev_b32_e32 v14, 19, v2
	v_subrev_u32_e32 v17, 28, v16
	v_and_b32_e32 v14, 15, v14
	v_lshlrev_b32_sdwa v17, v17, v2 dst_sel:DWORD dst_unused:UNUSED_PAD src0_sel:DWORD src1_sel:WORD_1
	v_bfe_u32 v15, v2, 19, 4
	v_sub_u32_e32 v16, 29, v16
	v_and_b32_e32 v17, 7, v17
	v_cmp_eq_u16_e32 vcc, 0, v14
	v_cndmask_b32_e32 v13, v13, v17, vcc
	v_cndmask_b32_e32 v14, v15, v16, vcc
	v_lshlrev_b32_e32 v15, 8, v2
	v_mov_b32_e32 v16, 0x3b800000
	v_lshlrev_b32_e32 v13, 20, v13
	v_and_b32_e32 v15, 0x80000000, v15
	v_lshl_add_u32 v14, v14, 23, v16
	v_or3_b32 v14, v15, v14, v13
.LBB2_13976:
	s_or_b64 exec, exec, s[6:7]
	s_nop 0
	v_mfma_f32_16x16x4f32 a[0:3], v12, v14, a[0:3]
	s_movk_i32 s4, 0x7f
	v_cmp_gt_i16_sdwa s[6:7], v6, s4 src0_sel:BYTE_3 src1_sel:DWORD
	s_mov_b64 s[4:5], 0
                                        ; implicit-def: $sgpr10
	s_and_saveexec_b64 s[8:9], s[6:7]
	s_xor_b64 s[6:7], exec, s[8:9]
	s_cbranch_execz .LBB2_13977
; %bb.49817:
	s_getpc_b64 s[14:15]
.Lpost_getpc28492:
	s_add_u32 s14, s14, (.LBB2_28313-.Lpost_getpc28492)&4294967295
	s_addc_u32 s15, s15, (.LBB2_28313-.Lpost_getpc28492)>>32
	s_setpc_b64 s[14:15]
.LBB2_13977:
	s_or_saveexec_b64 s[6:7], s[6:7]
	v_mov_b32_e32 v12, s10
	s_xor_b64 exec, exec, s[6:7]
	s_cbranch_execz .LBB2_13978
; %bb.49819:
	s_getpc_b64 s[14:15]
.Lpost_getpc28493:
	s_add_u32 s14, s14, (.LBB2_28316-.Lpost_getpc28493)&4294967295
	s_addc_u32 s15, s15, (.LBB2_28316-.Lpost_getpc28493)>>32
	s_setpc_b64 s[14:15]
.LBB2_13978:
	s_or_b64 exec, exec, s[6:7]
	s_and_saveexec_b64 s[6:7], s[4:5]
	s_cbranch_execz .LBB2_13980
.LBB2_13979:
	v_bfe_u32 v12, v6, 24, 3
	v_ffbh_u32_e32 v16, v12
	v_min_u32_e32 v16, 32, v16
	v_lshrrev_b32_e32 v14, 27, v6
	v_subrev_u32_e32 v17, 28, v16
	v_and_b32_e32 v13, 0x80000000, v6
	v_and_b32_e32 v14, 15, v14
	v_bfe_u32 v15, v6, 27, 4
	v_lshlrev_b32_sdwa v6, v17, v6 dst_sel:DWORD dst_unused:UNUSED_PAD src0_sel:DWORD src1_sel:BYTE_3
	v_sub_u32_e32 v16, 29, v16
	v_and_b32_e32 v6, 7, v6
	v_cmp_eq_u16_e32 vcc, 0, v14
	v_cndmask_b32_e32 v6, v12, v6, vcc
	v_cndmask_b32_e32 v12, v15, v16, vcc
	v_mov_b32_e32 v14, 0x3b800000
	v_lshlrev_b32_e32 v6, 20, v6
	v_lshl_add_u32 v12, v12, 23, v14
	v_or3_b32 v12, v13, v12, v6
.LBB2_13980:
	s_or_b64 exec, exec, s[6:7]
	s_movk_i32 s4, 0x7f
	v_cmp_gt_i16_sdwa s[6:7], v2, s4 src0_sel:BYTE_3 src1_sel:DWORD
	s_mov_b64 s[4:5], 0
                                        ; implicit-def: $sgpr10
	s_and_saveexec_b64 s[8:9], s[6:7]
	s_xor_b64 s[6:7], exec, s[8:9]
	s_cbranch_execz .LBB2_13981
; %bb.49821:
	s_getpc_b64 s[14:15]
.Lpost_getpc28494:
	s_add_u32 s14, s14, (.LBB2_28317-.Lpost_getpc28494)&4294967295
	s_addc_u32 s15, s15, (.LBB2_28317-.Lpost_getpc28494)>>32
	s_setpc_b64 s[14:15]
.LBB2_13981:
	s_or_saveexec_b64 s[6:7], s[6:7]
	v_mov_b32_e32 v6, s10
	s_xor_b64 exec, exec, s[6:7]
	s_cbranch_execz .LBB2_13982
; %bb.49823:
	s_getpc_b64 s[14:15]
.Lpost_getpc28495:
	s_add_u32 s14, s14, (.LBB2_28320-.Lpost_getpc28495)&4294967295
	s_addc_u32 s15, s15, (.LBB2_28320-.Lpost_getpc28495)>>32
	s_setpc_b64 s[14:15]
.LBB2_13982:
	s_or_b64 exec, exec, s[6:7]
	s_and_saveexec_b64 s[6:7], s[4:5]
	s_cbranch_execz .LBB2_13984
.LBB2_13983:
	v_bfe_u32 v6, v2, 24, 3
	v_ffbh_u32_e32 v16, v6
	v_min_u32_e32 v16, 32, v16
	v_lshrrev_b32_e32 v14, 27, v2
	v_subrev_u32_e32 v17, 28, v16
	v_and_b32_e32 v13, 0x80000000, v2
	v_and_b32_e32 v14, 15, v14
	v_bfe_u32 v15, v2, 27, 4
	v_lshlrev_b32_sdwa v2, v17, v2 dst_sel:DWORD dst_unused:UNUSED_PAD src0_sel:DWORD src1_sel:BYTE_3
	v_sub_u32_e32 v16, 29, v16
	v_and_b32_e32 v2, 7, v2
	v_cmp_eq_u16_e32 vcc, 0, v14
	v_cndmask_b32_e32 v2, v6, v2, vcc
	v_cndmask_b32_e32 v6, v15, v16, vcc
	v_mov_b32_e32 v14, 0x3b800000
	v_lshlrev_b32_e32 v2, 20, v2
	v_lshl_add_u32 v6, v6, 23, v14
	v_or3_b32 v6, v13, v6, v2
.LBB2_13984:
	s_or_b64 exec, exec, s[6:7]
	s_nop 0
	v_mfma_f32_16x16x4f32 a[0:3], v12, v6, a[0:3]
	s_movk_i32 s4, 0x7f
	v_cmp_gt_i16_sdwa s[6:7], v7, s4 src0_sel:BYTE_0 src1_sel:DWORD
	s_mov_b64 s[4:5], 0
                                        ; implicit-def: $sgpr10
	s_and_saveexec_b64 s[8:9], s[6:7]
	s_xor_b64 s[6:7], exec, s[8:9]
	s_cbranch_execz .LBB2_13985
; %bb.49825:
	s_getpc_b64 s[14:15]
.Lpost_getpc28496:
	s_add_u32 s14, s14, (.LBB2_28321-.Lpost_getpc28496)&4294967295
	s_addc_u32 s15, s15, (.LBB2_28321-.Lpost_getpc28496)>>32
	s_setpc_b64 s[14:15]
.LBB2_13985:
	s_or_saveexec_b64 s[6:7], s[6:7]
	v_mov_b32_e32 v2, s10
	s_xor_b64 exec, exec, s[6:7]
	s_cbranch_execz .LBB2_13986
; %bb.49827:
	s_getpc_b64 s[14:15]
.Lpost_getpc28497:
	s_add_u32 s14, s14, (.LBB2_28324-.Lpost_getpc28497)&4294967295
	s_addc_u32 s15, s15, (.LBB2_28324-.Lpost_getpc28497)>>32
	s_setpc_b64 s[14:15]
.LBB2_13986:
	s_or_b64 exec, exec, s[6:7]
	s_and_saveexec_b64 s[6:7], s[4:5]
	s_cbranch_execz .LBB2_13988
.LBB2_13987:
	v_and_b32_e32 v2, 7, v7
	v_ffbh_u32_e32 v12, v2
	v_min_u32_e32 v12, 32, v12
	v_lshrrev_b16_e32 v6, 3, v7
	v_subrev_u32_e32 v13, 28, v12
	v_and_b32_e32 v6, 15, v6
	v_lshlrev_b32_e32 v13, v13, v7
	v_sub_u32_e32 v12, 29, v12
	v_and_b32_e32 v13, 7, v13
	v_cmp_eq_u16_e32 vcc, 0, v6
	v_cndmask_b32_e32 v2, v2, v13, vcc
	v_cndmask_b32_e32 v6, v6, v12, vcc
	v_lshlrev_b32_e32 v12, 24, v7
	v_mov_b32_e32 v13, 0x3b800000
	v_lshlrev_b32_e32 v2, 20, v2
	v_and_b32_e32 v12, 0x80000000, v12
	v_lshl_add_u32 v6, v6, 23, v13
	v_or3_b32 v2, v12, v6, v2
.LBB2_13988:
	s_or_b64 exec, exec, s[6:7]
	s_movk_i32 s4, 0x7f
	v_cmp_gt_i16_sdwa s[6:7], v3, s4 src0_sel:BYTE_0 src1_sel:DWORD
	s_mov_b64 s[4:5], 0
                                        ; implicit-def: $sgpr10
	s_and_saveexec_b64 s[8:9], s[6:7]
	s_xor_b64 s[6:7], exec, s[8:9]
	s_cbranch_execz .LBB2_13989
; %bb.49829:
	s_getpc_b64 s[14:15]
.Lpost_getpc28498:
	s_add_u32 s14, s14, (.LBB2_28325-.Lpost_getpc28498)&4294967295
	s_addc_u32 s15, s15, (.LBB2_28325-.Lpost_getpc28498)>>32
	s_setpc_b64 s[14:15]
.LBB2_13989:
	s_or_saveexec_b64 s[6:7], s[6:7]
	v_mov_b32_e32 v6, s10
	s_xor_b64 exec, exec, s[6:7]
	s_cbranch_execz .LBB2_13990
; %bb.49831:
	s_getpc_b64 s[14:15]
.Lpost_getpc28499:
	s_add_u32 s14, s14, (.LBB2_28328-.Lpost_getpc28499)&4294967295
	s_addc_u32 s15, s15, (.LBB2_28328-.Lpost_getpc28499)>>32
	s_setpc_b64 s[14:15]
.LBB2_13990:
	s_or_b64 exec, exec, s[6:7]
	s_and_saveexec_b64 s[6:7], s[4:5]
	s_cbranch_execz .LBB2_13992
.LBB2_13991:
	v_and_b32_e32 v6, 7, v3
	v_ffbh_u32_e32 v13, v6
	v_min_u32_e32 v13, 32, v13
	v_lshrrev_b16_e32 v12, 3, v3
	v_subrev_u32_e32 v14, 28, v13
	v_and_b32_e32 v12, 15, v12
	v_lshlrev_b32_e32 v14, v14, v3
	v_sub_u32_e32 v13, 29, v13
	v_and_b32_e32 v14, 7, v14
	v_cmp_eq_u16_e32 vcc, 0, v12
	v_cndmask_b32_e32 v6, v6, v14, vcc
	v_cndmask_b32_e32 v12, v12, v13, vcc
	v_lshlrev_b32_e32 v13, 24, v3
	v_mov_b32_e32 v14, 0x3b800000
	v_lshlrev_b32_e32 v6, 20, v6
	v_and_b32_e32 v13, 0x80000000, v13
	v_lshl_add_u32 v12, v12, 23, v14
	v_or3_b32 v6, v13, v12, v6
.LBB2_13992:
	s_or_b64 exec, exec, s[6:7]
	s_nop 0
	v_mfma_f32_16x16x4f32 a[0:3], v2, v6, a[0:3]
	v_lshrrev_b32_e32 v6, 8, v7
	s_movk_i32 s4, 0x7f
	v_cmp_gt_i16_sdwa s[6:7], v6, s4 src0_sel:BYTE_0 src1_sel:DWORD
	s_mov_b64 s[4:5], 0
                                        ; implicit-def: $sgpr10
	s_and_saveexec_b64 s[8:9], s[6:7]
	s_xor_b64 s[6:7], exec, s[8:9]
	s_cbranch_execz .LBB2_13993
; %bb.49833:
	s_getpc_b64 s[14:15]
.Lpost_getpc28500:
	s_add_u32 s14, s14, (.LBB2_28329-.Lpost_getpc28500)&4294967295
	s_addc_u32 s15, s15, (.LBB2_28329-.Lpost_getpc28500)>>32
	s_setpc_b64 s[14:15]
.LBB2_13993:
	s_or_saveexec_b64 s[6:7], s[6:7]
	v_mov_b32_e32 v2, s10
	s_xor_b64 exec, exec, s[6:7]
	s_cbranch_execz .LBB2_13994
; %bb.49835:
	s_getpc_b64 s[14:15]
.Lpost_getpc28501:
	s_add_u32 s14, s14, (.LBB2_28332-.Lpost_getpc28501)&4294967295
	s_addc_u32 s15, s15, (.LBB2_28332-.Lpost_getpc28501)>>32
	s_setpc_b64 s[14:15]
.LBB2_13994:
	s_or_b64 exec, exec, s[6:7]
	s_and_saveexec_b64 s[6:7], s[4:5]
	s_cbranch_execz .LBB2_13996
.LBB2_13995:
	v_bfe_u32 v2, v7, 8, 3
	v_ffbh_u32_e32 v13, v2
	v_min_u32_e32 v13, 32, v13
	v_lshrrev_b16_e32 v12, 3, v6
	v_subrev_u32_e32 v14, 28, v13
	v_and_b32_e32 v12, 15, v12
	v_lshlrev_b32_e32 v6, v14, v6
	v_sub_u32_e32 v13, 29, v13
	v_and_b32_e32 v6, 7, v6
	v_cmp_eq_u16_e32 vcc, 0, v12
	v_cndmask_b32_e32 v2, v2, v6, vcc
	v_cndmask_b32_e32 v6, v12, v13, vcc
	v_lshlrev_b32_e32 v12, 16, v7
	v_mov_b32_e32 v13, 0x3b800000
	v_lshlrev_b32_e32 v2, 20, v2
	v_and_b32_e32 v12, 0x80000000, v12
	v_lshl_add_u32 v6, v6, 23, v13
	v_or3_b32 v2, v12, v6, v2
.LBB2_13996:
	s_or_b64 exec, exec, s[6:7]
	v_lshrrev_b32_e32 v6, 8, v3
	s_movk_i32 s4, 0x7f
	v_cmp_gt_i16_sdwa s[6:7], v6, s4 src0_sel:BYTE_0 src1_sel:DWORD
	s_mov_b64 s[4:5], 0
                                        ; implicit-def: $sgpr10
	s_and_saveexec_b64 s[8:9], s[6:7]
	s_xor_b64 s[6:7], exec, s[8:9]
	s_cbranch_execz .LBB2_13997
; %bb.49837:
	s_getpc_b64 s[14:15]
.Lpost_getpc28502:
	s_add_u32 s14, s14, (.LBB2_28333-.Lpost_getpc28502)&4294967295
	s_addc_u32 s15, s15, (.LBB2_28333-.Lpost_getpc28502)>>32
	s_setpc_b64 s[14:15]
.LBB2_13997:
	s_or_saveexec_b64 s[6:7], s[6:7]
	v_mov_b32_e32 v12, s10
	s_xor_b64 exec, exec, s[6:7]
	s_cbranch_execz .LBB2_13998
; %bb.49839:
	s_getpc_b64 s[14:15]
.Lpost_getpc28503:
	s_add_u32 s14, s14, (.LBB2_28336-.Lpost_getpc28503)&4294967295
	s_addc_u32 s15, s15, (.LBB2_28336-.Lpost_getpc28503)>>32
	s_setpc_b64 s[14:15]
.LBB2_13998:
	s_or_b64 exec, exec, s[6:7]
	s_and_saveexec_b64 s[6:7], s[4:5]
	s_cbranch_execz .LBB2_14000
.LBB2_13999:
	v_bfe_u32 v12, v3, 8, 3
	v_ffbh_u32_e32 v14, v12
	v_min_u32_e32 v14, 32, v14
	v_lshrrev_b16_e32 v13, 3, v6
	v_subrev_u32_e32 v15, 28, v14
	v_and_b32_e32 v13, 15, v13
	v_lshlrev_b32_e32 v6, v15, v6
	v_sub_u32_e32 v14, 29, v14
	v_and_b32_e32 v6, 7, v6
	v_cmp_eq_u16_e32 vcc, 0, v13
	v_cndmask_b32_e32 v6, v12, v6, vcc
	v_cndmask_b32_e32 v12, v13, v14, vcc
	v_lshlrev_b32_e32 v13, 16, v3
	v_mov_b32_e32 v14, 0x3b800000
	v_lshlrev_b32_e32 v6, 20, v6
	v_and_b32_e32 v13, 0x80000000, v13
	v_lshl_add_u32 v12, v12, 23, v14
	v_or3_b32 v12, v13, v12, v6
.LBB2_14000:
	s_or_b64 exec, exec, s[6:7]
	s_nop 0
	v_mfma_f32_16x16x4f32 a[0:3], v2, v12, a[0:3]
	s_movk_i32 s4, 0xff
	v_and_b32_sdwa v6, v7, s4 dst_sel:DWORD dst_unused:UNUSED_PAD src0_sel:WORD_1 src1_sel:DWORD
	s_movk_i32 s4, 0x7f
	v_cmp_lt_i16_e32 vcc, s4, v6
	s_mov_b64 s[4:5], 0
                                        ; implicit-def: $sgpr10
	s_and_saveexec_b64 s[6:7], vcc
	s_xor_b64 s[6:7], exec, s[6:7]
	s_cbranch_execz .LBB2_14001
; %bb.49841:
	s_getpc_b64 s[14:15]
.Lpost_getpc28504:
	s_add_u32 s14, s14, (.LBB2_28337-.Lpost_getpc28504)&4294967295
	s_addc_u32 s15, s15, (.LBB2_28337-.Lpost_getpc28504)>>32
	s_setpc_b64 s[14:15]
.LBB2_14001:
	s_or_saveexec_b64 s[6:7], s[6:7]
	v_mov_b32_e32 v2, s10
	s_xor_b64 exec, exec, s[6:7]
	s_cbranch_execz .LBB2_14002
; %bb.49843:
	s_getpc_b64 s[14:15]
.Lpost_getpc28505:
	s_add_u32 s14, s14, (.LBB2_28340-.Lpost_getpc28505)&4294967295
	s_addc_u32 s15, s15, (.LBB2_28340-.Lpost_getpc28505)>>32
	s_setpc_b64 s[14:15]
.LBB2_14002:
	s_or_b64 exec, exec, s[6:7]
	s_and_saveexec_b64 s[6:7], s[4:5]
	s_cbranch_execz .LBB2_14004
.LBB2_14003:
	v_bfe_u32 v2, v7, 16, 3
	v_ffbh_u32_e32 v13, v2
	v_min_u32_e32 v13, 32, v13
	v_lshrrev_b32_e32 v6, 19, v7
	v_subrev_u32_e32 v14, 28, v13
	v_and_b32_e32 v6, 15, v6
	v_lshlrev_b32_sdwa v14, v14, v7 dst_sel:DWORD dst_unused:UNUSED_PAD src0_sel:DWORD src1_sel:WORD_1
	v_bfe_u32 v12, v7, 19, 4
	v_sub_u32_e32 v13, 29, v13
	v_and_b32_e32 v14, 7, v14
	v_cmp_eq_u16_e32 vcc, 0, v6
	v_cndmask_b32_e32 v2, v2, v14, vcc
	v_cndmask_b32_e32 v6, v12, v13, vcc
	v_lshlrev_b32_e32 v12, 8, v7
	v_mov_b32_e32 v13, 0x3b800000
	v_lshlrev_b32_e32 v2, 20, v2
	v_and_b32_e32 v12, 0x80000000, v12
	v_lshl_add_u32 v6, v6, 23, v13
	v_or3_b32 v2, v12, v6, v2
.LBB2_14004:
	s_or_b64 exec, exec, s[6:7]
	s_movk_i32 s4, 0xff
	v_and_b32_sdwa v6, v3, s4 dst_sel:DWORD dst_unused:UNUSED_PAD src0_sel:WORD_1 src1_sel:DWORD
	s_movk_i32 s4, 0x7f
	v_cmp_lt_i16_e32 vcc, s4, v6
	s_mov_b64 s[4:5], 0
                                        ; implicit-def: $sgpr10
	s_and_saveexec_b64 s[6:7], vcc
	s_xor_b64 s[6:7], exec, s[6:7]
	s_cbranch_execz .LBB2_14005
; %bb.49845:
	s_getpc_b64 s[14:15]
.Lpost_getpc28506:
	s_add_u32 s14, s14, (.LBB2_28341-.Lpost_getpc28506)&4294967295
	s_addc_u32 s15, s15, (.LBB2_28341-.Lpost_getpc28506)>>32
	s_setpc_b64 s[14:15]
.LBB2_14005:
	s_or_saveexec_b64 s[6:7], s[6:7]
	v_mov_b32_e32 v12, s10
	s_xor_b64 exec, exec, s[6:7]
	s_cbranch_execz .LBB2_14006
; %bb.49847:
	s_getpc_b64 s[14:15]
.Lpost_getpc28507:
	s_add_u32 s14, s14, (.LBB2_28344-.Lpost_getpc28507)&4294967295
	s_addc_u32 s15, s15, (.LBB2_28344-.Lpost_getpc28507)>>32
	s_setpc_b64 s[14:15]
.LBB2_14006:
	s_or_b64 exec, exec, s[6:7]
	s_and_saveexec_b64 s[6:7], s[4:5]
	s_cbranch_execz .LBB2_14008
.LBB2_14007:
	v_bfe_u32 v6, v3, 16, 3
	v_ffbh_u32_e32 v14, v6
	v_min_u32_e32 v14, 32, v14
	v_lshrrev_b32_e32 v12, 19, v3
	v_subrev_u32_e32 v15, 28, v14
	v_and_b32_e32 v12, 15, v12
	v_lshlrev_b32_sdwa v15, v15, v3 dst_sel:DWORD dst_unused:UNUSED_PAD src0_sel:DWORD src1_sel:WORD_1
	v_bfe_u32 v13, v3, 19, 4
	v_sub_u32_e32 v14, 29, v14
	v_and_b32_e32 v15, 7, v15
	v_cmp_eq_u16_e32 vcc, 0, v12
	v_cndmask_b32_e32 v6, v6, v15, vcc
	v_cndmask_b32_e32 v12, v13, v14, vcc
	v_lshlrev_b32_e32 v13, 8, v3
	v_mov_b32_e32 v14, 0x3b800000
	v_lshlrev_b32_e32 v6, 20, v6
	v_and_b32_e32 v13, 0x80000000, v13
	v_lshl_add_u32 v12, v12, 23, v14
	v_or3_b32 v12, v13, v12, v6
.LBB2_14008:
	s_or_b64 exec, exec, s[6:7]
	s_nop 0
	v_mfma_f32_16x16x4f32 a[0:3], v2, v12, a[0:3]
	s_movk_i32 s4, 0x7f
	v_cmp_gt_i16_sdwa s[6:7], v7, s4 src0_sel:BYTE_3 src1_sel:DWORD
	s_mov_b64 s[4:5], 0
                                        ; implicit-def: $sgpr10
	s_and_saveexec_b64 s[8:9], s[6:7]
	s_xor_b64 s[6:7], exec, s[8:9]
	s_cbranch_execz .LBB2_14009
; %bb.49849:
	s_getpc_b64 s[14:15]
.Lpost_getpc28508:
	s_add_u32 s14, s14, (.LBB2_28345-.Lpost_getpc28508)&4294967295
	s_addc_u32 s15, s15, (.LBB2_28345-.Lpost_getpc28508)>>32
	s_setpc_b64 s[14:15]
.LBB2_14009:
	s_or_saveexec_b64 s[6:7], s[6:7]
	v_mov_b32_e32 v2, s10
	s_xor_b64 exec, exec, s[6:7]
	s_cbranch_execz .LBB2_14010
; %bb.49851:
	s_getpc_b64 s[14:15]
.Lpost_getpc28509:
	s_add_u32 s14, s14, (.LBB2_28348-.Lpost_getpc28509)&4294967295
	s_addc_u32 s15, s15, (.LBB2_28348-.Lpost_getpc28509)>>32
	s_setpc_b64 s[14:15]
.LBB2_14010:
	s_or_b64 exec, exec, s[6:7]
	s_and_saveexec_b64 s[6:7], s[4:5]
	s_cbranch_execz .LBB2_14012
.LBB2_14011:
	v_bfe_u32 v2, v7, 24, 3
	v_ffbh_u32_e32 v14, v2
	v_min_u32_e32 v14, 32, v14
	v_lshrrev_b32_e32 v12, 27, v7
	v_subrev_u32_e32 v15, 28, v14
	v_and_b32_e32 v6, 0x80000000, v7
	v_and_b32_e32 v12, 15, v12
	v_bfe_u32 v13, v7, 27, 4
	v_lshlrev_b32_sdwa v7, v15, v7 dst_sel:DWORD dst_unused:UNUSED_PAD src0_sel:DWORD src1_sel:BYTE_3
	v_sub_u32_e32 v14, 29, v14
	v_and_b32_e32 v7, 7, v7
	v_cmp_eq_u16_e32 vcc, 0, v12
	v_cndmask_b32_e32 v2, v2, v7, vcc
	v_cndmask_b32_e32 v7, v13, v14, vcc
	v_mov_b32_e32 v12, 0x3b800000
	v_lshlrev_b32_e32 v2, 20, v2
	v_lshl_add_u32 v7, v7, 23, v12
	v_or3_b32 v2, v6, v7, v2
.LBB2_14012:
	s_or_b64 exec, exec, s[6:7]
	s_movk_i32 s4, 0x7f
	v_cmp_gt_i16_sdwa s[6:7], v3, s4 src0_sel:BYTE_3 src1_sel:DWORD
	s_mov_b64 s[4:5], 0
                                        ; implicit-def: $sgpr10
	s_and_saveexec_b64 s[8:9], s[6:7]
	s_xor_b64 s[6:7], exec, s[8:9]
	s_cbranch_execz .LBB2_14013
; %bb.49853:
	s_getpc_b64 s[14:15]
.Lpost_getpc28510:
	s_add_u32 s14, s14, (.LBB2_28349-.Lpost_getpc28510)&4294967295
	s_addc_u32 s15, s15, (.LBB2_28349-.Lpost_getpc28510)>>32
	s_setpc_b64 s[14:15]
.LBB2_14013:
	s_or_saveexec_b64 s[6:7], s[6:7]
	v_mov_b32_e32 v6, s10
	s_xor_b64 exec, exec, s[6:7]
	s_cbranch_execz .LBB2_14014
; %bb.49855:
	s_getpc_b64 s[14:15]
.Lpost_getpc28511:
	s_add_u32 s14, s14, (.LBB2_28352-.Lpost_getpc28511)&4294967295
	s_addc_u32 s15, s15, (.LBB2_28352-.Lpost_getpc28511)>>32
	s_setpc_b64 s[14:15]
.LBB2_14014:
	s_or_b64 exec, exec, s[6:7]
	s_and_saveexec_b64 s[6:7], s[4:5]
	s_cbranch_execz .LBB2_14016
.LBB2_14015:
	v_bfe_u32 v6, v3, 24, 3
	v_ffbh_u32_e32 v14, v6
	v_min_u32_e32 v14, 32, v14
	v_lshrrev_b32_e32 v12, 27, v3
	v_subrev_u32_e32 v15, 28, v14
	v_and_b32_e32 v7, 0x80000000, v3
	v_and_b32_e32 v12, 15, v12
	v_bfe_u32 v13, v3, 27, 4
	v_lshlrev_b32_sdwa v3, v15, v3 dst_sel:DWORD dst_unused:UNUSED_PAD src0_sel:DWORD src1_sel:BYTE_3
	v_sub_u32_e32 v14, 29, v14
	v_and_b32_e32 v3, 7, v3
	v_cmp_eq_u16_e32 vcc, 0, v12
	v_cndmask_b32_e32 v3, v6, v3, vcc
	v_cndmask_b32_e32 v6, v13, v14, vcc
	v_mov_b32_e32 v12, 0x3b800000
	v_lshlrev_b32_e32 v3, 20, v3
	v_lshl_add_u32 v6, v6, 23, v12
	v_or3_b32 v6, v7, v6, v3
.LBB2_14016:
	s_or_b64 exec, exec, s[6:7]
	s_nop 0
	v_mfma_f32_16x16x4f32 a[0:3], v2, v6, a[0:3]
	s_movk_i32 s4, 0x7f
	v_cmp_gt_i16_sdwa s[6:7], v8, s4 src0_sel:BYTE_0 src1_sel:DWORD
	s_mov_b64 s[4:5], 0
                                        ; implicit-def: $sgpr10
	s_and_saveexec_b64 s[8:9], s[6:7]
	s_xor_b64 s[6:7], exec, s[8:9]
	s_cbranch_execz .LBB2_14017
; %bb.49857:
	s_getpc_b64 s[14:15]
.Lpost_getpc28512:
	s_add_u32 s14, s14, (.LBB2_28353-.Lpost_getpc28512)&4294967295
	s_addc_u32 s15, s15, (.LBB2_28353-.Lpost_getpc28512)>>32
	s_setpc_b64 s[14:15]
.LBB2_14017:
	s_or_saveexec_b64 s[6:7], s[6:7]
	v_mov_b32_e32 v2, s10
	s_xor_b64 exec, exec, s[6:7]
	s_cbranch_execz .LBB2_14018
; %bb.49859:
	s_getpc_b64 s[14:15]
.Lpost_getpc28513:
	s_add_u32 s14, s14, (.LBB2_28356-.Lpost_getpc28513)&4294967295
	s_addc_u32 s15, s15, (.LBB2_28356-.Lpost_getpc28513)>>32
	s_setpc_b64 s[14:15]
.LBB2_14018:
	s_or_b64 exec, exec, s[6:7]
	s_and_saveexec_b64 s[6:7], s[4:5]
	s_cbranch_execz .LBB2_14020
.LBB2_14019:
	v_and_b32_e32 v2, 7, v8
	v_ffbh_u32_e32 v6, v2
	v_min_u32_e32 v6, 32, v6
	v_lshrrev_b16_e32 v3, 3, v8
	v_subrev_u32_e32 v7, 28, v6
	v_and_b32_e32 v3, 15, v3
	v_lshlrev_b32_e32 v7, v7, v8
	v_sub_u32_e32 v6, 29, v6
	v_and_b32_e32 v7, 7, v7
	v_cmp_eq_u16_e32 vcc, 0, v3
	v_cndmask_b32_e32 v2, v2, v7, vcc
	v_cndmask_b32_e32 v3, v3, v6, vcc
	v_lshlrev_b32_e32 v6, 24, v8
	v_mov_b32_e32 v7, 0x3b800000
	v_lshlrev_b32_e32 v2, 20, v2
	v_and_b32_e32 v6, 0x80000000, v6
	v_lshl_add_u32 v3, v3, 23, v7
	v_or3_b32 v2, v6, v3, v2
.LBB2_14020:
	s_or_b64 exec, exec, s[6:7]
	s_movk_i32 s4, 0x7f
	v_cmp_gt_i16_sdwa s[6:7], v4, s4 src0_sel:BYTE_0 src1_sel:DWORD
	s_mov_b64 s[4:5], 0
                                        ; implicit-def: $sgpr10
	s_and_saveexec_b64 s[8:9], s[6:7]
	s_xor_b64 s[6:7], exec, s[8:9]
	s_cbranch_execz .LBB2_14021
; %bb.49861:
	s_getpc_b64 s[14:15]
.Lpost_getpc28514:
	s_add_u32 s14, s14, (.LBB2_28357-.Lpost_getpc28514)&4294967295
	s_addc_u32 s15, s15, (.LBB2_28357-.Lpost_getpc28514)>>32
	s_setpc_b64 s[14:15]
.LBB2_14021:
	s_or_saveexec_b64 s[6:7], s[6:7]
	v_mov_b32_e32 v3, s10
	s_xor_b64 exec, exec, s[6:7]
	s_cbranch_execz .LBB2_14022
; %bb.49863:
	s_getpc_b64 s[14:15]
.Lpost_getpc28515:
	s_add_u32 s14, s14, (.LBB2_28360-.Lpost_getpc28515)&4294967295
	s_addc_u32 s15, s15, (.LBB2_28360-.Lpost_getpc28515)>>32
	s_setpc_b64 s[14:15]
.LBB2_14022:
	s_or_b64 exec, exec, s[6:7]
	s_and_saveexec_b64 s[6:7], s[4:5]
	s_cbranch_execz .LBB2_14024
.LBB2_14023:
	v_and_b32_e32 v3, 7, v4
	v_ffbh_u32_e32 v7, v3
	v_min_u32_e32 v7, 32, v7
	v_lshrrev_b16_e32 v6, 3, v4
	v_subrev_u32_e32 v12, 28, v7
	v_and_b32_e32 v6, 15, v6
	v_lshlrev_b32_e32 v12, v12, v4
	v_sub_u32_e32 v7, 29, v7
	v_and_b32_e32 v12, 7, v12
	v_cmp_eq_u16_e32 vcc, 0, v6
	v_cndmask_b32_e32 v3, v3, v12, vcc
	v_cndmask_b32_e32 v6, v6, v7, vcc
	v_lshlrev_b32_e32 v7, 24, v4
	v_mov_b32_e32 v12, 0x3b800000
	v_lshlrev_b32_e32 v3, 20, v3
	v_and_b32_e32 v7, 0x80000000, v7
	v_lshl_add_u32 v6, v6, 23, v12
	v_or3_b32 v3, v7, v6, v3
.LBB2_14024:
	s_or_b64 exec, exec, s[6:7]
	s_nop 0
	v_mfma_f32_16x16x4f32 a[0:3], v2, v3, a[0:3]
	v_lshrrev_b32_e32 v3, 8, v8
	s_movk_i32 s4, 0x7f
	v_cmp_gt_i16_sdwa s[6:7], v3, s4 src0_sel:BYTE_0 src1_sel:DWORD
	s_mov_b64 s[4:5], 0
                                        ; implicit-def: $sgpr10
	s_and_saveexec_b64 s[8:9], s[6:7]
	s_xor_b64 s[6:7], exec, s[8:9]
	s_cbranch_execz .LBB2_14025
; %bb.49865:
	s_getpc_b64 s[14:15]
.Lpost_getpc28516:
	s_add_u32 s14, s14, (.LBB2_28361-.Lpost_getpc28516)&4294967295
	s_addc_u32 s15, s15, (.LBB2_28361-.Lpost_getpc28516)>>32
	s_setpc_b64 s[14:15]
.LBB2_14025:
	s_or_saveexec_b64 s[6:7], s[6:7]
	v_mov_b32_e32 v2, s10
	s_xor_b64 exec, exec, s[6:7]
	s_cbranch_execz .LBB2_14026
; %bb.49867:
	s_getpc_b64 s[14:15]
.Lpost_getpc28517:
	s_add_u32 s14, s14, (.LBB2_28364-.Lpost_getpc28517)&4294967295
	s_addc_u32 s15, s15, (.LBB2_28364-.Lpost_getpc28517)>>32
	s_setpc_b64 s[14:15]
.LBB2_14026:
	s_or_b64 exec, exec, s[6:7]
	s_and_saveexec_b64 s[6:7], s[4:5]
	s_cbranch_execz .LBB2_14028
.LBB2_14027:
	v_bfe_u32 v2, v8, 8, 3
	v_ffbh_u32_e32 v7, v2
	v_min_u32_e32 v7, 32, v7
	v_lshrrev_b16_e32 v6, 3, v3
	v_subrev_u32_e32 v12, 28, v7
	v_and_b32_e32 v6, 15, v6
	v_lshlrev_b32_e32 v3, v12, v3
	v_sub_u32_e32 v7, 29, v7
	v_and_b32_e32 v3, 7, v3
	v_cmp_eq_u16_e32 vcc, 0, v6
	v_cndmask_b32_e32 v2, v2, v3, vcc
	v_cndmask_b32_e32 v3, v6, v7, vcc
	v_lshlrev_b32_e32 v6, 16, v8
	v_mov_b32_e32 v7, 0x3b800000
	v_lshlrev_b32_e32 v2, 20, v2
	v_and_b32_e32 v6, 0x80000000, v6
	v_lshl_add_u32 v3, v3, 23, v7
	v_or3_b32 v2, v6, v3, v2
.LBB2_14028:
	s_or_b64 exec, exec, s[6:7]
	v_lshrrev_b32_e32 v3, 8, v4
	s_movk_i32 s4, 0x7f
	v_cmp_gt_i16_sdwa s[6:7], v3, s4 src0_sel:BYTE_0 src1_sel:DWORD
	s_mov_b64 s[4:5], 0
                                        ; implicit-def: $sgpr10
	s_and_saveexec_b64 s[8:9], s[6:7]
	s_xor_b64 s[6:7], exec, s[8:9]
	s_cbranch_execz .LBB2_14029
; %bb.49869:
	s_getpc_b64 s[14:15]
.Lpost_getpc28518:
	s_add_u32 s14, s14, (.LBB2_28365-.Lpost_getpc28518)&4294967295
	s_addc_u32 s15, s15, (.LBB2_28365-.Lpost_getpc28518)>>32
	s_setpc_b64 s[14:15]
.LBB2_14029:
	s_or_saveexec_b64 s[6:7], s[6:7]
	v_mov_b32_e32 v6, s10
	s_xor_b64 exec, exec, s[6:7]
	s_cbranch_execz .LBB2_14030
; %bb.49871:
	s_getpc_b64 s[14:15]
.Lpost_getpc28519:
	s_add_u32 s14, s14, (.LBB2_28368-.Lpost_getpc28519)&4294967295
	s_addc_u32 s15, s15, (.LBB2_28368-.Lpost_getpc28519)>>32
	s_setpc_b64 s[14:15]
.LBB2_14030:
	s_or_b64 exec, exec, s[6:7]
	s_and_saveexec_b64 s[6:7], s[4:5]
	s_cbranch_execz .LBB2_14032
.LBB2_14031:
	v_bfe_u32 v6, v4, 8, 3
	v_ffbh_u32_e32 v12, v6
	v_min_u32_e32 v12, 32, v12
	v_lshrrev_b16_e32 v7, 3, v3
	v_subrev_u32_e32 v13, 28, v12
	v_and_b32_e32 v7, 15, v7
	v_lshlrev_b32_e32 v3, v13, v3
	v_sub_u32_e32 v12, 29, v12
	v_and_b32_e32 v3, 7, v3
	v_cmp_eq_u16_e32 vcc, 0, v7
	v_cndmask_b32_e32 v3, v6, v3, vcc
	v_cndmask_b32_e32 v6, v7, v12, vcc
	v_lshlrev_b32_e32 v7, 16, v4
	v_mov_b32_e32 v12, 0x3b800000
	v_lshlrev_b32_e32 v3, 20, v3
	v_and_b32_e32 v7, 0x80000000, v7
	v_lshl_add_u32 v6, v6, 23, v12
	v_or3_b32 v6, v7, v6, v3
.LBB2_14032:
	s_or_b64 exec, exec, s[6:7]
	s_nop 0
	v_mfma_f32_16x16x4f32 a[0:3], v2, v6, a[0:3]
	s_movk_i32 s4, 0xff
	v_and_b32_sdwa v3, v8, s4 dst_sel:DWORD dst_unused:UNUSED_PAD src0_sel:WORD_1 src1_sel:DWORD
	s_movk_i32 s4, 0x7f
	v_cmp_lt_i16_e32 vcc, s4, v3
	s_mov_b64 s[4:5], 0
                                        ; implicit-def: $sgpr10
	s_and_saveexec_b64 s[6:7], vcc
	s_xor_b64 s[6:7], exec, s[6:7]
	s_cbranch_execz .LBB2_14033
; %bb.49873:
	s_getpc_b64 s[14:15]
.Lpost_getpc28520:
	s_add_u32 s14, s14, (.LBB2_28369-.Lpost_getpc28520)&4294967295
	s_addc_u32 s15, s15, (.LBB2_28369-.Lpost_getpc28520)>>32
	s_setpc_b64 s[14:15]
.LBB2_14033:
	s_or_saveexec_b64 s[6:7], s[6:7]
	v_mov_b32_e32 v2, s10
	s_xor_b64 exec, exec, s[6:7]
	s_cbranch_execz .LBB2_14034
; %bb.49875:
	s_getpc_b64 s[14:15]
.Lpost_getpc28521:
	s_add_u32 s14, s14, (.LBB2_28372-.Lpost_getpc28521)&4294967295
	s_addc_u32 s15, s15, (.LBB2_28372-.Lpost_getpc28521)>>32
	s_setpc_b64 s[14:15]
.LBB2_14034:
	s_or_b64 exec, exec, s[6:7]
	s_and_saveexec_b64 s[6:7], s[4:5]
	s_cbranch_execz .LBB2_14036
.LBB2_14035:
	v_bfe_u32 v2, v8, 16, 3
	v_ffbh_u32_e32 v7, v2
	v_min_u32_e32 v7, 32, v7
	v_lshrrev_b32_e32 v3, 19, v8
	v_subrev_u32_e32 v12, 28, v7
	v_and_b32_e32 v3, 15, v3
	v_lshlrev_b32_sdwa v12, v12, v8 dst_sel:DWORD dst_unused:UNUSED_PAD src0_sel:DWORD src1_sel:WORD_1
	v_bfe_u32 v6, v8, 19, 4
	v_sub_u32_e32 v7, 29, v7
	v_and_b32_e32 v12, 7, v12
	v_cmp_eq_u16_e32 vcc, 0, v3
	v_cndmask_b32_e32 v2, v2, v12, vcc
	v_cndmask_b32_e32 v3, v6, v7, vcc
	v_lshlrev_b32_e32 v6, 8, v8
	v_mov_b32_e32 v7, 0x3b800000
	v_lshlrev_b32_e32 v2, 20, v2
	v_and_b32_e32 v6, 0x80000000, v6
	v_lshl_add_u32 v3, v3, 23, v7
	v_or3_b32 v2, v6, v3, v2
.LBB2_14036:
	s_or_b64 exec, exec, s[6:7]
	s_movk_i32 s4, 0xff
	v_and_b32_sdwa v3, v4, s4 dst_sel:DWORD dst_unused:UNUSED_PAD src0_sel:WORD_1 src1_sel:DWORD
	s_movk_i32 s4, 0x7f
	v_cmp_lt_i16_e32 vcc, s4, v3
	s_mov_b64 s[4:5], 0
                                        ; implicit-def: $sgpr10
	s_and_saveexec_b64 s[6:7], vcc
	s_xor_b64 s[6:7], exec, s[6:7]
	s_cbranch_execz .LBB2_14037
; %bb.49877:
	s_getpc_b64 s[14:15]
.Lpost_getpc28522:
	s_add_u32 s14, s14, (.LBB2_28373-.Lpost_getpc28522)&4294967295
	s_addc_u32 s15, s15, (.LBB2_28373-.Lpost_getpc28522)>>32
	s_setpc_b64 s[14:15]
.LBB2_14037:
	s_or_saveexec_b64 s[6:7], s[6:7]
	v_mov_b32_e32 v6, s10
	s_xor_b64 exec, exec, s[6:7]
	s_cbranch_execz .LBB2_14038
; %bb.49879:
	s_getpc_b64 s[14:15]
.Lpost_getpc28523:
	s_add_u32 s14, s14, (.LBB2_28376-.Lpost_getpc28523)&4294967295
	s_addc_u32 s15, s15, (.LBB2_28376-.Lpost_getpc28523)>>32
	s_setpc_b64 s[14:15]
.LBB2_14038:
	s_or_b64 exec, exec, s[6:7]
	s_and_saveexec_b64 s[6:7], s[4:5]
	s_cbranch_execz .LBB2_14040
.LBB2_14039:
	v_bfe_u32 v3, v4, 16, 3
	v_ffbh_u32_e32 v12, v3
	v_min_u32_e32 v12, 32, v12
	v_lshrrev_b32_e32 v6, 19, v4
	v_subrev_u32_e32 v13, 28, v12
	v_and_b32_e32 v6, 15, v6
	v_lshlrev_b32_sdwa v13, v13, v4 dst_sel:DWORD dst_unused:UNUSED_PAD src0_sel:DWORD src1_sel:WORD_1
	v_bfe_u32 v7, v4, 19, 4
	v_sub_u32_e32 v12, 29, v12
	v_and_b32_e32 v13, 7, v13
	v_cmp_eq_u16_e32 vcc, 0, v6
	v_cndmask_b32_e32 v3, v3, v13, vcc
	v_cndmask_b32_e32 v6, v7, v12, vcc
	v_lshlrev_b32_e32 v7, 8, v4
	v_mov_b32_e32 v12, 0x3b800000
	v_lshlrev_b32_e32 v3, 20, v3
	v_and_b32_e32 v7, 0x80000000, v7
	v_lshl_add_u32 v6, v6, 23, v12
	v_or3_b32 v6, v7, v6, v3
.LBB2_14040:
	s_or_b64 exec, exec, s[6:7]
	s_nop 0
	v_mfma_f32_16x16x4f32 a[0:3], v2, v6, a[0:3]
	s_movk_i32 s4, 0x7f
	v_cmp_gt_i16_sdwa s[6:7], v8, s4 src0_sel:BYTE_3 src1_sel:DWORD
	s_mov_b64 s[4:5], 0
                                        ; implicit-def: $sgpr10
	s_and_saveexec_b64 s[8:9], s[6:7]
	s_xor_b64 s[6:7], exec, s[8:9]
	s_cbranch_execz .LBB2_14041
; %bb.49881:
	s_getpc_b64 s[14:15]
.Lpost_getpc28524:
	s_add_u32 s14, s14, (.LBB2_28377-.Lpost_getpc28524)&4294967295
	s_addc_u32 s15, s15, (.LBB2_28377-.Lpost_getpc28524)>>32
	s_setpc_b64 s[14:15]
.LBB2_14041:
	s_or_saveexec_b64 s[6:7], s[6:7]
	v_mov_b32_e32 v2, s10
	s_xor_b64 exec, exec, s[6:7]
	s_cbranch_execz .LBB2_14042
; %bb.49883:
	s_getpc_b64 s[14:15]
.Lpost_getpc28525:
	s_add_u32 s14, s14, (.LBB2_28380-.Lpost_getpc28525)&4294967295
	s_addc_u32 s15, s15, (.LBB2_28380-.Lpost_getpc28525)>>32
	s_setpc_b64 s[14:15]
.LBB2_14042:
	s_or_b64 exec, exec, s[6:7]
	s_and_saveexec_b64 s[6:7], s[4:5]
	s_cbranch_execz .LBB2_14044
.LBB2_14043:
	v_bfe_u32 v2, v8, 24, 3
	v_ffbh_u32_e32 v12, v2
	v_min_u32_e32 v12, 32, v12
	v_lshrrev_b32_e32 v6, 27, v8
	v_subrev_u32_e32 v13, 28, v12
	v_and_b32_e32 v3, 0x80000000, v8
	v_and_b32_e32 v6, 15, v6
	v_bfe_u32 v7, v8, 27, 4
	v_lshlrev_b32_sdwa v8, v13, v8 dst_sel:DWORD dst_unused:UNUSED_PAD src0_sel:DWORD src1_sel:BYTE_3
	v_sub_u32_e32 v12, 29, v12
	v_and_b32_e32 v8, 7, v8
	v_cmp_eq_u16_e32 vcc, 0, v6
	v_cndmask_b32_e32 v2, v2, v8, vcc
	v_cndmask_b32_e32 v6, v7, v12, vcc
	v_mov_b32_e32 v7, 0x3b800000
	v_lshlrev_b32_e32 v2, 20, v2
	v_lshl_add_u32 v6, v6, 23, v7
	v_or3_b32 v2, v3, v6, v2
.LBB2_14044:
	s_or_b64 exec, exec, s[6:7]
	s_movk_i32 s4, 0x7f
	v_cmp_gt_i16_sdwa s[6:7], v4, s4 src0_sel:BYTE_3 src1_sel:DWORD
	s_mov_b64 s[4:5], 0
                                        ; implicit-def: $sgpr10
	s_and_saveexec_b64 s[8:9], s[6:7]
	s_xor_b64 s[6:7], exec, s[8:9]
	s_cbranch_execz .LBB2_14045
; %bb.49885:
	s_getpc_b64 s[14:15]
.Lpost_getpc28526:
	s_add_u32 s14, s14, (.LBB2_28381-.Lpost_getpc28526)&4294967295
	s_addc_u32 s15, s15, (.LBB2_28381-.Lpost_getpc28526)>>32
	s_setpc_b64 s[14:15]
.LBB2_14045:
	s_or_saveexec_b64 s[6:7], s[6:7]
	v_mov_b32_e32 v3, s10
	s_xor_b64 exec, exec, s[6:7]
	s_cbranch_execz .LBB2_14046
; %bb.49887:
	s_getpc_b64 s[14:15]
.Lpost_getpc28527:
	s_add_u32 s14, s14, (.LBB2_28384-.Lpost_getpc28527)&4294967295
	s_addc_u32 s15, s15, (.LBB2_28384-.Lpost_getpc28527)>>32
	s_setpc_b64 s[14:15]
.LBB2_14046:
	s_or_b64 exec, exec, s[6:7]
	s_and_saveexec_b64 s[6:7], s[4:5]
	s_cbranch_execz .LBB2_14048
.LBB2_14047:
	v_bfe_u32 v3, v4, 24, 3
	v_ffbh_u32_e32 v12, v3
	v_min_u32_e32 v12, 32, v12
	v_lshrrev_b32_e32 v7, 27, v4
	v_subrev_u32_e32 v13, 28, v12
	v_and_b32_e32 v6, 0x80000000, v4
	v_and_b32_e32 v7, 15, v7
	v_bfe_u32 v8, v4, 27, 4
	v_lshlrev_b32_sdwa v4, v13, v4 dst_sel:DWORD dst_unused:UNUSED_PAD src0_sel:DWORD src1_sel:BYTE_3
	v_sub_u32_e32 v12, 29, v12
	v_and_b32_e32 v4, 7, v4
	v_cmp_eq_u16_e32 vcc, 0, v7
	v_cndmask_b32_e32 v3, v3, v4, vcc
	v_cndmask_b32_e32 v4, v8, v12, vcc
	v_mov_b32_e32 v7, 0x3b800000
	v_lshlrev_b32_e32 v3, 20, v3
	v_lshl_add_u32 v4, v4, 23, v7
	v_or3_b32 v3, v6, v4, v3
.LBB2_14048:
	s_or_b64 exec, exec, s[6:7]
	s_nop 0
	v_mfma_f32_16x16x4f32 a[0:3], v2, v3, a[0:3]
	s_movk_i32 s4, 0x7f
	v_cmp_gt_i16_sdwa s[6:7], v9, s4 src0_sel:BYTE_0 src1_sel:DWORD
	s_mov_b64 s[4:5], 0
                                        ; implicit-def: $sgpr10
	s_and_saveexec_b64 s[8:9], s[6:7]
	s_xor_b64 s[6:7], exec, s[8:9]
	s_cbranch_execz .LBB2_14049
; %bb.49889:
	s_getpc_b64 s[14:15]
.Lpost_getpc28528:
	s_add_u32 s14, s14, (.LBB2_28385-.Lpost_getpc28528)&4294967295
	s_addc_u32 s15, s15, (.LBB2_28385-.Lpost_getpc28528)>>32
	s_setpc_b64 s[14:15]
.LBB2_14049:
	s_or_saveexec_b64 s[6:7], s[6:7]
	v_mov_b32_e32 v2, s10
	s_xor_b64 exec, exec, s[6:7]
	s_cbranch_execz .LBB2_14050
; %bb.49891:
	s_getpc_b64 s[14:15]
.Lpost_getpc28529:
	s_add_u32 s14, s14, (.LBB2_28388-.Lpost_getpc28529)&4294967295
	s_addc_u32 s15, s15, (.LBB2_28388-.Lpost_getpc28529)>>32
	s_setpc_b64 s[14:15]
.LBB2_14050:
	s_or_b64 exec, exec, s[6:7]
	s_and_saveexec_b64 s[6:7], s[4:5]
	s_cbranch_execz .LBB2_14052
.LBB2_14051:
	v_mov_b32_e32 v2, 8
	v_and_b32_e32 v3, 7, v9
	v_lshrrev_b32_sdwa v2, v2, v9 dst_sel:BYTE_1 dst_unused:UNUSED_PAD src0_sel:DWORD src1_sel:DWORD
	v_ffbh_u32_e32 v4, v3
	v_or_b32_sdwa v2, v9, v2 dst_sel:DWORD dst_unused:UNUSED_PAD src0_sel:BYTE_0 src1_sel:DWORD
	v_min_u32_e32 v4, 32, v4
	v_lshrrev_b16_e32 v2, 3, v2
	v_subrev_u32_e32 v6, 28, v4
	v_and_b32_e32 v2, 15, v2
	v_lshlrev_b32_e32 v6, v6, v9
	v_sub_u32_e32 v4, 29, v4
	v_and_b32_e32 v6, 7, v6
	v_cmp_eq_u16_e32 vcc, 0, v2
	v_cndmask_b32_e32 v3, v3, v6, vcc
	v_cndmask_b32_e32 v2, v2, v4, vcc
	v_lshlrev_b32_e32 v4, 24, v9
	v_mov_b32_e32 v6, 0x3b800000
	v_lshlrev_b32_e32 v3, 20, v3
	v_and_b32_e32 v4, 0x80000000, v4
	v_lshl_add_u32 v2, v2, 23, v6
	v_or3_b32 v2, v4, v2, v3
.LBB2_14052:
	s_or_b64 exec, exec, s[6:7]
	s_movk_i32 s4, 0x7f
	v_cmp_gt_i16_sdwa s[6:7], v5, s4 src0_sel:BYTE_0 src1_sel:DWORD
	s_mov_b64 s[4:5], 0
                                        ; implicit-def: $sgpr10
	s_and_saveexec_b64 s[8:9], s[6:7]
	s_xor_b64 s[6:7], exec, s[8:9]
	s_cbranch_execz .LBB2_14053
; %bb.49893:
	s_getpc_b64 s[14:15]
.Lpost_getpc28530:
	s_add_u32 s14, s14, (.LBB2_28389-.Lpost_getpc28530)&4294967295
	s_addc_u32 s15, s15, (.LBB2_28389-.Lpost_getpc28530)>>32
	s_setpc_b64 s[14:15]
.LBB2_14053:
	s_or_saveexec_b64 s[6:7], s[6:7]
	v_mov_b32_e32 v3, s10
	s_xor_b64 exec, exec, s[6:7]
	s_cbranch_execz .LBB2_14054
; %bb.49895:
	s_getpc_b64 s[14:15]
.Lpost_getpc28531:
	s_add_u32 s14, s14, (.LBB2_28392-.Lpost_getpc28531)&4294967295
	s_addc_u32 s15, s15, (.LBB2_28392-.Lpost_getpc28531)>>32
	s_setpc_b64 s[14:15]
.LBB2_14054:
	s_or_b64 exec, exec, s[6:7]
	s_and_saveexec_b64 s[6:7], s[4:5]
	s_cbranch_execz .LBB2_14056
.LBB2_14055:
	v_mov_b32_e32 v3, 8
	v_and_b32_e32 v4, 7, v5
	v_lshrrev_b32_sdwa v3, v3, v5 dst_sel:BYTE_1 dst_unused:UNUSED_PAD src0_sel:DWORD src1_sel:DWORD
	v_ffbh_u32_e32 v6, v4
	v_or_b32_sdwa v3, v5, v3 dst_sel:DWORD dst_unused:UNUSED_PAD src0_sel:BYTE_0 src1_sel:DWORD
	v_min_u32_e32 v6, 32, v6
	v_lshrrev_b16_e32 v3, 3, v3
	v_subrev_u32_e32 v7, 28, v6
	v_and_b32_e32 v3, 15, v3
	v_lshlrev_b32_e32 v7, v7, v5
	v_sub_u32_e32 v6, 29, v6
	v_and_b32_e32 v7, 7, v7
	v_cmp_eq_u16_e32 vcc, 0, v3
	v_cndmask_b32_e32 v4, v4, v7, vcc
	v_cndmask_b32_e32 v3, v3, v6, vcc
	v_lshlrev_b32_e32 v6, 24, v5
	v_mov_b32_e32 v7, 0x3b800000
	v_lshlrev_b32_e32 v4, 20, v4
	v_and_b32_e32 v6, 0x80000000, v6
	v_lshl_add_u32 v3, v3, 23, v7
	v_or3_b32 v3, v6, v3, v4
.LBB2_14056:
	s_or_b64 exec, exec, s[6:7]
	s_nop 0
	v_mfma_f32_16x16x4f32 a[0:3], v2, v3, a[0:3]
	v_lshrrev_b32_e32 v3, 8, v9
	s_movk_i32 s4, 0x7f
	v_cmp_gt_i16_sdwa s[6:7], v3, s4 src0_sel:BYTE_0 src1_sel:DWORD
	s_mov_b64 s[4:5], 0
                                        ; implicit-def: $sgpr10
	s_and_saveexec_b64 s[8:9], s[6:7]
	s_xor_b64 s[6:7], exec, s[8:9]
	s_cbranch_execz .LBB2_14057
; %bb.49897:
	s_getpc_b64 s[14:15]
.Lpost_getpc28532:
	s_add_u32 s14, s14, (.LBB2_28393-.Lpost_getpc28532)&4294967295
	s_addc_u32 s15, s15, (.LBB2_28393-.Lpost_getpc28532)>>32
	s_setpc_b64 s[14:15]
.LBB2_14057:
	s_or_saveexec_b64 s[6:7], s[6:7]
	v_mov_b32_e32 v2, s10
	s_xor_b64 exec, exec, s[6:7]
	s_cbranch_execz .LBB2_14058
; %bb.49899:
	s_getpc_b64 s[14:15]
.Lpost_getpc28533:
	s_add_u32 s14, s14, (.LBB2_28396-.Lpost_getpc28533)&4294967295
	s_addc_u32 s15, s15, (.LBB2_28396-.Lpost_getpc28533)>>32
	s_setpc_b64 s[14:15]
.LBB2_14058:
	s_or_b64 exec, exec, s[6:7]
	s_and_saveexec_b64 s[6:7], s[4:5]
	s_cbranch_execz .LBB2_14060
.LBB2_14059:
	v_bfe_u32 v2, v9, 8, 3
	v_ffbh_u32_e32 v6, v2
	v_min_u32_e32 v6, 32, v6
	v_lshrrev_b16_e32 v4, 3, v3
	v_subrev_u32_e32 v7, 28, v6
	v_and_b32_e32 v4, 15, v4
	v_lshlrev_b32_e32 v3, v7, v3
	v_sub_u32_e32 v6, 29, v6
	v_and_b32_e32 v3, 7, v3
	v_cmp_eq_u16_e32 vcc, 0, v4
	v_cndmask_b32_e32 v2, v2, v3, vcc
	v_cndmask_b32_e32 v3, v4, v6, vcc
	v_lshlrev_b32_e32 v4, 16, v9
	v_mov_b32_e32 v6, 0x3b800000
	v_lshlrev_b32_e32 v2, 20, v2
	v_and_b32_e32 v4, 0x80000000, v4
	v_lshl_add_u32 v3, v3, 23, v6
	v_or3_b32 v2, v4, v3, v2
.LBB2_14060:
	s_or_b64 exec, exec, s[6:7]
	v_lshrrev_b32_e32 v3, 8, v5
	s_movk_i32 s4, 0x7f
	v_cmp_gt_i16_sdwa s[6:7], v3, s4 src0_sel:BYTE_0 src1_sel:DWORD
	s_mov_b64 s[4:5], 0
                                        ; implicit-def: $sgpr10
	s_and_saveexec_b64 s[8:9], s[6:7]
	s_xor_b64 s[6:7], exec, s[8:9]
	s_cbranch_execz .LBB2_14061
; %bb.49901:
	s_getpc_b64 s[14:15]
.Lpost_getpc28534:
	s_add_u32 s14, s14, (.LBB2_28397-.Lpost_getpc28534)&4294967295
	s_addc_u32 s15, s15, (.LBB2_28397-.Lpost_getpc28534)>>32
	s_setpc_b64 s[14:15]
.LBB2_14061:
	s_or_saveexec_b64 s[6:7], s[6:7]
	v_mov_b32_e32 v4, s10
	s_xor_b64 exec, exec, s[6:7]
	s_cbranch_execz .LBB2_14062
; %bb.49903:
	s_getpc_b64 s[14:15]
.Lpost_getpc28535:
	s_add_u32 s14, s14, (.LBB2_28400-.Lpost_getpc28535)&4294967295
	s_addc_u32 s15, s15, (.LBB2_28400-.Lpost_getpc28535)>>32
	s_setpc_b64 s[14:15]
.LBB2_14062:
	s_or_b64 exec, exec, s[6:7]
	s_and_saveexec_b64 s[6:7], s[4:5]
	s_cbranch_execz .LBB2_14064
.LBB2_14063:
	v_bfe_u32 v4, v5, 8, 3
	v_ffbh_u32_e32 v7, v4
	v_min_u32_e32 v7, 32, v7
	v_lshrrev_b16_e32 v6, 3, v3
	v_subrev_u32_e32 v8, 28, v7
	v_and_b32_e32 v6, 15, v6
	v_lshlrev_b32_e32 v3, v8, v3
	v_sub_u32_e32 v7, 29, v7
	v_and_b32_e32 v3, 7, v3
	v_cmp_eq_u16_e32 vcc, 0, v6
	v_cndmask_b32_e32 v3, v4, v3, vcc
	v_cndmask_b32_e32 v4, v6, v7, vcc
	v_lshlrev_b32_e32 v6, 16, v5
	v_mov_b32_e32 v7, 0x3b800000
	v_lshlrev_b32_e32 v3, 20, v3
	v_and_b32_e32 v6, 0x80000000, v6
	v_lshl_add_u32 v4, v4, 23, v7
	v_or3_b32 v4, v6, v4, v3
.LBB2_14064:
	s_or_b64 exec, exec, s[6:7]
	s_nop 0
	v_mfma_f32_16x16x4f32 a[0:3], v2, v4, a[0:3]
	s_movk_i32 s4, 0xff
	v_and_b32_sdwa v3, v9, s4 dst_sel:DWORD dst_unused:UNUSED_PAD src0_sel:WORD_1 src1_sel:DWORD
	s_movk_i32 s4, 0x7f
	v_cmp_lt_i16_e32 vcc, s4, v3
	s_mov_b64 s[4:5], 0
                                        ; implicit-def: $sgpr10
	s_and_saveexec_b64 s[6:7], vcc
	s_xor_b64 s[6:7], exec, s[6:7]
	s_cbranch_execz .LBB2_14065
; %bb.49905:
	s_getpc_b64 s[14:15]
.Lpost_getpc28536:
	s_add_u32 s14, s14, (.LBB2_28401-.Lpost_getpc28536)&4294967295
	s_addc_u32 s15, s15, (.LBB2_28401-.Lpost_getpc28536)>>32
	s_setpc_b64 s[14:15]
.LBB2_14065:
	s_or_saveexec_b64 s[6:7], s[6:7]
	v_mov_b32_e32 v2, s10
	s_xor_b64 exec, exec, s[6:7]
	s_cbranch_execz .LBB2_14066
; %bb.49907:
	s_getpc_b64 s[14:15]
.Lpost_getpc28537:
	s_add_u32 s14, s14, (.LBB2_28404-.Lpost_getpc28537)&4294967295
	s_addc_u32 s15, s15, (.LBB2_28404-.Lpost_getpc28537)>>32
	s_setpc_b64 s[14:15]
.LBB2_14066:
	s_or_b64 exec, exec, s[6:7]
	s_and_saveexec_b64 s[6:7], s[4:5]
	s_cbranch_execz .LBB2_14068
.LBB2_14067:
	v_bfe_u32 v2, v9, 16, 3
	v_ffbh_u32_e32 v6, v2
	v_min_u32_e32 v6, 32, v6
	v_lshrrev_b32_e32 v3, 19, v9
	v_subrev_u32_e32 v7, 28, v6
	v_and_b32_e32 v3, 15, v3
	v_lshlrev_b32_sdwa v7, v7, v9 dst_sel:DWORD dst_unused:UNUSED_PAD src0_sel:DWORD src1_sel:WORD_1
	v_bfe_u32 v4, v9, 19, 4
	v_sub_u32_e32 v6, 29, v6
	v_and_b32_e32 v7, 7, v7
	v_cmp_eq_u16_e32 vcc, 0, v3
	v_cndmask_b32_e32 v2, v2, v7, vcc
	v_cndmask_b32_e32 v3, v4, v6, vcc
	v_lshlrev_b32_e32 v4, 8, v9
	v_mov_b32_e32 v6, 0x3b800000
	v_lshlrev_b32_e32 v2, 20, v2
	v_and_b32_e32 v4, 0x80000000, v4
	v_lshl_add_u32 v3, v3, 23, v6
	v_or3_b32 v2, v4, v3, v2
.LBB2_14068:
	s_or_b64 exec, exec, s[6:7]
	s_movk_i32 s4, 0xff
	v_and_b32_sdwa v3, v5, s4 dst_sel:DWORD dst_unused:UNUSED_PAD src0_sel:WORD_1 src1_sel:DWORD
	s_movk_i32 s4, 0x7f
	v_cmp_lt_i16_e32 vcc, s4, v3
	s_mov_b64 s[4:5], 0
                                        ; implicit-def: $sgpr10
	s_and_saveexec_b64 s[6:7], vcc
	s_xor_b64 s[6:7], exec, s[6:7]
	s_cbranch_execz .LBB2_14069
; %bb.49909:
	s_getpc_b64 s[14:15]
.Lpost_getpc28538:
	s_add_u32 s14, s14, (.LBB2_28405-.Lpost_getpc28538)&4294967295
	s_addc_u32 s15, s15, (.LBB2_28405-.Lpost_getpc28538)>>32
	s_setpc_b64 s[14:15]
.LBB2_14069:
	s_or_saveexec_b64 s[6:7], s[6:7]
	v_mov_b32_e32 v4, s10
	s_xor_b64 exec, exec, s[6:7]
	s_cbranch_execz .LBB2_14070
; %bb.49911:
	s_getpc_b64 s[14:15]
.Lpost_getpc28539:
	s_add_u32 s14, s14, (.LBB2_28408-.Lpost_getpc28539)&4294967295
	s_addc_u32 s15, s15, (.LBB2_28408-.Lpost_getpc28539)>>32
	s_setpc_b64 s[14:15]
.LBB2_14070:
	s_or_b64 exec, exec, s[6:7]
	s_and_saveexec_b64 s[6:7], s[4:5]
	s_cbranch_execz .LBB2_14072
.LBB2_14071:
	v_bfe_u32 v3, v5, 16, 3
	v_ffbh_u32_e32 v7, v3
	v_min_u32_e32 v7, 32, v7
	v_lshrrev_b32_e32 v4, 19, v5
	v_subrev_u32_e32 v8, 28, v7
	v_and_b32_e32 v4, 15, v4
	v_lshlrev_b32_sdwa v8, v8, v5 dst_sel:DWORD dst_unused:UNUSED_PAD src0_sel:DWORD src1_sel:WORD_1
	v_bfe_u32 v6, v5, 19, 4
	v_sub_u32_e32 v7, 29, v7
	v_and_b32_e32 v8, 7, v8
	v_cmp_eq_u16_e32 vcc, 0, v4
	v_cndmask_b32_e32 v3, v3, v8, vcc
	v_cndmask_b32_e32 v4, v6, v7, vcc
	v_lshlrev_b32_e32 v6, 8, v5
	v_mov_b32_e32 v7, 0x3b800000
	v_lshlrev_b32_e32 v3, 20, v3
	v_and_b32_e32 v6, 0x80000000, v6
	v_lshl_add_u32 v4, v4, 23, v7
	v_or3_b32 v4, v6, v4, v3
.LBB2_14072:
	s_or_b64 exec, exec, s[6:7]
	s_nop 0
	v_mfma_f32_16x16x4f32 a[0:3], v2, v4, a[0:3]
	s_movk_i32 s4, 0x7f
	v_cmp_gt_i16_sdwa s[6:7], v9, s4 src0_sel:BYTE_3 src1_sel:DWORD
	s_mov_b64 s[4:5], 0
                                        ; implicit-def: $sgpr10
	s_and_saveexec_b64 s[8:9], s[6:7]
	s_xor_b64 s[6:7], exec, s[8:9]
	s_cbranch_execz .LBB2_14073
; %bb.49913:
	s_getpc_b64 s[14:15]
.Lpost_getpc28540:
	s_add_u32 s14, s14, (.LBB2_28409-.Lpost_getpc28540)&4294967295
	s_addc_u32 s15, s15, (.LBB2_28409-.Lpost_getpc28540)>>32
	s_setpc_b64 s[14:15]
.LBB2_14073:
	s_or_saveexec_b64 s[6:7], s[6:7]
	v_mov_b32_e32 v2, s10
	s_xor_b64 exec, exec, s[6:7]
	s_cbranch_execz .LBB2_14074
; %bb.49915:
	s_getpc_b64 s[14:15]
.Lpost_getpc28541:
	s_add_u32 s14, s14, (.LBB2_28412-.Lpost_getpc28541)&4294967295
	s_addc_u32 s15, s15, (.LBB2_28412-.Lpost_getpc28541)>>32
	s_setpc_b64 s[14:15]
.LBB2_14074:
	s_or_b64 exec, exec, s[6:7]
	s_and_saveexec_b64 s[6:7], s[4:5]
	s_cbranch_execz .LBB2_14076
.LBB2_14075:
	v_bfe_u32 v2, v9, 24, 3
	v_ffbh_u32_e32 v7, v2
	v_min_u32_e32 v7, 32, v7
	v_lshrrev_b32_e32 v4, 27, v9
	v_subrev_u32_e32 v8, 28, v7
	v_and_b32_e32 v4, 15, v4
	v_lshlrev_b32_sdwa v8, v8, v9 dst_sel:DWORD dst_unused:UNUSED_PAD src0_sel:DWORD src1_sel:BYTE_3
	v_bfe_u32 v6, v9, 27, 4
	v_sub_u32_e32 v7, 29, v7
	v_and_b32_e32 v8, 7, v8
	v_cmp_eq_u16_e32 vcc, 0, v4
	v_cndmask_b32_e32 v2, v2, v8, vcc
	v_cndmask_b32_e32 v4, v6, v7, vcc
	v_mov_b32_e32 v6, 0x3b800000
	v_and_b32_e32 v3, 0x80000000, v9
	v_lshlrev_b32_e32 v2, 20, v2
	v_lshl_add_u32 v4, v4, 23, v6
	v_or3_b32 v2, v3, v4, v2
.LBB2_14076:
	s_or_b64 exec, exec, s[6:7]
	s_movk_i32 s4, 0x7f
	v_cmp_gt_i16_sdwa s[6:7], v5, s4 src0_sel:BYTE_3 src1_sel:DWORD
	s_mov_b64 s[4:5], 0
                                        ; implicit-def: $sgpr10
	s_and_saveexec_b64 s[8:9], s[6:7]
	s_xor_b64 s[6:7], exec, s[8:9]
	s_cbranch_execz .LBB2_14077
; %bb.49917:
	s_getpc_b64 s[14:15]
.Lpost_getpc28542:
	s_add_u32 s14, s14, (.LBB2_28413-.Lpost_getpc28542)&4294967295
	s_addc_u32 s15, s15, (.LBB2_28413-.Lpost_getpc28542)>>32
	s_setpc_b64 s[14:15]
.LBB2_14077:
	s_or_saveexec_b64 s[6:7], s[6:7]
	v_mov_b32_e32 v3, s10
	s_xor_b64 exec, exec, s[6:7]
	s_cbranch_execz .LBB2_14078
; %bb.49919:
	s_getpc_b64 s[14:15]
.Lpost_getpc28543:
	s_add_u32 s14, s14, (.LBB2_28416-.Lpost_getpc28543)&4294967295
	s_addc_u32 s15, s15, (.LBB2_28416-.Lpost_getpc28543)>>32
	s_setpc_b64 s[14:15]
.LBB2_14078:
	s_or_b64 exec, exec, s[6:7]
	s_and_saveexec_b64 s[6:7], s[4:5]
	s_cbranch_execz .LBB2_14080
.LBB2_14079:
	v_bfe_u32 v3, v5, 24, 3
	v_ffbh_u32_e32 v8, v3
	v_min_u32_e32 v8, 32, v8
	v_lshrrev_b32_e32 v6, 27, v5
	v_subrev_u32_e32 v9, 28, v8
	v_and_b32_e32 v4, 0x80000000, v5
	v_and_b32_e32 v6, 15, v6
	v_bfe_u32 v7, v5, 27, 4
	v_lshlrev_b32_sdwa v5, v9, v5 dst_sel:DWORD dst_unused:UNUSED_PAD src0_sel:DWORD src1_sel:BYTE_3
	v_sub_u32_e32 v8, 29, v8
	v_and_b32_e32 v5, 7, v5
	v_cmp_eq_u16_e32 vcc, 0, v6
	v_cndmask_b32_e32 v3, v3, v5, vcc
	v_cndmask_b32_e32 v5, v7, v8, vcc
	v_mov_b32_e32 v6, 0x3b800000
	v_lshlrev_b32_e32 v3, 20, v3
	v_lshl_add_u32 v5, v5, 23, v6
	v_or3_b32 v3, v4, v5, v3
.LBB2_14080:
	s_or_b64 exec, exec, s[6:7]
	s_nop 0
	v_mfma_f32_16x16x4f32 a[0:3], v2, v3, a[0:3]
	s_movk_i32 s4, 0x7f
                                        ; implicit-def: $sgpr10
	s_nop 7
	s_nop 1
	flat_store_dwordx4 v[10:11], a[0:3] offset:848
	flat_load_dwordx4 v[12:15], v[0:1]
	s_nop 0
	flat_load_dwordx2 v[10:11], v[0:1] offset:16
	s_waitcnt vmcnt(0) lgkmcnt(0)
	flat_load_dwordx4 v[6:9], v[12:13] offset:208
	flat_load_dwordx4 v[2:5], v[14:15] offset:224
	s_waitcnt vmcnt(0) lgkmcnt(0)
	v_cmp_gt_i16_sdwa s[6:7], v6, s4 src0_sel:BYTE_0 src1_sel:DWORD
	s_mov_b64 s[4:5], 0
	s_and_saveexec_b64 s[8:9], s[6:7]
	s_xor_b64 s[6:7], exec, s[8:9]
	s_cbranch_execz .LBB2_14081
; %bb.49921:
	s_getpc_b64 s[14:15]
.Lpost_getpc28544:
	s_add_u32 s14, s14, (.LBB2_28417-.Lpost_getpc28544)&4294967295
	s_addc_u32 s15, s15, (.LBB2_28417-.Lpost_getpc28544)>>32
	s_setpc_b64 s[14:15]
.LBB2_14081:
	s_or_saveexec_b64 s[6:7], s[6:7]
	v_mov_b32_e32 v12, s10
	s_xor_b64 exec, exec, s[6:7]
	s_cbranch_execz .LBB2_14082
; %bb.49923:
	s_getpc_b64 s[14:15]
.Lpost_getpc28545:
	s_add_u32 s14, s14, (.LBB2_28420-.Lpost_getpc28545)&4294967295
	s_addc_u32 s15, s15, (.LBB2_28420-.Lpost_getpc28545)>>32
	s_setpc_b64 s[14:15]
.LBB2_14082:
	s_or_b64 exec, exec, s[6:7]
	s_and_saveexec_b64 s[6:7], s[4:5]
	s_cbranch_execz .LBB2_14084
.LBB2_14083:
	v_and_b32_e32 v12, 7, v6
	v_ffbh_u32_e32 v14, v12
	v_min_u32_e32 v14, 32, v14
	v_lshrrev_b16_e32 v13, 3, v6
	v_subrev_u32_e32 v15, 28, v14
	v_and_b32_e32 v13, 15, v13
	v_lshlrev_b32_e32 v15, v15, v6
	v_sub_u32_e32 v14, 29, v14
	v_and_b32_e32 v15, 7, v15
	v_cmp_eq_u16_e32 vcc, 0, v13
	v_cndmask_b32_e32 v12, v12, v15, vcc
	v_cndmask_b32_e32 v13, v13, v14, vcc
	v_lshlrev_b32_e32 v14, 24, v6
	v_mov_b32_e32 v15, 0x3b800000
	v_lshlrev_b32_e32 v12, 20, v12
	v_and_b32_e32 v14, 0x80000000, v14
	v_lshl_add_u32 v13, v13, 23, v15
	v_or3_b32 v12, v14, v13, v12
.LBB2_14084:
	s_or_b64 exec, exec, s[6:7]
	s_movk_i32 s4, 0x7f
	v_cmp_gt_i16_sdwa s[6:7], v2, s4 src0_sel:BYTE_0 src1_sel:DWORD
	s_mov_b64 s[4:5], 0
                                        ; implicit-def: $sgpr10
	s_and_saveexec_b64 s[8:9], s[6:7]
	s_xor_b64 s[6:7], exec, s[8:9]
	s_cbranch_execz .LBB2_14085
; %bb.49925:
	s_getpc_b64 s[14:15]
.Lpost_getpc28546:
	s_add_u32 s14, s14, (.LBB2_28421-.Lpost_getpc28546)&4294967295
	s_addc_u32 s15, s15, (.LBB2_28421-.Lpost_getpc28546)>>32
	s_setpc_b64 s[14:15]
.LBB2_14085:
	s_or_saveexec_b64 s[6:7], s[6:7]
	v_mov_b32_e32 v13, s10
	s_xor_b64 exec, exec, s[6:7]
	s_cbranch_execz .LBB2_14086
; %bb.49927:
	s_getpc_b64 s[14:15]
.Lpost_getpc28547:
	s_add_u32 s14, s14, (.LBB2_28424-.Lpost_getpc28547)&4294967295
	s_addc_u32 s15, s15, (.LBB2_28424-.Lpost_getpc28547)>>32
	s_setpc_b64 s[14:15]
.LBB2_14086:
	s_or_b64 exec, exec, s[6:7]
	s_and_saveexec_b64 s[6:7], s[4:5]
	s_cbranch_execz .LBB2_14088
.LBB2_14087:
	v_and_b32_e32 v13, 7, v2
	v_ffbh_u32_e32 v15, v13
	v_min_u32_e32 v15, 32, v15
	v_lshrrev_b16_e32 v14, 3, v2
	v_subrev_u32_e32 v16, 28, v15
	v_and_b32_e32 v14, 15, v14
	v_lshlrev_b32_e32 v16, v16, v2
	v_sub_u32_e32 v15, 29, v15
	v_and_b32_e32 v16, 7, v16
	v_cmp_eq_u16_e32 vcc, 0, v14
	v_cndmask_b32_e32 v13, v13, v16, vcc
	v_cndmask_b32_e32 v14, v14, v15, vcc
	v_lshlrev_b32_e32 v15, 24, v2
	v_mov_b32_e32 v16, 0x3b800000
	v_lshlrev_b32_e32 v13, 20, v13
	v_and_b32_e32 v15, 0x80000000, v15
	v_lshl_add_u32 v14, v14, 23, v16
	v_or3_b32 v13, v15, v14, v13
.LBB2_14088:
	s_or_b64 exec, exec, s[6:7]
	flat_load_dwordx4 a[0:3], v[10:11] offset:864
	s_movk_i32 s4, 0x7f
                                        ; implicit-def: $sgpr10
	s_waitcnt vmcnt(0) lgkmcnt(0)
	v_mfma_f32_16x16x4f32 a[0:3], v12, v13, a[0:3]
	v_lshrrev_b32_e32 v13, 8, v6
	v_cmp_gt_i16_sdwa s[6:7], v13, s4 src0_sel:BYTE_0 src1_sel:DWORD
	s_mov_b64 s[4:5], 0
	s_and_saveexec_b64 s[8:9], s[6:7]
	s_xor_b64 s[6:7], exec, s[8:9]
	s_cbranch_execz .LBB2_14089
; %bb.49929:
	s_getpc_b64 s[14:15]
.Lpost_getpc28548:
	s_add_u32 s14, s14, (.LBB2_28425-.Lpost_getpc28548)&4294967295
	s_addc_u32 s15, s15, (.LBB2_28425-.Lpost_getpc28548)>>32
	s_setpc_b64 s[14:15]
.LBB2_14089:
	s_or_saveexec_b64 s[6:7], s[6:7]
	v_mov_b32_e32 v12, s10
	s_xor_b64 exec, exec, s[6:7]
	s_cbranch_execz .LBB2_14090
; %bb.49931:
	s_getpc_b64 s[14:15]
.Lpost_getpc28549:
	s_add_u32 s14, s14, (.LBB2_28428-.Lpost_getpc28549)&4294967295
	s_addc_u32 s15, s15, (.LBB2_28428-.Lpost_getpc28549)>>32
	s_setpc_b64 s[14:15]
.LBB2_14090:
	s_or_b64 exec, exec, s[6:7]
	s_and_saveexec_b64 s[6:7], s[4:5]
	s_cbranch_execz .LBB2_14092
.LBB2_14091:
	v_bfe_u32 v12, v6, 8, 3
	v_ffbh_u32_e32 v15, v12
	v_min_u32_e32 v15, 32, v15
	v_lshrrev_b16_e32 v14, 3, v13
	v_subrev_u32_e32 v16, 28, v15
	v_and_b32_e32 v14, 15, v14
	v_lshlrev_b32_e32 v13, v16, v13
	v_sub_u32_e32 v15, 29, v15
	v_and_b32_e32 v13, 7, v13
	v_cmp_eq_u16_e32 vcc, 0, v14
	v_cndmask_b32_e32 v12, v12, v13, vcc
	v_cndmask_b32_e32 v13, v14, v15, vcc
	v_lshlrev_b32_e32 v14, 16, v6
	v_mov_b32_e32 v15, 0x3b800000
	v_lshlrev_b32_e32 v12, 20, v12
	v_and_b32_e32 v14, 0x80000000, v14
	v_lshl_add_u32 v13, v13, 23, v15
	v_or3_b32 v12, v14, v13, v12
.LBB2_14092:
	s_or_b64 exec, exec, s[6:7]
	v_lshrrev_b32_e32 v13, 8, v2
	s_movk_i32 s4, 0x7f
	v_cmp_gt_i16_sdwa s[6:7], v13, s4 src0_sel:BYTE_0 src1_sel:DWORD
	s_mov_b64 s[4:5], 0
                                        ; implicit-def: $sgpr10
	s_and_saveexec_b64 s[8:9], s[6:7]
	s_xor_b64 s[6:7], exec, s[8:9]
	s_cbranch_execz .LBB2_14093
; %bb.49933:
	s_getpc_b64 s[14:15]
.Lpost_getpc28550:
	s_add_u32 s14, s14, (.LBB2_28429-.Lpost_getpc28550)&4294967295
	s_addc_u32 s15, s15, (.LBB2_28429-.Lpost_getpc28550)>>32
	s_setpc_b64 s[14:15]
.LBB2_14093:
	s_or_saveexec_b64 s[6:7], s[6:7]
	v_mov_b32_e32 v14, s10
	s_xor_b64 exec, exec, s[6:7]
	s_cbranch_execz .LBB2_14094
; %bb.49935:
	s_getpc_b64 s[14:15]
.Lpost_getpc28551:
	s_add_u32 s14, s14, (.LBB2_28432-.Lpost_getpc28551)&4294967295
	s_addc_u32 s15, s15, (.LBB2_28432-.Lpost_getpc28551)>>32
	s_setpc_b64 s[14:15]
.LBB2_14094:
	s_or_b64 exec, exec, s[6:7]
	s_and_saveexec_b64 s[6:7], s[4:5]
	s_cbranch_execz .LBB2_14096
.LBB2_14095:
	v_bfe_u32 v14, v2, 8, 3
	v_ffbh_u32_e32 v16, v14
	v_min_u32_e32 v16, 32, v16
	v_lshrrev_b16_e32 v15, 3, v13
	v_subrev_u32_e32 v17, 28, v16
	v_and_b32_e32 v15, 15, v15
	v_lshlrev_b32_e32 v13, v17, v13
	v_sub_u32_e32 v16, 29, v16
	v_and_b32_e32 v13, 7, v13
	v_cmp_eq_u16_e32 vcc, 0, v15
	v_cndmask_b32_e32 v13, v14, v13, vcc
	v_cndmask_b32_e32 v14, v15, v16, vcc
	v_lshlrev_b32_e32 v15, 16, v2
	v_mov_b32_e32 v16, 0x3b800000
	v_lshlrev_b32_e32 v13, 20, v13
	v_and_b32_e32 v15, 0x80000000, v15
	v_lshl_add_u32 v14, v14, 23, v16
	v_or3_b32 v14, v15, v14, v13
.LBB2_14096:
	s_or_b64 exec, exec, s[6:7]
	s_nop 0
	v_mfma_f32_16x16x4f32 a[0:3], v12, v14, a[0:3]
	s_movk_i32 s4, 0xff
	v_and_b32_sdwa v13, v6, s4 dst_sel:DWORD dst_unused:UNUSED_PAD src0_sel:WORD_1 src1_sel:DWORD
	s_movk_i32 s4, 0x7f
	v_cmp_lt_i16_e32 vcc, s4, v13
	s_mov_b64 s[4:5], 0
                                        ; implicit-def: $sgpr10
	s_and_saveexec_b64 s[6:7], vcc
	s_xor_b64 s[6:7], exec, s[6:7]
	s_cbranch_execz .LBB2_14097
; %bb.49937:
	s_getpc_b64 s[14:15]
.Lpost_getpc28552:
	s_add_u32 s14, s14, (.LBB2_28433-.Lpost_getpc28552)&4294967295
	s_addc_u32 s15, s15, (.LBB2_28433-.Lpost_getpc28552)>>32
	s_setpc_b64 s[14:15]
.LBB2_14097:
	s_or_saveexec_b64 s[6:7], s[6:7]
	v_mov_b32_e32 v12, s10
	s_xor_b64 exec, exec, s[6:7]
	s_cbranch_execz .LBB2_14098
; %bb.49939:
	s_getpc_b64 s[14:15]
.Lpost_getpc28553:
	s_add_u32 s14, s14, (.LBB2_28436-.Lpost_getpc28553)&4294967295
	s_addc_u32 s15, s15, (.LBB2_28436-.Lpost_getpc28553)>>32
	s_setpc_b64 s[14:15]
.LBB2_14098:
	s_or_b64 exec, exec, s[6:7]
	s_and_saveexec_b64 s[6:7], s[4:5]
	s_cbranch_execz .LBB2_14100
.LBB2_14099:
	v_bfe_u32 v12, v6, 16, 3
	v_ffbh_u32_e32 v15, v12
	v_min_u32_e32 v15, 32, v15
	v_lshrrev_b32_e32 v13, 19, v6
	v_subrev_u32_e32 v16, 28, v15
	v_and_b32_e32 v13, 15, v13
	v_lshlrev_b32_sdwa v16, v16, v6 dst_sel:DWORD dst_unused:UNUSED_PAD src0_sel:DWORD src1_sel:WORD_1
	v_bfe_u32 v14, v6, 19, 4
	v_sub_u32_e32 v15, 29, v15
	v_and_b32_e32 v16, 7, v16
	v_cmp_eq_u16_e32 vcc, 0, v13
	v_cndmask_b32_e32 v12, v12, v16, vcc
	v_cndmask_b32_e32 v13, v14, v15, vcc
	v_lshlrev_b32_e32 v14, 8, v6
	v_mov_b32_e32 v15, 0x3b800000
	v_lshlrev_b32_e32 v12, 20, v12
	v_and_b32_e32 v14, 0x80000000, v14
	v_lshl_add_u32 v13, v13, 23, v15
	v_or3_b32 v12, v14, v13, v12
.LBB2_14100:
	s_or_b64 exec, exec, s[6:7]
	s_movk_i32 s4, 0xff
	v_and_b32_sdwa v13, v2, s4 dst_sel:DWORD dst_unused:UNUSED_PAD src0_sel:WORD_1 src1_sel:DWORD
	s_movk_i32 s4, 0x7f
	v_cmp_lt_i16_e32 vcc, s4, v13
	s_mov_b64 s[4:5], 0
                                        ; implicit-def: $sgpr10
	s_and_saveexec_b64 s[6:7], vcc
	s_xor_b64 s[6:7], exec, s[6:7]
	s_cbranch_execz .LBB2_14101
; %bb.49941:
	s_getpc_b64 s[14:15]
.Lpost_getpc28554:
	s_add_u32 s14, s14, (.LBB2_28437-.Lpost_getpc28554)&4294967295
	s_addc_u32 s15, s15, (.LBB2_28437-.Lpost_getpc28554)>>32
	s_setpc_b64 s[14:15]
.LBB2_14101:
	s_or_saveexec_b64 s[6:7], s[6:7]
	v_mov_b32_e32 v14, s10
	s_xor_b64 exec, exec, s[6:7]
	s_cbranch_execz .LBB2_14102
; %bb.49943:
	s_getpc_b64 s[14:15]
.Lpost_getpc28555:
	s_add_u32 s14, s14, (.LBB2_28440-.Lpost_getpc28555)&4294967295
	s_addc_u32 s15, s15, (.LBB2_28440-.Lpost_getpc28555)>>32
	s_setpc_b64 s[14:15]
.LBB2_14102:
	s_or_b64 exec, exec, s[6:7]
	s_and_saveexec_b64 s[6:7], s[4:5]
	s_cbranch_execz .LBB2_14104
.LBB2_14103:
	v_bfe_u32 v13, v2, 16, 3
	v_ffbh_u32_e32 v16, v13
	v_min_u32_e32 v16, 32, v16
	v_lshrrev_b32_e32 v14, 19, v2
	v_subrev_u32_e32 v17, 28, v16
	v_and_b32_e32 v14, 15, v14
	v_lshlrev_b32_sdwa v17, v17, v2 dst_sel:DWORD dst_unused:UNUSED_PAD src0_sel:DWORD src1_sel:WORD_1
	v_bfe_u32 v15, v2, 19, 4
	v_sub_u32_e32 v16, 29, v16
	v_and_b32_e32 v17, 7, v17
	v_cmp_eq_u16_e32 vcc, 0, v14
	v_cndmask_b32_e32 v13, v13, v17, vcc
	v_cndmask_b32_e32 v14, v15, v16, vcc
	v_lshlrev_b32_e32 v15, 8, v2
	v_mov_b32_e32 v16, 0x3b800000
	v_lshlrev_b32_e32 v13, 20, v13
	v_and_b32_e32 v15, 0x80000000, v15
	v_lshl_add_u32 v14, v14, 23, v16
	v_or3_b32 v14, v15, v14, v13
.LBB2_14104:
	s_or_b64 exec, exec, s[6:7]
	s_nop 0
	v_mfma_f32_16x16x4f32 a[0:3], v12, v14, a[0:3]
	s_movk_i32 s4, 0x7f
	v_cmp_gt_i16_sdwa s[6:7], v6, s4 src0_sel:BYTE_3 src1_sel:DWORD
	s_mov_b64 s[4:5], 0
                                        ; implicit-def: $sgpr10
	s_and_saveexec_b64 s[8:9], s[6:7]
	s_xor_b64 s[6:7], exec, s[8:9]
	s_cbranch_execz .LBB2_14105
; %bb.49945:
	s_getpc_b64 s[14:15]
.Lpost_getpc28556:
	s_add_u32 s14, s14, (.LBB2_28441-.Lpost_getpc28556)&4294967295
	s_addc_u32 s15, s15, (.LBB2_28441-.Lpost_getpc28556)>>32
	s_setpc_b64 s[14:15]
.LBB2_14105:
	s_or_saveexec_b64 s[6:7], s[6:7]
	v_mov_b32_e32 v12, s10
	s_xor_b64 exec, exec, s[6:7]
	s_cbranch_execz .LBB2_14106
; %bb.49947:
	s_getpc_b64 s[14:15]
.Lpost_getpc28557:
	s_add_u32 s14, s14, (.LBB2_28444-.Lpost_getpc28557)&4294967295
	s_addc_u32 s15, s15, (.LBB2_28444-.Lpost_getpc28557)>>32
	s_setpc_b64 s[14:15]
.LBB2_14106:
	s_or_b64 exec, exec, s[6:7]
	s_and_saveexec_b64 s[6:7], s[4:5]
	s_cbranch_execz .LBB2_14108
.LBB2_14107:
	v_bfe_u32 v12, v6, 24, 3
	v_ffbh_u32_e32 v16, v12
	v_min_u32_e32 v16, 32, v16
	v_lshrrev_b32_e32 v14, 27, v6
	v_subrev_u32_e32 v17, 28, v16
	v_and_b32_e32 v13, 0x80000000, v6
	v_and_b32_e32 v14, 15, v14
	v_bfe_u32 v15, v6, 27, 4
	v_lshlrev_b32_sdwa v6, v17, v6 dst_sel:DWORD dst_unused:UNUSED_PAD src0_sel:DWORD src1_sel:BYTE_3
	v_sub_u32_e32 v16, 29, v16
	v_and_b32_e32 v6, 7, v6
	v_cmp_eq_u16_e32 vcc, 0, v14
	v_cndmask_b32_e32 v6, v12, v6, vcc
	v_cndmask_b32_e32 v12, v15, v16, vcc
	v_mov_b32_e32 v14, 0x3b800000
	v_lshlrev_b32_e32 v6, 20, v6
	v_lshl_add_u32 v12, v12, 23, v14
	v_or3_b32 v12, v13, v12, v6
.LBB2_14108:
	s_or_b64 exec, exec, s[6:7]
	s_movk_i32 s4, 0x7f
	v_cmp_gt_i16_sdwa s[6:7], v2, s4 src0_sel:BYTE_3 src1_sel:DWORD
	s_mov_b64 s[4:5], 0
                                        ; implicit-def: $sgpr10
	s_and_saveexec_b64 s[8:9], s[6:7]
	s_xor_b64 s[6:7], exec, s[8:9]
	s_cbranch_execz .LBB2_14109
; %bb.49949:
	s_getpc_b64 s[14:15]
.Lpost_getpc28558:
	s_add_u32 s14, s14, (.LBB2_28445-.Lpost_getpc28558)&4294967295
	s_addc_u32 s15, s15, (.LBB2_28445-.Lpost_getpc28558)>>32
	s_setpc_b64 s[14:15]
.LBB2_14109:
	s_or_saveexec_b64 s[6:7], s[6:7]
	v_mov_b32_e32 v6, s10
	s_xor_b64 exec, exec, s[6:7]
	s_cbranch_execz .LBB2_14110
; %bb.49951:
	s_getpc_b64 s[14:15]
.Lpost_getpc28559:
	s_add_u32 s14, s14, (.LBB2_28448-.Lpost_getpc28559)&4294967295
	s_addc_u32 s15, s15, (.LBB2_28448-.Lpost_getpc28559)>>32
	s_setpc_b64 s[14:15]
.LBB2_14110:
	s_or_b64 exec, exec, s[6:7]
	s_and_saveexec_b64 s[6:7], s[4:5]
	s_cbranch_execz .LBB2_14112
.LBB2_14111:
	v_bfe_u32 v6, v2, 24, 3
	v_ffbh_u32_e32 v16, v6
	v_min_u32_e32 v16, 32, v16
	v_lshrrev_b32_e32 v14, 27, v2
	v_subrev_u32_e32 v17, 28, v16
	v_and_b32_e32 v13, 0x80000000, v2
	v_and_b32_e32 v14, 15, v14
	v_bfe_u32 v15, v2, 27, 4
	v_lshlrev_b32_sdwa v2, v17, v2 dst_sel:DWORD dst_unused:UNUSED_PAD src0_sel:DWORD src1_sel:BYTE_3
	v_sub_u32_e32 v16, 29, v16
	v_and_b32_e32 v2, 7, v2
	v_cmp_eq_u16_e32 vcc, 0, v14
	v_cndmask_b32_e32 v2, v6, v2, vcc
	v_cndmask_b32_e32 v6, v15, v16, vcc
	v_mov_b32_e32 v14, 0x3b800000
	v_lshlrev_b32_e32 v2, 20, v2
	v_lshl_add_u32 v6, v6, 23, v14
	v_or3_b32 v6, v13, v6, v2
.LBB2_14112:
	s_or_b64 exec, exec, s[6:7]
	s_nop 0
	v_mfma_f32_16x16x4f32 a[0:3], v12, v6, a[0:3]
	s_movk_i32 s4, 0x7f
	v_cmp_gt_i16_sdwa s[6:7], v7, s4 src0_sel:BYTE_0 src1_sel:DWORD
	s_mov_b64 s[4:5], 0
                                        ; implicit-def: $sgpr10
	s_and_saveexec_b64 s[8:9], s[6:7]
	s_xor_b64 s[6:7], exec, s[8:9]
	s_cbranch_execz .LBB2_14113
; %bb.49953:
	s_getpc_b64 s[14:15]
.Lpost_getpc28560:
	s_add_u32 s14, s14, (.LBB2_28449-.Lpost_getpc28560)&4294967295
	s_addc_u32 s15, s15, (.LBB2_28449-.Lpost_getpc28560)>>32
	s_setpc_b64 s[14:15]
.LBB2_14113:
	s_or_saveexec_b64 s[6:7], s[6:7]
	v_mov_b32_e32 v2, s10
	s_xor_b64 exec, exec, s[6:7]
	s_cbranch_execz .LBB2_14114
; %bb.49955:
	s_getpc_b64 s[14:15]
.Lpost_getpc28561:
	s_add_u32 s14, s14, (.LBB2_28452-.Lpost_getpc28561)&4294967295
	s_addc_u32 s15, s15, (.LBB2_28452-.Lpost_getpc28561)>>32
	s_setpc_b64 s[14:15]
.LBB2_14114:
	s_or_b64 exec, exec, s[6:7]
	s_and_saveexec_b64 s[6:7], s[4:5]
	s_cbranch_execz .LBB2_14116
.LBB2_14115:
	v_and_b32_e32 v2, 7, v7
	v_ffbh_u32_e32 v12, v2
	v_min_u32_e32 v12, 32, v12
	v_lshrrev_b16_e32 v6, 3, v7
	v_subrev_u32_e32 v13, 28, v12
	v_and_b32_e32 v6, 15, v6
	v_lshlrev_b32_e32 v13, v13, v7
	v_sub_u32_e32 v12, 29, v12
	v_and_b32_e32 v13, 7, v13
	v_cmp_eq_u16_e32 vcc, 0, v6
	v_cndmask_b32_e32 v2, v2, v13, vcc
	v_cndmask_b32_e32 v6, v6, v12, vcc
	v_lshlrev_b32_e32 v12, 24, v7
	v_mov_b32_e32 v13, 0x3b800000
	v_lshlrev_b32_e32 v2, 20, v2
	v_and_b32_e32 v12, 0x80000000, v12
	v_lshl_add_u32 v6, v6, 23, v13
	v_or3_b32 v2, v12, v6, v2
.LBB2_14116:
	s_or_b64 exec, exec, s[6:7]
	s_movk_i32 s4, 0x7f
	v_cmp_gt_i16_sdwa s[6:7], v3, s4 src0_sel:BYTE_0 src1_sel:DWORD
	s_mov_b64 s[4:5], 0
                                        ; implicit-def: $sgpr10
	s_and_saveexec_b64 s[8:9], s[6:7]
	s_xor_b64 s[6:7], exec, s[8:9]
	s_cbranch_execz .LBB2_14117
; %bb.49957:
	s_getpc_b64 s[14:15]
.Lpost_getpc28562:
	s_add_u32 s14, s14, (.LBB2_28453-.Lpost_getpc28562)&4294967295
	s_addc_u32 s15, s15, (.LBB2_28453-.Lpost_getpc28562)>>32
	s_setpc_b64 s[14:15]
.LBB2_14117:
	s_or_saveexec_b64 s[6:7], s[6:7]
	v_mov_b32_e32 v6, s10
	s_xor_b64 exec, exec, s[6:7]
	s_cbranch_execz .LBB2_14118
; %bb.49959:
	s_getpc_b64 s[14:15]
.Lpost_getpc28563:
	s_add_u32 s14, s14, (.LBB2_28456-.Lpost_getpc28563)&4294967295
	s_addc_u32 s15, s15, (.LBB2_28456-.Lpost_getpc28563)>>32
	s_setpc_b64 s[14:15]
.LBB2_14118:
	s_or_b64 exec, exec, s[6:7]
	s_and_saveexec_b64 s[6:7], s[4:5]
	s_cbranch_execz .LBB2_14120
.LBB2_14119:
	v_and_b32_e32 v6, 7, v3
	v_ffbh_u32_e32 v13, v6
	v_min_u32_e32 v13, 32, v13
	v_lshrrev_b16_e32 v12, 3, v3
	v_subrev_u32_e32 v14, 28, v13
	v_and_b32_e32 v12, 15, v12
	v_lshlrev_b32_e32 v14, v14, v3
	v_sub_u32_e32 v13, 29, v13
	v_and_b32_e32 v14, 7, v14
	v_cmp_eq_u16_e32 vcc, 0, v12
	v_cndmask_b32_e32 v6, v6, v14, vcc
	v_cndmask_b32_e32 v12, v12, v13, vcc
	v_lshlrev_b32_e32 v13, 24, v3
	v_mov_b32_e32 v14, 0x3b800000
	v_lshlrev_b32_e32 v6, 20, v6
	v_and_b32_e32 v13, 0x80000000, v13
	v_lshl_add_u32 v12, v12, 23, v14
	v_or3_b32 v6, v13, v12, v6
.LBB2_14120:
	s_or_b64 exec, exec, s[6:7]
	s_nop 0
	v_mfma_f32_16x16x4f32 a[0:3], v2, v6, a[0:3]
	v_lshrrev_b32_e32 v6, 8, v7
	s_movk_i32 s4, 0x7f
	v_cmp_gt_i16_sdwa s[6:7], v6, s4 src0_sel:BYTE_0 src1_sel:DWORD
	s_mov_b64 s[4:5], 0
                                        ; implicit-def: $sgpr10
	s_and_saveexec_b64 s[8:9], s[6:7]
	s_xor_b64 s[6:7], exec, s[8:9]
	s_cbranch_execz .LBB2_14121
; %bb.49961:
	s_getpc_b64 s[14:15]
.Lpost_getpc28564:
	s_add_u32 s14, s14, (.LBB2_28457-.Lpost_getpc28564)&4294967295
	s_addc_u32 s15, s15, (.LBB2_28457-.Lpost_getpc28564)>>32
	s_setpc_b64 s[14:15]
.LBB2_14121:
	s_or_saveexec_b64 s[6:7], s[6:7]
	v_mov_b32_e32 v2, s10
	s_xor_b64 exec, exec, s[6:7]
	s_cbranch_execz .LBB2_14122
; %bb.49963:
	s_getpc_b64 s[14:15]
.Lpost_getpc28565:
	s_add_u32 s14, s14, (.LBB2_28460-.Lpost_getpc28565)&4294967295
	s_addc_u32 s15, s15, (.LBB2_28460-.Lpost_getpc28565)>>32
	s_setpc_b64 s[14:15]
.LBB2_14122:
	s_or_b64 exec, exec, s[6:7]
	s_and_saveexec_b64 s[6:7], s[4:5]
	s_cbranch_execz .LBB2_14124
.LBB2_14123:
	v_bfe_u32 v2, v7, 8, 3
	v_ffbh_u32_e32 v13, v2
	v_min_u32_e32 v13, 32, v13
	v_lshrrev_b16_e32 v12, 3, v6
	v_subrev_u32_e32 v14, 28, v13
	v_and_b32_e32 v12, 15, v12
	v_lshlrev_b32_e32 v6, v14, v6
	v_sub_u32_e32 v13, 29, v13
	v_and_b32_e32 v6, 7, v6
	v_cmp_eq_u16_e32 vcc, 0, v12
	v_cndmask_b32_e32 v2, v2, v6, vcc
	v_cndmask_b32_e32 v6, v12, v13, vcc
	v_lshlrev_b32_e32 v12, 16, v7
	v_mov_b32_e32 v13, 0x3b800000
	v_lshlrev_b32_e32 v2, 20, v2
	v_and_b32_e32 v12, 0x80000000, v12
	v_lshl_add_u32 v6, v6, 23, v13
	v_or3_b32 v2, v12, v6, v2
.LBB2_14124:
	s_or_b64 exec, exec, s[6:7]
	v_lshrrev_b32_e32 v6, 8, v3
	s_movk_i32 s4, 0x7f
	v_cmp_gt_i16_sdwa s[6:7], v6, s4 src0_sel:BYTE_0 src1_sel:DWORD
	s_mov_b64 s[4:5], 0
                                        ; implicit-def: $sgpr10
	s_and_saveexec_b64 s[8:9], s[6:7]
	s_xor_b64 s[6:7], exec, s[8:9]
	s_cbranch_execz .LBB2_14125
; %bb.49965:
	s_getpc_b64 s[14:15]
.Lpost_getpc28566:
	s_add_u32 s14, s14, (.LBB2_28461-.Lpost_getpc28566)&4294967295
	s_addc_u32 s15, s15, (.LBB2_28461-.Lpost_getpc28566)>>32
	s_setpc_b64 s[14:15]
.LBB2_14125:
	s_or_saveexec_b64 s[6:7], s[6:7]
	v_mov_b32_e32 v12, s10
	s_xor_b64 exec, exec, s[6:7]
	s_cbranch_execz .LBB2_14126
; %bb.49967:
	s_getpc_b64 s[14:15]
.Lpost_getpc28567:
	s_add_u32 s14, s14, (.LBB2_28464-.Lpost_getpc28567)&4294967295
	s_addc_u32 s15, s15, (.LBB2_28464-.Lpost_getpc28567)>>32
	s_setpc_b64 s[14:15]
.LBB2_14126:
	s_or_b64 exec, exec, s[6:7]
	s_and_saveexec_b64 s[6:7], s[4:5]
	s_cbranch_execz .LBB2_14128
.LBB2_14127:
	v_bfe_u32 v12, v3, 8, 3
	v_ffbh_u32_e32 v14, v12
	v_min_u32_e32 v14, 32, v14
	v_lshrrev_b16_e32 v13, 3, v6
	v_subrev_u32_e32 v15, 28, v14
	v_and_b32_e32 v13, 15, v13
	v_lshlrev_b32_e32 v6, v15, v6
	v_sub_u32_e32 v14, 29, v14
	v_and_b32_e32 v6, 7, v6
	v_cmp_eq_u16_e32 vcc, 0, v13
	v_cndmask_b32_e32 v6, v12, v6, vcc
	v_cndmask_b32_e32 v12, v13, v14, vcc
	v_lshlrev_b32_e32 v13, 16, v3
	v_mov_b32_e32 v14, 0x3b800000
	v_lshlrev_b32_e32 v6, 20, v6
	v_and_b32_e32 v13, 0x80000000, v13
	v_lshl_add_u32 v12, v12, 23, v14
	v_or3_b32 v12, v13, v12, v6
.LBB2_14128:
	s_or_b64 exec, exec, s[6:7]
	s_nop 0
	v_mfma_f32_16x16x4f32 a[0:3], v2, v12, a[0:3]
	s_movk_i32 s4, 0xff
	v_and_b32_sdwa v6, v7, s4 dst_sel:DWORD dst_unused:UNUSED_PAD src0_sel:WORD_1 src1_sel:DWORD
	s_movk_i32 s4, 0x7f
	v_cmp_lt_i16_e32 vcc, s4, v6
	s_mov_b64 s[4:5], 0
                                        ; implicit-def: $sgpr10
	s_and_saveexec_b64 s[6:7], vcc
	s_xor_b64 s[6:7], exec, s[6:7]
	s_cbranch_execz .LBB2_14129
; %bb.49969:
	s_getpc_b64 s[14:15]
.Lpost_getpc28568:
	s_add_u32 s14, s14, (.LBB2_28465-.Lpost_getpc28568)&4294967295
	s_addc_u32 s15, s15, (.LBB2_28465-.Lpost_getpc28568)>>32
	s_setpc_b64 s[14:15]
.LBB2_14129:
	s_or_saveexec_b64 s[6:7], s[6:7]
	v_mov_b32_e32 v2, s10
	s_xor_b64 exec, exec, s[6:7]
	s_cbranch_execz .LBB2_14130
; %bb.49971:
	s_getpc_b64 s[14:15]
.Lpost_getpc28569:
	s_add_u32 s14, s14, (.LBB2_28468-.Lpost_getpc28569)&4294967295
	s_addc_u32 s15, s15, (.LBB2_28468-.Lpost_getpc28569)>>32
	s_setpc_b64 s[14:15]
.LBB2_14130:
	s_or_b64 exec, exec, s[6:7]
	s_and_saveexec_b64 s[6:7], s[4:5]
	s_cbranch_execz .LBB2_14132
.LBB2_14131:
	v_bfe_u32 v2, v7, 16, 3
	v_ffbh_u32_e32 v13, v2
	v_min_u32_e32 v13, 32, v13
	v_lshrrev_b32_e32 v6, 19, v7
	v_subrev_u32_e32 v14, 28, v13
	v_and_b32_e32 v6, 15, v6
	v_lshlrev_b32_sdwa v14, v14, v7 dst_sel:DWORD dst_unused:UNUSED_PAD src0_sel:DWORD src1_sel:WORD_1
	v_bfe_u32 v12, v7, 19, 4
	v_sub_u32_e32 v13, 29, v13
	v_and_b32_e32 v14, 7, v14
	v_cmp_eq_u16_e32 vcc, 0, v6
	v_cndmask_b32_e32 v2, v2, v14, vcc
	v_cndmask_b32_e32 v6, v12, v13, vcc
	v_lshlrev_b32_e32 v12, 8, v7
	v_mov_b32_e32 v13, 0x3b800000
	v_lshlrev_b32_e32 v2, 20, v2
	v_and_b32_e32 v12, 0x80000000, v12
	v_lshl_add_u32 v6, v6, 23, v13
	v_or3_b32 v2, v12, v6, v2
.LBB2_14132:
	s_or_b64 exec, exec, s[6:7]
	s_movk_i32 s4, 0xff
	v_and_b32_sdwa v6, v3, s4 dst_sel:DWORD dst_unused:UNUSED_PAD src0_sel:WORD_1 src1_sel:DWORD
	s_movk_i32 s4, 0x7f
	v_cmp_lt_i16_e32 vcc, s4, v6
	s_mov_b64 s[4:5], 0
                                        ; implicit-def: $sgpr10
	s_and_saveexec_b64 s[6:7], vcc
	s_xor_b64 s[6:7], exec, s[6:7]
	s_cbranch_execz .LBB2_14133
; %bb.49973:
	s_getpc_b64 s[14:15]
.Lpost_getpc28570:
	s_add_u32 s14, s14, (.LBB2_28469-.Lpost_getpc28570)&4294967295
	s_addc_u32 s15, s15, (.LBB2_28469-.Lpost_getpc28570)>>32
	s_setpc_b64 s[14:15]
.LBB2_14133:
	s_or_saveexec_b64 s[6:7], s[6:7]
	v_mov_b32_e32 v12, s10
	s_xor_b64 exec, exec, s[6:7]
	s_cbranch_execz .LBB2_14134
; %bb.49975:
	s_getpc_b64 s[14:15]
.Lpost_getpc28571:
	s_add_u32 s14, s14, (.LBB2_28472-.Lpost_getpc28571)&4294967295
	s_addc_u32 s15, s15, (.LBB2_28472-.Lpost_getpc28571)>>32
	s_setpc_b64 s[14:15]
.LBB2_14134:
	s_or_b64 exec, exec, s[6:7]
	s_and_saveexec_b64 s[6:7], s[4:5]
	s_cbranch_execz .LBB2_14136
.LBB2_14135:
	v_bfe_u32 v6, v3, 16, 3
	v_ffbh_u32_e32 v14, v6
	v_min_u32_e32 v14, 32, v14
	v_lshrrev_b32_e32 v12, 19, v3
	v_subrev_u32_e32 v15, 28, v14
	v_and_b32_e32 v12, 15, v12
	v_lshlrev_b32_sdwa v15, v15, v3 dst_sel:DWORD dst_unused:UNUSED_PAD src0_sel:DWORD src1_sel:WORD_1
	v_bfe_u32 v13, v3, 19, 4
	v_sub_u32_e32 v14, 29, v14
	v_and_b32_e32 v15, 7, v15
	v_cmp_eq_u16_e32 vcc, 0, v12
	v_cndmask_b32_e32 v6, v6, v15, vcc
	v_cndmask_b32_e32 v12, v13, v14, vcc
	v_lshlrev_b32_e32 v13, 8, v3
	v_mov_b32_e32 v14, 0x3b800000
	v_lshlrev_b32_e32 v6, 20, v6
	v_and_b32_e32 v13, 0x80000000, v13
	v_lshl_add_u32 v12, v12, 23, v14
	v_or3_b32 v12, v13, v12, v6
.LBB2_14136:
	s_or_b64 exec, exec, s[6:7]
	s_nop 0
	v_mfma_f32_16x16x4f32 a[0:3], v2, v12, a[0:3]
	s_movk_i32 s4, 0x7f
	v_cmp_gt_i16_sdwa s[6:7], v7, s4 src0_sel:BYTE_3 src1_sel:DWORD
	s_mov_b64 s[4:5], 0
                                        ; implicit-def: $sgpr10
	s_and_saveexec_b64 s[8:9], s[6:7]
	s_xor_b64 s[6:7], exec, s[8:9]
	s_cbranch_execz .LBB2_14137
; %bb.49977:
	s_getpc_b64 s[14:15]
.Lpost_getpc28572:
	s_add_u32 s14, s14, (.LBB2_28473-.Lpost_getpc28572)&4294967295
	s_addc_u32 s15, s15, (.LBB2_28473-.Lpost_getpc28572)>>32
	s_setpc_b64 s[14:15]
.LBB2_14137:
	s_or_saveexec_b64 s[6:7], s[6:7]
	v_mov_b32_e32 v2, s10
	s_xor_b64 exec, exec, s[6:7]
	s_cbranch_execz .LBB2_14138
; %bb.49979:
	s_getpc_b64 s[14:15]
.Lpost_getpc28573:
	s_add_u32 s14, s14, (.LBB2_28476-.Lpost_getpc28573)&4294967295
	s_addc_u32 s15, s15, (.LBB2_28476-.Lpost_getpc28573)>>32
	s_setpc_b64 s[14:15]
.LBB2_14138:
	s_or_b64 exec, exec, s[6:7]
	s_and_saveexec_b64 s[6:7], s[4:5]
	s_cbranch_execz .LBB2_14140
.LBB2_14139:
	v_bfe_u32 v2, v7, 24, 3
	v_ffbh_u32_e32 v14, v2
	v_min_u32_e32 v14, 32, v14
	v_lshrrev_b32_e32 v12, 27, v7
	v_subrev_u32_e32 v15, 28, v14
	v_and_b32_e32 v6, 0x80000000, v7
	v_and_b32_e32 v12, 15, v12
	v_bfe_u32 v13, v7, 27, 4
	v_lshlrev_b32_sdwa v7, v15, v7 dst_sel:DWORD dst_unused:UNUSED_PAD src0_sel:DWORD src1_sel:BYTE_3
	v_sub_u32_e32 v14, 29, v14
	v_and_b32_e32 v7, 7, v7
	v_cmp_eq_u16_e32 vcc, 0, v12
	v_cndmask_b32_e32 v2, v2, v7, vcc
	v_cndmask_b32_e32 v7, v13, v14, vcc
	v_mov_b32_e32 v12, 0x3b800000
	v_lshlrev_b32_e32 v2, 20, v2
	v_lshl_add_u32 v7, v7, 23, v12
	v_or3_b32 v2, v6, v7, v2
.LBB2_14140:
	s_or_b64 exec, exec, s[6:7]
	s_movk_i32 s4, 0x7f
	v_cmp_gt_i16_sdwa s[6:7], v3, s4 src0_sel:BYTE_3 src1_sel:DWORD
	s_mov_b64 s[4:5], 0
                                        ; implicit-def: $sgpr10
	s_and_saveexec_b64 s[8:9], s[6:7]
	s_xor_b64 s[6:7], exec, s[8:9]
	s_cbranch_execz .LBB2_14141
; %bb.49981:
	s_getpc_b64 s[14:15]
.Lpost_getpc28574:
	s_add_u32 s14, s14, (.LBB2_28477-.Lpost_getpc28574)&4294967295
	s_addc_u32 s15, s15, (.LBB2_28477-.Lpost_getpc28574)>>32
	s_setpc_b64 s[14:15]
.LBB2_14141:
	s_or_saveexec_b64 s[6:7], s[6:7]
	v_mov_b32_e32 v6, s10
	s_xor_b64 exec, exec, s[6:7]
	s_cbranch_execz .LBB2_14142
; %bb.49983:
	s_getpc_b64 s[14:15]
.Lpost_getpc28575:
	s_add_u32 s14, s14, (.LBB2_28480-.Lpost_getpc28575)&4294967295
	s_addc_u32 s15, s15, (.LBB2_28480-.Lpost_getpc28575)>>32
	s_setpc_b64 s[14:15]
.LBB2_14142:
	s_or_b64 exec, exec, s[6:7]
	s_and_saveexec_b64 s[6:7], s[4:5]
	s_cbranch_execz .LBB2_14144
.LBB2_14143:
	v_bfe_u32 v6, v3, 24, 3
	v_ffbh_u32_e32 v14, v6
	v_min_u32_e32 v14, 32, v14
	v_lshrrev_b32_e32 v12, 27, v3
	v_subrev_u32_e32 v15, 28, v14
	v_and_b32_e32 v7, 0x80000000, v3
	v_and_b32_e32 v12, 15, v12
	v_bfe_u32 v13, v3, 27, 4
	v_lshlrev_b32_sdwa v3, v15, v3 dst_sel:DWORD dst_unused:UNUSED_PAD src0_sel:DWORD src1_sel:BYTE_3
	v_sub_u32_e32 v14, 29, v14
	v_and_b32_e32 v3, 7, v3
	v_cmp_eq_u16_e32 vcc, 0, v12
	v_cndmask_b32_e32 v3, v6, v3, vcc
	v_cndmask_b32_e32 v6, v13, v14, vcc
	v_mov_b32_e32 v12, 0x3b800000
	v_lshlrev_b32_e32 v3, 20, v3
	v_lshl_add_u32 v6, v6, 23, v12
	v_or3_b32 v6, v7, v6, v3
.LBB2_14144:
	s_or_b64 exec, exec, s[6:7]
	s_nop 0
	v_mfma_f32_16x16x4f32 a[0:3], v2, v6, a[0:3]
	s_movk_i32 s4, 0x7f
	v_cmp_gt_i16_sdwa s[6:7], v8, s4 src0_sel:BYTE_0 src1_sel:DWORD
	s_mov_b64 s[4:5], 0
                                        ; implicit-def: $sgpr10
	s_and_saveexec_b64 s[8:9], s[6:7]
	s_xor_b64 s[6:7], exec, s[8:9]
	s_cbranch_execz .LBB2_14145
; %bb.49985:
	s_getpc_b64 s[14:15]
.Lpost_getpc28576:
	s_add_u32 s14, s14, (.LBB2_28481-.Lpost_getpc28576)&4294967295
	s_addc_u32 s15, s15, (.LBB2_28481-.Lpost_getpc28576)>>32
	s_setpc_b64 s[14:15]
.LBB2_14145:
	s_or_saveexec_b64 s[6:7], s[6:7]
	v_mov_b32_e32 v2, s10
	s_xor_b64 exec, exec, s[6:7]
	s_cbranch_execz .LBB2_14146
; %bb.49987:
	s_getpc_b64 s[14:15]
.Lpost_getpc28577:
	s_add_u32 s14, s14, (.LBB2_28484-.Lpost_getpc28577)&4294967295
	s_addc_u32 s15, s15, (.LBB2_28484-.Lpost_getpc28577)>>32
	s_setpc_b64 s[14:15]
.LBB2_14146:
	s_or_b64 exec, exec, s[6:7]
	s_and_saveexec_b64 s[6:7], s[4:5]
	s_cbranch_execz .LBB2_14148
.LBB2_14147:
	v_and_b32_e32 v2, 7, v8
	v_ffbh_u32_e32 v6, v2
	v_min_u32_e32 v6, 32, v6
	v_lshrrev_b16_e32 v3, 3, v8
	v_subrev_u32_e32 v7, 28, v6
	v_and_b32_e32 v3, 15, v3
	v_lshlrev_b32_e32 v7, v7, v8
	v_sub_u32_e32 v6, 29, v6
	v_and_b32_e32 v7, 7, v7
	v_cmp_eq_u16_e32 vcc, 0, v3
	v_cndmask_b32_e32 v2, v2, v7, vcc
	v_cndmask_b32_e32 v3, v3, v6, vcc
	v_lshlrev_b32_e32 v6, 24, v8
	v_mov_b32_e32 v7, 0x3b800000
	v_lshlrev_b32_e32 v2, 20, v2
	v_and_b32_e32 v6, 0x80000000, v6
	v_lshl_add_u32 v3, v3, 23, v7
	v_or3_b32 v2, v6, v3, v2
.LBB2_14148:
	s_or_b64 exec, exec, s[6:7]
	s_movk_i32 s4, 0x7f
	v_cmp_gt_i16_sdwa s[6:7], v4, s4 src0_sel:BYTE_0 src1_sel:DWORD
	s_mov_b64 s[4:5], 0
                                        ; implicit-def: $sgpr10
	s_and_saveexec_b64 s[8:9], s[6:7]
	s_xor_b64 s[6:7], exec, s[8:9]
	s_cbranch_execz .LBB2_14149
; %bb.49989:
	s_getpc_b64 s[14:15]
.Lpost_getpc28578:
	s_add_u32 s14, s14, (.LBB2_28485-.Lpost_getpc28578)&4294967295
	s_addc_u32 s15, s15, (.LBB2_28485-.Lpost_getpc28578)>>32
	s_setpc_b64 s[14:15]
.LBB2_14149:
	s_or_saveexec_b64 s[6:7], s[6:7]
	v_mov_b32_e32 v3, s10
	s_xor_b64 exec, exec, s[6:7]
	s_cbranch_execz .LBB2_14150
; %bb.49991:
	s_getpc_b64 s[14:15]
.Lpost_getpc28579:
	s_add_u32 s14, s14, (.LBB2_28488-.Lpost_getpc28579)&4294967295
	s_addc_u32 s15, s15, (.LBB2_28488-.Lpost_getpc28579)>>32
	s_setpc_b64 s[14:15]
.LBB2_14150:
	s_or_b64 exec, exec, s[6:7]
	s_and_saveexec_b64 s[6:7], s[4:5]
	s_cbranch_execz .LBB2_14152
.LBB2_14151:
	v_and_b32_e32 v3, 7, v4
	v_ffbh_u32_e32 v7, v3
	v_min_u32_e32 v7, 32, v7
	v_lshrrev_b16_e32 v6, 3, v4
	v_subrev_u32_e32 v12, 28, v7
	v_and_b32_e32 v6, 15, v6
	v_lshlrev_b32_e32 v12, v12, v4
	v_sub_u32_e32 v7, 29, v7
	v_and_b32_e32 v12, 7, v12
	v_cmp_eq_u16_e32 vcc, 0, v6
	v_cndmask_b32_e32 v3, v3, v12, vcc
	v_cndmask_b32_e32 v6, v6, v7, vcc
	v_lshlrev_b32_e32 v7, 24, v4
	v_mov_b32_e32 v12, 0x3b800000
	v_lshlrev_b32_e32 v3, 20, v3
	v_and_b32_e32 v7, 0x80000000, v7
	v_lshl_add_u32 v6, v6, 23, v12
	v_or3_b32 v3, v7, v6, v3
.LBB2_14152:
	s_or_b64 exec, exec, s[6:7]
	s_nop 0
	v_mfma_f32_16x16x4f32 a[0:3], v2, v3, a[0:3]
	v_lshrrev_b32_e32 v3, 8, v8
	s_movk_i32 s4, 0x7f
	v_cmp_gt_i16_sdwa s[6:7], v3, s4 src0_sel:BYTE_0 src1_sel:DWORD
	s_mov_b64 s[4:5], 0
                                        ; implicit-def: $sgpr10
	s_and_saveexec_b64 s[8:9], s[6:7]
	s_xor_b64 s[6:7], exec, s[8:9]
	s_cbranch_execz .LBB2_14153
; %bb.49993:
	s_getpc_b64 s[14:15]
.Lpost_getpc28580:
	s_add_u32 s14, s14, (.LBB2_28489-.Lpost_getpc28580)&4294967295
	s_addc_u32 s15, s15, (.LBB2_28489-.Lpost_getpc28580)>>32
	s_setpc_b64 s[14:15]
.LBB2_14153:
	s_or_saveexec_b64 s[6:7], s[6:7]
	v_mov_b32_e32 v2, s10
	s_xor_b64 exec, exec, s[6:7]
	s_cbranch_execz .LBB2_14154
; %bb.49995:
	s_getpc_b64 s[14:15]
.Lpost_getpc28581:
	s_add_u32 s14, s14, (.LBB2_28492-.Lpost_getpc28581)&4294967295
	s_addc_u32 s15, s15, (.LBB2_28492-.Lpost_getpc28581)>>32
	s_setpc_b64 s[14:15]
.LBB2_14154:
	s_or_b64 exec, exec, s[6:7]
	s_and_saveexec_b64 s[6:7], s[4:5]
	s_cbranch_execz .LBB2_14156
.LBB2_14155:
	v_bfe_u32 v2, v8, 8, 3
	v_ffbh_u32_e32 v7, v2
	v_min_u32_e32 v7, 32, v7
	v_lshrrev_b16_e32 v6, 3, v3
	v_subrev_u32_e32 v12, 28, v7
	v_and_b32_e32 v6, 15, v6
	v_lshlrev_b32_e32 v3, v12, v3
	v_sub_u32_e32 v7, 29, v7
	v_and_b32_e32 v3, 7, v3
	v_cmp_eq_u16_e32 vcc, 0, v6
	v_cndmask_b32_e32 v2, v2, v3, vcc
	v_cndmask_b32_e32 v3, v6, v7, vcc
	v_lshlrev_b32_e32 v6, 16, v8
	v_mov_b32_e32 v7, 0x3b800000
	v_lshlrev_b32_e32 v2, 20, v2
	v_and_b32_e32 v6, 0x80000000, v6
	v_lshl_add_u32 v3, v3, 23, v7
	v_or3_b32 v2, v6, v3, v2
.LBB2_14156:
	s_or_b64 exec, exec, s[6:7]
	v_lshrrev_b32_e32 v3, 8, v4
	s_movk_i32 s4, 0x7f
	v_cmp_gt_i16_sdwa s[6:7], v3, s4 src0_sel:BYTE_0 src1_sel:DWORD
	s_mov_b64 s[4:5], 0
                                        ; implicit-def: $sgpr10
	s_and_saveexec_b64 s[8:9], s[6:7]
	s_xor_b64 s[6:7], exec, s[8:9]
	s_cbranch_execz .LBB2_14157
; %bb.49997:
	s_getpc_b64 s[14:15]
.Lpost_getpc28582:
	s_add_u32 s14, s14, (.LBB2_28493-.Lpost_getpc28582)&4294967295
	s_addc_u32 s15, s15, (.LBB2_28493-.Lpost_getpc28582)>>32
	s_setpc_b64 s[14:15]
.LBB2_14157:
	s_or_saveexec_b64 s[6:7], s[6:7]
	v_mov_b32_e32 v6, s10
	s_xor_b64 exec, exec, s[6:7]
	s_cbranch_execz .LBB2_14158
; %bb.49999:
	s_getpc_b64 s[14:15]
.Lpost_getpc28583:
	s_add_u32 s14, s14, (.LBB2_28496-.Lpost_getpc28583)&4294967295
	s_addc_u32 s15, s15, (.LBB2_28496-.Lpost_getpc28583)>>32
	s_setpc_b64 s[14:15]
.LBB2_14158:
	s_or_b64 exec, exec, s[6:7]
	s_and_saveexec_b64 s[6:7], s[4:5]
	s_cbranch_execz .LBB2_14160
.LBB2_14159:
	v_bfe_u32 v6, v4, 8, 3
	v_ffbh_u32_e32 v12, v6
	v_min_u32_e32 v12, 32, v12
	v_lshrrev_b16_e32 v7, 3, v3
	v_subrev_u32_e32 v13, 28, v12
	v_and_b32_e32 v7, 15, v7
	v_lshlrev_b32_e32 v3, v13, v3
	v_sub_u32_e32 v12, 29, v12
	v_and_b32_e32 v3, 7, v3
	v_cmp_eq_u16_e32 vcc, 0, v7
	v_cndmask_b32_e32 v3, v6, v3, vcc
	v_cndmask_b32_e32 v6, v7, v12, vcc
	v_lshlrev_b32_e32 v7, 16, v4
	v_mov_b32_e32 v12, 0x3b800000
	v_lshlrev_b32_e32 v3, 20, v3
	v_and_b32_e32 v7, 0x80000000, v7
	v_lshl_add_u32 v6, v6, 23, v12
	v_or3_b32 v6, v7, v6, v3
.LBB2_14160:
	s_or_b64 exec, exec, s[6:7]
	s_nop 0
	v_mfma_f32_16x16x4f32 a[0:3], v2, v6, a[0:3]
	s_movk_i32 s4, 0xff
	v_and_b32_sdwa v3, v8, s4 dst_sel:DWORD dst_unused:UNUSED_PAD src0_sel:WORD_1 src1_sel:DWORD
	s_movk_i32 s4, 0x7f
	v_cmp_lt_i16_e32 vcc, s4, v3
	s_mov_b64 s[4:5], 0
                                        ; implicit-def: $sgpr10
	s_and_saveexec_b64 s[6:7], vcc
	s_xor_b64 s[6:7], exec, s[6:7]
	s_cbranch_execz .LBB2_14161
; %bb.50001:
	s_getpc_b64 s[14:15]
.Lpost_getpc28584:
	s_add_u32 s14, s14, (.LBB2_28497-.Lpost_getpc28584)&4294967295
	s_addc_u32 s15, s15, (.LBB2_28497-.Lpost_getpc28584)>>32
	s_setpc_b64 s[14:15]
.LBB2_14161:
	s_or_saveexec_b64 s[6:7], s[6:7]
	v_mov_b32_e32 v2, s10
	s_xor_b64 exec, exec, s[6:7]
	s_cbranch_execz .LBB2_14162
; %bb.50003:
	s_getpc_b64 s[14:15]
.Lpost_getpc28585:
	s_add_u32 s14, s14, (.LBB2_28500-.Lpost_getpc28585)&4294967295
	s_addc_u32 s15, s15, (.LBB2_28500-.Lpost_getpc28585)>>32
	s_setpc_b64 s[14:15]
.LBB2_14162:
	s_or_b64 exec, exec, s[6:7]
	s_and_saveexec_b64 s[6:7], s[4:5]
	s_cbranch_execz .LBB2_14164
.LBB2_14163:
	v_bfe_u32 v2, v8, 16, 3
	v_ffbh_u32_e32 v7, v2
	v_min_u32_e32 v7, 32, v7
	v_lshrrev_b32_e32 v3, 19, v8
	v_subrev_u32_e32 v12, 28, v7
	v_and_b32_e32 v3, 15, v3
	v_lshlrev_b32_sdwa v12, v12, v8 dst_sel:DWORD dst_unused:UNUSED_PAD src0_sel:DWORD src1_sel:WORD_1
	v_bfe_u32 v6, v8, 19, 4
	v_sub_u32_e32 v7, 29, v7
	v_and_b32_e32 v12, 7, v12
	v_cmp_eq_u16_e32 vcc, 0, v3
	v_cndmask_b32_e32 v2, v2, v12, vcc
	v_cndmask_b32_e32 v3, v6, v7, vcc
	v_lshlrev_b32_e32 v6, 8, v8
	v_mov_b32_e32 v7, 0x3b800000
	v_lshlrev_b32_e32 v2, 20, v2
	v_and_b32_e32 v6, 0x80000000, v6
	v_lshl_add_u32 v3, v3, 23, v7
	v_or3_b32 v2, v6, v3, v2
.LBB2_14164:
	s_or_b64 exec, exec, s[6:7]
	s_movk_i32 s4, 0xff
	v_and_b32_sdwa v3, v4, s4 dst_sel:DWORD dst_unused:UNUSED_PAD src0_sel:WORD_1 src1_sel:DWORD
	s_movk_i32 s4, 0x7f
	v_cmp_lt_i16_e32 vcc, s4, v3
	s_mov_b64 s[4:5], 0
                                        ; implicit-def: $sgpr10
	s_and_saveexec_b64 s[6:7], vcc
	s_xor_b64 s[6:7], exec, s[6:7]
	s_cbranch_execz .LBB2_14165
; %bb.50005:
	s_getpc_b64 s[14:15]
.Lpost_getpc28586:
	s_add_u32 s14, s14, (.LBB2_28501-.Lpost_getpc28586)&4294967295
	s_addc_u32 s15, s15, (.LBB2_28501-.Lpost_getpc28586)>>32
	s_setpc_b64 s[14:15]
.LBB2_14165:
	s_or_saveexec_b64 s[6:7], s[6:7]
	v_mov_b32_e32 v6, s10
	s_xor_b64 exec, exec, s[6:7]
	s_cbranch_execz .LBB2_14166
; %bb.50007:
	s_getpc_b64 s[14:15]
.Lpost_getpc28587:
	s_add_u32 s14, s14, (.LBB2_28504-.Lpost_getpc28587)&4294967295
	s_addc_u32 s15, s15, (.LBB2_28504-.Lpost_getpc28587)>>32
	s_setpc_b64 s[14:15]
.LBB2_14166:
	s_or_b64 exec, exec, s[6:7]
	s_and_saveexec_b64 s[6:7], s[4:5]
	s_cbranch_execz .LBB2_14168
.LBB2_14167:
	v_bfe_u32 v3, v4, 16, 3
	v_ffbh_u32_e32 v12, v3
	v_min_u32_e32 v12, 32, v12
	v_lshrrev_b32_e32 v6, 19, v4
	v_subrev_u32_e32 v13, 28, v12
	v_and_b32_e32 v6, 15, v6
	v_lshlrev_b32_sdwa v13, v13, v4 dst_sel:DWORD dst_unused:UNUSED_PAD src0_sel:DWORD src1_sel:WORD_1
	v_bfe_u32 v7, v4, 19, 4
	v_sub_u32_e32 v12, 29, v12
	v_and_b32_e32 v13, 7, v13
	v_cmp_eq_u16_e32 vcc, 0, v6
	v_cndmask_b32_e32 v3, v3, v13, vcc
	v_cndmask_b32_e32 v6, v7, v12, vcc
	v_lshlrev_b32_e32 v7, 8, v4
	v_mov_b32_e32 v12, 0x3b800000
	v_lshlrev_b32_e32 v3, 20, v3
	v_and_b32_e32 v7, 0x80000000, v7
	v_lshl_add_u32 v6, v6, 23, v12
	v_or3_b32 v6, v7, v6, v3
.LBB2_14168:
	s_or_b64 exec, exec, s[6:7]
	s_nop 0
	v_mfma_f32_16x16x4f32 a[0:3], v2, v6, a[0:3]
	s_movk_i32 s4, 0x7f
	v_cmp_gt_i16_sdwa s[6:7], v8, s4 src0_sel:BYTE_3 src1_sel:DWORD
	s_mov_b64 s[4:5], 0
                                        ; implicit-def: $sgpr10
	s_and_saveexec_b64 s[8:9], s[6:7]
	s_xor_b64 s[6:7], exec, s[8:9]
	s_cbranch_execz .LBB2_14169
; %bb.50009:
	s_getpc_b64 s[14:15]
.Lpost_getpc28588:
	s_add_u32 s14, s14, (.LBB2_28505-.Lpost_getpc28588)&4294967295
	s_addc_u32 s15, s15, (.LBB2_28505-.Lpost_getpc28588)>>32
	s_setpc_b64 s[14:15]
.LBB2_14169:
	s_or_saveexec_b64 s[6:7], s[6:7]
	v_mov_b32_e32 v2, s10
	s_xor_b64 exec, exec, s[6:7]
	s_cbranch_execz .LBB2_14170
; %bb.50011:
	s_getpc_b64 s[14:15]
.Lpost_getpc28589:
	s_add_u32 s14, s14, (.LBB2_28508-.Lpost_getpc28589)&4294967295
	s_addc_u32 s15, s15, (.LBB2_28508-.Lpost_getpc28589)>>32
	s_setpc_b64 s[14:15]
.LBB2_14170:
	s_or_b64 exec, exec, s[6:7]
	s_and_saveexec_b64 s[6:7], s[4:5]
	s_cbranch_execz .LBB2_14172
.LBB2_14171:
	v_bfe_u32 v2, v8, 24, 3
	v_ffbh_u32_e32 v12, v2
	v_min_u32_e32 v12, 32, v12
	v_lshrrev_b32_e32 v6, 27, v8
	v_subrev_u32_e32 v13, 28, v12
	v_and_b32_e32 v3, 0x80000000, v8
	v_and_b32_e32 v6, 15, v6
	v_bfe_u32 v7, v8, 27, 4
	v_lshlrev_b32_sdwa v8, v13, v8 dst_sel:DWORD dst_unused:UNUSED_PAD src0_sel:DWORD src1_sel:BYTE_3
	v_sub_u32_e32 v12, 29, v12
	v_and_b32_e32 v8, 7, v8
	v_cmp_eq_u16_e32 vcc, 0, v6
	v_cndmask_b32_e32 v2, v2, v8, vcc
	v_cndmask_b32_e32 v6, v7, v12, vcc
	v_mov_b32_e32 v7, 0x3b800000
	v_lshlrev_b32_e32 v2, 20, v2
	v_lshl_add_u32 v6, v6, 23, v7
	v_or3_b32 v2, v3, v6, v2
.LBB2_14172:
	s_or_b64 exec, exec, s[6:7]
	s_movk_i32 s4, 0x7f
	v_cmp_gt_i16_sdwa s[6:7], v4, s4 src0_sel:BYTE_3 src1_sel:DWORD
	s_mov_b64 s[4:5], 0
                                        ; implicit-def: $sgpr10
	s_and_saveexec_b64 s[8:9], s[6:7]
	s_xor_b64 s[6:7], exec, s[8:9]
	s_cbranch_execz .LBB2_14173
; %bb.50013:
	s_getpc_b64 s[14:15]
.Lpost_getpc28590:
	s_add_u32 s14, s14, (.LBB2_28509-.Lpost_getpc28590)&4294967295
	s_addc_u32 s15, s15, (.LBB2_28509-.Lpost_getpc28590)>>32
	s_setpc_b64 s[14:15]
.LBB2_14173:
	s_or_saveexec_b64 s[6:7], s[6:7]
	v_mov_b32_e32 v3, s10
	s_xor_b64 exec, exec, s[6:7]
	s_cbranch_execz .LBB2_14174
; %bb.50015:
	s_getpc_b64 s[14:15]
.Lpost_getpc28591:
	s_add_u32 s14, s14, (.LBB2_28512-.Lpost_getpc28591)&4294967295
	s_addc_u32 s15, s15, (.LBB2_28512-.Lpost_getpc28591)>>32
	s_setpc_b64 s[14:15]
.LBB2_14174:
	s_or_b64 exec, exec, s[6:7]
	s_and_saveexec_b64 s[6:7], s[4:5]
	s_cbranch_execz .LBB2_14176
.LBB2_14175:
	v_bfe_u32 v3, v4, 24, 3
	v_ffbh_u32_e32 v12, v3
	v_min_u32_e32 v12, 32, v12
	v_lshrrev_b32_e32 v7, 27, v4
	v_subrev_u32_e32 v13, 28, v12
	v_and_b32_e32 v6, 0x80000000, v4
	v_and_b32_e32 v7, 15, v7
	v_bfe_u32 v8, v4, 27, 4
	v_lshlrev_b32_sdwa v4, v13, v4 dst_sel:DWORD dst_unused:UNUSED_PAD src0_sel:DWORD src1_sel:BYTE_3
	v_sub_u32_e32 v12, 29, v12
	v_and_b32_e32 v4, 7, v4
	v_cmp_eq_u16_e32 vcc, 0, v7
	v_cndmask_b32_e32 v3, v3, v4, vcc
	v_cndmask_b32_e32 v4, v8, v12, vcc
	v_mov_b32_e32 v7, 0x3b800000
	v_lshlrev_b32_e32 v3, 20, v3
	v_lshl_add_u32 v4, v4, 23, v7
	v_or3_b32 v3, v6, v4, v3
.LBB2_14176:
	s_or_b64 exec, exec, s[6:7]
	s_nop 0
	v_mfma_f32_16x16x4f32 a[0:3], v2, v3, a[0:3]
	s_movk_i32 s4, 0x7f
	v_cmp_gt_i16_sdwa s[6:7], v9, s4 src0_sel:BYTE_0 src1_sel:DWORD
	s_mov_b64 s[4:5], 0
                                        ; implicit-def: $sgpr10
	s_and_saveexec_b64 s[8:9], s[6:7]
	s_xor_b64 s[6:7], exec, s[8:9]
	s_cbranch_execz .LBB2_14177
; %bb.50017:
	s_getpc_b64 s[14:15]
.Lpost_getpc28592:
	s_add_u32 s14, s14, (.LBB2_28513-.Lpost_getpc28592)&4294967295
	s_addc_u32 s15, s15, (.LBB2_28513-.Lpost_getpc28592)>>32
	s_setpc_b64 s[14:15]
.LBB2_14177:
	s_or_saveexec_b64 s[6:7], s[6:7]
	v_mov_b32_e32 v2, s10
	s_xor_b64 exec, exec, s[6:7]
	s_cbranch_execz .LBB2_14178
; %bb.50019:
	s_getpc_b64 s[14:15]
.Lpost_getpc28593:
	s_add_u32 s14, s14, (.LBB2_28516-.Lpost_getpc28593)&4294967295
	s_addc_u32 s15, s15, (.LBB2_28516-.Lpost_getpc28593)>>32
	s_setpc_b64 s[14:15]
.LBB2_14178:
	s_or_b64 exec, exec, s[6:7]
	s_and_saveexec_b64 s[6:7], s[4:5]
	s_cbranch_execz .LBB2_14180
.LBB2_14179:
	v_mov_b32_e32 v2, 8
	v_and_b32_e32 v3, 7, v9
	v_lshrrev_b32_sdwa v2, v2, v9 dst_sel:BYTE_1 dst_unused:UNUSED_PAD src0_sel:DWORD src1_sel:DWORD
	v_ffbh_u32_e32 v4, v3
	v_or_b32_sdwa v2, v9, v2 dst_sel:DWORD dst_unused:UNUSED_PAD src0_sel:BYTE_0 src1_sel:DWORD
	v_min_u32_e32 v4, 32, v4
	v_lshrrev_b16_e32 v2, 3, v2
	v_subrev_u32_e32 v6, 28, v4
	v_and_b32_e32 v2, 15, v2
	v_lshlrev_b32_e32 v6, v6, v9
	v_sub_u32_e32 v4, 29, v4
	v_and_b32_e32 v6, 7, v6
	v_cmp_eq_u16_e32 vcc, 0, v2
	v_cndmask_b32_e32 v3, v3, v6, vcc
	v_cndmask_b32_e32 v2, v2, v4, vcc
	v_lshlrev_b32_e32 v4, 24, v9
	v_mov_b32_e32 v6, 0x3b800000
	v_lshlrev_b32_e32 v3, 20, v3
	v_and_b32_e32 v4, 0x80000000, v4
	v_lshl_add_u32 v2, v2, 23, v6
	v_or3_b32 v2, v4, v2, v3
.LBB2_14180:
	s_or_b64 exec, exec, s[6:7]
	s_movk_i32 s4, 0x7f
	v_cmp_gt_i16_sdwa s[6:7], v5, s4 src0_sel:BYTE_0 src1_sel:DWORD
	s_mov_b64 s[4:5], 0
                                        ; implicit-def: $sgpr10
	s_and_saveexec_b64 s[8:9], s[6:7]
	s_xor_b64 s[6:7], exec, s[8:9]
	s_cbranch_execz .LBB2_14181
; %bb.50021:
	s_getpc_b64 s[14:15]
.Lpost_getpc28594:
	s_add_u32 s14, s14, (.LBB2_28517-.Lpost_getpc28594)&4294967295
	s_addc_u32 s15, s15, (.LBB2_28517-.Lpost_getpc28594)>>32
	s_setpc_b64 s[14:15]
.LBB2_14181:
	s_or_saveexec_b64 s[6:7], s[6:7]
	v_mov_b32_e32 v3, s10
	s_xor_b64 exec, exec, s[6:7]
	s_cbranch_execz .LBB2_14182
; %bb.50023:
	s_getpc_b64 s[14:15]
.Lpost_getpc28595:
	s_add_u32 s14, s14, (.LBB2_28520-.Lpost_getpc28595)&4294967295
	s_addc_u32 s15, s15, (.LBB2_28520-.Lpost_getpc28595)>>32
	s_setpc_b64 s[14:15]
.LBB2_14182:
	s_or_b64 exec, exec, s[6:7]
	s_and_saveexec_b64 s[6:7], s[4:5]
	s_cbranch_execz .LBB2_14184
.LBB2_14183:
	v_mov_b32_e32 v3, 8
	v_and_b32_e32 v4, 7, v5
	v_lshrrev_b32_sdwa v3, v3, v5 dst_sel:BYTE_1 dst_unused:UNUSED_PAD src0_sel:DWORD src1_sel:DWORD
	v_ffbh_u32_e32 v6, v4
	v_or_b32_sdwa v3, v5, v3 dst_sel:DWORD dst_unused:UNUSED_PAD src0_sel:BYTE_0 src1_sel:DWORD
	v_min_u32_e32 v6, 32, v6
	v_lshrrev_b16_e32 v3, 3, v3
	v_subrev_u32_e32 v7, 28, v6
	v_and_b32_e32 v3, 15, v3
	v_lshlrev_b32_e32 v7, v7, v5
	v_sub_u32_e32 v6, 29, v6
	v_and_b32_e32 v7, 7, v7
	v_cmp_eq_u16_e32 vcc, 0, v3
	v_cndmask_b32_e32 v4, v4, v7, vcc
	v_cndmask_b32_e32 v3, v3, v6, vcc
	v_lshlrev_b32_e32 v6, 24, v5
	v_mov_b32_e32 v7, 0x3b800000
	v_lshlrev_b32_e32 v4, 20, v4
	v_and_b32_e32 v6, 0x80000000, v6
	v_lshl_add_u32 v3, v3, 23, v7
	v_or3_b32 v3, v6, v3, v4
.LBB2_14184:
	s_or_b64 exec, exec, s[6:7]
	s_nop 0
	v_mfma_f32_16x16x4f32 a[0:3], v2, v3, a[0:3]
	v_lshrrev_b32_e32 v3, 8, v9
	s_movk_i32 s4, 0x7f
	v_cmp_gt_i16_sdwa s[6:7], v3, s4 src0_sel:BYTE_0 src1_sel:DWORD
	s_mov_b64 s[4:5], 0
                                        ; implicit-def: $sgpr10
	s_and_saveexec_b64 s[8:9], s[6:7]
	s_xor_b64 s[6:7], exec, s[8:9]
	s_cbranch_execz .LBB2_14185
; %bb.50025:
	s_getpc_b64 s[14:15]
.Lpost_getpc28596:
	s_add_u32 s14, s14, (.LBB2_28521-.Lpost_getpc28596)&4294967295
	s_addc_u32 s15, s15, (.LBB2_28521-.Lpost_getpc28596)>>32
	s_setpc_b64 s[14:15]
.LBB2_14185:
	s_or_saveexec_b64 s[6:7], s[6:7]
	v_mov_b32_e32 v2, s10
	s_xor_b64 exec, exec, s[6:7]
	s_cbranch_execz .LBB2_14186
; %bb.50027:
	s_getpc_b64 s[14:15]
.Lpost_getpc28597:
	s_add_u32 s14, s14, (.LBB2_28524-.Lpost_getpc28597)&4294967295
	s_addc_u32 s15, s15, (.LBB2_28524-.Lpost_getpc28597)>>32
	s_setpc_b64 s[14:15]
.LBB2_14186:
	s_or_b64 exec, exec, s[6:7]
	s_and_saveexec_b64 s[6:7], s[4:5]
	s_cbranch_execz .LBB2_14188
.LBB2_14187:
	v_bfe_u32 v2, v9, 8, 3
	v_ffbh_u32_e32 v6, v2
	v_min_u32_e32 v6, 32, v6
	v_lshrrev_b16_e32 v4, 3, v3
	v_subrev_u32_e32 v7, 28, v6
	v_and_b32_e32 v4, 15, v4
	v_lshlrev_b32_e32 v3, v7, v3
	v_sub_u32_e32 v6, 29, v6
	v_and_b32_e32 v3, 7, v3
	v_cmp_eq_u16_e32 vcc, 0, v4
	v_cndmask_b32_e32 v2, v2, v3, vcc
	v_cndmask_b32_e32 v3, v4, v6, vcc
	v_lshlrev_b32_e32 v4, 16, v9
	v_mov_b32_e32 v6, 0x3b800000
	v_lshlrev_b32_e32 v2, 20, v2
	v_and_b32_e32 v4, 0x80000000, v4
	v_lshl_add_u32 v3, v3, 23, v6
	v_or3_b32 v2, v4, v3, v2
.LBB2_14188:
	s_or_b64 exec, exec, s[6:7]
	v_lshrrev_b32_e32 v3, 8, v5
	s_movk_i32 s4, 0x7f
	v_cmp_gt_i16_sdwa s[6:7], v3, s4 src0_sel:BYTE_0 src1_sel:DWORD
	s_mov_b64 s[4:5], 0
                                        ; implicit-def: $sgpr10
	s_and_saveexec_b64 s[8:9], s[6:7]
	s_xor_b64 s[6:7], exec, s[8:9]
	s_cbranch_execz .LBB2_14189
; %bb.50029:
	s_getpc_b64 s[14:15]
.Lpost_getpc28598:
	s_add_u32 s14, s14, (.LBB2_28525-.Lpost_getpc28598)&4294967295
	s_addc_u32 s15, s15, (.LBB2_28525-.Lpost_getpc28598)>>32
	s_setpc_b64 s[14:15]
.LBB2_14189:
	s_or_saveexec_b64 s[6:7], s[6:7]
	v_mov_b32_e32 v4, s10
	s_xor_b64 exec, exec, s[6:7]
	s_cbranch_execz .LBB2_14190
; %bb.50031:
	s_getpc_b64 s[14:15]
.Lpost_getpc28599:
	s_add_u32 s14, s14, (.LBB2_28528-.Lpost_getpc28599)&4294967295
	s_addc_u32 s15, s15, (.LBB2_28528-.Lpost_getpc28599)>>32
	s_setpc_b64 s[14:15]
.LBB2_14190:
	s_or_b64 exec, exec, s[6:7]
	s_and_saveexec_b64 s[6:7], s[4:5]
	s_cbranch_execz .LBB2_14192
.LBB2_14191:
	v_bfe_u32 v4, v5, 8, 3
	v_ffbh_u32_e32 v7, v4
	v_min_u32_e32 v7, 32, v7
	v_lshrrev_b16_e32 v6, 3, v3
	v_subrev_u32_e32 v8, 28, v7
	v_and_b32_e32 v6, 15, v6
	v_lshlrev_b32_e32 v3, v8, v3
	v_sub_u32_e32 v7, 29, v7
	v_and_b32_e32 v3, 7, v3
	v_cmp_eq_u16_e32 vcc, 0, v6
	v_cndmask_b32_e32 v3, v4, v3, vcc
	v_cndmask_b32_e32 v4, v6, v7, vcc
	v_lshlrev_b32_e32 v6, 16, v5
	v_mov_b32_e32 v7, 0x3b800000
	v_lshlrev_b32_e32 v3, 20, v3
	v_and_b32_e32 v6, 0x80000000, v6
	v_lshl_add_u32 v4, v4, 23, v7
	v_or3_b32 v4, v6, v4, v3
.LBB2_14192:
	s_or_b64 exec, exec, s[6:7]
	s_nop 0
	v_mfma_f32_16x16x4f32 a[0:3], v2, v4, a[0:3]
	s_movk_i32 s4, 0xff
	v_and_b32_sdwa v3, v9, s4 dst_sel:DWORD dst_unused:UNUSED_PAD src0_sel:WORD_1 src1_sel:DWORD
	s_movk_i32 s4, 0x7f
	v_cmp_lt_i16_e32 vcc, s4, v3
	s_mov_b64 s[4:5], 0
                                        ; implicit-def: $sgpr10
	s_and_saveexec_b64 s[6:7], vcc
	s_xor_b64 s[6:7], exec, s[6:7]
	s_cbranch_execz .LBB2_14193
; %bb.50033:
	s_getpc_b64 s[14:15]
.Lpost_getpc28600:
	s_add_u32 s14, s14, (.LBB2_28529-.Lpost_getpc28600)&4294967295
	s_addc_u32 s15, s15, (.LBB2_28529-.Lpost_getpc28600)>>32
	s_setpc_b64 s[14:15]
.LBB2_14193:
	s_or_saveexec_b64 s[6:7], s[6:7]
	v_mov_b32_e32 v2, s10
	s_xor_b64 exec, exec, s[6:7]
	s_cbranch_execz .LBB2_14194
; %bb.50035:
	s_getpc_b64 s[14:15]
.Lpost_getpc28601:
	s_add_u32 s14, s14, (.LBB2_28532-.Lpost_getpc28601)&4294967295
	s_addc_u32 s15, s15, (.LBB2_28532-.Lpost_getpc28601)>>32
	s_setpc_b64 s[14:15]
.LBB2_14194:
	s_or_b64 exec, exec, s[6:7]
	s_and_saveexec_b64 s[6:7], s[4:5]
	s_cbranch_execz .LBB2_14196
.LBB2_14195:
	v_bfe_u32 v2, v9, 16, 3
	v_ffbh_u32_e32 v6, v2
	v_min_u32_e32 v6, 32, v6
	v_lshrrev_b32_e32 v3, 19, v9
	v_subrev_u32_e32 v7, 28, v6
	v_and_b32_e32 v3, 15, v3
	v_lshlrev_b32_sdwa v7, v7, v9 dst_sel:DWORD dst_unused:UNUSED_PAD src0_sel:DWORD src1_sel:WORD_1
	v_bfe_u32 v4, v9, 19, 4
	v_sub_u32_e32 v6, 29, v6
	v_and_b32_e32 v7, 7, v7
	v_cmp_eq_u16_e32 vcc, 0, v3
	v_cndmask_b32_e32 v2, v2, v7, vcc
	v_cndmask_b32_e32 v3, v4, v6, vcc
	v_lshlrev_b32_e32 v4, 8, v9
	v_mov_b32_e32 v6, 0x3b800000
	v_lshlrev_b32_e32 v2, 20, v2
	v_and_b32_e32 v4, 0x80000000, v4
	v_lshl_add_u32 v3, v3, 23, v6
	v_or3_b32 v2, v4, v3, v2
.LBB2_14196:
	s_or_b64 exec, exec, s[6:7]
	s_movk_i32 s4, 0xff
	v_and_b32_sdwa v3, v5, s4 dst_sel:DWORD dst_unused:UNUSED_PAD src0_sel:WORD_1 src1_sel:DWORD
	s_movk_i32 s4, 0x7f
	v_cmp_lt_i16_e32 vcc, s4, v3
	s_mov_b64 s[4:5], 0
                                        ; implicit-def: $sgpr10
	s_and_saveexec_b64 s[6:7], vcc
	s_xor_b64 s[6:7], exec, s[6:7]
	s_cbranch_execz .LBB2_14197
; %bb.50037:
	s_getpc_b64 s[14:15]
.Lpost_getpc28602:
	s_add_u32 s14, s14, (.LBB2_28533-.Lpost_getpc28602)&4294967295
	s_addc_u32 s15, s15, (.LBB2_28533-.Lpost_getpc28602)>>32
	s_setpc_b64 s[14:15]
.LBB2_14197:
	s_or_saveexec_b64 s[6:7], s[6:7]
	v_mov_b32_e32 v4, s10
	s_xor_b64 exec, exec, s[6:7]
	s_cbranch_execz .LBB2_14198
; %bb.50039:
	s_getpc_b64 s[14:15]
.Lpost_getpc28603:
	s_add_u32 s14, s14, (.LBB2_28536-.Lpost_getpc28603)&4294967295
	s_addc_u32 s15, s15, (.LBB2_28536-.Lpost_getpc28603)>>32
	s_setpc_b64 s[14:15]
.LBB2_14198:
	s_or_b64 exec, exec, s[6:7]
	s_and_saveexec_b64 s[6:7], s[4:5]
	s_cbranch_execz .LBB2_14200
.LBB2_14199:
	v_bfe_u32 v3, v5, 16, 3
	v_ffbh_u32_e32 v7, v3
	v_min_u32_e32 v7, 32, v7
	v_lshrrev_b32_e32 v4, 19, v5
	v_subrev_u32_e32 v8, 28, v7
	v_and_b32_e32 v4, 15, v4
	v_lshlrev_b32_sdwa v8, v8, v5 dst_sel:DWORD dst_unused:UNUSED_PAD src0_sel:DWORD src1_sel:WORD_1
	v_bfe_u32 v6, v5, 19, 4
	v_sub_u32_e32 v7, 29, v7
	v_and_b32_e32 v8, 7, v8
	v_cmp_eq_u16_e32 vcc, 0, v4
	v_cndmask_b32_e32 v3, v3, v8, vcc
	v_cndmask_b32_e32 v4, v6, v7, vcc
	v_lshlrev_b32_e32 v6, 8, v5
	v_mov_b32_e32 v7, 0x3b800000
	v_lshlrev_b32_e32 v3, 20, v3
	v_and_b32_e32 v6, 0x80000000, v6
	v_lshl_add_u32 v4, v4, 23, v7
	v_or3_b32 v4, v6, v4, v3
.LBB2_14200:
	s_or_b64 exec, exec, s[6:7]
	s_nop 0
	v_mfma_f32_16x16x4f32 a[0:3], v2, v4, a[0:3]
	s_movk_i32 s4, 0x7f
	v_cmp_gt_i16_sdwa s[6:7], v9, s4 src0_sel:BYTE_3 src1_sel:DWORD
	s_mov_b64 s[4:5], 0
                                        ; implicit-def: $sgpr10
	s_and_saveexec_b64 s[8:9], s[6:7]
	s_xor_b64 s[6:7], exec, s[8:9]
	s_cbranch_execz .LBB2_14201
; %bb.50041:
	s_getpc_b64 s[14:15]
.Lpost_getpc28604:
	s_add_u32 s14, s14, (.LBB2_28537-.Lpost_getpc28604)&4294967295
	s_addc_u32 s15, s15, (.LBB2_28537-.Lpost_getpc28604)>>32
	s_setpc_b64 s[14:15]
.LBB2_14201:
	s_or_saveexec_b64 s[6:7], s[6:7]
	v_mov_b32_e32 v2, s10
	s_xor_b64 exec, exec, s[6:7]
	s_cbranch_execz .LBB2_14202
; %bb.50043:
	s_getpc_b64 s[14:15]
.Lpost_getpc28605:
	s_add_u32 s14, s14, (.LBB2_28540-.Lpost_getpc28605)&4294967295
	s_addc_u32 s15, s15, (.LBB2_28540-.Lpost_getpc28605)>>32
	s_setpc_b64 s[14:15]
.LBB2_14202:
	s_or_b64 exec, exec, s[6:7]
	s_and_saveexec_b64 s[6:7], s[4:5]
	s_cbranch_execz .LBB2_14204
.LBB2_14203:
	v_bfe_u32 v2, v9, 24, 3
	v_ffbh_u32_e32 v7, v2
	v_min_u32_e32 v7, 32, v7
	v_lshrrev_b32_e32 v4, 27, v9
	v_subrev_u32_e32 v8, 28, v7
	v_and_b32_e32 v4, 15, v4
	v_lshlrev_b32_sdwa v8, v8, v9 dst_sel:DWORD dst_unused:UNUSED_PAD src0_sel:DWORD src1_sel:BYTE_3
	v_bfe_u32 v6, v9, 27, 4
	v_sub_u32_e32 v7, 29, v7
	v_and_b32_e32 v8, 7, v8
	v_cmp_eq_u16_e32 vcc, 0, v4
	v_cndmask_b32_e32 v2, v2, v8, vcc
	v_cndmask_b32_e32 v4, v6, v7, vcc
	v_mov_b32_e32 v6, 0x3b800000
	v_and_b32_e32 v3, 0x80000000, v9
	v_lshlrev_b32_e32 v2, 20, v2
	v_lshl_add_u32 v4, v4, 23, v6
	v_or3_b32 v2, v3, v4, v2
.LBB2_14204:
	s_or_b64 exec, exec, s[6:7]
	s_movk_i32 s4, 0x7f
	v_cmp_gt_i16_sdwa s[6:7], v5, s4 src0_sel:BYTE_3 src1_sel:DWORD
	s_mov_b64 s[4:5], 0
                                        ; implicit-def: $sgpr10
	s_and_saveexec_b64 s[8:9], s[6:7]
	s_xor_b64 s[6:7], exec, s[8:9]
	s_cbranch_execz .LBB2_14205
; %bb.50045:
	s_getpc_b64 s[14:15]
.Lpost_getpc28606:
	s_add_u32 s14, s14, (.LBB2_28541-.Lpost_getpc28606)&4294967295
	s_addc_u32 s15, s15, (.LBB2_28541-.Lpost_getpc28606)>>32
	s_setpc_b64 s[14:15]
.LBB2_14205:
	s_or_saveexec_b64 s[6:7], s[6:7]
	v_mov_b32_e32 v3, s10
	s_xor_b64 exec, exec, s[6:7]
	s_cbranch_execz .LBB2_14206
; %bb.50047:
	s_getpc_b64 s[14:15]
.Lpost_getpc28607:
	s_add_u32 s14, s14, (.LBB2_28544-.Lpost_getpc28607)&4294967295
	s_addc_u32 s15, s15, (.LBB2_28544-.Lpost_getpc28607)>>32
	s_setpc_b64 s[14:15]
.LBB2_14206:
	s_or_b64 exec, exec, s[6:7]
	s_and_saveexec_b64 s[6:7], s[4:5]
	s_cbranch_execz .LBB2_14208
.LBB2_14207:
	v_bfe_u32 v3, v5, 24, 3
	v_ffbh_u32_e32 v8, v3
	v_min_u32_e32 v8, 32, v8
	v_lshrrev_b32_e32 v6, 27, v5
	v_subrev_u32_e32 v9, 28, v8
	v_and_b32_e32 v4, 0x80000000, v5
	v_and_b32_e32 v6, 15, v6
	v_bfe_u32 v7, v5, 27, 4
	v_lshlrev_b32_sdwa v5, v9, v5 dst_sel:DWORD dst_unused:UNUSED_PAD src0_sel:DWORD src1_sel:BYTE_3
	v_sub_u32_e32 v8, 29, v8
	v_and_b32_e32 v5, 7, v5
	v_cmp_eq_u16_e32 vcc, 0, v6
	v_cndmask_b32_e32 v3, v3, v5, vcc
	v_cndmask_b32_e32 v5, v7, v8, vcc
	v_mov_b32_e32 v6, 0x3b800000
	v_lshlrev_b32_e32 v3, 20, v3
	v_lshl_add_u32 v5, v5, 23, v6
	v_or3_b32 v3, v4, v5, v3
.LBB2_14208:
	s_or_b64 exec, exec, s[6:7]
	s_nop 0
	v_mfma_f32_16x16x4f32 a[0:3], v2, v3, a[0:3]
	s_movk_i32 s4, 0x7f
                                        ; implicit-def: $sgpr10
	s_nop 7
	s_nop 1
	flat_store_dwordx4 v[10:11], a[0:3] offset:864
	flat_load_dwordx4 v[10:13], v[0:1]
	s_nop 0
	flat_load_dwordx2 v[8:9], v[0:1] offset:16
	s_waitcnt vmcnt(0) lgkmcnt(0)
	flat_load_dwordx4 v[4:7], v[10:11] offset:208
	flat_load_dwordx4 v[0:3], v[12:13] offset:240
	s_waitcnt vmcnt(0) lgkmcnt(0)
	v_cmp_gt_i16_sdwa s[6:7], v4, s4 src0_sel:BYTE_0 src1_sel:DWORD
	s_mov_b64 s[4:5], 0
	s_and_saveexec_b64 s[8:9], s[6:7]
	s_xor_b64 s[6:7], exec, s[8:9]
	s_cbranch_execz .LBB2_14209
; %bb.50049:
	s_getpc_b64 s[14:15]
.Lpost_getpc28608:
	s_add_u32 s14, s14, (.LBB2_28545-.Lpost_getpc28608)&4294967295
	s_addc_u32 s15, s15, (.LBB2_28545-.Lpost_getpc28608)>>32
	s_setpc_b64 s[14:15]
.LBB2_14209:
	s_or_saveexec_b64 s[6:7], s[6:7]
	v_mov_b32_e32 v10, s10
	s_xor_b64 exec, exec, s[6:7]
	s_cbranch_execz .LBB2_14210
; %bb.50051:
	s_getpc_b64 s[14:15]
.Lpost_getpc28609:
	s_add_u32 s14, s14, (.LBB2_28548-.Lpost_getpc28609)&4294967295
	s_addc_u32 s15, s15, (.LBB2_28548-.Lpost_getpc28609)>>32
	s_setpc_b64 s[14:15]
.LBB2_14210:
	s_or_b64 exec, exec, s[6:7]
	s_and_saveexec_b64 s[6:7], s[4:5]
	s_cbranch_execz .LBB2_14212
.LBB2_14211:
	v_and_b32_e32 v10, 7, v4
	v_ffbh_u32_e32 v12, v10
	v_min_u32_e32 v12, 32, v12
	v_lshrrev_b16_e32 v11, 3, v4
	v_subrev_u32_e32 v13, 28, v12
	v_and_b32_e32 v11, 15, v11
	v_lshlrev_b32_e32 v13, v13, v4
	v_sub_u32_e32 v12, 29, v12
	v_and_b32_e32 v13, 7, v13
	v_cmp_eq_u16_e32 vcc, 0, v11
	v_cndmask_b32_e32 v10, v10, v13, vcc
	v_cndmask_b32_e32 v11, v11, v12, vcc
	v_lshlrev_b32_e32 v12, 24, v4
	v_mov_b32_e32 v13, 0x3b800000
	v_lshlrev_b32_e32 v10, 20, v10
	v_and_b32_e32 v12, 0x80000000, v12
	v_lshl_add_u32 v11, v11, 23, v13
	v_or3_b32 v10, v12, v11, v10
.LBB2_14212:
	s_or_b64 exec, exec, s[6:7]
	s_movk_i32 s4, 0x7f
	v_cmp_gt_i16_sdwa s[6:7], v0, s4 src0_sel:BYTE_0 src1_sel:DWORD
	s_mov_b64 s[4:5], 0
                                        ; implicit-def: $sgpr10
	s_and_saveexec_b64 s[8:9], s[6:7]
	s_xor_b64 s[6:7], exec, s[8:9]
	s_cbranch_execz .LBB2_14213
; %bb.50053:
	s_getpc_b64 s[14:15]
.Lpost_getpc28610:
	s_add_u32 s14, s14, (.LBB2_28549-.Lpost_getpc28610)&4294967295
	s_addc_u32 s15, s15, (.LBB2_28549-.Lpost_getpc28610)>>32
	s_setpc_b64 s[14:15]
.LBB2_14213:
	s_or_saveexec_b64 s[6:7], s[6:7]
	v_mov_b32_e32 v11, s10
	s_xor_b64 exec, exec, s[6:7]
	s_cbranch_execz .LBB2_14214
; %bb.50055:
	s_getpc_b64 s[14:15]
.Lpost_getpc28611:
	s_add_u32 s14, s14, (.LBB2_28552-.Lpost_getpc28611)&4294967295
	s_addc_u32 s15, s15, (.LBB2_28552-.Lpost_getpc28611)>>32
	s_setpc_b64 s[14:15]
.LBB2_14214:
	s_or_b64 exec, exec, s[6:7]
	s_and_saveexec_b64 s[6:7], s[4:5]
	s_cbranch_execz .LBB2_14216
.LBB2_14215:
	v_and_b32_e32 v11, 7, v0
	v_ffbh_u32_e32 v13, v11
	v_min_u32_e32 v13, 32, v13
	v_lshrrev_b16_e32 v12, 3, v0
	v_subrev_u32_e32 v14, 28, v13
	v_and_b32_e32 v12, 15, v12
	v_lshlrev_b32_e32 v14, v14, v0
	v_sub_u32_e32 v13, 29, v13
	v_and_b32_e32 v14, 7, v14
	v_cmp_eq_u16_e32 vcc, 0, v12
	v_cndmask_b32_e32 v11, v11, v14, vcc
	v_cndmask_b32_e32 v12, v12, v13, vcc
	v_lshlrev_b32_e32 v13, 24, v0
	v_mov_b32_e32 v14, 0x3b800000
	v_lshlrev_b32_e32 v11, 20, v11
	v_and_b32_e32 v13, 0x80000000, v13
	v_lshl_add_u32 v12, v12, 23, v14
	v_or3_b32 v11, v13, v12, v11
.LBB2_14216:
	s_or_b64 exec, exec, s[6:7]
	flat_load_dwordx4 a[0:3], v[8:9] offset:880
	s_movk_i32 s4, 0x7f
                                        ; implicit-def: $sgpr10
	s_waitcnt vmcnt(0) lgkmcnt(0)
	v_mfma_f32_16x16x4f32 a[0:3], v10, v11, a[0:3]
	v_lshrrev_b32_e32 v11, 8, v4
	v_cmp_gt_i16_sdwa s[6:7], v11, s4 src0_sel:BYTE_0 src1_sel:DWORD
	s_mov_b64 s[4:5], 0
	s_and_saveexec_b64 s[8:9], s[6:7]
	s_xor_b64 s[6:7], exec, s[8:9]
	s_cbranch_execz .LBB2_14217
; %bb.50057:
	s_getpc_b64 s[14:15]
.Lpost_getpc28612:
	s_add_u32 s14, s14, (.LBB2_28553-.Lpost_getpc28612)&4294967295
	s_addc_u32 s15, s15, (.LBB2_28553-.Lpost_getpc28612)>>32
	s_setpc_b64 s[14:15]
.LBB2_14217:
	s_or_saveexec_b64 s[6:7], s[6:7]
	v_mov_b32_e32 v10, s10
	s_xor_b64 exec, exec, s[6:7]
	s_cbranch_execz .LBB2_14218
; %bb.50059:
	s_getpc_b64 s[14:15]
.Lpost_getpc28613:
	s_add_u32 s14, s14, (.LBB2_28556-.Lpost_getpc28613)&4294967295
	s_addc_u32 s15, s15, (.LBB2_28556-.Lpost_getpc28613)>>32
	s_setpc_b64 s[14:15]
.LBB2_14218:
	s_or_b64 exec, exec, s[6:7]
	s_and_saveexec_b64 s[6:7], s[4:5]
	s_cbranch_execz .LBB2_14220
.LBB2_14219:
	v_bfe_u32 v10, v4, 8, 3
	v_ffbh_u32_e32 v13, v10
	v_min_u32_e32 v13, 32, v13
	v_lshrrev_b16_e32 v12, 3, v11
	v_subrev_u32_e32 v14, 28, v13
	v_and_b32_e32 v12, 15, v12
	v_lshlrev_b32_e32 v11, v14, v11
	v_sub_u32_e32 v13, 29, v13
	v_and_b32_e32 v11, 7, v11
	v_cmp_eq_u16_e32 vcc, 0, v12
	v_cndmask_b32_e32 v10, v10, v11, vcc
	v_cndmask_b32_e32 v11, v12, v13, vcc
	v_lshlrev_b32_e32 v12, 16, v4
	v_mov_b32_e32 v13, 0x3b800000
	v_lshlrev_b32_e32 v10, 20, v10
	v_and_b32_e32 v12, 0x80000000, v12
	v_lshl_add_u32 v11, v11, 23, v13
	v_or3_b32 v10, v12, v11, v10
.LBB2_14220:
	s_or_b64 exec, exec, s[6:7]
	v_lshrrev_b32_e32 v11, 8, v0
	s_movk_i32 s4, 0x7f
	v_cmp_gt_i16_sdwa s[6:7], v11, s4 src0_sel:BYTE_0 src1_sel:DWORD
	s_mov_b64 s[4:5], 0
                                        ; implicit-def: $sgpr10
	s_and_saveexec_b64 s[8:9], s[6:7]
	s_xor_b64 s[6:7], exec, s[8:9]
	s_cbranch_execz .LBB2_14221
; %bb.50061:
	s_getpc_b64 s[14:15]
.Lpost_getpc28614:
	s_add_u32 s14, s14, (.LBB2_28557-.Lpost_getpc28614)&4294967295
	s_addc_u32 s15, s15, (.LBB2_28557-.Lpost_getpc28614)>>32
	s_setpc_b64 s[14:15]
.LBB2_14221:
	s_or_saveexec_b64 s[6:7], s[6:7]
	v_mov_b32_e32 v12, s10
	s_xor_b64 exec, exec, s[6:7]
	s_cbranch_execz .LBB2_14222
; %bb.50063:
	s_getpc_b64 s[14:15]
.Lpost_getpc28615:
	s_add_u32 s14, s14, (.LBB2_28560-.Lpost_getpc28615)&4294967295
	s_addc_u32 s15, s15, (.LBB2_28560-.Lpost_getpc28615)>>32
	s_setpc_b64 s[14:15]
.LBB2_14222:
	s_or_b64 exec, exec, s[6:7]
	s_and_saveexec_b64 s[6:7], s[4:5]
	s_cbranch_execz .LBB2_14224
.LBB2_14223:
	v_bfe_u32 v12, v0, 8, 3
	v_ffbh_u32_e32 v14, v12
	v_min_u32_e32 v14, 32, v14
	v_lshrrev_b16_e32 v13, 3, v11
	v_subrev_u32_e32 v15, 28, v14
	v_and_b32_e32 v13, 15, v13
	v_lshlrev_b32_e32 v11, v15, v11
	v_sub_u32_e32 v14, 29, v14
	v_and_b32_e32 v11, 7, v11
	v_cmp_eq_u16_e32 vcc, 0, v13
	v_cndmask_b32_e32 v11, v12, v11, vcc
	v_cndmask_b32_e32 v12, v13, v14, vcc
	v_lshlrev_b32_e32 v13, 16, v0
	v_mov_b32_e32 v14, 0x3b800000
	v_lshlrev_b32_e32 v11, 20, v11
	v_and_b32_e32 v13, 0x80000000, v13
	v_lshl_add_u32 v12, v12, 23, v14
	v_or3_b32 v12, v13, v12, v11
.LBB2_14224:
	s_or_b64 exec, exec, s[6:7]
	s_nop 0
	v_mfma_f32_16x16x4f32 a[0:3], v10, v12, a[0:3]
	s_movk_i32 s4, 0xff
	v_and_b32_sdwa v11, v4, s4 dst_sel:DWORD dst_unused:UNUSED_PAD src0_sel:WORD_1 src1_sel:DWORD
	s_movk_i32 s4, 0x7f
	v_cmp_lt_i16_e32 vcc, s4, v11
	s_mov_b64 s[4:5], 0
                                        ; implicit-def: $sgpr10
	s_and_saveexec_b64 s[6:7], vcc
	s_xor_b64 s[6:7], exec, s[6:7]
	s_cbranch_execz .LBB2_14225
; %bb.50065:
	s_getpc_b64 s[14:15]
.Lpost_getpc28616:
	s_add_u32 s14, s14, (.LBB2_28561-.Lpost_getpc28616)&4294967295
	s_addc_u32 s15, s15, (.LBB2_28561-.Lpost_getpc28616)>>32
	s_setpc_b64 s[14:15]
.LBB2_14225:
	s_or_saveexec_b64 s[6:7], s[6:7]
	v_mov_b32_e32 v10, s10
	s_xor_b64 exec, exec, s[6:7]
	s_cbranch_execz .LBB2_14226
; %bb.50067:
	s_getpc_b64 s[14:15]
.Lpost_getpc28617:
	s_add_u32 s14, s14, (.LBB2_28564-.Lpost_getpc28617)&4294967295
	s_addc_u32 s15, s15, (.LBB2_28564-.Lpost_getpc28617)>>32
	s_setpc_b64 s[14:15]
.LBB2_14226:
	s_or_b64 exec, exec, s[6:7]
	s_and_saveexec_b64 s[6:7], s[4:5]
	s_cbranch_execz .LBB2_14228
.LBB2_14227:
	v_bfe_u32 v10, v4, 16, 3
	v_ffbh_u32_e32 v13, v10
	v_min_u32_e32 v13, 32, v13
	v_lshrrev_b32_e32 v11, 19, v4
	v_subrev_u32_e32 v14, 28, v13
	v_and_b32_e32 v11, 15, v11
	v_lshlrev_b32_sdwa v14, v14, v4 dst_sel:DWORD dst_unused:UNUSED_PAD src0_sel:DWORD src1_sel:WORD_1
	v_bfe_u32 v12, v4, 19, 4
	v_sub_u32_e32 v13, 29, v13
	v_and_b32_e32 v14, 7, v14
	v_cmp_eq_u16_e32 vcc, 0, v11
	v_cndmask_b32_e32 v10, v10, v14, vcc
	v_cndmask_b32_e32 v11, v12, v13, vcc
	v_lshlrev_b32_e32 v12, 8, v4
	v_mov_b32_e32 v13, 0x3b800000
	v_lshlrev_b32_e32 v10, 20, v10
	v_and_b32_e32 v12, 0x80000000, v12
	v_lshl_add_u32 v11, v11, 23, v13
	v_or3_b32 v10, v12, v11, v10
.LBB2_14228:
	s_or_b64 exec, exec, s[6:7]
	s_movk_i32 s4, 0xff
	v_and_b32_sdwa v11, v0, s4 dst_sel:DWORD dst_unused:UNUSED_PAD src0_sel:WORD_1 src1_sel:DWORD
	s_movk_i32 s4, 0x7f
	v_cmp_lt_i16_e32 vcc, s4, v11
	s_mov_b64 s[4:5], 0
                                        ; implicit-def: $sgpr10
	s_and_saveexec_b64 s[6:7], vcc
	s_xor_b64 s[6:7], exec, s[6:7]
	s_cbranch_execz .LBB2_14229
; %bb.50069:
	s_getpc_b64 s[14:15]
.Lpost_getpc28618:
	s_add_u32 s14, s14, (.LBB2_28565-.Lpost_getpc28618)&4294967295
	s_addc_u32 s15, s15, (.LBB2_28565-.Lpost_getpc28618)>>32
	s_setpc_b64 s[14:15]
.LBB2_14229:
	s_or_saveexec_b64 s[6:7], s[6:7]
	v_mov_b32_e32 v12, s10
	s_xor_b64 exec, exec, s[6:7]
	s_cbranch_execz .LBB2_14230
; %bb.50071:
	s_getpc_b64 s[14:15]
.Lpost_getpc28619:
	s_add_u32 s14, s14, (.LBB2_28568-.Lpost_getpc28619)&4294967295
	s_addc_u32 s15, s15, (.LBB2_28568-.Lpost_getpc28619)>>32
	s_setpc_b64 s[14:15]
.LBB2_14230:
	s_or_b64 exec, exec, s[6:7]
	s_and_saveexec_b64 s[6:7], s[4:5]
	s_cbranch_execz .LBB2_14232
.LBB2_14231:
	v_bfe_u32 v11, v0, 16, 3
	v_ffbh_u32_e32 v14, v11
	v_min_u32_e32 v14, 32, v14
	v_lshrrev_b32_e32 v12, 19, v0
	v_subrev_u32_e32 v15, 28, v14
	v_and_b32_e32 v12, 15, v12
	v_lshlrev_b32_sdwa v15, v15, v0 dst_sel:DWORD dst_unused:UNUSED_PAD src0_sel:DWORD src1_sel:WORD_1
	v_bfe_u32 v13, v0, 19, 4
	v_sub_u32_e32 v14, 29, v14
	v_and_b32_e32 v15, 7, v15
	v_cmp_eq_u16_e32 vcc, 0, v12
	v_cndmask_b32_e32 v11, v11, v15, vcc
	v_cndmask_b32_e32 v12, v13, v14, vcc
	v_lshlrev_b32_e32 v13, 8, v0
	v_mov_b32_e32 v14, 0x3b800000
	v_lshlrev_b32_e32 v11, 20, v11
	v_and_b32_e32 v13, 0x80000000, v13
	v_lshl_add_u32 v12, v12, 23, v14
	v_or3_b32 v12, v13, v12, v11
.LBB2_14232:
	s_or_b64 exec, exec, s[6:7]
	s_nop 0
	v_mfma_f32_16x16x4f32 a[0:3], v10, v12, a[0:3]
	s_movk_i32 s4, 0x7f
	v_cmp_gt_i16_sdwa s[6:7], v4, s4 src0_sel:BYTE_3 src1_sel:DWORD
	s_mov_b64 s[4:5], 0
                                        ; implicit-def: $sgpr10
	s_and_saveexec_b64 s[8:9], s[6:7]
	s_xor_b64 s[6:7], exec, s[8:9]
	s_cbranch_execz .LBB2_14233
; %bb.50073:
	s_getpc_b64 s[14:15]
.Lpost_getpc28620:
	s_add_u32 s14, s14, (.LBB2_28569-.Lpost_getpc28620)&4294967295
	s_addc_u32 s15, s15, (.LBB2_28569-.Lpost_getpc28620)>>32
	s_setpc_b64 s[14:15]
.LBB2_14233:
	s_or_saveexec_b64 s[6:7], s[6:7]
	v_mov_b32_e32 v10, s10
	s_xor_b64 exec, exec, s[6:7]
	s_cbranch_execz .LBB2_14234
; %bb.50075:
	s_getpc_b64 s[14:15]
.Lpost_getpc28621:
	s_add_u32 s14, s14, (.LBB2_28572-.Lpost_getpc28621)&4294967295
	s_addc_u32 s15, s15, (.LBB2_28572-.Lpost_getpc28621)>>32
	s_setpc_b64 s[14:15]
.LBB2_14234:
	s_or_b64 exec, exec, s[6:7]
	s_and_saveexec_b64 s[6:7], s[4:5]
	s_cbranch_execz .LBB2_14236
.LBB2_14235:
	v_bfe_u32 v10, v4, 24, 3
	v_ffbh_u32_e32 v14, v10
	v_min_u32_e32 v14, 32, v14
	v_lshrrev_b32_e32 v12, 27, v4
	v_subrev_u32_e32 v15, 28, v14
	v_and_b32_e32 v11, 0x80000000, v4
	v_and_b32_e32 v12, 15, v12
	v_bfe_u32 v13, v4, 27, 4
	v_lshlrev_b32_sdwa v4, v15, v4 dst_sel:DWORD dst_unused:UNUSED_PAD src0_sel:DWORD src1_sel:BYTE_3
	v_sub_u32_e32 v14, 29, v14
	v_and_b32_e32 v4, 7, v4
	v_cmp_eq_u16_e32 vcc, 0, v12
	v_cndmask_b32_e32 v4, v10, v4, vcc
	v_cndmask_b32_e32 v10, v13, v14, vcc
	v_mov_b32_e32 v12, 0x3b800000
	v_lshlrev_b32_e32 v4, 20, v4
	v_lshl_add_u32 v10, v10, 23, v12
	v_or3_b32 v10, v11, v10, v4
.LBB2_14236:
	s_or_b64 exec, exec, s[6:7]
	s_movk_i32 s4, 0x7f
	v_cmp_gt_i16_sdwa s[6:7], v0, s4 src0_sel:BYTE_3 src1_sel:DWORD
	s_mov_b64 s[4:5], 0
                                        ; implicit-def: $sgpr10
	s_and_saveexec_b64 s[8:9], s[6:7]
	s_xor_b64 s[6:7], exec, s[8:9]
	s_cbranch_execz .LBB2_14237
; %bb.50077:
	s_getpc_b64 s[14:15]
.Lpost_getpc28622:
	s_add_u32 s14, s14, (.LBB2_28573-.Lpost_getpc28622)&4294967295
	s_addc_u32 s15, s15, (.LBB2_28573-.Lpost_getpc28622)>>32
	s_setpc_b64 s[14:15]
.LBB2_14237:
	s_or_saveexec_b64 s[6:7], s[6:7]
	v_mov_b32_e32 v4, s10
	s_xor_b64 exec, exec, s[6:7]
	s_cbranch_execz .LBB2_14238
; %bb.50079:
	s_getpc_b64 s[14:15]
.Lpost_getpc28623:
	s_add_u32 s14, s14, (.LBB2_28576-.Lpost_getpc28623)&4294967295
	s_addc_u32 s15, s15, (.LBB2_28576-.Lpost_getpc28623)>>32
	s_setpc_b64 s[14:15]
.LBB2_14238:
	s_or_b64 exec, exec, s[6:7]
	s_and_saveexec_b64 s[6:7], s[4:5]
	s_cbranch_execz .LBB2_14240
.LBB2_14239:
	v_bfe_u32 v4, v0, 24, 3
	v_ffbh_u32_e32 v14, v4
	v_min_u32_e32 v14, 32, v14
	v_lshrrev_b32_e32 v12, 27, v0
	v_subrev_u32_e32 v15, 28, v14
	v_and_b32_e32 v11, 0x80000000, v0
	v_and_b32_e32 v12, 15, v12
	v_bfe_u32 v13, v0, 27, 4
	v_lshlrev_b32_sdwa v0, v15, v0 dst_sel:DWORD dst_unused:UNUSED_PAD src0_sel:DWORD src1_sel:BYTE_3
	v_sub_u32_e32 v14, 29, v14
	v_and_b32_e32 v0, 7, v0
	v_cmp_eq_u16_e32 vcc, 0, v12
	v_cndmask_b32_e32 v0, v4, v0, vcc
	v_cndmask_b32_e32 v4, v13, v14, vcc
	v_mov_b32_e32 v12, 0x3b800000
	v_lshlrev_b32_e32 v0, 20, v0
	v_lshl_add_u32 v4, v4, 23, v12
	v_or3_b32 v4, v11, v4, v0
.LBB2_14240:
	s_or_b64 exec, exec, s[6:7]
	s_nop 0
	v_mfma_f32_16x16x4f32 a[0:3], v10, v4, a[0:3]
	s_movk_i32 s4, 0x7f
	v_cmp_gt_i16_sdwa s[6:7], v5, s4 src0_sel:BYTE_0 src1_sel:DWORD
	s_mov_b64 s[4:5], 0
                                        ; implicit-def: $sgpr10
	s_and_saveexec_b64 s[8:9], s[6:7]
	s_xor_b64 s[6:7], exec, s[8:9]
	s_cbranch_execz .LBB2_14241
; %bb.50081:
	s_getpc_b64 s[14:15]
.Lpost_getpc28624:
	s_add_u32 s14, s14, (.LBB2_28577-.Lpost_getpc28624)&4294967295
	s_addc_u32 s15, s15, (.LBB2_28577-.Lpost_getpc28624)>>32
	s_setpc_b64 s[14:15]
.LBB2_14241:
	s_or_saveexec_b64 s[6:7], s[6:7]
	v_mov_b32_e32 v0, s10
	s_xor_b64 exec, exec, s[6:7]
	s_cbranch_execz .LBB2_14242
; %bb.50083:
	s_getpc_b64 s[14:15]
.Lpost_getpc28625:
	s_add_u32 s14, s14, (.LBB2_28580-.Lpost_getpc28625)&4294967295
	s_addc_u32 s15, s15, (.LBB2_28580-.Lpost_getpc28625)>>32
	s_setpc_b64 s[14:15]
.LBB2_14242:
	s_or_b64 exec, exec, s[6:7]
	s_and_saveexec_b64 s[6:7], s[4:5]
	s_cbranch_execz .LBB2_14244
.LBB2_14243:
	v_and_b32_e32 v0, 7, v5
	v_ffbh_u32_e32 v10, v0
	v_min_u32_e32 v10, 32, v10
	v_lshrrev_b16_e32 v4, 3, v5
	v_subrev_u32_e32 v11, 28, v10
	v_and_b32_e32 v4, 15, v4
	v_lshlrev_b32_e32 v11, v11, v5
	v_sub_u32_e32 v10, 29, v10
	v_and_b32_e32 v11, 7, v11
	v_cmp_eq_u16_e32 vcc, 0, v4
	v_cndmask_b32_e32 v0, v0, v11, vcc
	v_cndmask_b32_e32 v4, v4, v10, vcc
	v_lshlrev_b32_e32 v10, 24, v5
	v_mov_b32_e32 v11, 0x3b800000
	v_lshlrev_b32_e32 v0, 20, v0
	v_and_b32_e32 v10, 0x80000000, v10
	v_lshl_add_u32 v4, v4, 23, v11
	v_or3_b32 v0, v10, v4, v0
.LBB2_14244:
	s_or_b64 exec, exec, s[6:7]
	s_movk_i32 s4, 0x7f
	v_cmp_gt_i16_sdwa s[6:7], v1, s4 src0_sel:BYTE_0 src1_sel:DWORD
	s_mov_b64 s[4:5], 0
                                        ; implicit-def: $sgpr10
	s_and_saveexec_b64 s[8:9], s[6:7]
	s_xor_b64 s[6:7], exec, s[8:9]
	s_cbranch_execz .LBB2_14245
; %bb.50085:
	s_getpc_b64 s[14:15]
.Lpost_getpc28626:
	s_add_u32 s14, s14, (.LBB2_28581-.Lpost_getpc28626)&4294967295
	s_addc_u32 s15, s15, (.LBB2_28581-.Lpost_getpc28626)>>32
	s_setpc_b64 s[14:15]
.LBB2_14245:
	s_or_saveexec_b64 s[6:7], s[6:7]
	v_mov_b32_e32 v4, s10
	s_xor_b64 exec, exec, s[6:7]
	s_cbranch_execz .LBB2_14246
; %bb.50087:
	s_getpc_b64 s[14:15]
.Lpost_getpc28627:
	s_add_u32 s14, s14, (.LBB2_28584-.Lpost_getpc28627)&4294967295
	s_addc_u32 s15, s15, (.LBB2_28584-.Lpost_getpc28627)>>32
	s_setpc_b64 s[14:15]
.LBB2_14246:
	s_or_b64 exec, exec, s[6:7]
	s_and_saveexec_b64 s[6:7], s[4:5]
	s_cbranch_execz .LBB2_14248
.LBB2_14247:
	v_and_b32_e32 v4, 7, v1
	v_ffbh_u32_e32 v11, v4
	v_min_u32_e32 v11, 32, v11
	v_lshrrev_b16_e32 v10, 3, v1
	v_subrev_u32_e32 v12, 28, v11
	v_and_b32_e32 v10, 15, v10
	v_lshlrev_b32_e32 v12, v12, v1
	v_sub_u32_e32 v11, 29, v11
	v_and_b32_e32 v12, 7, v12
	v_cmp_eq_u16_e32 vcc, 0, v10
	v_cndmask_b32_e32 v4, v4, v12, vcc
	v_cndmask_b32_e32 v10, v10, v11, vcc
	v_lshlrev_b32_e32 v11, 24, v1
	v_mov_b32_e32 v12, 0x3b800000
	v_lshlrev_b32_e32 v4, 20, v4
	v_and_b32_e32 v11, 0x80000000, v11
	v_lshl_add_u32 v10, v10, 23, v12
	v_or3_b32 v4, v11, v10, v4
.LBB2_14248:
	s_or_b64 exec, exec, s[6:7]
	s_nop 0
	v_mfma_f32_16x16x4f32 a[0:3], v0, v4, a[0:3]
	v_lshrrev_b32_e32 v4, 8, v5
	s_movk_i32 s4, 0x7f
	v_cmp_gt_i16_sdwa s[6:7], v4, s4 src0_sel:BYTE_0 src1_sel:DWORD
	s_mov_b64 s[4:5], 0
                                        ; implicit-def: $sgpr10
	s_and_saveexec_b64 s[8:9], s[6:7]
	s_xor_b64 s[6:7], exec, s[8:9]
	s_cbranch_execz .LBB2_14249
; %bb.50089:
	s_getpc_b64 s[14:15]
.Lpost_getpc28628:
	s_add_u32 s14, s14, (.LBB2_28585-.Lpost_getpc28628)&4294967295
	s_addc_u32 s15, s15, (.LBB2_28585-.Lpost_getpc28628)>>32
	s_setpc_b64 s[14:15]
.LBB2_14249:
	s_or_saveexec_b64 s[6:7], s[6:7]
	v_mov_b32_e32 v0, s10
	s_xor_b64 exec, exec, s[6:7]
	s_cbranch_execz .LBB2_14250
; %bb.50091:
	s_getpc_b64 s[14:15]
.Lpost_getpc28629:
	s_add_u32 s14, s14, (.LBB2_28588-.Lpost_getpc28629)&4294967295
	s_addc_u32 s15, s15, (.LBB2_28588-.Lpost_getpc28629)>>32
	s_setpc_b64 s[14:15]
.LBB2_14250:
	s_or_b64 exec, exec, s[6:7]
	s_and_saveexec_b64 s[6:7], s[4:5]
	s_cbranch_execz .LBB2_14252
.LBB2_14251:
	v_bfe_u32 v0, v5, 8, 3
	v_ffbh_u32_e32 v11, v0
	v_min_u32_e32 v11, 32, v11
	v_lshrrev_b16_e32 v10, 3, v4
	v_subrev_u32_e32 v12, 28, v11
	v_and_b32_e32 v10, 15, v10
	v_lshlrev_b32_e32 v4, v12, v4
	v_sub_u32_e32 v11, 29, v11
	v_and_b32_e32 v4, 7, v4
	v_cmp_eq_u16_e32 vcc, 0, v10
	v_cndmask_b32_e32 v0, v0, v4, vcc
	v_cndmask_b32_e32 v4, v10, v11, vcc
	v_lshlrev_b32_e32 v10, 16, v5
	v_mov_b32_e32 v11, 0x3b800000
	v_lshlrev_b32_e32 v0, 20, v0
	v_and_b32_e32 v10, 0x80000000, v10
	v_lshl_add_u32 v4, v4, 23, v11
	v_or3_b32 v0, v10, v4, v0
.LBB2_14252:
	s_or_b64 exec, exec, s[6:7]
	v_lshrrev_b32_e32 v4, 8, v1
	s_movk_i32 s4, 0x7f
	v_cmp_gt_i16_sdwa s[6:7], v4, s4 src0_sel:BYTE_0 src1_sel:DWORD
	s_mov_b64 s[4:5], 0
                                        ; implicit-def: $sgpr10
	s_and_saveexec_b64 s[8:9], s[6:7]
	s_xor_b64 s[6:7], exec, s[8:9]
	s_cbranch_execz .LBB2_14253
; %bb.50093:
	s_getpc_b64 s[14:15]
.Lpost_getpc28630:
	s_add_u32 s14, s14, (.LBB2_28589-.Lpost_getpc28630)&4294967295
	s_addc_u32 s15, s15, (.LBB2_28589-.Lpost_getpc28630)>>32
	s_setpc_b64 s[14:15]
.LBB2_14253:
	s_or_saveexec_b64 s[6:7], s[6:7]
	v_mov_b32_e32 v10, s10
	s_xor_b64 exec, exec, s[6:7]
	s_cbranch_execz .LBB2_14254
; %bb.50095:
	s_getpc_b64 s[14:15]
.Lpost_getpc28631:
	s_add_u32 s14, s14, (.LBB2_28592-.Lpost_getpc28631)&4294967295
	s_addc_u32 s15, s15, (.LBB2_28592-.Lpost_getpc28631)>>32
	s_setpc_b64 s[14:15]
.LBB2_14254:
	s_or_b64 exec, exec, s[6:7]
	s_and_saveexec_b64 s[6:7], s[4:5]
	s_cbranch_execz .LBB2_14256
.LBB2_14255:
	v_bfe_u32 v10, v1, 8, 3
	v_ffbh_u32_e32 v12, v10
	v_min_u32_e32 v12, 32, v12
	v_lshrrev_b16_e32 v11, 3, v4
	v_subrev_u32_e32 v13, 28, v12
	v_and_b32_e32 v11, 15, v11
	v_lshlrev_b32_e32 v4, v13, v4
	v_sub_u32_e32 v12, 29, v12
	v_and_b32_e32 v4, 7, v4
	v_cmp_eq_u16_e32 vcc, 0, v11
	v_cndmask_b32_e32 v4, v10, v4, vcc
	v_cndmask_b32_e32 v10, v11, v12, vcc
	v_lshlrev_b32_e32 v11, 16, v1
	v_mov_b32_e32 v12, 0x3b800000
	v_lshlrev_b32_e32 v4, 20, v4
	v_and_b32_e32 v11, 0x80000000, v11
	v_lshl_add_u32 v10, v10, 23, v12
	v_or3_b32 v10, v11, v10, v4
.LBB2_14256:
	s_or_b64 exec, exec, s[6:7]
	s_nop 0
	v_mfma_f32_16x16x4f32 a[0:3], v0, v10, a[0:3]
	s_movk_i32 s4, 0xff
	v_and_b32_sdwa v4, v5, s4 dst_sel:DWORD dst_unused:UNUSED_PAD src0_sel:WORD_1 src1_sel:DWORD
	s_movk_i32 s4, 0x7f
	v_cmp_lt_i16_e32 vcc, s4, v4
	s_mov_b64 s[4:5], 0
                                        ; implicit-def: $sgpr10
	s_and_saveexec_b64 s[6:7], vcc
	s_xor_b64 s[6:7], exec, s[6:7]
	s_cbranch_execz .LBB2_14257
; %bb.50097:
	s_getpc_b64 s[14:15]
.Lpost_getpc28632:
	s_add_u32 s14, s14, (.LBB2_28593-.Lpost_getpc28632)&4294967295
	s_addc_u32 s15, s15, (.LBB2_28593-.Lpost_getpc28632)>>32
	s_setpc_b64 s[14:15]
.LBB2_14257:
	s_or_saveexec_b64 s[6:7], s[6:7]
	v_mov_b32_e32 v0, s10
	s_xor_b64 exec, exec, s[6:7]
	s_cbranch_execz .LBB2_14258
; %bb.50099:
	s_getpc_b64 s[14:15]
.Lpost_getpc28633:
	s_add_u32 s14, s14, (.LBB2_28596-.Lpost_getpc28633)&4294967295
	s_addc_u32 s15, s15, (.LBB2_28596-.Lpost_getpc28633)>>32
	s_setpc_b64 s[14:15]
.LBB2_14258:
	s_or_b64 exec, exec, s[6:7]
	s_and_saveexec_b64 s[6:7], s[4:5]
	s_cbranch_execz .LBB2_14260
.LBB2_14259:
	v_bfe_u32 v0, v5, 16, 3
	v_ffbh_u32_e32 v11, v0
	v_min_u32_e32 v11, 32, v11
	v_lshrrev_b32_e32 v4, 19, v5
	v_subrev_u32_e32 v12, 28, v11
	v_and_b32_e32 v4, 15, v4
	v_lshlrev_b32_sdwa v12, v12, v5 dst_sel:DWORD dst_unused:UNUSED_PAD src0_sel:DWORD src1_sel:WORD_1
	v_bfe_u32 v10, v5, 19, 4
	v_sub_u32_e32 v11, 29, v11
	v_and_b32_e32 v12, 7, v12
	v_cmp_eq_u16_e32 vcc, 0, v4
	v_cndmask_b32_e32 v0, v0, v12, vcc
	v_cndmask_b32_e32 v4, v10, v11, vcc
	v_lshlrev_b32_e32 v10, 8, v5
	v_mov_b32_e32 v11, 0x3b800000
	v_lshlrev_b32_e32 v0, 20, v0
	v_and_b32_e32 v10, 0x80000000, v10
	v_lshl_add_u32 v4, v4, 23, v11
	v_or3_b32 v0, v10, v4, v0
.LBB2_14260:
	s_or_b64 exec, exec, s[6:7]
	s_movk_i32 s4, 0xff
	v_and_b32_sdwa v4, v1, s4 dst_sel:DWORD dst_unused:UNUSED_PAD src0_sel:WORD_1 src1_sel:DWORD
	s_movk_i32 s4, 0x7f
	v_cmp_lt_i16_e32 vcc, s4, v4
	s_mov_b64 s[4:5], 0
                                        ; implicit-def: $sgpr10
	s_and_saveexec_b64 s[6:7], vcc
	s_xor_b64 s[6:7], exec, s[6:7]
	s_cbranch_execz .LBB2_14261
; %bb.50101:
	s_getpc_b64 s[14:15]
.Lpost_getpc28634:
	s_add_u32 s14, s14, (.LBB2_28597-.Lpost_getpc28634)&4294967295
	s_addc_u32 s15, s15, (.LBB2_28597-.Lpost_getpc28634)>>32
	s_setpc_b64 s[14:15]
.LBB2_14261:
	s_or_saveexec_b64 s[6:7], s[6:7]
	v_mov_b32_e32 v10, s10
	s_xor_b64 exec, exec, s[6:7]
	s_cbranch_execz .LBB2_14262
; %bb.50103:
	s_getpc_b64 s[14:15]
.Lpost_getpc28635:
	s_add_u32 s14, s14, (.LBB2_28600-.Lpost_getpc28635)&4294967295
	s_addc_u32 s15, s15, (.LBB2_28600-.Lpost_getpc28635)>>32
	s_setpc_b64 s[14:15]
.LBB2_14262:
	s_or_b64 exec, exec, s[6:7]
	s_and_saveexec_b64 s[6:7], s[4:5]
	s_cbranch_execz .LBB2_14264
.LBB2_14263:
	v_bfe_u32 v4, v1, 16, 3
	v_ffbh_u32_e32 v12, v4
	v_min_u32_e32 v12, 32, v12
	v_lshrrev_b32_e32 v10, 19, v1
	v_subrev_u32_e32 v13, 28, v12
	v_and_b32_e32 v10, 15, v10
	v_lshlrev_b32_sdwa v13, v13, v1 dst_sel:DWORD dst_unused:UNUSED_PAD src0_sel:DWORD src1_sel:WORD_1
	v_bfe_u32 v11, v1, 19, 4
	v_sub_u32_e32 v12, 29, v12
	v_and_b32_e32 v13, 7, v13
	v_cmp_eq_u16_e32 vcc, 0, v10
	v_cndmask_b32_e32 v4, v4, v13, vcc
	v_cndmask_b32_e32 v10, v11, v12, vcc
	v_lshlrev_b32_e32 v11, 8, v1
	v_mov_b32_e32 v12, 0x3b800000
	v_lshlrev_b32_e32 v4, 20, v4
	v_and_b32_e32 v11, 0x80000000, v11
	v_lshl_add_u32 v10, v10, 23, v12
	v_or3_b32 v10, v11, v10, v4
.LBB2_14264:
	s_or_b64 exec, exec, s[6:7]
	s_nop 0
	v_mfma_f32_16x16x4f32 a[0:3], v0, v10, a[0:3]
	s_movk_i32 s4, 0x7f
	v_cmp_gt_i16_sdwa s[6:7], v5, s4 src0_sel:BYTE_3 src1_sel:DWORD
	s_mov_b64 s[4:5], 0
                                        ; implicit-def: $sgpr10
	s_and_saveexec_b64 s[8:9], s[6:7]
	s_xor_b64 s[6:7], exec, s[8:9]
	s_cbranch_execz .LBB2_14265
; %bb.50105:
	s_getpc_b64 s[14:15]
.Lpost_getpc28636:
	s_add_u32 s14, s14, (.LBB2_28601-.Lpost_getpc28636)&4294967295
	s_addc_u32 s15, s15, (.LBB2_28601-.Lpost_getpc28636)>>32
	s_setpc_b64 s[14:15]
.LBB2_14265:
	s_or_saveexec_b64 s[6:7], s[6:7]
	v_mov_b32_e32 v0, s10
	s_xor_b64 exec, exec, s[6:7]
	s_cbranch_execz .LBB2_14266
; %bb.50107:
	s_getpc_b64 s[14:15]
.Lpost_getpc28637:
	s_add_u32 s14, s14, (.LBB2_28604-.Lpost_getpc28637)&4294967295
	s_addc_u32 s15, s15, (.LBB2_28604-.Lpost_getpc28637)>>32
	s_setpc_b64 s[14:15]
.LBB2_14266:
	s_or_b64 exec, exec, s[6:7]
	s_and_saveexec_b64 s[6:7], s[4:5]
	s_cbranch_execz .LBB2_14268
.LBB2_14267:
	v_bfe_u32 v0, v5, 24, 3
	v_ffbh_u32_e32 v12, v0
	v_min_u32_e32 v12, 32, v12
	v_lshrrev_b32_e32 v10, 27, v5
	v_subrev_u32_e32 v13, 28, v12
	v_and_b32_e32 v4, 0x80000000, v5
	v_and_b32_e32 v10, 15, v10
	v_bfe_u32 v11, v5, 27, 4
	v_lshlrev_b32_sdwa v5, v13, v5 dst_sel:DWORD dst_unused:UNUSED_PAD src0_sel:DWORD src1_sel:BYTE_3
	v_sub_u32_e32 v12, 29, v12
	v_and_b32_e32 v5, 7, v5
	v_cmp_eq_u16_e32 vcc, 0, v10
	v_cndmask_b32_e32 v0, v0, v5, vcc
	v_cndmask_b32_e32 v5, v11, v12, vcc
	v_mov_b32_e32 v10, 0x3b800000
	v_lshlrev_b32_e32 v0, 20, v0
	v_lshl_add_u32 v5, v5, 23, v10
	v_or3_b32 v0, v4, v5, v0
.LBB2_14268:
	s_or_b64 exec, exec, s[6:7]
	s_movk_i32 s4, 0x7f
	v_cmp_gt_i16_sdwa s[6:7], v1, s4 src0_sel:BYTE_3 src1_sel:DWORD
	s_mov_b64 s[4:5], 0
                                        ; implicit-def: $sgpr10
	s_and_saveexec_b64 s[8:9], s[6:7]
	s_xor_b64 s[6:7], exec, s[8:9]
	s_cbranch_execz .LBB2_14269
; %bb.50109:
	s_getpc_b64 s[14:15]
.Lpost_getpc28638:
	s_add_u32 s14, s14, (.LBB2_28605-.Lpost_getpc28638)&4294967295
	s_addc_u32 s15, s15, (.LBB2_28605-.Lpost_getpc28638)>>32
	s_setpc_b64 s[14:15]
.LBB2_14269:
	s_or_saveexec_b64 s[6:7], s[6:7]
	v_mov_b32_e32 v4, s10
	s_xor_b64 exec, exec, s[6:7]
	s_cbranch_execz .LBB2_14270
; %bb.50111:
	s_getpc_b64 s[14:15]
.Lpost_getpc28639:
	s_add_u32 s14, s14, (.LBB2_28608-.Lpost_getpc28639)&4294967295
	s_addc_u32 s15, s15, (.LBB2_28608-.Lpost_getpc28639)>>32
	s_setpc_b64 s[14:15]
.LBB2_14270:
	s_or_b64 exec, exec, s[6:7]
	s_and_saveexec_b64 s[6:7], s[4:5]
	s_cbranch_execz .LBB2_14272
.LBB2_14271:
	v_bfe_u32 v4, v1, 24, 3
	v_ffbh_u32_e32 v12, v4
	v_min_u32_e32 v12, 32, v12
	v_lshrrev_b32_e32 v10, 27, v1
	v_subrev_u32_e32 v13, 28, v12
	v_and_b32_e32 v5, 0x80000000, v1
	v_and_b32_e32 v10, 15, v10
	v_bfe_u32 v11, v1, 27, 4
	v_lshlrev_b32_sdwa v1, v13, v1 dst_sel:DWORD dst_unused:UNUSED_PAD src0_sel:DWORD src1_sel:BYTE_3
	v_sub_u32_e32 v12, 29, v12
	v_and_b32_e32 v1, 7, v1
	v_cmp_eq_u16_e32 vcc, 0, v10
	v_cndmask_b32_e32 v1, v4, v1, vcc
	v_cndmask_b32_e32 v4, v11, v12, vcc
	v_mov_b32_e32 v10, 0x3b800000
	v_lshlrev_b32_e32 v1, 20, v1
	v_lshl_add_u32 v4, v4, 23, v10
	v_or3_b32 v4, v5, v4, v1
.LBB2_14272:
	s_or_b64 exec, exec, s[6:7]
	s_nop 0
	v_mfma_f32_16x16x4f32 a[0:3], v0, v4, a[0:3]
	s_movk_i32 s4, 0x7f
	v_cmp_gt_i16_sdwa s[6:7], v6, s4 src0_sel:BYTE_0 src1_sel:DWORD
	s_mov_b64 s[4:5], 0
                                        ; implicit-def: $sgpr10
	s_and_saveexec_b64 s[8:9], s[6:7]
	s_xor_b64 s[6:7], exec, s[8:9]
	s_cbranch_execz .LBB2_14273
; %bb.50113:
	s_getpc_b64 s[14:15]
.Lpost_getpc28640:
	s_add_u32 s14, s14, (.LBB2_28609-.Lpost_getpc28640)&4294967295
	s_addc_u32 s15, s15, (.LBB2_28609-.Lpost_getpc28640)>>32
	s_setpc_b64 s[14:15]
.LBB2_14273:
	s_or_saveexec_b64 s[6:7], s[6:7]
	v_mov_b32_e32 v0, s10
	s_xor_b64 exec, exec, s[6:7]
	s_cbranch_execz .LBB2_14274
; %bb.50115:
	s_getpc_b64 s[14:15]
.Lpost_getpc28641:
	s_add_u32 s14, s14, (.LBB2_28612-.Lpost_getpc28641)&4294967295
	s_addc_u32 s15, s15, (.LBB2_28612-.Lpost_getpc28641)>>32
	s_setpc_b64 s[14:15]
.LBB2_14274:
	s_or_b64 exec, exec, s[6:7]
	s_and_saveexec_b64 s[6:7], s[4:5]
	s_cbranch_execz .LBB2_14276
.LBB2_14275:
	v_and_b32_e32 v0, 7, v6
	v_ffbh_u32_e32 v4, v0
	v_min_u32_e32 v4, 32, v4
	v_lshrrev_b16_e32 v1, 3, v6
	v_subrev_u32_e32 v5, 28, v4
	v_and_b32_e32 v1, 15, v1
	v_lshlrev_b32_e32 v5, v5, v6
	v_sub_u32_e32 v4, 29, v4
	v_and_b32_e32 v5, 7, v5
	v_cmp_eq_u16_e32 vcc, 0, v1
	v_cndmask_b32_e32 v0, v0, v5, vcc
	v_cndmask_b32_e32 v1, v1, v4, vcc
	v_lshlrev_b32_e32 v4, 24, v6
	v_mov_b32_e32 v5, 0x3b800000
	v_lshlrev_b32_e32 v0, 20, v0
	v_and_b32_e32 v4, 0x80000000, v4
	v_lshl_add_u32 v1, v1, 23, v5
	v_or3_b32 v0, v4, v1, v0
.LBB2_14276:
	s_or_b64 exec, exec, s[6:7]
	s_movk_i32 s4, 0x7f
	v_cmp_gt_i16_sdwa s[6:7], v2, s4 src0_sel:BYTE_0 src1_sel:DWORD
	s_mov_b64 s[4:5], 0
                                        ; implicit-def: $sgpr10
	s_and_saveexec_b64 s[8:9], s[6:7]
	s_xor_b64 s[6:7], exec, s[8:9]
	s_cbranch_execz .LBB2_14277
; %bb.50117:
	s_getpc_b64 s[14:15]
.Lpost_getpc28642:
	s_add_u32 s14, s14, (.LBB2_28613-.Lpost_getpc28642)&4294967295
	s_addc_u32 s15, s15, (.LBB2_28613-.Lpost_getpc28642)>>32
	s_setpc_b64 s[14:15]
.LBB2_14277:
	s_or_saveexec_b64 s[6:7], s[6:7]
	v_mov_b32_e32 v1, s10
	s_xor_b64 exec, exec, s[6:7]
	s_cbranch_execz .LBB2_14278
; %bb.50119:
	s_getpc_b64 s[14:15]
.Lpost_getpc28643:
	s_add_u32 s14, s14, (.LBB2_28616-.Lpost_getpc28643)&4294967295
	s_addc_u32 s15, s15, (.LBB2_28616-.Lpost_getpc28643)>>32
	s_setpc_b64 s[14:15]
.LBB2_14278:
	s_or_b64 exec, exec, s[6:7]
	s_and_saveexec_b64 s[6:7], s[4:5]
	s_cbranch_execz .LBB2_14280
.LBB2_14279:
	v_and_b32_e32 v1, 7, v2
	v_ffbh_u32_e32 v5, v1
	v_min_u32_e32 v5, 32, v5
	v_lshrrev_b16_e32 v4, 3, v2
	v_subrev_u32_e32 v10, 28, v5
	v_and_b32_e32 v4, 15, v4
	v_lshlrev_b32_e32 v10, v10, v2
	v_sub_u32_e32 v5, 29, v5
	v_and_b32_e32 v10, 7, v10
	v_cmp_eq_u16_e32 vcc, 0, v4
	v_cndmask_b32_e32 v1, v1, v10, vcc
	v_cndmask_b32_e32 v4, v4, v5, vcc
	v_lshlrev_b32_e32 v5, 24, v2
	v_mov_b32_e32 v10, 0x3b800000
	v_lshlrev_b32_e32 v1, 20, v1
	v_and_b32_e32 v5, 0x80000000, v5
	v_lshl_add_u32 v4, v4, 23, v10
	v_or3_b32 v1, v5, v4, v1
.LBB2_14280:
	s_or_b64 exec, exec, s[6:7]
	s_nop 0
	v_mfma_f32_16x16x4f32 a[0:3], v0, v1, a[0:3]
	v_lshrrev_b32_e32 v1, 8, v6
	s_movk_i32 s4, 0x7f
	v_cmp_gt_i16_sdwa s[6:7], v1, s4 src0_sel:BYTE_0 src1_sel:DWORD
	s_mov_b64 s[4:5], 0
                                        ; implicit-def: $sgpr10
	s_and_saveexec_b64 s[8:9], s[6:7]
	s_xor_b64 s[6:7], exec, s[8:9]
	s_cbranch_execz .LBB2_14281
; %bb.50121:
	s_getpc_b64 s[14:15]
.Lpost_getpc28644:
	s_add_u32 s14, s14, (.LBB2_28617-.Lpost_getpc28644)&4294967295
	s_addc_u32 s15, s15, (.LBB2_28617-.Lpost_getpc28644)>>32
	s_setpc_b64 s[14:15]
.LBB2_14281:
	s_or_saveexec_b64 s[6:7], s[6:7]
	v_mov_b32_e32 v0, s10
	s_xor_b64 exec, exec, s[6:7]
	s_cbranch_execz .LBB2_14282
; %bb.50123:
	s_getpc_b64 s[14:15]
.Lpost_getpc28645:
	s_add_u32 s14, s14, (.LBB2_28620-.Lpost_getpc28645)&4294967295
	s_addc_u32 s15, s15, (.LBB2_28620-.Lpost_getpc28645)>>32
	s_setpc_b64 s[14:15]
.LBB2_14282:
	s_or_b64 exec, exec, s[6:7]
	s_and_saveexec_b64 s[6:7], s[4:5]
	s_cbranch_execz .LBB2_14284
.LBB2_14283:
	v_bfe_u32 v0, v6, 8, 3
	v_ffbh_u32_e32 v5, v0
	v_min_u32_e32 v5, 32, v5
	v_lshrrev_b16_e32 v4, 3, v1
	v_subrev_u32_e32 v10, 28, v5
	v_and_b32_e32 v4, 15, v4
	v_lshlrev_b32_e32 v1, v10, v1
	v_sub_u32_e32 v5, 29, v5
	v_and_b32_e32 v1, 7, v1
	v_cmp_eq_u16_e32 vcc, 0, v4
	v_cndmask_b32_e32 v0, v0, v1, vcc
	v_cndmask_b32_e32 v1, v4, v5, vcc
	v_lshlrev_b32_e32 v4, 16, v6
	v_mov_b32_e32 v5, 0x3b800000
	v_lshlrev_b32_e32 v0, 20, v0
	v_and_b32_e32 v4, 0x80000000, v4
	v_lshl_add_u32 v1, v1, 23, v5
	v_or3_b32 v0, v4, v1, v0
.LBB2_14284:
	s_or_b64 exec, exec, s[6:7]
	v_lshrrev_b32_e32 v1, 8, v2
	s_movk_i32 s4, 0x7f
	v_cmp_gt_i16_sdwa s[6:7], v1, s4 src0_sel:BYTE_0 src1_sel:DWORD
	s_mov_b64 s[4:5], 0
                                        ; implicit-def: $sgpr10
	s_and_saveexec_b64 s[8:9], s[6:7]
	s_xor_b64 s[6:7], exec, s[8:9]
	s_cbranch_execz .LBB2_14285
; %bb.50125:
	s_getpc_b64 s[14:15]
.Lpost_getpc28646:
	s_add_u32 s14, s14, (.LBB2_28621-.Lpost_getpc28646)&4294967295
	s_addc_u32 s15, s15, (.LBB2_28621-.Lpost_getpc28646)>>32
	s_setpc_b64 s[14:15]
.LBB2_14285:
	s_or_saveexec_b64 s[6:7], s[6:7]
	v_mov_b32_e32 v4, s10
	s_xor_b64 exec, exec, s[6:7]
	s_cbranch_execz .LBB2_14286
; %bb.50127:
	s_getpc_b64 s[14:15]
.Lpost_getpc28647:
	s_add_u32 s14, s14, (.LBB2_28624-.Lpost_getpc28647)&4294967295
	s_addc_u32 s15, s15, (.LBB2_28624-.Lpost_getpc28647)>>32
	s_setpc_b64 s[14:15]
.LBB2_14286:
	s_or_b64 exec, exec, s[6:7]
	s_and_saveexec_b64 s[6:7], s[4:5]
	s_cbranch_execz .LBB2_14288
.LBB2_14287:
	v_bfe_u32 v4, v2, 8, 3
	v_ffbh_u32_e32 v10, v4
	v_min_u32_e32 v10, 32, v10
	v_lshrrev_b16_e32 v5, 3, v1
	v_subrev_u32_e32 v11, 28, v10
	v_and_b32_e32 v5, 15, v5
	v_lshlrev_b32_e32 v1, v11, v1
	v_sub_u32_e32 v10, 29, v10
	v_and_b32_e32 v1, 7, v1
	v_cmp_eq_u16_e32 vcc, 0, v5
	v_cndmask_b32_e32 v1, v4, v1, vcc
	v_cndmask_b32_e32 v4, v5, v10, vcc
	v_lshlrev_b32_e32 v5, 16, v2
	v_mov_b32_e32 v10, 0x3b800000
	v_lshlrev_b32_e32 v1, 20, v1
	v_and_b32_e32 v5, 0x80000000, v5
	v_lshl_add_u32 v4, v4, 23, v10
	v_or3_b32 v4, v5, v4, v1
.LBB2_14288:
	s_or_b64 exec, exec, s[6:7]
	s_nop 0
	v_mfma_f32_16x16x4f32 a[0:3], v0, v4, a[0:3]
	s_movk_i32 s4, 0xff
	v_and_b32_sdwa v1, v6, s4 dst_sel:DWORD dst_unused:UNUSED_PAD src0_sel:WORD_1 src1_sel:DWORD
	s_movk_i32 s4, 0x7f
	v_cmp_lt_i16_e32 vcc, s4, v1
	s_mov_b64 s[4:5], 0
                                        ; implicit-def: $sgpr10
	s_and_saveexec_b64 s[6:7], vcc
	s_xor_b64 s[6:7], exec, s[6:7]
	s_cbranch_execz .LBB2_14289
; %bb.50129:
	s_getpc_b64 s[14:15]
.Lpost_getpc28648:
	s_add_u32 s14, s14, (.LBB2_28625-.Lpost_getpc28648)&4294967295
	s_addc_u32 s15, s15, (.LBB2_28625-.Lpost_getpc28648)>>32
	s_setpc_b64 s[14:15]
.LBB2_14289:
	s_or_saveexec_b64 s[6:7], s[6:7]
	v_mov_b32_e32 v0, s10
	s_xor_b64 exec, exec, s[6:7]
	s_cbranch_execz .LBB2_14290
; %bb.50131:
	s_getpc_b64 s[14:15]
.Lpost_getpc28649:
	s_add_u32 s14, s14, (.LBB2_28628-.Lpost_getpc28649)&4294967295
	s_addc_u32 s15, s15, (.LBB2_28628-.Lpost_getpc28649)>>32
	s_setpc_b64 s[14:15]
.LBB2_14290:
	s_or_b64 exec, exec, s[6:7]
	s_and_saveexec_b64 s[6:7], s[4:5]
	s_cbranch_execz .LBB2_14292
.LBB2_14291:
	v_bfe_u32 v0, v6, 16, 3
	v_ffbh_u32_e32 v5, v0
	v_min_u32_e32 v5, 32, v5
	v_lshrrev_b32_e32 v1, 19, v6
	v_subrev_u32_e32 v10, 28, v5
	v_and_b32_e32 v1, 15, v1
	v_lshlrev_b32_sdwa v10, v10, v6 dst_sel:DWORD dst_unused:UNUSED_PAD src0_sel:DWORD src1_sel:WORD_1
	v_bfe_u32 v4, v6, 19, 4
	v_sub_u32_e32 v5, 29, v5
	v_and_b32_e32 v10, 7, v10
	v_cmp_eq_u16_e32 vcc, 0, v1
	v_cndmask_b32_e32 v0, v0, v10, vcc
	v_cndmask_b32_e32 v1, v4, v5, vcc
	v_lshlrev_b32_e32 v4, 8, v6
	v_mov_b32_e32 v5, 0x3b800000
	v_lshlrev_b32_e32 v0, 20, v0
	v_and_b32_e32 v4, 0x80000000, v4
	v_lshl_add_u32 v1, v1, 23, v5
	v_or3_b32 v0, v4, v1, v0
.LBB2_14292:
	s_or_b64 exec, exec, s[6:7]
	s_movk_i32 s4, 0xff
	v_and_b32_sdwa v1, v2, s4 dst_sel:DWORD dst_unused:UNUSED_PAD src0_sel:WORD_1 src1_sel:DWORD
	s_movk_i32 s4, 0x7f
	v_cmp_lt_i16_e32 vcc, s4, v1
	s_mov_b64 s[4:5], 0
                                        ; implicit-def: $sgpr10
	s_and_saveexec_b64 s[6:7], vcc
	s_xor_b64 s[6:7], exec, s[6:7]
	s_cbranch_execz .LBB2_14293
; %bb.50133:
	s_getpc_b64 s[14:15]
.Lpost_getpc28650:
	s_add_u32 s14, s14, (.LBB2_28629-.Lpost_getpc28650)&4294967295
	s_addc_u32 s15, s15, (.LBB2_28629-.Lpost_getpc28650)>>32
	s_setpc_b64 s[14:15]
.LBB2_14293:
	s_or_saveexec_b64 s[6:7], s[6:7]
	v_mov_b32_e32 v4, s10
	s_xor_b64 exec, exec, s[6:7]
	s_cbranch_execz .LBB2_14294
; %bb.50135:
	s_getpc_b64 s[14:15]
.Lpost_getpc28651:
	s_add_u32 s14, s14, (.LBB2_28632-.Lpost_getpc28651)&4294967295
	s_addc_u32 s15, s15, (.LBB2_28632-.Lpost_getpc28651)>>32
	s_setpc_b64 s[14:15]
.LBB2_14294:
	s_or_b64 exec, exec, s[6:7]
	s_and_saveexec_b64 s[6:7], s[4:5]
	s_cbranch_execz .LBB2_14296
.LBB2_14295:
	v_bfe_u32 v1, v2, 16, 3
	v_ffbh_u32_e32 v10, v1
	v_min_u32_e32 v10, 32, v10
	v_lshrrev_b32_e32 v4, 19, v2
	v_subrev_u32_e32 v11, 28, v10
	v_and_b32_e32 v4, 15, v4
	v_lshlrev_b32_sdwa v11, v11, v2 dst_sel:DWORD dst_unused:UNUSED_PAD src0_sel:DWORD src1_sel:WORD_1
	v_bfe_u32 v5, v2, 19, 4
	v_sub_u32_e32 v10, 29, v10
	v_and_b32_e32 v11, 7, v11
	v_cmp_eq_u16_e32 vcc, 0, v4
	v_cndmask_b32_e32 v1, v1, v11, vcc
	v_cndmask_b32_e32 v4, v5, v10, vcc
	v_lshlrev_b32_e32 v5, 8, v2
	v_mov_b32_e32 v10, 0x3b800000
	v_lshlrev_b32_e32 v1, 20, v1
	v_and_b32_e32 v5, 0x80000000, v5
	v_lshl_add_u32 v4, v4, 23, v10
	v_or3_b32 v4, v5, v4, v1
.LBB2_14296:
	s_or_b64 exec, exec, s[6:7]
	s_nop 0
	v_mfma_f32_16x16x4f32 a[0:3], v0, v4, a[0:3]
	s_movk_i32 s4, 0x7f
	v_cmp_gt_i16_sdwa s[6:7], v6, s4 src0_sel:BYTE_3 src1_sel:DWORD
	s_mov_b64 s[4:5], 0
                                        ; implicit-def: $sgpr10
	s_and_saveexec_b64 s[8:9], s[6:7]
	s_xor_b64 s[6:7], exec, s[8:9]
	s_cbranch_execz .LBB2_14297
; %bb.50137:
	s_getpc_b64 s[14:15]
.Lpost_getpc28652:
	s_add_u32 s14, s14, (.LBB2_28633-.Lpost_getpc28652)&4294967295
	s_addc_u32 s15, s15, (.LBB2_28633-.Lpost_getpc28652)>>32
	s_setpc_b64 s[14:15]
.LBB2_14297:
	s_or_saveexec_b64 s[6:7], s[6:7]
	v_mov_b32_e32 v0, s10
	s_xor_b64 exec, exec, s[6:7]
	s_cbranch_execz .LBB2_14298
; %bb.50139:
	s_getpc_b64 s[14:15]
.Lpost_getpc28653:
	s_add_u32 s14, s14, (.LBB2_28636-.Lpost_getpc28653)&4294967295
	s_addc_u32 s15, s15, (.LBB2_28636-.Lpost_getpc28653)>>32
	s_setpc_b64 s[14:15]
.LBB2_14298:
	s_or_b64 exec, exec, s[6:7]
	s_and_saveexec_b64 s[6:7], s[4:5]
	s_cbranch_execz .LBB2_14300
.LBB2_14299:
	v_bfe_u32 v0, v6, 24, 3
	v_ffbh_u32_e32 v10, v0
	v_min_u32_e32 v10, 32, v10
	v_lshrrev_b32_e32 v4, 27, v6
	v_subrev_u32_e32 v11, 28, v10
	v_and_b32_e32 v1, 0x80000000, v6
	v_and_b32_e32 v4, 15, v4
	v_bfe_u32 v5, v6, 27, 4
	v_lshlrev_b32_sdwa v6, v11, v6 dst_sel:DWORD dst_unused:UNUSED_PAD src0_sel:DWORD src1_sel:BYTE_3
	v_sub_u32_e32 v10, 29, v10
	v_and_b32_e32 v6, 7, v6
	v_cmp_eq_u16_e32 vcc, 0, v4
	v_cndmask_b32_e32 v0, v0, v6, vcc
	v_cndmask_b32_e32 v4, v5, v10, vcc
	v_mov_b32_e32 v5, 0x3b800000
	v_lshlrev_b32_e32 v0, 20, v0
	v_lshl_add_u32 v4, v4, 23, v5
	v_or3_b32 v0, v1, v4, v0
.LBB2_14300:
	s_or_b64 exec, exec, s[6:7]
	s_movk_i32 s4, 0x7f
	v_cmp_gt_i16_sdwa s[6:7], v2, s4 src0_sel:BYTE_3 src1_sel:DWORD
	s_mov_b64 s[4:5], 0
                                        ; implicit-def: $sgpr10
	s_and_saveexec_b64 s[8:9], s[6:7]
	s_xor_b64 s[6:7], exec, s[8:9]
	s_cbranch_execz .LBB2_14301
; %bb.50141:
	s_getpc_b64 s[14:15]
.Lpost_getpc28654:
	s_add_u32 s14, s14, (.LBB2_28637-.Lpost_getpc28654)&4294967295
	s_addc_u32 s15, s15, (.LBB2_28637-.Lpost_getpc28654)>>32
	s_setpc_b64 s[14:15]
.LBB2_14301:
	s_or_saveexec_b64 s[6:7], s[6:7]
	v_mov_b32_e32 v1, s10
	s_xor_b64 exec, exec, s[6:7]
	s_cbranch_execz .LBB2_14302
; %bb.50143:
	s_getpc_b64 s[14:15]
.Lpost_getpc28655:
	s_add_u32 s14, s14, (.LBB2_28640-.Lpost_getpc28655)&4294967295
	s_addc_u32 s15, s15, (.LBB2_28640-.Lpost_getpc28655)>>32
	s_setpc_b64 s[14:15]
.LBB2_14302:
	s_or_b64 exec, exec, s[6:7]
	s_and_saveexec_b64 s[6:7], s[4:5]
	s_cbranch_execz .LBB2_14304
.LBB2_14303:
	v_bfe_u32 v1, v2, 24, 3
	v_ffbh_u32_e32 v10, v1
	v_min_u32_e32 v10, 32, v10
	v_lshrrev_b32_e32 v5, 27, v2
	v_subrev_u32_e32 v11, 28, v10
	v_and_b32_e32 v4, 0x80000000, v2
	v_and_b32_e32 v5, 15, v5
	v_bfe_u32 v6, v2, 27, 4
	v_lshlrev_b32_sdwa v2, v11, v2 dst_sel:DWORD dst_unused:UNUSED_PAD src0_sel:DWORD src1_sel:BYTE_3
	v_sub_u32_e32 v10, 29, v10
	v_and_b32_e32 v2, 7, v2
	v_cmp_eq_u16_e32 vcc, 0, v5
	v_cndmask_b32_e32 v1, v1, v2, vcc
	v_cndmask_b32_e32 v2, v6, v10, vcc
	v_mov_b32_e32 v5, 0x3b800000
	v_lshlrev_b32_e32 v1, 20, v1
	v_lshl_add_u32 v2, v2, 23, v5
	v_or3_b32 v1, v4, v2, v1
.LBB2_14304:
	s_or_b64 exec, exec, s[6:7]
	s_nop 0
	v_mfma_f32_16x16x4f32 a[0:3], v0, v1, a[0:3]
	s_movk_i32 s4, 0x7f
	v_cmp_gt_i16_sdwa s[6:7], v7, s4 src0_sel:BYTE_0 src1_sel:DWORD
	s_mov_b64 s[4:5], 0
                                        ; implicit-def: $sgpr10
	s_and_saveexec_b64 s[8:9], s[6:7]
	s_xor_b64 s[6:7], exec, s[8:9]
	s_cbranch_execz .LBB2_14305
; %bb.50145:
	s_getpc_b64 s[14:15]
.Lpost_getpc28656:
	s_add_u32 s14, s14, (.LBB2_28641-.Lpost_getpc28656)&4294967295
	s_addc_u32 s15, s15, (.LBB2_28641-.Lpost_getpc28656)>>32
	s_setpc_b64 s[14:15]
.LBB2_14305:
	s_or_saveexec_b64 s[6:7], s[6:7]
	v_mov_b32_e32 v0, s10
	s_xor_b64 exec, exec, s[6:7]
	s_cbranch_execz .LBB2_14306
; %bb.50147:
	s_getpc_b64 s[14:15]
.Lpost_getpc28657:
	s_add_u32 s14, s14, (.LBB2_28644-.Lpost_getpc28657)&4294967295
	s_addc_u32 s15, s15, (.LBB2_28644-.Lpost_getpc28657)>>32
	s_setpc_b64 s[14:15]
.LBB2_14306:
	s_or_b64 exec, exec, s[6:7]
	s_and_saveexec_b64 s[6:7], s[4:5]
	s_cbranch_execz .LBB2_14308
.LBB2_14307:
	v_mov_b32_e32 v0, 8
	v_and_b32_e32 v1, 7, v7
	v_lshrrev_b32_sdwa v0, v0, v7 dst_sel:BYTE_1 dst_unused:UNUSED_PAD src0_sel:DWORD src1_sel:DWORD
	v_ffbh_u32_e32 v2, v1
	v_or_b32_sdwa v0, v7, v0 dst_sel:DWORD dst_unused:UNUSED_PAD src0_sel:BYTE_0 src1_sel:DWORD
	v_min_u32_e32 v2, 32, v2
	v_lshrrev_b16_e32 v0, 3, v0
	v_subrev_u32_e32 v4, 28, v2
	v_and_b32_e32 v0, 15, v0
	v_lshlrev_b32_e32 v4, v4, v7
	v_sub_u32_e32 v2, 29, v2
	v_and_b32_e32 v4, 7, v4
	v_cmp_eq_u16_e32 vcc, 0, v0
	v_cndmask_b32_e32 v1, v1, v4, vcc
	v_cndmask_b32_e32 v0, v0, v2, vcc
	v_lshlrev_b32_e32 v2, 24, v7
	v_mov_b32_e32 v4, 0x3b800000
	v_lshlrev_b32_e32 v1, 20, v1
	v_and_b32_e32 v2, 0x80000000, v2
	v_lshl_add_u32 v0, v0, 23, v4
	v_or3_b32 v0, v2, v0, v1
.LBB2_14308:
	s_or_b64 exec, exec, s[6:7]
	s_movk_i32 s4, 0x7f
	v_cmp_gt_i16_sdwa s[6:7], v3, s4 src0_sel:BYTE_0 src1_sel:DWORD
	s_mov_b64 s[4:5], 0
                                        ; implicit-def: $sgpr10
	s_and_saveexec_b64 s[8:9], s[6:7]
	s_xor_b64 s[6:7], exec, s[8:9]
	s_cbranch_execz .LBB2_14309
; %bb.50149:
	s_getpc_b64 s[14:15]
.Lpost_getpc28658:
	s_add_u32 s14, s14, (.LBB2_28645-.Lpost_getpc28658)&4294967295
	s_addc_u32 s15, s15, (.LBB2_28645-.Lpost_getpc28658)>>32
	s_setpc_b64 s[14:15]
.LBB2_14309:
	s_or_saveexec_b64 s[6:7], s[6:7]
	v_mov_b32_e32 v1, s10
	s_xor_b64 exec, exec, s[6:7]
	s_cbranch_execz .LBB2_14310
; %bb.50151:
	s_getpc_b64 s[14:15]
.Lpost_getpc28659:
	s_add_u32 s14, s14, (.LBB2_28648-.Lpost_getpc28659)&4294967295
	s_addc_u32 s15, s15, (.LBB2_28648-.Lpost_getpc28659)>>32
	s_setpc_b64 s[14:15]
.LBB2_14310:
	s_or_b64 exec, exec, s[6:7]
	s_and_saveexec_b64 s[6:7], s[4:5]
	s_cbranch_execz .LBB2_14312
.LBB2_14311:
	v_mov_b32_e32 v1, 8
	v_and_b32_e32 v2, 7, v3
	v_lshrrev_b32_sdwa v1, v1, v3 dst_sel:BYTE_1 dst_unused:UNUSED_PAD src0_sel:DWORD src1_sel:DWORD
	v_ffbh_u32_e32 v4, v2
	v_or_b32_sdwa v1, v3, v1 dst_sel:DWORD dst_unused:UNUSED_PAD src0_sel:BYTE_0 src1_sel:DWORD
	v_min_u32_e32 v4, 32, v4
	v_lshrrev_b16_e32 v1, 3, v1
	v_subrev_u32_e32 v5, 28, v4
	v_and_b32_e32 v1, 15, v1
	v_lshlrev_b32_e32 v5, v5, v3
	v_sub_u32_e32 v4, 29, v4
	v_and_b32_e32 v5, 7, v5
	v_cmp_eq_u16_e32 vcc, 0, v1
	v_cndmask_b32_e32 v2, v2, v5, vcc
	v_cndmask_b32_e32 v1, v1, v4, vcc
	v_lshlrev_b32_e32 v4, 24, v3
	v_mov_b32_e32 v5, 0x3b800000
	v_lshlrev_b32_e32 v2, 20, v2
	v_and_b32_e32 v4, 0x80000000, v4
	v_lshl_add_u32 v1, v1, 23, v5
	v_or3_b32 v1, v4, v1, v2
.LBB2_14312:
	s_or_b64 exec, exec, s[6:7]
	s_nop 0
	v_mfma_f32_16x16x4f32 a[0:3], v0, v1, a[0:3]
	v_lshrrev_b32_e32 v1, 8, v7
	s_movk_i32 s4, 0x7f
	v_cmp_gt_i16_sdwa s[6:7], v1, s4 src0_sel:BYTE_0 src1_sel:DWORD
	s_mov_b64 s[4:5], 0
                                        ; implicit-def: $sgpr10
	s_and_saveexec_b64 s[8:9], s[6:7]
	s_xor_b64 s[6:7], exec, s[8:9]
	s_cbranch_execz .LBB2_14313
; %bb.50153:
	s_getpc_b64 s[14:15]
.Lpost_getpc28660:
	s_add_u32 s14, s14, (.LBB2_28649-.Lpost_getpc28660)&4294967295
	s_addc_u32 s15, s15, (.LBB2_28649-.Lpost_getpc28660)>>32
	s_setpc_b64 s[14:15]
.LBB2_14313:
	s_or_saveexec_b64 s[6:7], s[6:7]
	v_mov_b32_e32 v0, s10
	s_xor_b64 exec, exec, s[6:7]
	s_cbranch_execz .LBB2_14314
; %bb.50155:
	s_getpc_b64 s[14:15]
.Lpost_getpc28661:
	s_add_u32 s14, s14, (.LBB2_28652-.Lpost_getpc28661)&4294967295
	s_addc_u32 s15, s15, (.LBB2_28652-.Lpost_getpc28661)>>32
	s_setpc_b64 s[14:15]
.LBB2_14314:
	s_or_b64 exec, exec, s[6:7]
	s_and_saveexec_b64 s[6:7], s[4:5]
	s_cbranch_execz .LBB2_14316
.LBB2_14315:
	v_bfe_u32 v0, v7, 8, 3
	v_ffbh_u32_e32 v4, v0
	v_min_u32_e32 v4, 32, v4
	v_lshrrev_b16_e32 v2, 3, v1
	v_subrev_u32_e32 v5, 28, v4
	v_and_b32_e32 v2, 15, v2
	v_lshlrev_b32_e32 v1, v5, v1
	v_sub_u32_e32 v4, 29, v4
	v_and_b32_e32 v1, 7, v1
	v_cmp_eq_u16_e32 vcc, 0, v2
	v_cndmask_b32_e32 v0, v0, v1, vcc
	v_cndmask_b32_e32 v1, v2, v4, vcc
	v_lshlrev_b32_e32 v2, 16, v7
	v_mov_b32_e32 v4, 0x3b800000
	v_lshlrev_b32_e32 v0, 20, v0
	v_and_b32_e32 v2, 0x80000000, v2
	v_lshl_add_u32 v1, v1, 23, v4
	v_or3_b32 v0, v2, v1, v0
.LBB2_14316:
	s_or_b64 exec, exec, s[6:7]
	v_lshrrev_b32_e32 v1, 8, v3
	s_movk_i32 s4, 0x7f
	v_cmp_gt_i16_sdwa s[6:7], v1, s4 src0_sel:BYTE_0 src1_sel:DWORD
	s_mov_b64 s[4:5], 0
                                        ; implicit-def: $sgpr10
	s_and_saveexec_b64 s[8:9], s[6:7]
	s_xor_b64 s[6:7], exec, s[8:9]
	s_cbranch_execz .LBB2_14317
; %bb.50157:
	s_getpc_b64 s[14:15]
.Lpost_getpc28662:
	s_add_u32 s14, s14, (.LBB2_28653-.Lpost_getpc28662)&4294967295
	s_addc_u32 s15, s15, (.LBB2_28653-.Lpost_getpc28662)>>32
	s_setpc_b64 s[14:15]
.LBB2_14317:
	s_or_saveexec_b64 s[6:7], s[6:7]
	v_mov_b32_e32 v2, s10
	s_xor_b64 exec, exec, s[6:7]
	s_cbranch_execz .LBB2_14318
; %bb.50159:
	s_getpc_b64 s[14:15]
.Lpost_getpc28663:
	s_add_u32 s14, s14, (.LBB2_28656-.Lpost_getpc28663)&4294967295
	s_addc_u32 s15, s15, (.LBB2_28656-.Lpost_getpc28663)>>32
	s_setpc_b64 s[14:15]
.LBB2_14318:
	s_or_b64 exec, exec, s[6:7]
	s_and_saveexec_b64 s[6:7], s[4:5]
	s_cbranch_execz .LBB2_14320
.LBB2_14319:
	v_bfe_u32 v2, v3, 8, 3
	v_ffbh_u32_e32 v5, v2
	v_min_u32_e32 v5, 32, v5
	v_lshrrev_b16_e32 v4, 3, v1
	v_subrev_u32_e32 v6, 28, v5
	v_and_b32_e32 v4, 15, v4
	v_lshlrev_b32_e32 v1, v6, v1
	v_sub_u32_e32 v5, 29, v5
	v_and_b32_e32 v1, 7, v1
	v_cmp_eq_u16_e32 vcc, 0, v4
	v_cndmask_b32_e32 v1, v2, v1, vcc
	v_cndmask_b32_e32 v2, v4, v5, vcc
	v_lshlrev_b32_e32 v4, 16, v3
	v_mov_b32_e32 v5, 0x3b800000
	v_lshlrev_b32_e32 v1, 20, v1
	v_and_b32_e32 v4, 0x80000000, v4
	v_lshl_add_u32 v2, v2, 23, v5
	v_or3_b32 v2, v4, v2, v1
.LBB2_14320:
	s_or_b64 exec, exec, s[6:7]
	s_nop 0
	v_mfma_f32_16x16x4f32 a[0:3], v0, v2, a[0:3]
	s_movk_i32 s4, 0xff
	v_and_b32_sdwa v1, v7, s4 dst_sel:DWORD dst_unused:UNUSED_PAD src0_sel:WORD_1 src1_sel:DWORD
	s_movk_i32 s4, 0x7f
	v_cmp_lt_i16_e32 vcc, s4, v1
	s_mov_b64 s[4:5], 0
                                        ; implicit-def: $sgpr10
	s_and_saveexec_b64 s[6:7], vcc
	s_xor_b64 s[6:7], exec, s[6:7]
	s_cbranch_execz .LBB2_14321
; %bb.50161:
	s_getpc_b64 s[14:15]
.Lpost_getpc28664:
	s_add_u32 s14, s14, (.LBB2_28657-.Lpost_getpc28664)&4294967295
	s_addc_u32 s15, s15, (.LBB2_28657-.Lpost_getpc28664)>>32
	s_setpc_b64 s[14:15]
.LBB2_14321:
	s_or_saveexec_b64 s[6:7], s[6:7]
	v_mov_b32_e32 v0, s10
	s_xor_b64 exec, exec, s[6:7]
	s_cbranch_execz .LBB2_14322
; %bb.50163:
	s_getpc_b64 s[14:15]
.Lpost_getpc28665:
	s_add_u32 s14, s14, (.LBB2_28660-.Lpost_getpc28665)&4294967295
	s_addc_u32 s15, s15, (.LBB2_28660-.Lpost_getpc28665)>>32
	s_setpc_b64 s[14:15]
.LBB2_14322:
	s_or_b64 exec, exec, s[6:7]
	s_and_saveexec_b64 s[6:7], s[4:5]
	s_cbranch_execz .LBB2_14324
.LBB2_14323:
	v_bfe_u32 v0, v7, 16, 3
	v_ffbh_u32_e32 v4, v0
	v_min_u32_e32 v4, 32, v4
	v_lshrrev_b32_e32 v1, 19, v7
	v_subrev_u32_e32 v5, 28, v4
	v_and_b32_e32 v1, 15, v1
	v_lshlrev_b32_sdwa v5, v5, v7 dst_sel:DWORD dst_unused:UNUSED_PAD src0_sel:DWORD src1_sel:WORD_1
	v_bfe_u32 v2, v7, 19, 4
	v_sub_u32_e32 v4, 29, v4
	v_and_b32_e32 v5, 7, v5
	v_cmp_eq_u16_e32 vcc, 0, v1
	v_cndmask_b32_e32 v0, v0, v5, vcc
	v_cndmask_b32_e32 v1, v2, v4, vcc
	v_lshlrev_b32_e32 v2, 8, v7
	v_mov_b32_e32 v4, 0x3b800000
	v_lshlrev_b32_e32 v0, 20, v0
	v_and_b32_e32 v2, 0x80000000, v2
	v_lshl_add_u32 v1, v1, 23, v4
	v_or3_b32 v0, v2, v1, v0
.LBB2_14324:
	s_or_b64 exec, exec, s[6:7]
	s_movk_i32 s4, 0xff
	v_and_b32_sdwa v1, v3, s4 dst_sel:DWORD dst_unused:UNUSED_PAD src0_sel:WORD_1 src1_sel:DWORD
	s_movk_i32 s4, 0x7f
	v_cmp_lt_i16_e32 vcc, s4, v1
	s_mov_b64 s[4:5], 0
                                        ; implicit-def: $sgpr10
	s_and_saveexec_b64 s[6:7], vcc
	s_xor_b64 s[6:7], exec, s[6:7]
	s_cbranch_execz .LBB2_14325
; %bb.50165:
	s_getpc_b64 s[14:15]
.Lpost_getpc28666:
	s_add_u32 s14, s14, (.LBB2_28661-.Lpost_getpc28666)&4294967295
	s_addc_u32 s15, s15, (.LBB2_28661-.Lpost_getpc28666)>>32
	s_setpc_b64 s[14:15]
.LBB2_14325:
	s_or_saveexec_b64 s[6:7], s[6:7]
	v_mov_b32_e32 v2, s10
	s_xor_b64 exec, exec, s[6:7]
	s_cbranch_execz .LBB2_14326
; %bb.50167:
	s_getpc_b64 s[14:15]
.Lpost_getpc28667:
	s_add_u32 s14, s14, (.LBB2_28664-.Lpost_getpc28667)&4294967295
	s_addc_u32 s15, s15, (.LBB2_28664-.Lpost_getpc28667)>>32
	s_setpc_b64 s[14:15]
.LBB2_14326:
	s_or_b64 exec, exec, s[6:7]
	s_and_saveexec_b64 s[6:7], s[4:5]
	s_cbranch_execz .LBB2_14328
.LBB2_14327:
	v_bfe_u32 v1, v3, 16, 3
	v_ffbh_u32_e32 v5, v1
	v_min_u32_e32 v5, 32, v5
	v_lshrrev_b32_e32 v2, 19, v3
	v_subrev_u32_e32 v6, 28, v5
	v_and_b32_e32 v2, 15, v2
	v_lshlrev_b32_sdwa v6, v6, v3 dst_sel:DWORD dst_unused:UNUSED_PAD src0_sel:DWORD src1_sel:WORD_1
	v_bfe_u32 v4, v3, 19, 4
	v_sub_u32_e32 v5, 29, v5
	v_and_b32_e32 v6, 7, v6
	v_cmp_eq_u16_e32 vcc, 0, v2
	v_cndmask_b32_e32 v1, v1, v6, vcc
	v_cndmask_b32_e32 v2, v4, v5, vcc
	v_lshlrev_b32_e32 v4, 8, v3
	v_mov_b32_e32 v5, 0x3b800000
	v_lshlrev_b32_e32 v1, 20, v1
	v_and_b32_e32 v4, 0x80000000, v4
	v_lshl_add_u32 v2, v2, 23, v5
	v_or3_b32 v2, v4, v2, v1
.LBB2_14328:
	s_or_b64 exec, exec, s[6:7]
	s_nop 0
	v_mfma_f32_16x16x4f32 a[0:3], v0, v2, a[0:3]
	s_movk_i32 s4, 0x7f
	v_cmp_gt_i16_sdwa s[6:7], v7, s4 src0_sel:BYTE_3 src1_sel:DWORD
	s_mov_b64 s[4:5], 0
                                        ; implicit-def: $sgpr10
	s_and_saveexec_b64 s[8:9], s[6:7]
	s_xor_b64 s[6:7], exec, s[8:9]
	s_cbranch_execz .LBB2_14329
; %bb.50169:
	s_getpc_b64 s[14:15]
.Lpost_getpc28668:
	s_add_u32 s14, s14, (.LBB2_28665-.Lpost_getpc28668)&4294967295
	s_addc_u32 s15, s15, (.LBB2_28665-.Lpost_getpc28668)>>32
	s_setpc_b64 s[14:15]
.LBB2_14329:
	s_or_saveexec_b64 s[6:7], s[6:7]
	v_mov_b32_e32 v0, s10
	s_xor_b64 exec, exec, s[6:7]
	s_cbranch_execz .LBB2_14330
; %bb.50171:
	s_getpc_b64 s[14:15]
.Lpost_getpc28669:
	s_add_u32 s14, s14, (.LBB2_28668-.Lpost_getpc28669)&4294967295
	s_addc_u32 s15, s15, (.LBB2_28668-.Lpost_getpc28669)>>32
	s_setpc_b64 s[14:15]
.LBB2_14330:
	s_or_b64 exec, exec, s[6:7]
	s_and_saveexec_b64 s[6:7], s[4:5]
	s_cbranch_execz .LBB2_14332
.LBB2_14331:
	v_bfe_u32 v0, v7, 24, 3
	v_ffbh_u32_e32 v5, v0
	v_min_u32_e32 v5, 32, v5
	v_lshrrev_b32_e32 v2, 27, v7
	v_subrev_u32_e32 v6, 28, v5
	v_and_b32_e32 v2, 15, v2
	v_lshlrev_b32_sdwa v6, v6, v7 dst_sel:DWORD dst_unused:UNUSED_PAD src0_sel:DWORD src1_sel:BYTE_3
	v_bfe_u32 v4, v7, 27, 4
	v_sub_u32_e32 v5, 29, v5
	v_and_b32_e32 v6, 7, v6
	v_cmp_eq_u16_e32 vcc, 0, v2
	v_cndmask_b32_e32 v0, v0, v6, vcc
	v_cndmask_b32_e32 v2, v4, v5, vcc
	v_mov_b32_e32 v4, 0x3b800000
	v_and_b32_e32 v1, 0x80000000, v7
	v_lshlrev_b32_e32 v0, 20, v0
	v_lshl_add_u32 v2, v2, 23, v4
	v_or3_b32 v0, v1, v2, v0
.LBB2_14332:
	s_or_b64 exec, exec, s[6:7]
	s_movk_i32 s4, 0x7f
	v_cmp_gt_i16_sdwa s[6:7], v3, s4 src0_sel:BYTE_3 src1_sel:DWORD
	s_mov_b64 s[4:5], 0
                                        ; implicit-def: $sgpr10
	s_and_saveexec_b64 s[8:9], s[6:7]
	s_xor_b64 s[6:7], exec, s[8:9]
	s_cbranch_execz .LBB2_14333
; %bb.50173:
	s_getpc_b64 s[14:15]
.Lpost_getpc28670:
	s_add_u32 s14, s14, (.LBB2_28669-.Lpost_getpc28670)&4294967295
	s_addc_u32 s15, s15, (.LBB2_28669-.Lpost_getpc28670)>>32
	s_setpc_b64 s[14:15]
.LBB2_14333:
	s_or_saveexec_b64 s[6:7], s[6:7]
	v_mov_b32_e32 v1, s10
	s_xor_b64 exec, exec, s[6:7]
	s_cbranch_execz .LBB2_14334
; %bb.50175:
	s_getpc_b64 s[14:15]
.Lpost_getpc28671:
	s_add_u32 s14, s14, (.LBB2_28672-.Lpost_getpc28671)&4294967295
	s_addc_u32 s15, s15, (.LBB2_28672-.Lpost_getpc28671)>>32
	s_setpc_b64 s[14:15]
.LBB2_14334:
	s_or_b64 exec, exec, s[6:7]
	s_and_saveexec_b64 s[6:7], s[4:5]
	s_cbranch_execz .LBB2_14336
.LBB2_14335:
	v_bfe_u32 v1, v3, 24, 3
	v_ffbh_u32_e32 v6, v1
	v_min_u32_e32 v6, 32, v6
	v_lshrrev_b32_e32 v4, 27, v3
	v_subrev_u32_e32 v7, 28, v6
	v_and_b32_e32 v2, 0x80000000, v3
	v_and_b32_e32 v4, 15, v4
	v_bfe_u32 v5, v3, 27, 4
	v_lshlrev_b32_sdwa v3, v7, v3 dst_sel:DWORD dst_unused:UNUSED_PAD src0_sel:DWORD src1_sel:BYTE_3
	v_sub_u32_e32 v6, 29, v6
	v_and_b32_e32 v3, 7, v3
	v_cmp_eq_u16_e32 vcc, 0, v4
	v_cndmask_b32_e32 v1, v1, v3, vcc
	v_cndmask_b32_e32 v3, v5, v6, vcc
	v_mov_b32_e32 v4, 0x3b800000
	v_lshlrev_b32_e32 v1, 20, v1
	v_lshl_add_u32 v3, v3, 23, v4
	v_or3_b32 v1, v2, v3, v1
.LBB2_14336:
	s_or_b64 exec, exec, s[6:7]
	s_nop 0
	v_mfma_f32_16x16x4f32 a[0:3], v0, v1, a[0:3]
	s_nop 7
	s_nop 2
	flat_store_dwordx4 v[8:9], a[0:3] offset:880
	s_waitcnt vmcnt(0) lgkmcnt(0)
	s_setpc_b64 s[30:31]
.LBB2_14337:
	s_movk_i32 s4, 0x80
	v_cmp_eq_u16_sdwa s[12:13], v6, s4 src0_sel:BYTE_0 src1_sel:DWORD
	s_mov_b64 s[4:5], -1
                                        ; implicit-def: $sgpr10
	s_and_saveexec_b64 s[8:9], s[12:13]
; %bb.14338:
	s_mov_b32 s10, 0x7f800001
	s_xor_b64 s[4:5], exec, -1
; %bb.14339:
	s_or_b64 exec, exec, s[8:9]
	s_and_b64 s[4:5], s[4:5], exec
	s_or_saveexec_b64 s[6:7], s[6:7]
	v_mov_b32_e32 v12, s10
	s_xor_b64 exec, exec, s[6:7]
	s_cbranch_execnz .LBB2_14340
; %bb.50177:
	s_getpc_b64 s[14:15]
.Lpost_getpc28672:
	s_add_u32 s14, s14, (.LBB2_2-.Lpost_getpc28672)&4294967295
	s_addc_u32 s15, s15, (.LBB2_2-.Lpost_getpc28672)>>32
	s_setpc_b64 s[14:15]
.LBB2_14340:
	v_mov_b32_e32 v12, 0
	v_cmp_ne_u16_sdwa s[8:9], v6, v12 src0_sel:BYTE_0 src1_sel:DWORD
	s_andn2_b64 s[4:5], s[4:5], exec
	s_and_b64 s[8:9], s[8:9], exec
	s_or_b64 s[4:5], s[4:5], s[8:9]
	s_or_b64 exec, exec, s[6:7]
	s_and_saveexec_b64 s[6:7], s[4:5]
	s_cbranch_execz .LBB2_28673
; %bb.50179:
	s_getpc_b64 s[14:15]
.Lpost_getpc28673:
	s_add_u32 s14, s14, (.LBB2_3-.Lpost_getpc28673)&4294967295
	s_addc_u32 s15, s15, (.LBB2_3-.Lpost_getpc28673)>>32
	s_setpc_b64 s[14:15]
.LBB2_28673:
	s_getpc_b64 s[14:15]
.Lpost_getpc17920:
	s_add_u32 s14, s14, (.LBB2_4-.Lpost_getpc17920)&4294967295
	s_addc_u32 s15, s15, (.LBB2_4-.Lpost_getpc17920)>>32
	s_setpc_b64 s[14:15]
.LBB2_14341:
	s_movk_i32 s4, 0x80
	v_cmp_eq_u16_sdwa s[12:13], v2, s4 src0_sel:BYTE_0 src1_sel:DWORD
	s_mov_b64 s[4:5], -1
                                        ; implicit-def: $sgpr10
	s_and_saveexec_b64 s[8:9], s[12:13]
; %bb.14342:
	s_mov_b32 s10, 0x7f800001
	s_xor_b64 s[4:5], exec, -1
; %bb.14343:
	s_or_b64 exec, exec, s[8:9]
	s_and_b64 s[4:5], s[4:5], exec
	s_or_saveexec_b64 s[6:7], s[6:7]
	v_mov_b32_e32 v13, s10
	s_xor_b64 exec, exec, s[6:7]
	s_cbranch_execnz .LBB2_14344
; %bb.50181:
	s_getpc_b64 s[14:15]
.Lpost_getpc28674:
	s_add_u32 s14, s14, (.LBB2_6-.Lpost_getpc28674)&4294967295
	s_addc_u32 s15, s15, (.LBB2_6-.Lpost_getpc28674)>>32
	s_setpc_b64 s[14:15]
.LBB2_14344:
	v_mov_b32_e32 v13, 0
	v_cmp_ne_u16_sdwa s[8:9], v2, v13 src0_sel:BYTE_0 src1_sel:DWORD
	s_andn2_b64 s[4:5], s[4:5], exec
	s_and_b64 s[8:9], s[8:9], exec
	s_or_b64 s[4:5], s[4:5], s[8:9]
	s_or_b64 exec, exec, s[6:7]
	s_and_saveexec_b64 s[6:7], s[4:5]
	s_cbranch_execz .LBB2_28675
; %bb.50183:
	s_getpc_b64 s[14:15]
.Lpost_getpc28675:
	s_add_u32 s14, s14, (.LBB2_7-.Lpost_getpc28675)&4294967295
	s_addc_u32 s15, s15, (.LBB2_7-.Lpost_getpc28675)>>32
	s_setpc_b64 s[14:15]
.LBB2_28675:
	s_getpc_b64 s[14:15]
.Lpost_getpc17921:
	s_add_u32 s14, s14, (.LBB2_8-.Lpost_getpc17921)&4294967295
	s_addc_u32 s15, s15, (.LBB2_8-.Lpost_getpc17921)>>32
	s_setpc_b64 s[14:15]
.LBB2_14345:
	s_movk_i32 s4, 0x80
	v_cmp_eq_u16_sdwa s[12:13], v13, s4 src0_sel:BYTE_0 src1_sel:DWORD
	s_mov_b64 s[4:5], -1
                                        ; implicit-def: $sgpr10
	s_and_saveexec_b64 s[8:9], s[12:13]
; %bb.14346:
	s_mov_b32 s10, 0x7f800001
	s_xor_b64 s[4:5], exec, -1
; %bb.14347:
	s_or_b64 exec, exec, s[8:9]
	s_and_b64 s[4:5], s[4:5], exec
	s_or_saveexec_b64 s[6:7], s[6:7]
	v_mov_b32_e32 v12, s10
	s_xor_b64 exec, exec, s[6:7]
	s_cbranch_execnz .LBB2_14348
; %bb.50185:
	s_getpc_b64 s[14:15]
.Lpost_getpc28676:
	s_add_u32 s14, s14, (.LBB2_10-.Lpost_getpc28676)&4294967295
	s_addc_u32 s15, s15, (.LBB2_10-.Lpost_getpc28676)>>32
	s_setpc_b64 s[14:15]
.LBB2_14348:
	v_mov_b32_e32 v12, 0
	v_cmp_ne_u16_sdwa s[8:9], v13, v12 src0_sel:BYTE_0 src1_sel:DWORD
	s_andn2_b64 s[4:5], s[4:5], exec
	s_and_b64 s[8:9], s[8:9], exec
	s_or_b64 s[4:5], s[4:5], s[8:9]
	s_or_b64 exec, exec, s[6:7]
	s_and_saveexec_b64 s[6:7], s[4:5]
	s_cbranch_execz .LBB2_28677
; %bb.50187:
	s_getpc_b64 s[14:15]
.Lpost_getpc28677:
	s_add_u32 s14, s14, (.LBB2_11-.Lpost_getpc28677)&4294967295
	s_addc_u32 s15, s15, (.LBB2_11-.Lpost_getpc28677)>>32
	s_setpc_b64 s[14:15]
.LBB2_28677:
	s_getpc_b64 s[14:15]
.Lpost_getpc17922:
	s_add_u32 s14, s14, (.LBB2_12-.Lpost_getpc17922)&4294967295
	s_addc_u32 s15, s15, (.LBB2_12-.Lpost_getpc17922)>>32
	s_setpc_b64 s[14:15]
.LBB2_14349:
	s_movk_i32 s4, 0x80
	v_cmp_eq_u16_sdwa s[12:13], v13, s4 src0_sel:BYTE_0 src1_sel:DWORD
	s_mov_b64 s[4:5], -1
                                        ; implicit-def: $sgpr10
	s_and_saveexec_b64 s[8:9], s[12:13]
; %bb.14350:
	s_mov_b32 s10, 0x7f800001
	s_xor_b64 s[4:5], exec, -1
; %bb.14351:
	s_or_b64 exec, exec, s[8:9]
	s_and_b64 s[4:5], s[4:5], exec
	s_or_saveexec_b64 s[6:7], s[6:7]
	v_mov_b32_e32 v14, s10
	s_xor_b64 exec, exec, s[6:7]
	s_cbranch_execnz .LBB2_14352
; %bb.50189:
	s_getpc_b64 s[14:15]
.Lpost_getpc28678:
	s_add_u32 s14, s14, (.LBB2_14-.Lpost_getpc28678)&4294967295
	s_addc_u32 s15, s15, (.LBB2_14-.Lpost_getpc28678)>>32
	s_setpc_b64 s[14:15]
.LBB2_14352:
	v_mov_b32_e32 v14, 0
	v_cmp_ne_u16_sdwa s[8:9], v13, v14 src0_sel:BYTE_0 src1_sel:DWORD
	s_andn2_b64 s[4:5], s[4:5], exec
	s_and_b64 s[8:9], s[8:9], exec
	s_or_b64 s[4:5], s[4:5], s[8:9]
	s_or_b64 exec, exec, s[6:7]
	s_and_saveexec_b64 s[6:7], s[4:5]
	s_cbranch_execz .LBB2_28679
; %bb.50191:
	s_getpc_b64 s[14:15]
.Lpost_getpc28679:
	s_add_u32 s14, s14, (.LBB2_15-.Lpost_getpc28679)&4294967295
	s_addc_u32 s15, s15, (.LBB2_15-.Lpost_getpc28679)>>32
	s_setpc_b64 s[14:15]
.LBB2_28679:
	s_getpc_b64 s[14:15]
.Lpost_getpc17923:
	s_add_u32 s14, s14, (.LBB2_16-.Lpost_getpc17923)&4294967295
	s_addc_u32 s15, s15, (.LBB2_16-.Lpost_getpc17923)>>32
	s_setpc_b64 s[14:15]
.LBB2_14353:
	s_movk_i32 s4, 0x80
	v_cmp_eq_u16_e32 vcc, s4, v13
	s_mov_b64 s[4:5], -1
                                        ; implicit-def: $sgpr10
	s_and_saveexec_b64 s[8:9], vcc
; %bb.14354:
	s_mov_b32 s10, 0x7f800001
	s_xor_b64 s[4:5], exec, -1
; %bb.14355:
	s_or_b64 exec, exec, s[8:9]
	s_and_b64 s[4:5], s[4:5], exec
                                        ; implicit-def: $vgpr13
	s_or_saveexec_b64 s[6:7], s[6:7]
	v_mov_b32_e32 v12, s10
	s_xor_b64 exec, exec, s[6:7]
	s_cbranch_execnz .LBB2_14356
; %bb.50193:
	s_getpc_b64 s[14:15]
.Lpost_getpc28680:
	s_add_u32 s14, s14, (.LBB2_18-.Lpost_getpc28680)&4294967295
	s_addc_u32 s15, s15, (.LBB2_18-.Lpost_getpc28680)>>32
	s_setpc_b64 s[14:15]
.LBB2_14356:
	v_cmp_ne_u16_e32 vcc, 0, v13
	s_andn2_b64 s[4:5], s[4:5], exec
	s_and_b64 s[8:9], vcc, exec
	v_mov_b32_e32 v12, 0
	s_or_b64 s[4:5], s[4:5], s[8:9]
	s_or_b64 exec, exec, s[6:7]
	s_and_saveexec_b64 s[6:7], s[4:5]
	s_cbranch_execz .LBB2_28681
; %bb.50195:
	s_getpc_b64 s[14:15]
.Lpost_getpc28681:
	s_add_u32 s14, s14, (.LBB2_19-.Lpost_getpc28681)&4294967295
	s_addc_u32 s15, s15, (.LBB2_19-.Lpost_getpc28681)>>32
	s_setpc_b64 s[14:15]
.LBB2_28681:
	s_getpc_b64 s[14:15]
.Lpost_getpc17924:
	s_add_u32 s14, s14, (.LBB2_20-.Lpost_getpc17924)&4294967295
	s_addc_u32 s15, s15, (.LBB2_20-.Lpost_getpc17924)>>32
	s_setpc_b64 s[14:15]
.LBB2_14357:
	s_movk_i32 s4, 0x80
	v_cmp_eq_u16_e32 vcc, s4, v13
	s_mov_b64 s[4:5], -1
                                        ; implicit-def: $sgpr10
	s_and_saveexec_b64 s[8:9], vcc
; %bb.14358:
	s_mov_b32 s10, 0x7f800001
	s_xor_b64 s[4:5], exec, -1
; %bb.14359:
	s_or_b64 exec, exec, s[8:9]
	s_and_b64 s[4:5], s[4:5], exec
                                        ; implicit-def: $vgpr13
	s_or_saveexec_b64 s[6:7], s[6:7]
	v_mov_b32_e32 v14, s10
	s_xor_b64 exec, exec, s[6:7]
	s_cbranch_execnz .LBB2_14360
; %bb.50197:
	s_getpc_b64 s[14:15]
.Lpost_getpc28682:
	s_add_u32 s14, s14, (.LBB2_22-.Lpost_getpc28682)&4294967295
	s_addc_u32 s15, s15, (.LBB2_22-.Lpost_getpc28682)>>32
	s_setpc_b64 s[14:15]
.LBB2_14360:
	v_cmp_ne_u16_e32 vcc, 0, v13
	s_andn2_b64 s[4:5], s[4:5], exec
	s_and_b64 s[8:9], vcc, exec
	v_mov_b32_e32 v14, 0
	s_or_b64 s[4:5], s[4:5], s[8:9]
	s_or_b64 exec, exec, s[6:7]
	s_and_saveexec_b64 s[6:7], s[4:5]
	s_cbranch_execz .LBB2_28683
; %bb.50199:
	s_getpc_b64 s[14:15]
.Lpost_getpc28683:
	s_add_u32 s14, s14, (.LBB2_23-.Lpost_getpc28683)&4294967295
	s_addc_u32 s15, s15, (.LBB2_23-.Lpost_getpc28683)>>32
	s_setpc_b64 s[14:15]
.LBB2_28683:
	s_getpc_b64 s[14:15]
.Lpost_getpc17925:
	s_add_u32 s14, s14, (.LBB2_24-.Lpost_getpc17925)&4294967295
	s_addc_u32 s15, s15, (.LBB2_24-.Lpost_getpc17925)>>32
	s_setpc_b64 s[14:15]
.LBB2_14361:
	s_movk_i32 s4, 0x80
	v_cmp_eq_u16_sdwa s[12:13], v6, s4 src0_sel:BYTE_3 src1_sel:DWORD
	s_mov_b64 s[4:5], -1
                                        ; implicit-def: $sgpr10
	s_and_saveexec_b64 s[8:9], s[12:13]
; %bb.14362:
	s_mov_b32 s10, 0x7f800001
	s_xor_b64 s[4:5], exec, -1
; %bb.14363:
	s_or_b64 exec, exec, s[8:9]
	s_and_b64 s[4:5], s[4:5], exec
	s_or_saveexec_b64 s[6:7], s[6:7]
	v_mov_b32_e32 v12, s10
	s_xor_b64 exec, exec, s[6:7]
	s_cbranch_execnz .LBB2_14364
; %bb.50201:
	s_getpc_b64 s[14:15]
.Lpost_getpc28684:
	s_add_u32 s14, s14, (.LBB2_26-.Lpost_getpc28684)&4294967295
	s_addc_u32 s15, s15, (.LBB2_26-.Lpost_getpc28684)>>32
	s_setpc_b64 s[14:15]
.LBB2_14364:
	v_mov_b32_e32 v12, 0
	v_cmp_ne_u16_sdwa s[8:9], v6, v12 src0_sel:BYTE_3 src1_sel:DWORD
	s_andn2_b64 s[4:5], s[4:5], exec
	s_and_b64 s[8:9], s[8:9], exec
	s_or_b64 s[4:5], s[4:5], s[8:9]
	s_or_b64 exec, exec, s[6:7]
	s_and_saveexec_b64 s[6:7], s[4:5]
	s_cbranch_execz .LBB2_28685
; %bb.50203:
	s_getpc_b64 s[14:15]
.Lpost_getpc28685:
	s_add_u32 s14, s14, (.LBB2_27-.Lpost_getpc28685)&4294967295
	s_addc_u32 s15, s15, (.LBB2_27-.Lpost_getpc28685)>>32
	s_setpc_b64 s[14:15]
.LBB2_28685:
	s_getpc_b64 s[14:15]
.Lpost_getpc17926:
	s_add_u32 s14, s14, (.LBB2_28-.Lpost_getpc17926)&4294967295
	s_addc_u32 s15, s15, (.LBB2_28-.Lpost_getpc17926)>>32
	s_setpc_b64 s[14:15]
.LBB2_14365:
	s_movk_i32 s4, 0x80
	v_cmp_eq_u16_sdwa s[12:13], v2, s4 src0_sel:BYTE_3 src1_sel:DWORD
	s_mov_b64 s[4:5], -1
                                        ; implicit-def: $sgpr10
	s_and_saveexec_b64 s[8:9], s[12:13]
; %bb.14366:
	s_mov_b32 s10, 0x7f800001
	s_xor_b64 s[4:5], exec, -1
; %bb.14367:
	s_or_b64 exec, exec, s[8:9]
	s_and_b64 s[4:5], s[4:5], exec
	s_or_saveexec_b64 s[6:7], s[6:7]
	v_mov_b32_e32 v6, s10
	s_xor_b64 exec, exec, s[6:7]
	s_cbranch_execnz .LBB2_14368
; %bb.50205:
	s_getpc_b64 s[14:15]
.Lpost_getpc28686:
	s_add_u32 s14, s14, (.LBB2_30-.Lpost_getpc28686)&4294967295
	s_addc_u32 s15, s15, (.LBB2_30-.Lpost_getpc28686)>>32
	s_setpc_b64 s[14:15]
.LBB2_14368:
	v_mov_b32_e32 v6, 0
	v_cmp_ne_u16_sdwa s[8:9], v2, v6 src0_sel:BYTE_3 src1_sel:DWORD
	s_andn2_b64 s[4:5], s[4:5], exec
	s_and_b64 s[8:9], s[8:9], exec
	s_or_b64 s[4:5], s[4:5], s[8:9]
	s_or_b64 exec, exec, s[6:7]
	s_and_saveexec_b64 s[6:7], s[4:5]
	s_cbranch_execz .LBB2_28687
; %bb.50207:
	s_getpc_b64 s[14:15]
.Lpost_getpc28687:
	s_add_u32 s14, s14, (.LBB2_31-.Lpost_getpc28687)&4294967295
	s_addc_u32 s15, s15, (.LBB2_31-.Lpost_getpc28687)>>32
	s_setpc_b64 s[14:15]
.LBB2_28687:
	s_getpc_b64 s[14:15]
.Lpost_getpc17927:
	s_add_u32 s14, s14, (.LBB2_32-.Lpost_getpc17927)&4294967295
	s_addc_u32 s15, s15, (.LBB2_32-.Lpost_getpc17927)>>32
	s_setpc_b64 s[14:15]
.LBB2_14369:
	s_movk_i32 s4, 0x80
	v_cmp_eq_u16_sdwa s[12:13], v7, s4 src0_sel:BYTE_0 src1_sel:DWORD
	s_mov_b64 s[4:5], -1
                                        ; implicit-def: $sgpr10
	s_and_saveexec_b64 s[8:9], s[12:13]
; %bb.14370:
	s_mov_b32 s10, 0x7f800001
	s_xor_b64 s[4:5], exec, -1
; %bb.14371:
	s_or_b64 exec, exec, s[8:9]
	s_and_b64 s[4:5], s[4:5], exec
	s_or_saveexec_b64 s[6:7], s[6:7]
	v_mov_b32_e32 v2, s10
	s_xor_b64 exec, exec, s[6:7]
	s_cbranch_execnz .LBB2_14372
; %bb.50209:
	s_getpc_b64 s[14:15]
.Lpost_getpc28688:
	s_add_u32 s14, s14, (.LBB2_34-.Lpost_getpc28688)&4294967295
	s_addc_u32 s15, s15, (.LBB2_34-.Lpost_getpc28688)>>32
	s_setpc_b64 s[14:15]
.LBB2_14372:
	v_mov_b32_e32 v2, 0
	v_cmp_ne_u16_sdwa s[8:9], v7, v2 src0_sel:BYTE_0 src1_sel:DWORD
	s_andn2_b64 s[4:5], s[4:5], exec
	s_and_b64 s[8:9], s[8:9], exec
	s_or_b64 s[4:5], s[4:5], s[8:9]
	s_or_b64 exec, exec, s[6:7]
	s_and_saveexec_b64 s[6:7], s[4:5]
	s_cbranch_execz .LBB2_28689
; %bb.50211:
	s_getpc_b64 s[14:15]
.Lpost_getpc28689:
	s_add_u32 s14, s14, (.LBB2_35-.Lpost_getpc28689)&4294967295
	s_addc_u32 s15, s15, (.LBB2_35-.Lpost_getpc28689)>>32
	s_setpc_b64 s[14:15]
.LBB2_28689:
	s_getpc_b64 s[14:15]
.Lpost_getpc17928:
	s_add_u32 s14, s14, (.LBB2_36-.Lpost_getpc17928)&4294967295
	s_addc_u32 s15, s15, (.LBB2_36-.Lpost_getpc17928)>>32
	s_setpc_b64 s[14:15]
.LBB2_14373:
	s_movk_i32 s4, 0x80
	v_cmp_eq_u16_sdwa s[12:13], v3, s4 src0_sel:BYTE_0 src1_sel:DWORD
	s_mov_b64 s[4:5], -1
                                        ; implicit-def: $sgpr10
	s_and_saveexec_b64 s[8:9], s[12:13]
; %bb.14374:
	s_mov_b32 s10, 0x7f800001
	s_xor_b64 s[4:5], exec, -1
; %bb.14375:
	s_or_b64 exec, exec, s[8:9]
	s_and_b64 s[4:5], s[4:5], exec
	s_or_saveexec_b64 s[6:7], s[6:7]
	v_mov_b32_e32 v6, s10
	s_xor_b64 exec, exec, s[6:7]
	s_cbranch_execnz .LBB2_14376
; %bb.50213:
	s_getpc_b64 s[14:15]
.Lpost_getpc28690:
	s_add_u32 s14, s14, (.LBB2_38-.Lpost_getpc28690)&4294967295
	s_addc_u32 s15, s15, (.LBB2_38-.Lpost_getpc28690)>>32
	s_setpc_b64 s[14:15]
.LBB2_14376:
	v_mov_b32_e32 v6, 0
	v_cmp_ne_u16_sdwa s[8:9], v3, v6 src0_sel:BYTE_0 src1_sel:DWORD
	s_andn2_b64 s[4:5], s[4:5], exec
	s_and_b64 s[8:9], s[8:9], exec
	s_or_b64 s[4:5], s[4:5], s[8:9]
	s_or_b64 exec, exec, s[6:7]
	s_and_saveexec_b64 s[6:7], s[4:5]
	s_cbranch_execz .LBB2_28691
; %bb.50215:
	s_getpc_b64 s[14:15]
.Lpost_getpc28691:
	s_add_u32 s14, s14, (.LBB2_39-.Lpost_getpc28691)&4294967295
	s_addc_u32 s15, s15, (.LBB2_39-.Lpost_getpc28691)>>32
	s_setpc_b64 s[14:15]
.LBB2_28691:
	s_getpc_b64 s[14:15]
.Lpost_getpc17929:
	s_add_u32 s14, s14, (.LBB2_40-.Lpost_getpc17929)&4294967295
	s_addc_u32 s15, s15, (.LBB2_40-.Lpost_getpc17929)>>32
	s_setpc_b64 s[14:15]
.LBB2_14377:
	s_movk_i32 s4, 0x80
	v_cmp_eq_u16_sdwa s[12:13], v6, s4 src0_sel:BYTE_0 src1_sel:DWORD
	s_mov_b64 s[4:5], -1
                                        ; implicit-def: $sgpr10
	s_and_saveexec_b64 s[8:9], s[12:13]
; %bb.14378:
	s_mov_b32 s10, 0x7f800001
	s_xor_b64 s[4:5], exec, -1
; %bb.14379:
	s_or_b64 exec, exec, s[8:9]
	s_and_b64 s[4:5], s[4:5], exec
	s_or_saveexec_b64 s[6:7], s[6:7]
	v_mov_b32_e32 v2, s10
	s_xor_b64 exec, exec, s[6:7]
	s_cbranch_execnz .LBB2_14380
; %bb.50217:
	s_getpc_b64 s[14:15]
.Lpost_getpc28692:
	s_add_u32 s14, s14, (.LBB2_42-.Lpost_getpc28692)&4294967295
	s_addc_u32 s15, s15, (.LBB2_42-.Lpost_getpc28692)>>32
	s_setpc_b64 s[14:15]
.LBB2_14380:
	v_mov_b32_e32 v2, 0
	v_cmp_ne_u16_sdwa s[8:9], v6, v2 src0_sel:BYTE_0 src1_sel:DWORD
	s_andn2_b64 s[4:5], s[4:5], exec
	s_and_b64 s[8:9], s[8:9], exec
	s_or_b64 s[4:5], s[4:5], s[8:9]
	s_or_b64 exec, exec, s[6:7]
	s_and_saveexec_b64 s[6:7], s[4:5]
	s_cbranch_execz .LBB2_28693
; %bb.50219:
	s_getpc_b64 s[14:15]
.Lpost_getpc28693:
	s_add_u32 s14, s14, (.LBB2_43-.Lpost_getpc28693)&4294967295
	s_addc_u32 s15, s15, (.LBB2_43-.Lpost_getpc28693)>>32
	s_setpc_b64 s[14:15]
.LBB2_28693:
	s_getpc_b64 s[14:15]
.Lpost_getpc17930:
	s_add_u32 s14, s14, (.LBB2_44-.Lpost_getpc17930)&4294967295
	s_addc_u32 s15, s15, (.LBB2_44-.Lpost_getpc17930)>>32
	s_setpc_b64 s[14:15]
.LBB2_14381:
	s_movk_i32 s4, 0x80
	v_cmp_eq_u16_sdwa s[12:13], v6, s4 src0_sel:BYTE_0 src1_sel:DWORD
	s_mov_b64 s[4:5], -1
                                        ; implicit-def: $sgpr10
	s_and_saveexec_b64 s[8:9], s[12:13]
; %bb.14382:
	s_mov_b32 s10, 0x7f800001
	s_xor_b64 s[4:5], exec, -1
; %bb.14383:
	s_or_b64 exec, exec, s[8:9]
	s_and_b64 s[4:5], s[4:5], exec
	s_or_saveexec_b64 s[6:7], s[6:7]
	v_mov_b32_e32 v12, s10
	s_xor_b64 exec, exec, s[6:7]
	s_cbranch_execnz .LBB2_14384
; %bb.50221:
	s_getpc_b64 s[14:15]
.Lpost_getpc28694:
	s_add_u32 s14, s14, (.LBB2_46-.Lpost_getpc28694)&4294967295
	s_addc_u32 s15, s15, (.LBB2_46-.Lpost_getpc28694)>>32
	s_setpc_b64 s[14:15]
.LBB2_14384:
	v_mov_b32_e32 v12, 0
	v_cmp_ne_u16_sdwa s[8:9], v6, v12 src0_sel:BYTE_0 src1_sel:DWORD
	s_andn2_b64 s[4:5], s[4:5], exec
	s_and_b64 s[8:9], s[8:9], exec
	s_or_b64 s[4:5], s[4:5], s[8:9]
	s_or_b64 exec, exec, s[6:7]
	s_and_saveexec_b64 s[6:7], s[4:5]
	s_cbranch_execz .LBB2_28695
; %bb.50223:
	s_getpc_b64 s[14:15]
.Lpost_getpc28695:
	s_add_u32 s14, s14, (.LBB2_47-.Lpost_getpc28695)&4294967295
	s_addc_u32 s15, s15, (.LBB2_47-.Lpost_getpc28695)>>32
	s_setpc_b64 s[14:15]
.LBB2_28695:
	s_getpc_b64 s[14:15]
.Lpost_getpc17931:
	s_add_u32 s14, s14, (.LBB2_48-.Lpost_getpc17931)&4294967295
	s_addc_u32 s15, s15, (.LBB2_48-.Lpost_getpc17931)>>32
	s_setpc_b64 s[14:15]
.LBB2_14385:
	s_movk_i32 s4, 0x80
	v_cmp_eq_u16_e32 vcc, s4, v6
	s_mov_b64 s[4:5], -1
                                        ; implicit-def: $sgpr10
	s_and_saveexec_b64 s[8:9], vcc
; %bb.14386:
	s_mov_b32 s10, 0x7f800001
	s_xor_b64 s[4:5], exec, -1
; %bb.14387:
	s_or_b64 exec, exec, s[8:9]
	s_and_b64 s[4:5], s[4:5], exec
                                        ; implicit-def: $vgpr6
	s_or_saveexec_b64 s[6:7], s[6:7]
	v_mov_b32_e32 v2, s10
	s_xor_b64 exec, exec, s[6:7]
	s_cbranch_execnz .LBB2_14388
; %bb.50225:
	s_getpc_b64 s[14:15]
.Lpost_getpc28696:
	s_add_u32 s14, s14, (.LBB2_50-.Lpost_getpc28696)&4294967295
	s_addc_u32 s15, s15, (.LBB2_50-.Lpost_getpc28696)>>32
	s_setpc_b64 s[14:15]
.LBB2_14388:
	v_cmp_ne_u16_e32 vcc, 0, v6
	s_andn2_b64 s[4:5], s[4:5], exec
	s_and_b64 s[8:9], vcc, exec
	v_mov_b32_e32 v2, 0
	s_or_b64 s[4:5], s[4:5], s[8:9]
	s_or_b64 exec, exec, s[6:7]
	s_and_saveexec_b64 s[6:7], s[4:5]
	s_cbranch_execz .LBB2_28697
; %bb.50227:
	s_getpc_b64 s[14:15]
.Lpost_getpc28697:
	s_add_u32 s14, s14, (.LBB2_51-.Lpost_getpc28697)&4294967295
	s_addc_u32 s15, s15, (.LBB2_51-.Lpost_getpc28697)>>32
	s_setpc_b64 s[14:15]
.LBB2_28697:
	s_getpc_b64 s[14:15]
.Lpost_getpc17932:
	s_add_u32 s14, s14, (.LBB2_52-.Lpost_getpc17932)&4294967295
	s_addc_u32 s15, s15, (.LBB2_52-.Lpost_getpc17932)>>32
	s_setpc_b64 s[14:15]
.LBB2_14389:
	s_movk_i32 s4, 0x80
	v_cmp_eq_u16_e32 vcc, s4, v6
	s_mov_b64 s[4:5], -1
                                        ; implicit-def: $sgpr10
	s_and_saveexec_b64 s[8:9], vcc
; %bb.14390:
	s_mov_b32 s10, 0x7f800001
	s_xor_b64 s[4:5], exec, -1
; %bb.14391:
	s_or_b64 exec, exec, s[8:9]
	s_and_b64 s[4:5], s[4:5], exec
                                        ; implicit-def: $vgpr6
	s_or_saveexec_b64 s[6:7], s[6:7]
	v_mov_b32_e32 v12, s10
	s_xor_b64 exec, exec, s[6:7]
	s_cbranch_execnz .LBB2_14392
; %bb.50229:
	s_getpc_b64 s[14:15]
.Lpost_getpc28698:
	s_add_u32 s14, s14, (.LBB2_54-.Lpost_getpc28698)&4294967295
	s_addc_u32 s15, s15, (.LBB2_54-.Lpost_getpc28698)>>32
	s_setpc_b64 s[14:15]
.LBB2_14392:
	v_cmp_ne_u16_e32 vcc, 0, v6
	s_andn2_b64 s[4:5], s[4:5], exec
	s_and_b64 s[8:9], vcc, exec
	v_mov_b32_e32 v12, 0
	s_or_b64 s[4:5], s[4:5], s[8:9]
	s_or_b64 exec, exec, s[6:7]
	s_and_saveexec_b64 s[6:7], s[4:5]
	s_cbranch_execz .LBB2_28699
; %bb.50231:
	s_getpc_b64 s[14:15]
.Lpost_getpc28699:
	s_add_u32 s14, s14, (.LBB2_55-.Lpost_getpc28699)&4294967295
	s_addc_u32 s15, s15, (.LBB2_55-.Lpost_getpc28699)>>32
	s_setpc_b64 s[14:15]
.LBB2_28699:
	s_getpc_b64 s[14:15]
.Lpost_getpc17933:
	s_add_u32 s14, s14, (.LBB2_56-.Lpost_getpc17933)&4294967295
	s_addc_u32 s15, s15, (.LBB2_56-.Lpost_getpc17933)>>32
	s_setpc_b64 s[14:15]
.LBB2_14393:
	s_movk_i32 s4, 0x80
	v_cmp_eq_u16_sdwa s[12:13], v7, s4 src0_sel:BYTE_3 src1_sel:DWORD
	s_mov_b64 s[4:5], -1
                                        ; implicit-def: $sgpr10
	s_and_saveexec_b64 s[8:9], s[12:13]
; %bb.14394:
	s_mov_b32 s10, 0x7f800001
	s_xor_b64 s[4:5], exec, -1
; %bb.14395:
	s_or_b64 exec, exec, s[8:9]
	s_and_b64 s[4:5], s[4:5], exec
	s_or_saveexec_b64 s[6:7], s[6:7]
	v_mov_b32_e32 v2, s10
	s_xor_b64 exec, exec, s[6:7]
	s_cbranch_execnz .LBB2_14396
; %bb.50233:
	s_getpc_b64 s[14:15]
.Lpost_getpc28700:
	s_add_u32 s14, s14, (.LBB2_58-.Lpost_getpc28700)&4294967295
	s_addc_u32 s15, s15, (.LBB2_58-.Lpost_getpc28700)>>32
	s_setpc_b64 s[14:15]
.LBB2_14396:
	v_mov_b32_e32 v2, 0
	v_cmp_ne_u16_sdwa s[8:9], v7, v2 src0_sel:BYTE_3 src1_sel:DWORD
	s_andn2_b64 s[4:5], s[4:5], exec
	s_and_b64 s[8:9], s[8:9], exec
	s_or_b64 s[4:5], s[4:5], s[8:9]
	s_or_b64 exec, exec, s[6:7]
	s_and_saveexec_b64 s[6:7], s[4:5]
	s_cbranch_execz .LBB2_28701
; %bb.50235:
	s_getpc_b64 s[14:15]
.Lpost_getpc28701:
	s_add_u32 s14, s14, (.LBB2_59-.Lpost_getpc28701)&4294967295
	s_addc_u32 s15, s15, (.LBB2_59-.Lpost_getpc28701)>>32
	s_setpc_b64 s[14:15]
.LBB2_28701:
	s_getpc_b64 s[14:15]
.Lpost_getpc17934:
	s_add_u32 s14, s14, (.LBB2_60-.Lpost_getpc17934)&4294967295
	s_addc_u32 s15, s15, (.LBB2_60-.Lpost_getpc17934)>>32
	s_setpc_b64 s[14:15]
.LBB2_14397:
	s_movk_i32 s4, 0x80
	v_cmp_eq_u16_sdwa s[12:13], v3, s4 src0_sel:BYTE_3 src1_sel:DWORD
	s_mov_b64 s[4:5], -1
                                        ; implicit-def: $sgpr10
	s_and_saveexec_b64 s[8:9], s[12:13]
; %bb.14398:
	s_mov_b32 s10, 0x7f800001
	s_xor_b64 s[4:5], exec, -1
; %bb.14399:
	s_or_b64 exec, exec, s[8:9]
	s_and_b64 s[4:5], s[4:5], exec
	s_or_saveexec_b64 s[6:7], s[6:7]
	v_mov_b32_e32 v6, s10
	s_xor_b64 exec, exec, s[6:7]
	s_cbranch_execnz .LBB2_14400
; %bb.50237:
	s_getpc_b64 s[14:15]
.Lpost_getpc28702:
	s_add_u32 s14, s14, (.LBB2_62-.Lpost_getpc28702)&4294967295
	s_addc_u32 s15, s15, (.LBB2_62-.Lpost_getpc28702)>>32
	s_setpc_b64 s[14:15]
.LBB2_14400:
	v_mov_b32_e32 v6, 0
	v_cmp_ne_u16_sdwa s[8:9], v3, v6 src0_sel:BYTE_3 src1_sel:DWORD
	s_andn2_b64 s[4:5], s[4:5], exec
	s_and_b64 s[8:9], s[8:9], exec
	s_or_b64 s[4:5], s[4:5], s[8:9]
	s_or_b64 exec, exec, s[6:7]
	s_and_saveexec_b64 s[6:7], s[4:5]
	s_cbranch_execz .LBB2_28703
; %bb.50239:
	s_getpc_b64 s[14:15]
.Lpost_getpc28703:
	s_add_u32 s14, s14, (.LBB2_63-.Lpost_getpc28703)&4294967295
	s_addc_u32 s15, s15, (.LBB2_63-.Lpost_getpc28703)>>32
	s_setpc_b64 s[14:15]
.LBB2_28703:
	s_getpc_b64 s[14:15]
.Lpost_getpc17935:
	s_add_u32 s14, s14, (.LBB2_64-.Lpost_getpc17935)&4294967295
	s_addc_u32 s15, s15, (.LBB2_64-.Lpost_getpc17935)>>32
	s_setpc_b64 s[14:15]
.LBB2_14401:
	s_movk_i32 s4, 0x80
	v_cmp_eq_u16_sdwa s[12:13], v8, s4 src0_sel:BYTE_0 src1_sel:DWORD
	s_mov_b64 s[4:5], -1
                                        ; implicit-def: $sgpr10
	s_and_saveexec_b64 s[8:9], s[12:13]
; %bb.14402:
	s_mov_b32 s10, 0x7f800001
	s_xor_b64 s[4:5], exec, -1
; %bb.14403:
	s_or_b64 exec, exec, s[8:9]
	s_and_b64 s[4:5], s[4:5], exec
	s_or_saveexec_b64 s[6:7], s[6:7]
	v_mov_b32_e32 v2, s10
	s_xor_b64 exec, exec, s[6:7]
	s_cbranch_execnz .LBB2_14404
; %bb.50241:
	s_getpc_b64 s[14:15]
.Lpost_getpc28704:
	s_add_u32 s14, s14, (.LBB2_66-.Lpost_getpc28704)&4294967295
	s_addc_u32 s15, s15, (.LBB2_66-.Lpost_getpc28704)>>32
	s_setpc_b64 s[14:15]
.LBB2_14404:
	v_mov_b32_e32 v2, 0
	v_cmp_ne_u16_sdwa s[8:9], v8, v2 src0_sel:BYTE_0 src1_sel:DWORD
	s_andn2_b64 s[4:5], s[4:5], exec
	s_and_b64 s[8:9], s[8:9], exec
	s_or_b64 s[4:5], s[4:5], s[8:9]
	s_or_b64 exec, exec, s[6:7]
	s_and_saveexec_b64 s[6:7], s[4:5]
	s_cbranch_execz .LBB2_28705
; %bb.50243:
	s_getpc_b64 s[14:15]
.Lpost_getpc28705:
	s_add_u32 s14, s14, (.LBB2_67-.Lpost_getpc28705)&4294967295
	s_addc_u32 s15, s15, (.LBB2_67-.Lpost_getpc28705)>>32
	s_setpc_b64 s[14:15]
.LBB2_28705:
	s_getpc_b64 s[14:15]
.Lpost_getpc17936:
	s_add_u32 s14, s14, (.LBB2_68-.Lpost_getpc17936)&4294967295
	s_addc_u32 s15, s15, (.LBB2_68-.Lpost_getpc17936)>>32
	s_setpc_b64 s[14:15]
.LBB2_14405:
	s_movk_i32 s4, 0x80
	v_cmp_eq_u16_sdwa s[12:13], v4, s4 src0_sel:BYTE_0 src1_sel:DWORD
	s_mov_b64 s[4:5], -1
                                        ; implicit-def: $sgpr10
	s_and_saveexec_b64 s[8:9], s[12:13]
; %bb.14406:
	s_mov_b32 s10, 0x7f800001
	s_xor_b64 s[4:5], exec, -1
; %bb.14407:
	s_or_b64 exec, exec, s[8:9]
	s_and_b64 s[4:5], s[4:5], exec
	s_or_saveexec_b64 s[6:7], s[6:7]
	v_mov_b32_e32 v3, s10
	s_xor_b64 exec, exec, s[6:7]
	s_cbranch_execnz .LBB2_14408
; %bb.50245:
	s_getpc_b64 s[14:15]
.Lpost_getpc28706:
	s_add_u32 s14, s14, (.LBB2_70-.Lpost_getpc28706)&4294967295
	s_addc_u32 s15, s15, (.LBB2_70-.Lpost_getpc28706)>>32
	s_setpc_b64 s[14:15]
.LBB2_14408:
	v_mov_b32_e32 v3, 0
	v_cmp_ne_u16_sdwa s[8:9], v4, v3 src0_sel:BYTE_0 src1_sel:DWORD
	s_andn2_b64 s[4:5], s[4:5], exec
	s_and_b64 s[8:9], s[8:9], exec
	s_or_b64 s[4:5], s[4:5], s[8:9]
	s_or_b64 exec, exec, s[6:7]
	s_and_saveexec_b64 s[6:7], s[4:5]
	s_cbranch_execz .LBB2_28707
; %bb.50247:
	s_getpc_b64 s[14:15]
.Lpost_getpc28707:
	s_add_u32 s14, s14, (.LBB2_71-.Lpost_getpc28707)&4294967295
	s_addc_u32 s15, s15, (.LBB2_71-.Lpost_getpc28707)>>32
	s_setpc_b64 s[14:15]
.LBB2_28707:
	s_getpc_b64 s[14:15]
.Lpost_getpc17937:
	s_add_u32 s14, s14, (.LBB2_72-.Lpost_getpc17937)&4294967295
	s_addc_u32 s15, s15, (.LBB2_72-.Lpost_getpc17937)>>32
	s_setpc_b64 s[14:15]
.LBB2_14409:
	s_movk_i32 s4, 0x80
	v_cmp_eq_u16_sdwa s[12:13], v3, s4 src0_sel:BYTE_0 src1_sel:DWORD
	s_mov_b64 s[4:5], -1
                                        ; implicit-def: $sgpr10
	s_and_saveexec_b64 s[8:9], s[12:13]
; %bb.14410:
	s_mov_b32 s10, 0x7f800001
	s_xor_b64 s[4:5], exec, -1
; %bb.14411:
	s_or_b64 exec, exec, s[8:9]
	s_and_b64 s[4:5], s[4:5], exec
	s_or_saveexec_b64 s[6:7], s[6:7]
	v_mov_b32_e32 v2, s10
	s_xor_b64 exec, exec, s[6:7]
	s_cbranch_execnz .LBB2_14412
; %bb.50249:
	s_getpc_b64 s[14:15]
.Lpost_getpc28708:
	s_add_u32 s14, s14, (.LBB2_74-.Lpost_getpc28708)&4294967295
	s_addc_u32 s15, s15, (.LBB2_74-.Lpost_getpc28708)>>32
	s_setpc_b64 s[14:15]
.LBB2_14412:
	v_mov_b32_e32 v2, 0
	v_cmp_ne_u16_sdwa s[8:9], v3, v2 src0_sel:BYTE_0 src1_sel:DWORD
	s_andn2_b64 s[4:5], s[4:5], exec
	s_and_b64 s[8:9], s[8:9], exec
	s_or_b64 s[4:5], s[4:5], s[8:9]
	s_or_b64 exec, exec, s[6:7]
	s_and_saveexec_b64 s[6:7], s[4:5]
	s_cbranch_execz .LBB2_28709
; %bb.50251:
	s_getpc_b64 s[14:15]
.Lpost_getpc28709:
	s_add_u32 s14, s14, (.LBB2_75-.Lpost_getpc28709)&4294967295
	s_addc_u32 s15, s15, (.LBB2_75-.Lpost_getpc28709)>>32
	s_setpc_b64 s[14:15]
.LBB2_28709:
	s_getpc_b64 s[14:15]
.Lpost_getpc17938:
	s_add_u32 s14, s14, (.LBB2_76-.Lpost_getpc17938)&4294967295
	s_addc_u32 s15, s15, (.LBB2_76-.Lpost_getpc17938)>>32
	s_setpc_b64 s[14:15]
.LBB2_14413:
	s_movk_i32 s4, 0x80
	v_cmp_eq_u16_sdwa s[12:13], v3, s4 src0_sel:BYTE_0 src1_sel:DWORD
	s_mov_b64 s[4:5], -1
                                        ; implicit-def: $sgpr10
	s_and_saveexec_b64 s[8:9], s[12:13]
; %bb.14414:
	s_mov_b32 s10, 0x7f800001
	s_xor_b64 s[4:5], exec, -1
; %bb.14415:
	s_or_b64 exec, exec, s[8:9]
	s_and_b64 s[4:5], s[4:5], exec
	s_or_saveexec_b64 s[6:7], s[6:7]
	v_mov_b32_e32 v6, s10
	s_xor_b64 exec, exec, s[6:7]
	s_cbranch_execnz .LBB2_14416
; %bb.50253:
	s_getpc_b64 s[14:15]
.Lpost_getpc28710:
	s_add_u32 s14, s14, (.LBB2_78-.Lpost_getpc28710)&4294967295
	s_addc_u32 s15, s15, (.LBB2_78-.Lpost_getpc28710)>>32
	s_setpc_b64 s[14:15]
.LBB2_14416:
	v_mov_b32_e32 v6, 0
	v_cmp_ne_u16_sdwa s[8:9], v3, v6 src0_sel:BYTE_0 src1_sel:DWORD
	s_andn2_b64 s[4:5], s[4:5], exec
	s_and_b64 s[8:9], s[8:9], exec
	s_or_b64 s[4:5], s[4:5], s[8:9]
	s_or_b64 exec, exec, s[6:7]
	s_and_saveexec_b64 s[6:7], s[4:5]
	s_cbranch_execz .LBB2_28711
; %bb.50255:
	s_getpc_b64 s[14:15]
.Lpost_getpc28711:
	s_add_u32 s14, s14, (.LBB2_79-.Lpost_getpc28711)&4294967295
	s_addc_u32 s15, s15, (.LBB2_79-.Lpost_getpc28711)>>32
	s_setpc_b64 s[14:15]
.LBB2_28711:
	s_getpc_b64 s[14:15]
.Lpost_getpc17939:
	s_add_u32 s14, s14, (.LBB2_80-.Lpost_getpc17939)&4294967295
	s_addc_u32 s15, s15, (.LBB2_80-.Lpost_getpc17939)>>32
	s_setpc_b64 s[14:15]
.LBB2_14417:
	s_movk_i32 s4, 0x80
	v_cmp_eq_u16_e32 vcc, s4, v3
	s_mov_b64 s[4:5], -1
                                        ; implicit-def: $sgpr10
	s_and_saveexec_b64 s[8:9], vcc
; %bb.14418:
	s_mov_b32 s10, 0x7f800001
	s_xor_b64 s[4:5], exec, -1
; %bb.14419:
	s_or_b64 exec, exec, s[8:9]
	s_and_b64 s[4:5], s[4:5], exec
                                        ; implicit-def: $vgpr3
	s_or_saveexec_b64 s[6:7], s[6:7]
	v_mov_b32_e32 v2, s10
	s_xor_b64 exec, exec, s[6:7]
	s_cbranch_execnz .LBB2_14420
; %bb.50257:
	s_getpc_b64 s[14:15]
.Lpost_getpc28712:
	s_add_u32 s14, s14, (.LBB2_82-.Lpost_getpc28712)&4294967295
	s_addc_u32 s15, s15, (.LBB2_82-.Lpost_getpc28712)>>32
	s_setpc_b64 s[14:15]
.LBB2_14420:
	v_cmp_ne_u16_e32 vcc, 0, v3
	s_andn2_b64 s[4:5], s[4:5], exec
	s_and_b64 s[8:9], vcc, exec
	v_mov_b32_e32 v2, 0
	s_or_b64 s[4:5], s[4:5], s[8:9]
	s_or_b64 exec, exec, s[6:7]
	s_and_saveexec_b64 s[6:7], s[4:5]
	s_cbranch_execz .LBB2_28713
; %bb.50259:
	s_getpc_b64 s[14:15]
.Lpost_getpc28713:
	s_add_u32 s14, s14, (.LBB2_83-.Lpost_getpc28713)&4294967295
	s_addc_u32 s15, s15, (.LBB2_83-.Lpost_getpc28713)>>32
	s_setpc_b64 s[14:15]
.LBB2_28713:
	s_getpc_b64 s[14:15]
.Lpost_getpc17940:
	s_add_u32 s14, s14, (.LBB2_84-.Lpost_getpc17940)&4294967295
	s_addc_u32 s15, s15, (.LBB2_84-.Lpost_getpc17940)>>32
	s_setpc_b64 s[14:15]
.LBB2_14421:
	s_movk_i32 s4, 0x80
	v_cmp_eq_u16_e32 vcc, s4, v3
	s_mov_b64 s[4:5], -1
                                        ; implicit-def: $sgpr10
	s_and_saveexec_b64 s[8:9], vcc
; %bb.14422:
	s_mov_b32 s10, 0x7f800001
	s_xor_b64 s[4:5], exec, -1
; %bb.14423:
	s_or_b64 exec, exec, s[8:9]
	s_and_b64 s[4:5], s[4:5], exec
                                        ; implicit-def: $vgpr3
	s_or_saveexec_b64 s[6:7], s[6:7]
	v_mov_b32_e32 v6, s10
	s_xor_b64 exec, exec, s[6:7]
	s_cbranch_execnz .LBB2_14424
; %bb.50261:
	s_getpc_b64 s[14:15]
.Lpost_getpc28714:
	s_add_u32 s14, s14, (.LBB2_86-.Lpost_getpc28714)&4294967295
	s_addc_u32 s15, s15, (.LBB2_86-.Lpost_getpc28714)>>32
	s_setpc_b64 s[14:15]
.LBB2_14424:
	v_cmp_ne_u16_e32 vcc, 0, v3
	s_andn2_b64 s[4:5], s[4:5], exec
	s_and_b64 s[8:9], vcc, exec
	v_mov_b32_e32 v6, 0
	s_or_b64 s[4:5], s[4:5], s[8:9]
	s_or_b64 exec, exec, s[6:7]
	s_and_saveexec_b64 s[6:7], s[4:5]
	s_cbranch_execz .LBB2_28715
; %bb.50263:
	s_getpc_b64 s[14:15]
.Lpost_getpc28715:
	s_add_u32 s14, s14, (.LBB2_87-.Lpost_getpc28715)&4294967295
	s_addc_u32 s15, s15, (.LBB2_87-.Lpost_getpc28715)>>32
	s_setpc_b64 s[14:15]
.LBB2_28715:
	s_getpc_b64 s[14:15]
.Lpost_getpc17941:
	s_add_u32 s14, s14, (.LBB2_88-.Lpost_getpc17941)&4294967295
	s_addc_u32 s15, s15, (.LBB2_88-.Lpost_getpc17941)>>32
	s_setpc_b64 s[14:15]
.LBB2_14425:
	s_movk_i32 s4, 0x80
	v_cmp_eq_u16_sdwa s[12:13], v8, s4 src0_sel:BYTE_3 src1_sel:DWORD
	s_mov_b64 s[4:5], -1
                                        ; implicit-def: $sgpr10
	s_and_saveexec_b64 s[8:9], s[12:13]
; %bb.14426:
	s_mov_b32 s10, 0x7f800001
	s_xor_b64 s[4:5], exec, -1
; %bb.14427:
	s_or_b64 exec, exec, s[8:9]
	s_and_b64 s[4:5], s[4:5], exec
	s_or_saveexec_b64 s[6:7], s[6:7]
	v_mov_b32_e32 v2, s10
	s_xor_b64 exec, exec, s[6:7]
	s_cbranch_execnz .LBB2_14428
; %bb.50265:
	s_getpc_b64 s[14:15]
.Lpost_getpc28716:
	s_add_u32 s14, s14, (.LBB2_90-.Lpost_getpc28716)&4294967295
	s_addc_u32 s15, s15, (.LBB2_90-.Lpost_getpc28716)>>32
	s_setpc_b64 s[14:15]
.LBB2_14428:
	v_mov_b32_e32 v2, 0
	v_cmp_ne_u16_sdwa s[8:9], v8, v2 src0_sel:BYTE_3 src1_sel:DWORD
	s_andn2_b64 s[4:5], s[4:5], exec
	s_and_b64 s[8:9], s[8:9], exec
	s_or_b64 s[4:5], s[4:5], s[8:9]
	s_or_b64 exec, exec, s[6:7]
	s_and_saveexec_b64 s[6:7], s[4:5]
	s_cbranch_execz .LBB2_28717
; %bb.50267:
	s_getpc_b64 s[14:15]
.Lpost_getpc28717:
	s_add_u32 s14, s14, (.LBB2_91-.Lpost_getpc28717)&4294967295
	s_addc_u32 s15, s15, (.LBB2_91-.Lpost_getpc28717)>>32
	s_setpc_b64 s[14:15]
.LBB2_28717:
	s_getpc_b64 s[14:15]
.Lpost_getpc17942:
	s_add_u32 s14, s14, (.LBB2_92-.Lpost_getpc17942)&4294967295
	s_addc_u32 s15, s15, (.LBB2_92-.Lpost_getpc17942)>>32
	s_setpc_b64 s[14:15]
.LBB2_14429:
	s_movk_i32 s4, 0x80
	v_cmp_eq_u16_sdwa s[12:13], v4, s4 src0_sel:BYTE_3 src1_sel:DWORD
	s_mov_b64 s[4:5], -1
                                        ; implicit-def: $sgpr10
	s_and_saveexec_b64 s[8:9], s[12:13]
; %bb.14430:
	s_mov_b32 s10, 0x7f800001
	s_xor_b64 s[4:5], exec, -1
; %bb.14431:
	s_or_b64 exec, exec, s[8:9]
	s_and_b64 s[4:5], s[4:5], exec
	s_or_saveexec_b64 s[6:7], s[6:7]
	v_mov_b32_e32 v3, s10
	s_xor_b64 exec, exec, s[6:7]
	s_cbranch_execnz .LBB2_14432
; %bb.50269:
	s_getpc_b64 s[14:15]
.Lpost_getpc28718:
	s_add_u32 s14, s14, (.LBB2_94-.Lpost_getpc28718)&4294967295
	s_addc_u32 s15, s15, (.LBB2_94-.Lpost_getpc28718)>>32
	s_setpc_b64 s[14:15]
.LBB2_14432:
	v_mov_b32_e32 v3, 0
	v_cmp_ne_u16_sdwa s[8:9], v4, v3 src0_sel:BYTE_3 src1_sel:DWORD
	s_andn2_b64 s[4:5], s[4:5], exec
	s_and_b64 s[8:9], s[8:9], exec
	s_or_b64 s[4:5], s[4:5], s[8:9]
	s_or_b64 exec, exec, s[6:7]
	s_and_saveexec_b64 s[6:7], s[4:5]
	s_cbranch_execz .LBB2_28719
; %bb.50271:
	s_getpc_b64 s[14:15]
.Lpost_getpc28719:
	s_add_u32 s14, s14, (.LBB2_95-.Lpost_getpc28719)&4294967295
	s_addc_u32 s15, s15, (.LBB2_95-.Lpost_getpc28719)>>32
	s_setpc_b64 s[14:15]
.LBB2_28719:
	s_getpc_b64 s[14:15]
.Lpost_getpc17943:
	s_add_u32 s14, s14, (.LBB2_96-.Lpost_getpc17943)&4294967295
	s_addc_u32 s15, s15, (.LBB2_96-.Lpost_getpc17943)>>32
	s_setpc_b64 s[14:15]
.LBB2_14433:
	s_movk_i32 s4, 0x80
	v_cmp_eq_u16_sdwa s[12:13], v9, s4 src0_sel:BYTE_0 src1_sel:DWORD
	s_mov_b64 s[4:5], -1
                                        ; implicit-def: $sgpr10
	s_and_saveexec_b64 s[8:9], s[12:13]
; %bb.14434:
	s_mov_b32 s10, 0x7f800001
	s_xor_b64 s[4:5], exec, -1
; %bb.14435:
	s_or_b64 exec, exec, s[8:9]
	s_and_b64 s[4:5], s[4:5], exec
	s_or_saveexec_b64 s[6:7], s[6:7]
	v_mov_b32_e32 v2, s10
	s_xor_b64 exec, exec, s[6:7]
	s_cbranch_execnz .LBB2_14436
; %bb.50273:
	s_getpc_b64 s[14:15]
.Lpost_getpc28720:
	s_add_u32 s14, s14, (.LBB2_98-.Lpost_getpc28720)&4294967295
	s_addc_u32 s15, s15, (.LBB2_98-.Lpost_getpc28720)>>32
	s_setpc_b64 s[14:15]
.LBB2_14436:
	v_mov_b32_e32 v2, 0
	v_cmp_ne_u16_sdwa s[8:9], v9, v2 src0_sel:BYTE_0 src1_sel:DWORD
	s_andn2_b64 s[4:5], s[4:5], exec
	s_and_b64 s[8:9], s[8:9], exec
	s_or_b64 s[4:5], s[4:5], s[8:9]
	s_or_b64 exec, exec, s[6:7]
	s_and_saveexec_b64 s[6:7], s[4:5]
	s_cbranch_execz .LBB2_28721
; %bb.50275:
	s_getpc_b64 s[14:15]
.Lpost_getpc28721:
	s_add_u32 s14, s14, (.LBB2_99-.Lpost_getpc28721)&4294967295
	s_addc_u32 s15, s15, (.LBB2_99-.Lpost_getpc28721)>>32
	s_setpc_b64 s[14:15]
.LBB2_28721:
	s_getpc_b64 s[14:15]
.Lpost_getpc17944:
	s_add_u32 s14, s14, (.LBB2_100-.Lpost_getpc17944)&4294967295
	s_addc_u32 s15, s15, (.LBB2_100-.Lpost_getpc17944)>>32
	s_setpc_b64 s[14:15]
.LBB2_14437:
	s_movk_i32 s4, 0x80
	v_cmp_eq_u16_sdwa s[12:13], v5, s4 src0_sel:BYTE_0 src1_sel:DWORD
	s_mov_b64 s[4:5], -1
                                        ; implicit-def: $sgpr10
	s_and_saveexec_b64 s[8:9], s[12:13]
; %bb.14438:
	s_mov_b32 s10, 0x7f800001
	s_xor_b64 s[4:5], exec, -1
; %bb.14439:
	s_or_b64 exec, exec, s[8:9]
	s_and_b64 s[4:5], s[4:5], exec
	s_or_saveexec_b64 s[6:7], s[6:7]
	v_mov_b32_e32 v3, s10
	s_xor_b64 exec, exec, s[6:7]
	s_cbranch_execnz .LBB2_14440
; %bb.50277:
	s_getpc_b64 s[14:15]
.Lpost_getpc28722:
	s_add_u32 s14, s14, (.LBB2_102-.Lpost_getpc28722)&4294967295
	s_addc_u32 s15, s15, (.LBB2_102-.Lpost_getpc28722)>>32
	s_setpc_b64 s[14:15]
.LBB2_14440:
	v_mov_b32_e32 v3, 0
	v_cmp_ne_u16_sdwa s[8:9], v5, v3 src0_sel:BYTE_0 src1_sel:DWORD
	s_andn2_b64 s[4:5], s[4:5], exec
	s_and_b64 s[8:9], s[8:9], exec
	s_or_b64 s[4:5], s[4:5], s[8:9]
	s_or_b64 exec, exec, s[6:7]
	s_and_saveexec_b64 s[6:7], s[4:5]
	s_cbranch_execz .LBB2_28723
; %bb.50279:
	s_getpc_b64 s[14:15]
.Lpost_getpc28723:
	s_add_u32 s14, s14, (.LBB2_103-.Lpost_getpc28723)&4294967295
	s_addc_u32 s15, s15, (.LBB2_103-.Lpost_getpc28723)>>32
	s_setpc_b64 s[14:15]
.LBB2_28723:
	s_getpc_b64 s[14:15]
.Lpost_getpc17945:
	s_add_u32 s14, s14, (.LBB2_104-.Lpost_getpc17945)&4294967295
	s_addc_u32 s15, s15, (.LBB2_104-.Lpost_getpc17945)>>32
	s_setpc_b64 s[14:15]
.LBB2_14441:
	s_movk_i32 s4, 0x80
	v_cmp_eq_u16_sdwa s[12:13], v3, s4 src0_sel:BYTE_0 src1_sel:DWORD
	s_mov_b64 s[4:5], -1
                                        ; implicit-def: $sgpr10
	s_and_saveexec_b64 s[8:9], s[12:13]
; %bb.14442:
	s_mov_b32 s10, 0x7f800001
	s_xor_b64 s[4:5], exec, -1
; %bb.14443:
	s_or_b64 exec, exec, s[8:9]
	s_and_b64 s[4:5], s[4:5], exec
	s_or_saveexec_b64 s[6:7], s[6:7]
	v_mov_b32_e32 v2, s10
	s_xor_b64 exec, exec, s[6:7]
	s_cbranch_execnz .LBB2_14444
; %bb.50281:
	s_getpc_b64 s[14:15]
.Lpost_getpc28724:
	s_add_u32 s14, s14, (.LBB2_106-.Lpost_getpc28724)&4294967295
	s_addc_u32 s15, s15, (.LBB2_106-.Lpost_getpc28724)>>32
	s_setpc_b64 s[14:15]
.LBB2_14444:
	v_mov_b32_e32 v2, 0
	v_cmp_ne_u16_sdwa s[8:9], v3, v2 src0_sel:BYTE_0 src1_sel:DWORD
	s_andn2_b64 s[4:5], s[4:5], exec
	s_and_b64 s[8:9], s[8:9], exec
	s_or_b64 s[4:5], s[4:5], s[8:9]
	s_or_b64 exec, exec, s[6:7]
	s_and_saveexec_b64 s[6:7], s[4:5]
	s_cbranch_execz .LBB2_28725
; %bb.50283:
	s_getpc_b64 s[14:15]
.Lpost_getpc28725:
	s_add_u32 s14, s14, (.LBB2_107-.Lpost_getpc28725)&4294967295
	s_addc_u32 s15, s15, (.LBB2_107-.Lpost_getpc28725)>>32
	s_setpc_b64 s[14:15]
.LBB2_28725:
	s_getpc_b64 s[14:15]
.Lpost_getpc17946:
	s_add_u32 s14, s14, (.LBB2_108-.Lpost_getpc17946)&4294967295
	s_addc_u32 s15, s15, (.LBB2_108-.Lpost_getpc17946)>>32
	s_setpc_b64 s[14:15]
.LBB2_14445:
	s_movk_i32 s4, 0x80
	v_cmp_eq_u16_sdwa s[12:13], v3, s4 src0_sel:BYTE_0 src1_sel:DWORD
	s_mov_b64 s[4:5], -1
                                        ; implicit-def: $sgpr10
	s_and_saveexec_b64 s[8:9], s[12:13]
; %bb.14446:
	s_mov_b32 s10, 0x7f800001
	s_xor_b64 s[4:5], exec, -1
; %bb.14447:
	s_or_b64 exec, exec, s[8:9]
	s_and_b64 s[4:5], s[4:5], exec
	s_or_saveexec_b64 s[6:7], s[6:7]
	v_mov_b32_e32 v4, s10
	s_xor_b64 exec, exec, s[6:7]
	s_cbranch_execnz .LBB2_14448
; %bb.50285:
	s_getpc_b64 s[14:15]
.Lpost_getpc28726:
	s_add_u32 s14, s14, (.LBB2_110-.Lpost_getpc28726)&4294967295
	s_addc_u32 s15, s15, (.LBB2_110-.Lpost_getpc28726)>>32
	s_setpc_b64 s[14:15]
.LBB2_14448:
	v_mov_b32_e32 v4, 0
	v_cmp_ne_u16_sdwa s[8:9], v3, v4 src0_sel:BYTE_0 src1_sel:DWORD
	s_andn2_b64 s[4:5], s[4:5], exec
	s_and_b64 s[8:9], s[8:9], exec
	s_or_b64 s[4:5], s[4:5], s[8:9]
	s_or_b64 exec, exec, s[6:7]
	s_and_saveexec_b64 s[6:7], s[4:5]
	s_cbranch_execz .LBB2_28727
; %bb.50287:
	s_getpc_b64 s[14:15]
.Lpost_getpc28727:
	s_add_u32 s14, s14, (.LBB2_111-.Lpost_getpc28727)&4294967295
	s_addc_u32 s15, s15, (.LBB2_111-.Lpost_getpc28727)>>32
	s_setpc_b64 s[14:15]
.LBB2_28727:
	s_getpc_b64 s[14:15]
.Lpost_getpc17947:
	s_add_u32 s14, s14, (.LBB2_112-.Lpost_getpc17947)&4294967295
	s_addc_u32 s15, s15, (.LBB2_112-.Lpost_getpc17947)>>32
	s_setpc_b64 s[14:15]
.LBB2_14449:
	s_movk_i32 s4, 0x80
	v_cmp_eq_u16_e32 vcc, s4, v3
	s_mov_b64 s[4:5], -1
                                        ; implicit-def: $sgpr10
	s_and_saveexec_b64 s[8:9], vcc
; %bb.14450:
	s_mov_b32 s10, 0x7f800001
	s_xor_b64 s[4:5], exec, -1
; %bb.14451:
	s_or_b64 exec, exec, s[8:9]
	s_and_b64 s[4:5], s[4:5], exec
                                        ; implicit-def: $vgpr3
	s_or_saveexec_b64 s[6:7], s[6:7]
	v_mov_b32_e32 v2, s10
	s_xor_b64 exec, exec, s[6:7]
	s_cbranch_execnz .LBB2_14452
; %bb.50289:
	s_getpc_b64 s[14:15]
.Lpost_getpc28728:
	s_add_u32 s14, s14, (.LBB2_114-.Lpost_getpc28728)&4294967295
	s_addc_u32 s15, s15, (.LBB2_114-.Lpost_getpc28728)>>32
	s_setpc_b64 s[14:15]
.LBB2_14452:
	v_cmp_ne_u16_e32 vcc, 0, v3
	s_andn2_b64 s[4:5], s[4:5], exec
	s_and_b64 s[8:9], vcc, exec
	v_mov_b32_e32 v2, 0
	s_or_b64 s[4:5], s[4:5], s[8:9]
	s_or_b64 exec, exec, s[6:7]
	s_and_saveexec_b64 s[6:7], s[4:5]
	s_cbranch_execz .LBB2_28729
; %bb.50291:
	s_getpc_b64 s[14:15]
.Lpost_getpc28729:
	s_add_u32 s14, s14, (.LBB2_115-.Lpost_getpc28729)&4294967295
	s_addc_u32 s15, s15, (.LBB2_115-.Lpost_getpc28729)>>32
	s_setpc_b64 s[14:15]
.LBB2_28729:
	s_getpc_b64 s[14:15]
.Lpost_getpc17948:
	s_add_u32 s14, s14, (.LBB2_116-.Lpost_getpc17948)&4294967295
	s_addc_u32 s15, s15, (.LBB2_116-.Lpost_getpc17948)>>32
	s_setpc_b64 s[14:15]
.LBB2_14453:
	s_movk_i32 s4, 0x80
	v_cmp_eq_u16_e32 vcc, s4, v3
	s_mov_b64 s[4:5], -1
                                        ; implicit-def: $sgpr10
	s_and_saveexec_b64 s[8:9], vcc
; %bb.14454:
	s_mov_b32 s10, 0x7f800001
	s_xor_b64 s[4:5], exec, -1
; %bb.14455:
	s_or_b64 exec, exec, s[8:9]
	s_and_b64 s[4:5], s[4:5], exec
                                        ; implicit-def: $vgpr3
	s_or_saveexec_b64 s[6:7], s[6:7]
	v_mov_b32_e32 v4, s10
	s_xor_b64 exec, exec, s[6:7]
	s_cbranch_execnz .LBB2_14456
; %bb.50293:
	s_getpc_b64 s[14:15]
.Lpost_getpc28730:
	s_add_u32 s14, s14, (.LBB2_118-.Lpost_getpc28730)&4294967295
	s_addc_u32 s15, s15, (.LBB2_118-.Lpost_getpc28730)>>32
	s_setpc_b64 s[14:15]
.LBB2_14456:
	v_cmp_ne_u16_e32 vcc, 0, v3
	s_andn2_b64 s[4:5], s[4:5], exec
	s_and_b64 s[8:9], vcc, exec
	v_mov_b32_e32 v4, 0
	s_or_b64 s[4:5], s[4:5], s[8:9]
	s_or_b64 exec, exec, s[6:7]
	s_and_saveexec_b64 s[6:7], s[4:5]
	s_cbranch_execz .LBB2_28731
; %bb.50295:
	s_getpc_b64 s[14:15]
.Lpost_getpc28731:
	s_add_u32 s14, s14, (.LBB2_119-.Lpost_getpc28731)&4294967295
	s_addc_u32 s15, s15, (.LBB2_119-.Lpost_getpc28731)>>32
	s_setpc_b64 s[14:15]
.LBB2_28731:
	s_getpc_b64 s[14:15]
.Lpost_getpc17949:
	s_add_u32 s14, s14, (.LBB2_120-.Lpost_getpc17949)&4294967295
	s_addc_u32 s15, s15, (.LBB2_120-.Lpost_getpc17949)>>32
	s_setpc_b64 s[14:15]
.LBB2_14457:
	s_movk_i32 s4, 0x80
	v_cmp_eq_u16_sdwa s[12:13], v9, s4 src0_sel:BYTE_3 src1_sel:DWORD
	s_mov_b64 s[4:5], -1
                                        ; implicit-def: $sgpr10
	s_and_saveexec_b64 s[8:9], s[12:13]
; %bb.14458:
	s_mov_b32 s10, 0x7f800001
	s_xor_b64 s[4:5], exec, -1
; %bb.14459:
	s_or_b64 exec, exec, s[8:9]
	s_and_b64 s[4:5], s[4:5], exec
	s_or_saveexec_b64 s[6:7], s[6:7]
	v_mov_b32_e32 v2, s10
	s_xor_b64 exec, exec, s[6:7]
	s_cbranch_execnz .LBB2_14460
; %bb.50297:
	s_getpc_b64 s[14:15]
.Lpost_getpc28732:
	s_add_u32 s14, s14, (.LBB2_122-.Lpost_getpc28732)&4294967295
	s_addc_u32 s15, s15, (.LBB2_122-.Lpost_getpc28732)>>32
	s_setpc_b64 s[14:15]
.LBB2_14460:
	v_mov_b32_e32 v2, 0
	v_cmp_ne_u16_sdwa s[8:9], v9, v2 src0_sel:BYTE_3 src1_sel:DWORD
	s_andn2_b64 s[4:5], s[4:5], exec
	s_and_b64 s[8:9], s[8:9], exec
	s_or_b64 s[4:5], s[4:5], s[8:9]
	s_or_b64 exec, exec, s[6:7]
	s_and_saveexec_b64 s[6:7], s[4:5]
	s_cbranch_execz .LBB2_28733
; %bb.50299:
	s_getpc_b64 s[14:15]
.Lpost_getpc28733:
	s_add_u32 s14, s14, (.LBB2_123-.Lpost_getpc28733)&4294967295
	s_addc_u32 s15, s15, (.LBB2_123-.Lpost_getpc28733)>>32
	s_setpc_b64 s[14:15]
.LBB2_28733:
	s_getpc_b64 s[14:15]
.Lpost_getpc17950:
	s_add_u32 s14, s14, (.LBB2_124-.Lpost_getpc17950)&4294967295
	s_addc_u32 s15, s15, (.LBB2_124-.Lpost_getpc17950)>>32
	s_setpc_b64 s[14:15]
.LBB2_14461:
	s_movk_i32 s4, 0x80
	v_cmp_eq_u16_sdwa s[12:13], v5, s4 src0_sel:BYTE_3 src1_sel:DWORD
	s_mov_b64 s[4:5], -1
                                        ; implicit-def: $sgpr10
	s_and_saveexec_b64 s[8:9], s[12:13]
; %bb.14462:
	s_mov_b32 s10, 0x7f800001
	s_xor_b64 s[4:5], exec, -1
; %bb.14463:
	s_or_b64 exec, exec, s[8:9]
	s_and_b64 s[4:5], s[4:5], exec
	s_or_saveexec_b64 s[6:7], s[6:7]
	v_mov_b32_e32 v3, s10
	s_xor_b64 exec, exec, s[6:7]
	s_cbranch_execnz .LBB2_14464
; %bb.50301:
	s_getpc_b64 s[14:15]
.Lpost_getpc28734:
	s_add_u32 s14, s14, (.LBB2_126-.Lpost_getpc28734)&4294967295
	s_addc_u32 s15, s15, (.LBB2_126-.Lpost_getpc28734)>>32
	s_setpc_b64 s[14:15]
.LBB2_14464:
	v_mov_b32_e32 v3, 0
	v_cmp_ne_u16_sdwa s[8:9], v5, v3 src0_sel:BYTE_3 src1_sel:DWORD
	s_andn2_b64 s[4:5], s[4:5], exec
	s_and_b64 s[8:9], s[8:9], exec
	s_or_b64 s[4:5], s[4:5], s[8:9]
	s_or_b64 exec, exec, s[6:7]
	s_and_saveexec_b64 s[6:7], s[4:5]
	s_cbranch_execz .LBB2_28735
; %bb.50303:
	s_getpc_b64 s[14:15]
.Lpost_getpc28735:
	s_add_u32 s14, s14, (.LBB2_127-.Lpost_getpc28735)&4294967295
	s_addc_u32 s15, s15, (.LBB2_127-.Lpost_getpc28735)>>32
	s_setpc_b64 s[14:15]
.LBB2_28735:
	s_getpc_b64 s[14:15]
.Lpost_getpc17951:
	s_add_u32 s14, s14, (.LBB2_128-.Lpost_getpc17951)&4294967295
	s_addc_u32 s15, s15, (.LBB2_128-.Lpost_getpc17951)>>32
	s_setpc_b64 s[14:15]
.LBB2_14465:
	s_movk_i32 s4, 0x80
	v_cmp_eq_u16_sdwa s[12:13], v6, s4 src0_sel:BYTE_0 src1_sel:DWORD
	s_mov_b64 s[4:5], -1
                                        ; implicit-def: $sgpr10
	s_and_saveexec_b64 s[8:9], s[12:13]
; %bb.14466:
	s_mov_b32 s10, 0x7f800001
	s_xor_b64 s[4:5], exec, -1
; %bb.14467:
	s_or_b64 exec, exec, s[8:9]
	s_and_b64 s[4:5], s[4:5], exec
	s_or_saveexec_b64 s[6:7], s[6:7]
	v_mov_b32_e32 v12, s10
	s_xor_b64 exec, exec, s[6:7]
	s_cbranch_execnz .LBB2_14468
; %bb.50305:
	s_getpc_b64 s[14:15]
.Lpost_getpc28736:
	s_add_u32 s14, s14, (.LBB2_130-.Lpost_getpc28736)&4294967295
	s_addc_u32 s15, s15, (.LBB2_130-.Lpost_getpc28736)>>32
	s_setpc_b64 s[14:15]
.LBB2_14468:
	v_mov_b32_e32 v12, 0
	v_cmp_ne_u16_sdwa s[8:9], v6, v12 src0_sel:BYTE_0 src1_sel:DWORD
	s_andn2_b64 s[4:5], s[4:5], exec
	s_and_b64 s[8:9], s[8:9], exec
	s_or_b64 s[4:5], s[4:5], s[8:9]
	s_or_b64 exec, exec, s[6:7]
	s_and_saveexec_b64 s[6:7], s[4:5]
	s_cbranch_execz .LBB2_28737
; %bb.50307:
	s_getpc_b64 s[14:15]
.Lpost_getpc28737:
	s_add_u32 s14, s14, (.LBB2_131-.Lpost_getpc28737)&4294967295
	s_addc_u32 s15, s15, (.LBB2_131-.Lpost_getpc28737)>>32
	s_setpc_b64 s[14:15]
.LBB2_28737:
	s_getpc_b64 s[14:15]
.Lpost_getpc17952:
	s_add_u32 s14, s14, (.LBB2_132-.Lpost_getpc17952)&4294967295
	s_addc_u32 s15, s15, (.LBB2_132-.Lpost_getpc17952)>>32
	s_setpc_b64 s[14:15]
.LBB2_14469:
	s_movk_i32 s4, 0x80
	v_cmp_eq_u16_sdwa s[12:13], v2, s4 src0_sel:BYTE_0 src1_sel:DWORD
	s_mov_b64 s[4:5], -1
                                        ; implicit-def: $sgpr10
	s_and_saveexec_b64 s[8:9], s[12:13]
; %bb.14470:
	s_mov_b32 s10, 0x7f800001
	s_xor_b64 s[4:5], exec, -1
; %bb.14471:
	s_or_b64 exec, exec, s[8:9]
	s_and_b64 s[4:5], s[4:5], exec
	s_or_saveexec_b64 s[6:7], s[6:7]
	v_mov_b32_e32 v13, s10
	s_xor_b64 exec, exec, s[6:7]
	s_cbranch_execnz .LBB2_14472
; %bb.50309:
	s_getpc_b64 s[14:15]
.Lpost_getpc28738:
	s_add_u32 s14, s14, (.LBB2_134-.Lpost_getpc28738)&4294967295
	s_addc_u32 s15, s15, (.LBB2_134-.Lpost_getpc28738)>>32
	s_setpc_b64 s[14:15]
.LBB2_14472:
	v_mov_b32_e32 v13, 0
	v_cmp_ne_u16_sdwa s[8:9], v2, v13 src0_sel:BYTE_0 src1_sel:DWORD
	s_andn2_b64 s[4:5], s[4:5], exec
	s_and_b64 s[8:9], s[8:9], exec
	s_or_b64 s[4:5], s[4:5], s[8:9]
	s_or_b64 exec, exec, s[6:7]
	s_and_saveexec_b64 s[6:7], s[4:5]
	s_cbranch_execz .LBB2_28739
; %bb.50311:
	s_getpc_b64 s[14:15]
.Lpost_getpc28739:
	s_add_u32 s14, s14, (.LBB2_135-.Lpost_getpc28739)&4294967295
	s_addc_u32 s15, s15, (.LBB2_135-.Lpost_getpc28739)>>32
	s_setpc_b64 s[14:15]
.LBB2_28739:
	s_getpc_b64 s[14:15]
.Lpost_getpc17953:
	s_add_u32 s14, s14, (.LBB2_136-.Lpost_getpc17953)&4294967295
	s_addc_u32 s15, s15, (.LBB2_136-.Lpost_getpc17953)>>32
	s_setpc_b64 s[14:15]
.LBB2_14473:
	s_movk_i32 s4, 0x80
	v_cmp_eq_u16_sdwa s[12:13], v13, s4 src0_sel:BYTE_0 src1_sel:DWORD
	s_mov_b64 s[4:5], -1
                                        ; implicit-def: $sgpr10
	s_and_saveexec_b64 s[8:9], s[12:13]
; %bb.14474:
	s_mov_b32 s10, 0x7f800001
	s_xor_b64 s[4:5], exec, -1
; %bb.14475:
	s_or_b64 exec, exec, s[8:9]
	s_and_b64 s[4:5], s[4:5], exec
	s_or_saveexec_b64 s[6:7], s[6:7]
	v_mov_b32_e32 v12, s10
	s_xor_b64 exec, exec, s[6:7]
	s_cbranch_execnz .LBB2_14476
; %bb.50313:
	s_getpc_b64 s[14:15]
.Lpost_getpc28740:
	s_add_u32 s14, s14, (.LBB2_138-.Lpost_getpc28740)&4294967295
	s_addc_u32 s15, s15, (.LBB2_138-.Lpost_getpc28740)>>32
	s_setpc_b64 s[14:15]
.LBB2_14476:
	v_mov_b32_e32 v12, 0
	v_cmp_ne_u16_sdwa s[8:9], v13, v12 src0_sel:BYTE_0 src1_sel:DWORD
	s_andn2_b64 s[4:5], s[4:5], exec
	s_and_b64 s[8:9], s[8:9], exec
	s_or_b64 s[4:5], s[4:5], s[8:9]
	s_or_b64 exec, exec, s[6:7]
	s_and_saveexec_b64 s[6:7], s[4:5]
	s_cbranch_execz .LBB2_28741
; %bb.50315:
	s_getpc_b64 s[14:15]
.Lpost_getpc28741:
	s_add_u32 s14, s14, (.LBB2_139-.Lpost_getpc28741)&4294967295
	s_addc_u32 s15, s15, (.LBB2_139-.Lpost_getpc28741)>>32
	s_setpc_b64 s[14:15]
.LBB2_28741:
	s_getpc_b64 s[14:15]
.Lpost_getpc17954:
	s_add_u32 s14, s14, (.LBB2_140-.Lpost_getpc17954)&4294967295
	s_addc_u32 s15, s15, (.LBB2_140-.Lpost_getpc17954)>>32
	s_setpc_b64 s[14:15]
.LBB2_14477:
	s_movk_i32 s4, 0x80
	v_cmp_eq_u16_sdwa s[12:13], v13, s4 src0_sel:BYTE_0 src1_sel:DWORD
	s_mov_b64 s[4:5], -1
                                        ; implicit-def: $sgpr10
	s_and_saveexec_b64 s[8:9], s[12:13]
; %bb.14478:
	s_mov_b32 s10, 0x7f800001
	s_xor_b64 s[4:5], exec, -1
; %bb.14479:
	s_or_b64 exec, exec, s[8:9]
	s_and_b64 s[4:5], s[4:5], exec
	s_or_saveexec_b64 s[6:7], s[6:7]
	v_mov_b32_e32 v14, s10
	s_xor_b64 exec, exec, s[6:7]
	s_cbranch_execnz .LBB2_14480
; %bb.50317:
	s_getpc_b64 s[14:15]
.Lpost_getpc28742:
	s_add_u32 s14, s14, (.LBB2_142-.Lpost_getpc28742)&4294967295
	s_addc_u32 s15, s15, (.LBB2_142-.Lpost_getpc28742)>>32
	s_setpc_b64 s[14:15]
.LBB2_14480:
	v_mov_b32_e32 v14, 0
	v_cmp_ne_u16_sdwa s[8:9], v13, v14 src0_sel:BYTE_0 src1_sel:DWORD
	s_andn2_b64 s[4:5], s[4:5], exec
	s_and_b64 s[8:9], s[8:9], exec
	s_or_b64 s[4:5], s[4:5], s[8:9]
	s_or_b64 exec, exec, s[6:7]
	s_and_saveexec_b64 s[6:7], s[4:5]
	s_cbranch_execz .LBB2_28743
; %bb.50319:
	s_getpc_b64 s[14:15]
.Lpost_getpc28743:
	s_add_u32 s14, s14, (.LBB2_143-.Lpost_getpc28743)&4294967295
	s_addc_u32 s15, s15, (.LBB2_143-.Lpost_getpc28743)>>32
	s_setpc_b64 s[14:15]
.LBB2_28743:
	s_getpc_b64 s[14:15]
.Lpost_getpc17955:
	s_add_u32 s14, s14, (.LBB2_144-.Lpost_getpc17955)&4294967295
	s_addc_u32 s15, s15, (.LBB2_144-.Lpost_getpc17955)>>32
	s_setpc_b64 s[14:15]
.LBB2_14481:
	s_movk_i32 s4, 0x80
	v_cmp_eq_u16_e32 vcc, s4, v13
	s_mov_b64 s[4:5], -1
                                        ; implicit-def: $sgpr10
	s_and_saveexec_b64 s[8:9], vcc
; %bb.14482:
	s_mov_b32 s10, 0x7f800001
	s_xor_b64 s[4:5], exec, -1
; %bb.14483:
	s_or_b64 exec, exec, s[8:9]
	s_and_b64 s[4:5], s[4:5], exec
                                        ; implicit-def: $vgpr13
	s_or_saveexec_b64 s[6:7], s[6:7]
	v_mov_b32_e32 v12, s10
	s_xor_b64 exec, exec, s[6:7]
	s_cbranch_execnz .LBB2_14484
; %bb.50321:
	s_getpc_b64 s[14:15]
.Lpost_getpc28744:
	s_add_u32 s14, s14, (.LBB2_146-.Lpost_getpc28744)&4294967295
	s_addc_u32 s15, s15, (.LBB2_146-.Lpost_getpc28744)>>32
	s_setpc_b64 s[14:15]
.LBB2_14484:
	v_cmp_ne_u16_e32 vcc, 0, v13
	s_andn2_b64 s[4:5], s[4:5], exec
	s_and_b64 s[8:9], vcc, exec
	v_mov_b32_e32 v12, 0
	s_or_b64 s[4:5], s[4:5], s[8:9]
	s_or_b64 exec, exec, s[6:7]
	s_and_saveexec_b64 s[6:7], s[4:5]
	s_cbranch_execz .LBB2_28745
; %bb.50323:
	s_getpc_b64 s[14:15]
.Lpost_getpc28745:
	s_add_u32 s14, s14, (.LBB2_147-.Lpost_getpc28745)&4294967295
	s_addc_u32 s15, s15, (.LBB2_147-.Lpost_getpc28745)>>32
	s_setpc_b64 s[14:15]
.LBB2_28745:
	s_getpc_b64 s[14:15]
.Lpost_getpc17956:
	s_add_u32 s14, s14, (.LBB2_148-.Lpost_getpc17956)&4294967295
	s_addc_u32 s15, s15, (.LBB2_148-.Lpost_getpc17956)>>32
	s_setpc_b64 s[14:15]
.LBB2_14485:
	s_movk_i32 s4, 0x80
	v_cmp_eq_u16_e32 vcc, s4, v13
	s_mov_b64 s[4:5], -1
                                        ; implicit-def: $sgpr10
	s_and_saveexec_b64 s[8:9], vcc
; %bb.14486:
	s_mov_b32 s10, 0x7f800001
	s_xor_b64 s[4:5], exec, -1
; %bb.14487:
	s_or_b64 exec, exec, s[8:9]
	s_and_b64 s[4:5], s[4:5], exec
                                        ; implicit-def: $vgpr13
	s_or_saveexec_b64 s[6:7], s[6:7]
	v_mov_b32_e32 v14, s10
	s_xor_b64 exec, exec, s[6:7]
	s_cbranch_execnz .LBB2_14488
; %bb.50325:
	s_getpc_b64 s[14:15]
.Lpost_getpc28746:
	s_add_u32 s14, s14, (.LBB2_150-.Lpost_getpc28746)&4294967295
	s_addc_u32 s15, s15, (.LBB2_150-.Lpost_getpc28746)>>32
	s_setpc_b64 s[14:15]
.LBB2_14488:
	v_cmp_ne_u16_e32 vcc, 0, v13
	s_andn2_b64 s[4:5], s[4:5], exec
	s_and_b64 s[8:9], vcc, exec
	v_mov_b32_e32 v14, 0
	s_or_b64 s[4:5], s[4:5], s[8:9]
	s_or_b64 exec, exec, s[6:7]
	s_and_saveexec_b64 s[6:7], s[4:5]
	s_cbranch_execz .LBB2_28747
; %bb.50327:
	s_getpc_b64 s[14:15]
.Lpost_getpc28747:
	s_add_u32 s14, s14, (.LBB2_151-.Lpost_getpc28747)&4294967295
	s_addc_u32 s15, s15, (.LBB2_151-.Lpost_getpc28747)>>32
	s_setpc_b64 s[14:15]
.LBB2_28747:
	s_getpc_b64 s[14:15]
.Lpost_getpc17957:
	s_add_u32 s14, s14, (.LBB2_152-.Lpost_getpc17957)&4294967295
	s_addc_u32 s15, s15, (.LBB2_152-.Lpost_getpc17957)>>32
	s_setpc_b64 s[14:15]
.LBB2_14489:
	s_movk_i32 s4, 0x80
	v_cmp_eq_u16_sdwa s[12:13], v6, s4 src0_sel:BYTE_3 src1_sel:DWORD
	s_mov_b64 s[4:5], -1
                                        ; implicit-def: $sgpr10
	s_and_saveexec_b64 s[8:9], s[12:13]
; %bb.14490:
	s_mov_b32 s10, 0x7f800001
	s_xor_b64 s[4:5], exec, -1
; %bb.14491:
	s_or_b64 exec, exec, s[8:9]
	s_and_b64 s[4:5], s[4:5], exec
	s_or_saveexec_b64 s[6:7], s[6:7]
	v_mov_b32_e32 v12, s10
	s_xor_b64 exec, exec, s[6:7]
	s_cbranch_execnz .LBB2_14492
; %bb.50329:
	s_getpc_b64 s[14:15]
.Lpost_getpc28748:
	s_add_u32 s14, s14, (.LBB2_154-.Lpost_getpc28748)&4294967295
	s_addc_u32 s15, s15, (.LBB2_154-.Lpost_getpc28748)>>32
	s_setpc_b64 s[14:15]
.LBB2_14492:
	v_mov_b32_e32 v12, 0
	v_cmp_ne_u16_sdwa s[8:9], v6, v12 src0_sel:BYTE_3 src1_sel:DWORD
	s_andn2_b64 s[4:5], s[4:5], exec
	s_and_b64 s[8:9], s[8:9], exec
	s_or_b64 s[4:5], s[4:5], s[8:9]
	s_or_b64 exec, exec, s[6:7]
	s_and_saveexec_b64 s[6:7], s[4:5]
	s_cbranch_execz .LBB2_28749
; %bb.50331:
	s_getpc_b64 s[14:15]
.Lpost_getpc28749:
	s_add_u32 s14, s14, (.LBB2_155-.Lpost_getpc28749)&4294967295
	s_addc_u32 s15, s15, (.LBB2_155-.Lpost_getpc28749)>>32
	s_setpc_b64 s[14:15]
.LBB2_28749:
	s_getpc_b64 s[14:15]
.Lpost_getpc17958:
	s_add_u32 s14, s14, (.LBB2_156-.Lpost_getpc17958)&4294967295
	s_addc_u32 s15, s15, (.LBB2_156-.Lpost_getpc17958)>>32
	s_setpc_b64 s[14:15]
.LBB2_14493:
	s_movk_i32 s4, 0x80
	v_cmp_eq_u16_sdwa s[12:13], v2, s4 src0_sel:BYTE_3 src1_sel:DWORD
	s_mov_b64 s[4:5], -1
                                        ; implicit-def: $sgpr10
	s_and_saveexec_b64 s[8:9], s[12:13]
; %bb.14494:
	s_mov_b32 s10, 0x7f800001
	s_xor_b64 s[4:5], exec, -1
; %bb.14495:
	s_or_b64 exec, exec, s[8:9]
	s_and_b64 s[4:5], s[4:5], exec
	s_or_saveexec_b64 s[6:7], s[6:7]
	v_mov_b32_e32 v6, s10
	s_xor_b64 exec, exec, s[6:7]
	s_cbranch_execnz .LBB2_14496
; %bb.50333:
	s_getpc_b64 s[14:15]
.Lpost_getpc28750:
	s_add_u32 s14, s14, (.LBB2_158-.Lpost_getpc28750)&4294967295
	s_addc_u32 s15, s15, (.LBB2_158-.Lpost_getpc28750)>>32
	s_setpc_b64 s[14:15]
.LBB2_14496:
	v_mov_b32_e32 v6, 0
	v_cmp_ne_u16_sdwa s[8:9], v2, v6 src0_sel:BYTE_3 src1_sel:DWORD
	s_andn2_b64 s[4:5], s[4:5], exec
	s_and_b64 s[8:9], s[8:9], exec
	s_or_b64 s[4:5], s[4:5], s[8:9]
	s_or_b64 exec, exec, s[6:7]
	s_and_saveexec_b64 s[6:7], s[4:5]
	s_cbranch_execz .LBB2_28751
; %bb.50335:
	s_getpc_b64 s[14:15]
.Lpost_getpc28751:
	s_add_u32 s14, s14, (.LBB2_159-.Lpost_getpc28751)&4294967295
	s_addc_u32 s15, s15, (.LBB2_159-.Lpost_getpc28751)>>32
	s_setpc_b64 s[14:15]
.LBB2_28751:
	s_getpc_b64 s[14:15]
.Lpost_getpc17959:
	s_add_u32 s14, s14, (.LBB2_160-.Lpost_getpc17959)&4294967295
	s_addc_u32 s15, s15, (.LBB2_160-.Lpost_getpc17959)>>32
	s_setpc_b64 s[14:15]
.LBB2_14497:
	s_movk_i32 s4, 0x80
	v_cmp_eq_u16_sdwa s[12:13], v7, s4 src0_sel:BYTE_0 src1_sel:DWORD
	s_mov_b64 s[4:5], -1
                                        ; implicit-def: $sgpr10
	s_and_saveexec_b64 s[8:9], s[12:13]
; %bb.14498:
	s_mov_b32 s10, 0x7f800001
	s_xor_b64 s[4:5], exec, -1
; %bb.14499:
	s_or_b64 exec, exec, s[8:9]
	s_and_b64 s[4:5], s[4:5], exec
	s_or_saveexec_b64 s[6:7], s[6:7]
	v_mov_b32_e32 v2, s10
	s_xor_b64 exec, exec, s[6:7]
	s_cbranch_execnz .LBB2_14500
; %bb.50337:
	s_getpc_b64 s[14:15]
.Lpost_getpc28752:
	s_add_u32 s14, s14, (.LBB2_162-.Lpost_getpc28752)&4294967295
	s_addc_u32 s15, s15, (.LBB2_162-.Lpost_getpc28752)>>32
	s_setpc_b64 s[14:15]
.LBB2_14500:
	v_mov_b32_e32 v2, 0
	v_cmp_ne_u16_sdwa s[8:9], v7, v2 src0_sel:BYTE_0 src1_sel:DWORD
	s_andn2_b64 s[4:5], s[4:5], exec
	s_and_b64 s[8:9], s[8:9], exec
	s_or_b64 s[4:5], s[4:5], s[8:9]
	s_or_b64 exec, exec, s[6:7]
	s_and_saveexec_b64 s[6:7], s[4:5]
	s_cbranch_execz .LBB2_28753
; %bb.50339:
	s_getpc_b64 s[14:15]
.Lpost_getpc28753:
	s_add_u32 s14, s14, (.LBB2_163-.Lpost_getpc28753)&4294967295
	s_addc_u32 s15, s15, (.LBB2_163-.Lpost_getpc28753)>>32
	s_setpc_b64 s[14:15]
.LBB2_28753:
	s_getpc_b64 s[14:15]
.Lpost_getpc17960:
	s_add_u32 s14, s14, (.LBB2_164-.Lpost_getpc17960)&4294967295
	s_addc_u32 s15, s15, (.LBB2_164-.Lpost_getpc17960)>>32
	s_setpc_b64 s[14:15]
.LBB2_14501:
	s_movk_i32 s4, 0x80
	v_cmp_eq_u16_sdwa s[12:13], v3, s4 src0_sel:BYTE_0 src1_sel:DWORD
	s_mov_b64 s[4:5], -1
                                        ; implicit-def: $sgpr10
	s_and_saveexec_b64 s[8:9], s[12:13]
; %bb.14502:
	s_mov_b32 s10, 0x7f800001
	s_xor_b64 s[4:5], exec, -1
; %bb.14503:
	s_or_b64 exec, exec, s[8:9]
	s_and_b64 s[4:5], s[4:5], exec
	s_or_saveexec_b64 s[6:7], s[6:7]
	v_mov_b32_e32 v6, s10
	s_xor_b64 exec, exec, s[6:7]
	s_cbranch_execnz .LBB2_14504
; %bb.50341:
	s_getpc_b64 s[14:15]
.Lpost_getpc28754:
	s_add_u32 s14, s14, (.LBB2_166-.Lpost_getpc28754)&4294967295
	s_addc_u32 s15, s15, (.LBB2_166-.Lpost_getpc28754)>>32
	s_setpc_b64 s[14:15]
.LBB2_14504:
	v_mov_b32_e32 v6, 0
	v_cmp_ne_u16_sdwa s[8:9], v3, v6 src0_sel:BYTE_0 src1_sel:DWORD
	s_andn2_b64 s[4:5], s[4:5], exec
	s_and_b64 s[8:9], s[8:9], exec
	s_or_b64 s[4:5], s[4:5], s[8:9]
	s_or_b64 exec, exec, s[6:7]
	s_and_saveexec_b64 s[6:7], s[4:5]
	s_cbranch_execz .LBB2_28755
; %bb.50343:
	s_getpc_b64 s[14:15]
.Lpost_getpc28755:
	s_add_u32 s14, s14, (.LBB2_167-.Lpost_getpc28755)&4294967295
	s_addc_u32 s15, s15, (.LBB2_167-.Lpost_getpc28755)>>32
	s_setpc_b64 s[14:15]
.LBB2_28755:
	s_getpc_b64 s[14:15]
.Lpost_getpc17961:
	s_add_u32 s14, s14, (.LBB2_168-.Lpost_getpc17961)&4294967295
	s_addc_u32 s15, s15, (.LBB2_168-.Lpost_getpc17961)>>32
	s_setpc_b64 s[14:15]
.LBB2_14505:
	s_movk_i32 s4, 0x80
	v_cmp_eq_u16_sdwa s[12:13], v6, s4 src0_sel:BYTE_0 src1_sel:DWORD
	s_mov_b64 s[4:5], -1
                                        ; implicit-def: $sgpr10
	s_and_saveexec_b64 s[8:9], s[12:13]
; %bb.14506:
	s_mov_b32 s10, 0x7f800001
	s_xor_b64 s[4:5], exec, -1
; %bb.14507:
	s_or_b64 exec, exec, s[8:9]
	s_and_b64 s[4:5], s[4:5], exec
	s_or_saveexec_b64 s[6:7], s[6:7]
	v_mov_b32_e32 v2, s10
	s_xor_b64 exec, exec, s[6:7]
	s_cbranch_execnz .LBB2_14508
; %bb.50345:
	s_getpc_b64 s[14:15]
.Lpost_getpc28756:
	s_add_u32 s14, s14, (.LBB2_170-.Lpost_getpc28756)&4294967295
	s_addc_u32 s15, s15, (.LBB2_170-.Lpost_getpc28756)>>32
	s_setpc_b64 s[14:15]
.LBB2_14508:
	v_mov_b32_e32 v2, 0
	v_cmp_ne_u16_sdwa s[8:9], v6, v2 src0_sel:BYTE_0 src1_sel:DWORD
	s_andn2_b64 s[4:5], s[4:5], exec
	s_and_b64 s[8:9], s[8:9], exec
	s_or_b64 s[4:5], s[4:5], s[8:9]
	s_or_b64 exec, exec, s[6:7]
	s_and_saveexec_b64 s[6:7], s[4:5]
	s_cbranch_execz .LBB2_28757
; %bb.50347:
	s_getpc_b64 s[14:15]
.Lpost_getpc28757:
	s_add_u32 s14, s14, (.LBB2_171-.Lpost_getpc28757)&4294967295
	s_addc_u32 s15, s15, (.LBB2_171-.Lpost_getpc28757)>>32
	s_setpc_b64 s[14:15]
.LBB2_28757:
	s_getpc_b64 s[14:15]
.Lpost_getpc17962:
	s_add_u32 s14, s14, (.LBB2_172-.Lpost_getpc17962)&4294967295
	s_addc_u32 s15, s15, (.LBB2_172-.Lpost_getpc17962)>>32
	s_setpc_b64 s[14:15]
.LBB2_14509:
	s_movk_i32 s4, 0x80
	v_cmp_eq_u16_sdwa s[12:13], v6, s4 src0_sel:BYTE_0 src1_sel:DWORD
	s_mov_b64 s[4:5], -1
                                        ; implicit-def: $sgpr10
	s_and_saveexec_b64 s[8:9], s[12:13]
; %bb.14510:
	s_mov_b32 s10, 0x7f800001
	s_xor_b64 s[4:5], exec, -1
; %bb.14511:
	s_or_b64 exec, exec, s[8:9]
	s_and_b64 s[4:5], s[4:5], exec
	s_or_saveexec_b64 s[6:7], s[6:7]
	v_mov_b32_e32 v12, s10
	s_xor_b64 exec, exec, s[6:7]
	s_cbranch_execnz .LBB2_14512
; %bb.50349:
	s_getpc_b64 s[14:15]
.Lpost_getpc28758:
	s_add_u32 s14, s14, (.LBB2_174-.Lpost_getpc28758)&4294967295
	s_addc_u32 s15, s15, (.LBB2_174-.Lpost_getpc28758)>>32
	s_setpc_b64 s[14:15]
.LBB2_14512:
	v_mov_b32_e32 v12, 0
	v_cmp_ne_u16_sdwa s[8:9], v6, v12 src0_sel:BYTE_0 src1_sel:DWORD
	s_andn2_b64 s[4:5], s[4:5], exec
	s_and_b64 s[8:9], s[8:9], exec
	s_or_b64 s[4:5], s[4:5], s[8:9]
	s_or_b64 exec, exec, s[6:7]
	s_and_saveexec_b64 s[6:7], s[4:5]
	s_cbranch_execz .LBB2_28759
; %bb.50351:
	s_getpc_b64 s[14:15]
.Lpost_getpc28759:
	s_add_u32 s14, s14, (.LBB2_175-.Lpost_getpc28759)&4294967295
	s_addc_u32 s15, s15, (.LBB2_175-.Lpost_getpc28759)>>32
	s_setpc_b64 s[14:15]
.LBB2_28759:
	s_getpc_b64 s[14:15]
.Lpost_getpc17963:
	s_add_u32 s14, s14, (.LBB2_176-.Lpost_getpc17963)&4294967295
	s_addc_u32 s15, s15, (.LBB2_176-.Lpost_getpc17963)>>32
	s_setpc_b64 s[14:15]
.LBB2_14513:
	s_movk_i32 s4, 0x80
	v_cmp_eq_u16_e32 vcc, s4, v6
	s_mov_b64 s[4:5], -1
                                        ; implicit-def: $sgpr10
	s_and_saveexec_b64 s[8:9], vcc
; %bb.14514:
	s_mov_b32 s10, 0x7f800001
	s_xor_b64 s[4:5], exec, -1
; %bb.14515:
	s_or_b64 exec, exec, s[8:9]
	s_and_b64 s[4:5], s[4:5], exec
                                        ; implicit-def: $vgpr6
	s_or_saveexec_b64 s[6:7], s[6:7]
	v_mov_b32_e32 v2, s10
	s_xor_b64 exec, exec, s[6:7]
	s_cbranch_execnz .LBB2_14516
; %bb.50353:
	s_getpc_b64 s[14:15]
.Lpost_getpc28760:
	s_add_u32 s14, s14, (.LBB2_178-.Lpost_getpc28760)&4294967295
	s_addc_u32 s15, s15, (.LBB2_178-.Lpost_getpc28760)>>32
	s_setpc_b64 s[14:15]
.LBB2_14516:
	v_cmp_ne_u16_e32 vcc, 0, v6
	s_andn2_b64 s[4:5], s[4:5], exec
	s_and_b64 s[8:9], vcc, exec
	v_mov_b32_e32 v2, 0
	s_or_b64 s[4:5], s[4:5], s[8:9]
	s_or_b64 exec, exec, s[6:7]
	s_and_saveexec_b64 s[6:7], s[4:5]
	s_cbranch_execz .LBB2_28761
; %bb.50355:
	s_getpc_b64 s[14:15]
.Lpost_getpc28761:
	s_add_u32 s14, s14, (.LBB2_179-.Lpost_getpc28761)&4294967295
	s_addc_u32 s15, s15, (.LBB2_179-.Lpost_getpc28761)>>32
	s_setpc_b64 s[14:15]
.LBB2_28761:
	s_getpc_b64 s[14:15]
.Lpost_getpc17964:
	s_add_u32 s14, s14, (.LBB2_180-.Lpost_getpc17964)&4294967295
	s_addc_u32 s15, s15, (.LBB2_180-.Lpost_getpc17964)>>32
	s_setpc_b64 s[14:15]
.LBB2_14517:
	s_movk_i32 s4, 0x80
	v_cmp_eq_u16_e32 vcc, s4, v6
	s_mov_b64 s[4:5], -1
                                        ; implicit-def: $sgpr10
	s_and_saveexec_b64 s[8:9], vcc
; %bb.14518:
	s_mov_b32 s10, 0x7f800001
	s_xor_b64 s[4:5], exec, -1
; %bb.14519:
	s_or_b64 exec, exec, s[8:9]
	s_and_b64 s[4:5], s[4:5], exec
                                        ; implicit-def: $vgpr6
	s_or_saveexec_b64 s[6:7], s[6:7]
	v_mov_b32_e32 v12, s10
	s_xor_b64 exec, exec, s[6:7]
	s_cbranch_execnz .LBB2_14520
; %bb.50357:
	s_getpc_b64 s[14:15]
.Lpost_getpc28762:
	s_add_u32 s14, s14, (.LBB2_182-.Lpost_getpc28762)&4294967295
	s_addc_u32 s15, s15, (.LBB2_182-.Lpost_getpc28762)>>32
	s_setpc_b64 s[14:15]
.LBB2_14520:
	v_cmp_ne_u16_e32 vcc, 0, v6
	s_andn2_b64 s[4:5], s[4:5], exec
	s_and_b64 s[8:9], vcc, exec
	v_mov_b32_e32 v12, 0
	s_or_b64 s[4:5], s[4:5], s[8:9]
	s_or_b64 exec, exec, s[6:7]
	s_and_saveexec_b64 s[6:7], s[4:5]
	s_cbranch_execz .LBB2_28763
; %bb.50359:
	s_getpc_b64 s[14:15]
.Lpost_getpc28763:
	s_add_u32 s14, s14, (.LBB2_183-.Lpost_getpc28763)&4294967295
	s_addc_u32 s15, s15, (.LBB2_183-.Lpost_getpc28763)>>32
	s_setpc_b64 s[14:15]
.LBB2_28763:
	s_getpc_b64 s[14:15]
.Lpost_getpc17965:
	s_add_u32 s14, s14, (.LBB2_184-.Lpost_getpc17965)&4294967295
	s_addc_u32 s15, s15, (.LBB2_184-.Lpost_getpc17965)>>32
	s_setpc_b64 s[14:15]
.LBB2_14521:
	s_movk_i32 s4, 0x80
	v_cmp_eq_u16_sdwa s[12:13], v7, s4 src0_sel:BYTE_3 src1_sel:DWORD
	s_mov_b64 s[4:5], -1
                                        ; implicit-def: $sgpr10
	s_and_saveexec_b64 s[8:9], s[12:13]
; %bb.14522:
	s_mov_b32 s10, 0x7f800001
	s_xor_b64 s[4:5], exec, -1
; %bb.14523:
	s_or_b64 exec, exec, s[8:9]
	s_and_b64 s[4:5], s[4:5], exec
	s_or_saveexec_b64 s[6:7], s[6:7]
	v_mov_b32_e32 v2, s10
	s_xor_b64 exec, exec, s[6:7]
	s_cbranch_execnz .LBB2_14524
; %bb.50361:
	s_getpc_b64 s[14:15]
.Lpost_getpc28764:
	s_add_u32 s14, s14, (.LBB2_186-.Lpost_getpc28764)&4294967295
	s_addc_u32 s15, s15, (.LBB2_186-.Lpost_getpc28764)>>32
	s_setpc_b64 s[14:15]
.LBB2_14524:
	v_mov_b32_e32 v2, 0
	v_cmp_ne_u16_sdwa s[8:9], v7, v2 src0_sel:BYTE_3 src1_sel:DWORD
	s_andn2_b64 s[4:5], s[4:5], exec
	s_and_b64 s[8:9], s[8:9], exec
	s_or_b64 s[4:5], s[4:5], s[8:9]
	s_or_b64 exec, exec, s[6:7]
	s_and_saveexec_b64 s[6:7], s[4:5]
	s_cbranch_execz .LBB2_28765
; %bb.50363:
	s_getpc_b64 s[14:15]
.Lpost_getpc28765:
	s_add_u32 s14, s14, (.LBB2_187-.Lpost_getpc28765)&4294967295
	s_addc_u32 s15, s15, (.LBB2_187-.Lpost_getpc28765)>>32
	s_setpc_b64 s[14:15]
.LBB2_28765:
	s_getpc_b64 s[14:15]
.Lpost_getpc17966:
	s_add_u32 s14, s14, (.LBB2_188-.Lpost_getpc17966)&4294967295
	s_addc_u32 s15, s15, (.LBB2_188-.Lpost_getpc17966)>>32
	s_setpc_b64 s[14:15]
.LBB2_14525:
	s_movk_i32 s4, 0x80
	v_cmp_eq_u16_sdwa s[12:13], v3, s4 src0_sel:BYTE_3 src1_sel:DWORD
	s_mov_b64 s[4:5], -1
                                        ; implicit-def: $sgpr10
	s_and_saveexec_b64 s[8:9], s[12:13]
; %bb.14526:
	s_mov_b32 s10, 0x7f800001
	s_xor_b64 s[4:5], exec, -1
; %bb.14527:
	s_or_b64 exec, exec, s[8:9]
	s_and_b64 s[4:5], s[4:5], exec
	s_or_saveexec_b64 s[6:7], s[6:7]
	v_mov_b32_e32 v6, s10
	s_xor_b64 exec, exec, s[6:7]
	s_cbranch_execnz .LBB2_14528
; %bb.50365:
	s_getpc_b64 s[14:15]
.Lpost_getpc28766:
	s_add_u32 s14, s14, (.LBB2_190-.Lpost_getpc28766)&4294967295
	s_addc_u32 s15, s15, (.LBB2_190-.Lpost_getpc28766)>>32
	s_setpc_b64 s[14:15]
.LBB2_14528:
	v_mov_b32_e32 v6, 0
	v_cmp_ne_u16_sdwa s[8:9], v3, v6 src0_sel:BYTE_3 src1_sel:DWORD
	s_andn2_b64 s[4:5], s[4:5], exec
	s_and_b64 s[8:9], s[8:9], exec
	s_or_b64 s[4:5], s[4:5], s[8:9]
	s_or_b64 exec, exec, s[6:7]
	s_and_saveexec_b64 s[6:7], s[4:5]
	s_cbranch_execz .LBB2_28767
; %bb.50367:
	s_getpc_b64 s[14:15]
.Lpost_getpc28767:
	s_add_u32 s14, s14, (.LBB2_191-.Lpost_getpc28767)&4294967295
	s_addc_u32 s15, s15, (.LBB2_191-.Lpost_getpc28767)>>32
	s_setpc_b64 s[14:15]
.LBB2_28767:
	s_getpc_b64 s[14:15]
.Lpost_getpc17967:
	s_add_u32 s14, s14, (.LBB2_192-.Lpost_getpc17967)&4294967295
	s_addc_u32 s15, s15, (.LBB2_192-.Lpost_getpc17967)>>32
	s_setpc_b64 s[14:15]
.LBB2_14529:
	s_movk_i32 s4, 0x80
	v_cmp_eq_u16_sdwa s[12:13], v8, s4 src0_sel:BYTE_0 src1_sel:DWORD
	s_mov_b64 s[4:5], -1
                                        ; implicit-def: $sgpr10
	s_and_saveexec_b64 s[8:9], s[12:13]
; %bb.14530:
	s_mov_b32 s10, 0x7f800001
	s_xor_b64 s[4:5], exec, -1
; %bb.14531:
	s_or_b64 exec, exec, s[8:9]
	s_and_b64 s[4:5], s[4:5], exec
	s_or_saveexec_b64 s[6:7], s[6:7]
	v_mov_b32_e32 v2, s10
	s_xor_b64 exec, exec, s[6:7]
	s_cbranch_execnz .LBB2_14532
; %bb.50369:
	s_getpc_b64 s[14:15]
.Lpost_getpc28768:
	s_add_u32 s14, s14, (.LBB2_194-.Lpost_getpc28768)&4294967295
	s_addc_u32 s15, s15, (.LBB2_194-.Lpost_getpc28768)>>32
	s_setpc_b64 s[14:15]
.LBB2_14532:
	v_mov_b32_e32 v2, 0
	v_cmp_ne_u16_sdwa s[8:9], v8, v2 src0_sel:BYTE_0 src1_sel:DWORD
	s_andn2_b64 s[4:5], s[4:5], exec
	s_and_b64 s[8:9], s[8:9], exec
	s_or_b64 s[4:5], s[4:5], s[8:9]
	s_or_b64 exec, exec, s[6:7]
	s_and_saveexec_b64 s[6:7], s[4:5]
	s_cbranch_execz .LBB2_28769
; %bb.50371:
	s_getpc_b64 s[14:15]
.Lpost_getpc28769:
	s_add_u32 s14, s14, (.LBB2_195-.Lpost_getpc28769)&4294967295
	s_addc_u32 s15, s15, (.LBB2_195-.Lpost_getpc28769)>>32
	s_setpc_b64 s[14:15]
.LBB2_28769:
	s_getpc_b64 s[14:15]
.Lpost_getpc17968:
	s_add_u32 s14, s14, (.LBB2_196-.Lpost_getpc17968)&4294967295
	s_addc_u32 s15, s15, (.LBB2_196-.Lpost_getpc17968)>>32
	s_setpc_b64 s[14:15]
.LBB2_14533:
	s_movk_i32 s4, 0x80
	v_cmp_eq_u16_sdwa s[12:13], v4, s4 src0_sel:BYTE_0 src1_sel:DWORD
	s_mov_b64 s[4:5], -1
                                        ; implicit-def: $sgpr10
	s_and_saveexec_b64 s[8:9], s[12:13]
; %bb.14534:
	s_mov_b32 s10, 0x7f800001
	s_xor_b64 s[4:5], exec, -1
; %bb.14535:
	s_or_b64 exec, exec, s[8:9]
	s_and_b64 s[4:5], s[4:5], exec
	s_or_saveexec_b64 s[6:7], s[6:7]
	v_mov_b32_e32 v3, s10
	s_xor_b64 exec, exec, s[6:7]
	s_cbranch_execnz .LBB2_14536
; %bb.50373:
	s_getpc_b64 s[14:15]
.Lpost_getpc28770:
	s_add_u32 s14, s14, (.LBB2_198-.Lpost_getpc28770)&4294967295
	s_addc_u32 s15, s15, (.LBB2_198-.Lpost_getpc28770)>>32
	s_setpc_b64 s[14:15]
.LBB2_14536:
	v_mov_b32_e32 v3, 0
	v_cmp_ne_u16_sdwa s[8:9], v4, v3 src0_sel:BYTE_0 src1_sel:DWORD
	s_andn2_b64 s[4:5], s[4:5], exec
	s_and_b64 s[8:9], s[8:9], exec
	s_or_b64 s[4:5], s[4:5], s[8:9]
	s_or_b64 exec, exec, s[6:7]
	s_and_saveexec_b64 s[6:7], s[4:5]
	s_cbranch_execz .LBB2_28771
; %bb.50375:
	s_getpc_b64 s[14:15]
.Lpost_getpc28771:
	s_add_u32 s14, s14, (.LBB2_199-.Lpost_getpc28771)&4294967295
	s_addc_u32 s15, s15, (.LBB2_199-.Lpost_getpc28771)>>32
	s_setpc_b64 s[14:15]
.LBB2_28771:
	s_getpc_b64 s[14:15]
.Lpost_getpc17969:
	s_add_u32 s14, s14, (.LBB2_200-.Lpost_getpc17969)&4294967295
	s_addc_u32 s15, s15, (.LBB2_200-.Lpost_getpc17969)>>32
	s_setpc_b64 s[14:15]
.LBB2_14537:
	s_movk_i32 s4, 0x80
	v_cmp_eq_u16_sdwa s[12:13], v3, s4 src0_sel:BYTE_0 src1_sel:DWORD
	s_mov_b64 s[4:5], -1
                                        ; implicit-def: $sgpr10
	s_and_saveexec_b64 s[8:9], s[12:13]
; %bb.14538:
	s_mov_b32 s10, 0x7f800001
	s_xor_b64 s[4:5], exec, -1
; %bb.14539:
	s_or_b64 exec, exec, s[8:9]
	s_and_b64 s[4:5], s[4:5], exec
	s_or_saveexec_b64 s[6:7], s[6:7]
	v_mov_b32_e32 v2, s10
	s_xor_b64 exec, exec, s[6:7]
	s_cbranch_execnz .LBB2_14540
; %bb.50377:
	s_getpc_b64 s[14:15]
.Lpost_getpc28772:
	s_add_u32 s14, s14, (.LBB2_202-.Lpost_getpc28772)&4294967295
	s_addc_u32 s15, s15, (.LBB2_202-.Lpost_getpc28772)>>32
	s_setpc_b64 s[14:15]
.LBB2_14540:
	v_mov_b32_e32 v2, 0
	v_cmp_ne_u16_sdwa s[8:9], v3, v2 src0_sel:BYTE_0 src1_sel:DWORD
	s_andn2_b64 s[4:5], s[4:5], exec
	s_and_b64 s[8:9], s[8:9], exec
	s_or_b64 s[4:5], s[4:5], s[8:9]
	s_or_b64 exec, exec, s[6:7]
	s_and_saveexec_b64 s[6:7], s[4:5]
	s_cbranch_execz .LBB2_28773
; %bb.50379:
	s_getpc_b64 s[14:15]
.Lpost_getpc28773:
	s_add_u32 s14, s14, (.LBB2_203-.Lpost_getpc28773)&4294967295
	s_addc_u32 s15, s15, (.LBB2_203-.Lpost_getpc28773)>>32
	s_setpc_b64 s[14:15]
.LBB2_28773:
	s_getpc_b64 s[14:15]
.Lpost_getpc17970:
	s_add_u32 s14, s14, (.LBB2_204-.Lpost_getpc17970)&4294967295
	s_addc_u32 s15, s15, (.LBB2_204-.Lpost_getpc17970)>>32
	s_setpc_b64 s[14:15]
.LBB2_14541:
	s_movk_i32 s4, 0x80
	v_cmp_eq_u16_sdwa s[12:13], v3, s4 src0_sel:BYTE_0 src1_sel:DWORD
	s_mov_b64 s[4:5], -1
                                        ; implicit-def: $sgpr10
	s_and_saveexec_b64 s[8:9], s[12:13]
; %bb.14542:
	s_mov_b32 s10, 0x7f800001
	s_xor_b64 s[4:5], exec, -1
; %bb.14543:
	s_or_b64 exec, exec, s[8:9]
	s_and_b64 s[4:5], s[4:5], exec
	s_or_saveexec_b64 s[6:7], s[6:7]
	v_mov_b32_e32 v6, s10
	s_xor_b64 exec, exec, s[6:7]
	s_cbranch_execnz .LBB2_14544
; %bb.50381:
	s_getpc_b64 s[14:15]
.Lpost_getpc28774:
	s_add_u32 s14, s14, (.LBB2_206-.Lpost_getpc28774)&4294967295
	s_addc_u32 s15, s15, (.LBB2_206-.Lpost_getpc28774)>>32
	s_setpc_b64 s[14:15]
.LBB2_14544:
	v_mov_b32_e32 v6, 0
	v_cmp_ne_u16_sdwa s[8:9], v3, v6 src0_sel:BYTE_0 src1_sel:DWORD
	s_andn2_b64 s[4:5], s[4:5], exec
	s_and_b64 s[8:9], s[8:9], exec
	s_or_b64 s[4:5], s[4:5], s[8:9]
	s_or_b64 exec, exec, s[6:7]
	s_and_saveexec_b64 s[6:7], s[4:5]
	s_cbranch_execz .LBB2_28775
; %bb.50383:
	s_getpc_b64 s[14:15]
.Lpost_getpc28775:
	s_add_u32 s14, s14, (.LBB2_207-.Lpost_getpc28775)&4294967295
	s_addc_u32 s15, s15, (.LBB2_207-.Lpost_getpc28775)>>32
	s_setpc_b64 s[14:15]
.LBB2_28775:
	s_getpc_b64 s[14:15]
.Lpost_getpc17971:
	s_add_u32 s14, s14, (.LBB2_208-.Lpost_getpc17971)&4294967295
	s_addc_u32 s15, s15, (.LBB2_208-.Lpost_getpc17971)>>32
	s_setpc_b64 s[14:15]
.LBB2_14545:
	s_movk_i32 s4, 0x80
	v_cmp_eq_u16_e32 vcc, s4, v3
	s_mov_b64 s[4:5], -1
                                        ; implicit-def: $sgpr10
	s_and_saveexec_b64 s[8:9], vcc
; %bb.14546:
	s_mov_b32 s10, 0x7f800001
	s_xor_b64 s[4:5], exec, -1
; %bb.14547:
	s_or_b64 exec, exec, s[8:9]
	s_and_b64 s[4:5], s[4:5], exec
                                        ; implicit-def: $vgpr3
	s_or_saveexec_b64 s[6:7], s[6:7]
	v_mov_b32_e32 v2, s10
	s_xor_b64 exec, exec, s[6:7]
	s_cbranch_execnz .LBB2_14548
; %bb.50385:
	s_getpc_b64 s[14:15]
.Lpost_getpc28776:
	s_add_u32 s14, s14, (.LBB2_210-.Lpost_getpc28776)&4294967295
	s_addc_u32 s15, s15, (.LBB2_210-.Lpost_getpc28776)>>32
	s_setpc_b64 s[14:15]
.LBB2_14548:
	v_cmp_ne_u16_e32 vcc, 0, v3
	s_andn2_b64 s[4:5], s[4:5], exec
	s_and_b64 s[8:9], vcc, exec
	v_mov_b32_e32 v2, 0
	s_or_b64 s[4:5], s[4:5], s[8:9]
	s_or_b64 exec, exec, s[6:7]
	s_and_saveexec_b64 s[6:7], s[4:5]
	s_cbranch_execz .LBB2_28777
; %bb.50387:
	s_getpc_b64 s[14:15]
.Lpost_getpc28777:
	s_add_u32 s14, s14, (.LBB2_211-.Lpost_getpc28777)&4294967295
	s_addc_u32 s15, s15, (.LBB2_211-.Lpost_getpc28777)>>32
	s_setpc_b64 s[14:15]
.LBB2_28777:
	s_getpc_b64 s[14:15]
.Lpost_getpc17972:
	s_add_u32 s14, s14, (.LBB2_212-.Lpost_getpc17972)&4294967295
	s_addc_u32 s15, s15, (.LBB2_212-.Lpost_getpc17972)>>32
	s_setpc_b64 s[14:15]
.LBB2_14549:
	s_movk_i32 s4, 0x80
	v_cmp_eq_u16_e32 vcc, s4, v3
	s_mov_b64 s[4:5], -1
                                        ; implicit-def: $sgpr10
	s_and_saveexec_b64 s[8:9], vcc
; %bb.14550:
	s_mov_b32 s10, 0x7f800001
	s_xor_b64 s[4:5], exec, -1
; %bb.14551:
	s_or_b64 exec, exec, s[8:9]
	s_and_b64 s[4:5], s[4:5], exec
                                        ; implicit-def: $vgpr3
	s_or_saveexec_b64 s[6:7], s[6:7]
	v_mov_b32_e32 v6, s10
	s_xor_b64 exec, exec, s[6:7]
	s_cbranch_execnz .LBB2_14552
; %bb.50389:
	s_getpc_b64 s[14:15]
.Lpost_getpc28778:
	s_add_u32 s14, s14, (.LBB2_214-.Lpost_getpc28778)&4294967295
	s_addc_u32 s15, s15, (.LBB2_214-.Lpost_getpc28778)>>32
	s_setpc_b64 s[14:15]
.LBB2_14552:
	v_cmp_ne_u16_e32 vcc, 0, v3
	s_andn2_b64 s[4:5], s[4:5], exec
	s_and_b64 s[8:9], vcc, exec
	v_mov_b32_e32 v6, 0
	s_or_b64 s[4:5], s[4:5], s[8:9]
	s_or_b64 exec, exec, s[6:7]
	s_and_saveexec_b64 s[6:7], s[4:5]
	s_cbranch_execz .LBB2_28779
; %bb.50391:
	s_getpc_b64 s[14:15]
.Lpost_getpc28779:
	s_add_u32 s14, s14, (.LBB2_215-.Lpost_getpc28779)&4294967295
	s_addc_u32 s15, s15, (.LBB2_215-.Lpost_getpc28779)>>32
	s_setpc_b64 s[14:15]
.LBB2_28779:
	s_getpc_b64 s[14:15]
.Lpost_getpc17973:
	s_add_u32 s14, s14, (.LBB2_216-.Lpost_getpc17973)&4294967295
	s_addc_u32 s15, s15, (.LBB2_216-.Lpost_getpc17973)>>32
	s_setpc_b64 s[14:15]
.LBB2_14553:
	s_movk_i32 s4, 0x80
	v_cmp_eq_u16_sdwa s[12:13], v8, s4 src0_sel:BYTE_3 src1_sel:DWORD
	s_mov_b64 s[4:5], -1
                                        ; implicit-def: $sgpr10
	s_and_saveexec_b64 s[8:9], s[12:13]
; %bb.14554:
	s_mov_b32 s10, 0x7f800001
	s_xor_b64 s[4:5], exec, -1
; %bb.14555:
	s_or_b64 exec, exec, s[8:9]
	s_and_b64 s[4:5], s[4:5], exec
	s_or_saveexec_b64 s[6:7], s[6:7]
	v_mov_b32_e32 v2, s10
	s_xor_b64 exec, exec, s[6:7]
	s_cbranch_execnz .LBB2_14556
; %bb.50393:
	s_getpc_b64 s[14:15]
.Lpost_getpc28780:
	s_add_u32 s14, s14, (.LBB2_218-.Lpost_getpc28780)&4294967295
	s_addc_u32 s15, s15, (.LBB2_218-.Lpost_getpc28780)>>32
	s_setpc_b64 s[14:15]
.LBB2_14556:
	v_mov_b32_e32 v2, 0
	v_cmp_ne_u16_sdwa s[8:9], v8, v2 src0_sel:BYTE_3 src1_sel:DWORD
	s_andn2_b64 s[4:5], s[4:5], exec
	s_and_b64 s[8:9], s[8:9], exec
	s_or_b64 s[4:5], s[4:5], s[8:9]
	s_or_b64 exec, exec, s[6:7]
	s_and_saveexec_b64 s[6:7], s[4:5]
	s_cbranch_execz .LBB2_28781
; %bb.50395:
	s_getpc_b64 s[14:15]
.Lpost_getpc28781:
	s_add_u32 s14, s14, (.LBB2_219-.Lpost_getpc28781)&4294967295
	s_addc_u32 s15, s15, (.LBB2_219-.Lpost_getpc28781)>>32
	s_setpc_b64 s[14:15]
.LBB2_28781:
	s_getpc_b64 s[14:15]
.Lpost_getpc17974:
	s_add_u32 s14, s14, (.LBB2_220-.Lpost_getpc17974)&4294967295
	s_addc_u32 s15, s15, (.LBB2_220-.Lpost_getpc17974)>>32
	s_setpc_b64 s[14:15]
.LBB2_14557:
	s_movk_i32 s4, 0x80
	v_cmp_eq_u16_sdwa s[12:13], v4, s4 src0_sel:BYTE_3 src1_sel:DWORD
	s_mov_b64 s[4:5], -1
                                        ; implicit-def: $sgpr10
	s_and_saveexec_b64 s[8:9], s[12:13]
; %bb.14558:
	s_mov_b32 s10, 0x7f800001
	s_xor_b64 s[4:5], exec, -1
; %bb.14559:
	s_or_b64 exec, exec, s[8:9]
	s_and_b64 s[4:5], s[4:5], exec
	s_or_saveexec_b64 s[6:7], s[6:7]
	v_mov_b32_e32 v3, s10
	s_xor_b64 exec, exec, s[6:7]
	s_cbranch_execnz .LBB2_14560
; %bb.50397:
	s_getpc_b64 s[14:15]
.Lpost_getpc28782:
	s_add_u32 s14, s14, (.LBB2_222-.Lpost_getpc28782)&4294967295
	s_addc_u32 s15, s15, (.LBB2_222-.Lpost_getpc28782)>>32
	s_setpc_b64 s[14:15]
.LBB2_14560:
	v_mov_b32_e32 v3, 0
	v_cmp_ne_u16_sdwa s[8:9], v4, v3 src0_sel:BYTE_3 src1_sel:DWORD
	s_andn2_b64 s[4:5], s[4:5], exec
	s_and_b64 s[8:9], s[8:9], exec
	s_or_b64 s[4:5], s[4:5], s[8:9]
	s_or_b64 exec, exec, s[6:7]
	s_and_saveexec_b64 s[6:7], s[4:5]
	s_cbranch_execz .LBB2_28783
; %bb.50399:
	s_getpc_b64 s[14:15]
.Lpost_getpc28783:
	s_add_u32 s14, s14, (.LBB2_223-.Lpost_getpc28783)&4294967295
	s_addc_u32 s15, s15, (.LBB2_223-.Lpost_getpc28783)>>32
	s_setpc_b64 s[14:15]
.LBB2_28783:
	s_getpc_b64 s[14:15]
.Lpost_getpc17975:
	s_add_u32 s14, s14, (.LBB2_224-.Lpost_getpc17975)&4294967295
	s_addc_u32 s15, s15, (.LBB2_224-.Lpost_getpc17975)>>32
	s_setpc_b64 s[14:15]
.LBB2_14561:
	s_movk_i32 s4, 0x80
	v_cmp_eq_u16_sdwa s[12:13], v9, s4 src0_sel:BYTE_0 src1_sel:DWORD
	s_mov_b64 s[4:5], -1
                                        ; implicit-def: $sgpr10
	s_and_saveexec_b64 s[8:9], s[12:13]
; %bb.14562:
	s_mov_b32 s10, 0x7f800001
	s_xor_b64 s[4:5], exec, -1
; %bb.14563:
	s_or_b64 exec, exec, s[8:9]
	s_and_b64 s[4:5], s[4:5], exec
	s_or_saveexec_b64 s[6:7], s[6:7]
	v_mov_b32_e32 v2, s10
	s_xor_b64 exec, exec, s[6:7]
	s_cbranch_execnz .LBB2_14564
; %bb.50401:
	s_getpc_b64 s[14:15]
.Lpost_getpc28784:
	s_add_u32 s14, s14, (.LBB2_226-.Lpost_getpc28784)&4294967295
	s_addc_u32 s15, s15, (.LBB2_226-.Lpost_getpc28784)>>32
	s_setpc_b64 s[14:15]
.LBB2_14564:
	v_mov_b32_e32 v2, 0
	v_cmp_ne_u16_sdwa s[8:9], v9, v2 src0_sel:BYTE_0 src1_sel:DWORD
	s_andn2_b64 s[4:5], s[4:5], exec
	s_and_b64 s[8:9], s[8:9], exec
	s_or_b64 s[4:5], s[4:5], s[8:9]
	s_or_b64 exec, exec, s[6:7]
	s_and_saveexec_b64 s[6:7], s[4:5]
	s_cbranch_execz .LBB2_28785
; %bb.50403:
	s_getpc_b64 s[14:15]
.Lpost_getpc28785:
	s_add_u32 s14, s14, (.LBB2_227-.Lpost_getpc28785)&4294967295
	s_addc_u32 s15, s15, (.LBB2_227-.Lpost_getpc28785)>>32
	s_setpc_b64 s[14:15]
.LBB2_28785:
	s_getpc_b64 s[14:15]
.Lpost_getpc17976:
	s_add_u32 s14, s14, (.LBB2_228-.Lpost_getpc17976)&4294967295
	s_addc_u32 s15, s15, (.LBB2_228-.Lpost_getpc17976)>>32
	s_setpc_b64 s[14:15]
.LBB2_14565:
	s_movk_i32 s4, 0x80
	v_cmp_eq_u16_sdwa s[12:13], v5, s4 src0_sel:BYTE_0 src1_sel:DWORD
	s_mov_b64 s[4:5], -1
                                        ; implicit-def: $sgpr10
	s_and_saveexec_b64 s[8:9], s[12:13]
; %bb.14566:
	s_mov_b32 s10, 0x7f800001
	s_xor_b64 s[4:5], exec, -1
; %bb.14567:
	s_or_b64 exec, exec, s[8:9]
	s_and_b64 s[4:5], s[4:5], exec
	s_or_saveexec_b64 s[6:7], s[6:7]
	v_mov_b32_e32 v3, s10
	s_xor_b64 exec, exec, s[6:7]
	s_cbranch_execnz .LBB2_14568
; %bb.50405:
	s_getpc_b64 s[14:15]
.Lpost_getpc28786:
	s_add_u32 s14, s14, (.LBB2_230-.Lpost_getpc28786)&4294967295
	s_addc_u32 s15, s15, (.LBB2_230-.Lpost_getpc28786)>>32
	s_setpc_b64 s[14:15]
.LBB2_14568:
	v_mov_b32_e32 v3, 0
	v_cmp_ne_u16_sdwa s[8:9], v5, v3 src0_sel:BYTE_0 src1_sel:DWORD
	s_andn2_b64 s[4:5], s[4:5], exec
	s_and_b64 s[8:9], s[8:9], exec
	s_or_b64 s[4:5], s[4:5], s[8:9]
	s_or_b64 exec, exec, s[6:7]
	s_and_saveexec_b64 s[6:7], s[4:5]
	s_cbranch_execz .LBB2_28787
; %bb.50407:
	s_getpc_b64 s[14:15]
.Lpost_getpc28787:
	s_add_u32 s14, s14, (.LBB2_231-.Lpost_getpc28787)&4294967295
	s_addc_u32 s15, s15, (.LBB2_231-.Lpost_getpc28787)>>32
	s_setpc_b64 s[14:15]
.LBB2_28787:
	s_getpc_b64 s[14:15]
.Lpost_getpc17977:
	s_add_u32 s14, s14, (.LBB2_232-.Lpost_getpc17977)&4294967295
	s_addc_u32 s15, s15, (.LBB2_232-.Lpost_getpc17977)>>32
	s_setpc_b64 s[14:15]
.LBB2_14569:
	s_movk_i32 s4, 0x80
	v_cmp_eq_u16_sdwa s[12:13], v3, s4 src0_sel:BYTE_0 src1_sel:DWORD
	s_mov_b64 s[4:5], -1
                                        ; implicit-def: $sgpr10
	s_and_saveexec_b64 s[8:9], s[12:13]
; %bb.14570:
	s_mov_b32 s10, 0x7f800001
	s_xor_b64 s[4:5], exec, -1
; %bb.14571:
	s_or_b64 exec, exec, s[8:9]
	s_and_b64 s[4:5], s[4:5], exec
	s_or_saveexec_b64 s[6:7], s[6:7]
	v_mov_b32_e32 v2, s10
	s_xor_b64 exec, exec, s[6:7]
	s_cbranch_execnz .LBB2_14572
; %bb.50409:
	s_getpc_b64 s[14:15]
.Lpost_getpc28788:
	s_add_u32 s14, s14, (.LBB2_234-.Lpost_getpc28788)&4294967295
	s_addc_u32 s15, s15, (.LBB2_234-.Lpost_getpc28788)>>32
	s_setpc_b64 s[14:15]
.LBB2_14572:
	v_mov_b32_e32 v2, 0
	v_cmp_ne_u16_sdwa s[8:9], v3, v2 src0_sel:BYTE_0 src1_sel:DWORD
	s_andn2_b64 s[4:5], s[4:5], exec
	s_and_b64 s[8:9], s[8:9], exec
	s_or_b64 s[4:5], s[4:5], s[8:9]
	s_or_b64 exec, exec, s[6:7]
	s_and_saveexec_b64 s[6:7], s[4:5]
	s_cbranch_execz .LBB2_28789
; %bb.50411:
	s_getpc_b64 s[14:15]
.Lpost_getpc28789:
	s_add_u32 s14, s14, (.LBB2_235-.Lpost_getpc28789)&4294967295
	s_addc_u32 s15, s15, (.LBB2_235-.Lpost_getpc28789)>>32
	s_setpc_b64 s[14:15]
.LBB2_28789:
	s_getpc_b64 s[14:15]
.Lpost_getpc17978:
	s_add_u32 s14, s14, (.LBB2_236-.Lpost_getpc17978)&4294967295
	s_addc_u32 s15, s15, (.LBB2_236-.Lpost_getpc17978)>>32
	s_setpc_b64 s[14:15]
.LBB2_14573:
	s_movk_i32 s4, 0x80
	v_cmp_eq_u16_sdwa s[12:13], v3, s4 src0_sel:BYTE_0 src1_sel:DWORD
	s_mov_b64 s[4:5], -1
                                        ; implicit-def: $sgpr10
	s_and_saveexec_b64 s[8:9], s[12:13]
; %bb.14574:
	s_mov_b32 s10, 0x7f800001
	s_xor_b64 s[4:5], exec, -1
; %bb.14575:
	s_or_b64 exec, exec, s[8:9]
	s_and_b64 s[4:5], s[4:5], exec
	s_or_saveexec_b64 s[6:7], s[6:7]
	v_mov_b32_e32 v4, s10
	s_xor_b64 exec, exec, s[6:7]
	s_cbranch_execnz .LBB2_14576
; %bb.50413:
	s_getpc_b64 s[14:15]
.Lpost_getpc28790:
	s_add_u32 s14, s14, (.LBB2_238-.Lpost_getpc28790)&4294967295
	s_addc_u32 s15, s15, (.LBB2_238-.Lpost_getpc28790)>>32
	s_setpc_b64 s[14:15]
.LBB2_14576:
	v_mov_b32_e32 v4, 0
	v_cmp_ne_u16_sdwa s[8:9], v3, v4 src0_sel:BYTE_0 src1_sel:DWORD
	s_andn2_b64 s[4:5], s[4:5], exec
	s_and_b64 s[8:9], s[8:9], exec
	s_or_b64 s[4:5], s[4:5], s[8:9]
	s_or_b64 exec, exec, s[6:7]
	s_and_saveexec_b64 s[6:7], s[4:5]
	s_cbranch_execz .LBB2_28791
; %bb.50415:
	s_getpc_b64 s[14:15]
.Lpost_getpc28791:
	s_add_u32 s14, s14, (.LBB2_239-.Lpost_getpc28791)&4294967295
	s_addc_u32 s15, s15, (.LBB2_239-.Lpost_getpc28791)>>32
	s_setpc_b64 s[14:15]
.LBB2_28791:
	s_getpc_b64 s[14:15]
.Lpost_getpc17979:
	s_add_u32 s14, s14, (.LBB2_240-.Lpost_getpc17979)&4294967295
	s_addc_u32 s15, s15, (.LBB2_240-.Lpost_getpc17979)>>32
	s_setpc_b64 s[14:15]
.LBB2_14577:
	s_movk_i32 s4, 0x80
	v_cmp_eq_u16_e32 vcc, s4, v3
	s_mov_b64 s[4:5], -1
                                        ; implicit-def: $sgpr10
	s_and_saveexec_b64 s[8:9], vcc
; %bb.14578:
	s_mov_b32 s10, 0x7f800001
	s_xor_b64 s[4:5], exec, -1
; %bb.14579:
	s_or_b64 exec, exec, s[8:9]
	s_and_b64 s[4:5], s[4:5], exec
                                        ; implicit-def: $vgpr3
	s_or_saveexec_b64 s[6:7], s[6:7]
	v_mov_b32_e32 v2, s10
	s_xor_b64 exec, exec, s[6:7]
	s_cbranch_execnz .LBB2_14580
; %bb.50417:
	s_getpc_b64 s[14:15]
.Lpost_getpc28792:
	s_add_u32 s14, s14, (.LBB2_242-.Lpost_getpc28792)&4294967295
	s_addc_u32 s15, s15, (.LBB2_242-.Lpost_getpc28792)>>32
	s_setpc_b64 s[14:15]
.LBB2_14580:
	v_cmp_ne_u16_e32 vcc, 0, v3
	s_andn2_b64 s[4:5], s[4:5], exec
	s_and_b64 s[8:9], vcc, exec
	v_mov_b32_e32 v2, 0
	s_or_b64 s[4:5], s[4:5], s[8:9]
	s_or_b64 exec, exec, s[6:7]
	s_and_saveexec_b64 s[6:7], s[4:5]
	s_cbranch_execz .LBB2_28793
; %bb.50419:
	s_getpc_b64 s[14:15]
.Lpost_getpc28793:
	s_add_u32 s14, s14, (.LBB2_243-.Lpost_getpc28793)&4294967295
	s_addc_u32 s15, s15, (.LBB2_243-.Lpost_getpc28793)>>32
	s_setpc_b64 s[14:15]
.LBB2_28793:
	s_getpc_b64 s[14:15]
.Lpost_getpc17980:
	s_add_u32 s14, s14, (.LBB2_244-.Lpost_getpc17980)&4294967295
	s_addc_u32 s15, s15, (.LBB2_244-.Lpost_getpc17980)>>32
	s_setpc_b64 s[14:15]
.LBB2_14581:
	s_movk_i32 s4, 0x80
	v_cmp_eq_u16_e32 vcc, s4, v3
	s_mov_b64 s[4:5], -1
                                        ; implicit-def: $sgpr10
	s_and_saveexec_b64 s[8:9], vcc
; %bb.14582:
	s_mov_b32 s10, 0x7f800001
	s_xor_b64 s[4:5], exec, -1
; %bb.14583:
	s_or_b64 exec, exec, s[8:9]
	s_and_b64 s[4:5], s[4:5], exec
                                        ; implicit-def: $vgpr3
	s_or_saveexec_b64 s[6:7], s[6:7]
	v_mov_b32_e32 v4, s10
	s_xor_b64 exec, exec, s[6:7]
	s_cbranch_execnz .LBB2_14584
; %bb.50421:
	s_getpc_b64 s[14:15]
.Lpost_getpc28794:
	s_add_u32 s14, s14, (.LBB2_246-.Lpost_getpc28794)&4294967295
	s_addc_u32 s15, s15, (.LBB2_246-.Lpost_getpc28794)>>32
	s_setpc_b64 s[14:15]
.LBB2_14584:
	v_cmp_ne_u16_e32 vcc, 0, v3
	s_andn2_b64 s[4:5], s[4:5], exec
	s_and_b64 s[8:9], vcc, exec
	v_mov_b32_e32 v4, 0
	s_or_b64 s[4:5], s[4:5], s[8:9]
	s_or_b64 exec, exec, s[6:7]
	s_and_saveexec_b64 s[6:7], s[4:5]
	s_cbranch_execz .LBB2_28795
; %bb.50423:
	s_getpc_b64 s[14:15]
.Lpost_getpc28795:
	s_add_u32 s14, s14, (.LBB2_247-.Lpost_getpc28795)&4294967295
	s_addc_u32 s15, s15, (.LBB2_247-.Lpost_getpc28795)>>32
	s_setpc_b64 s[14:15]
.LBB2_28795:
	s_getpc_b64 s[14:15]
.Lpost_getpc17981:
	s_add_u32 s14, s14, (.LBB2_248-.Lpost_getpc17981)&4294967295
	s_addc_u32 s15, s15, (.LBB2_248-.Lpost_getpc17981)>>32
	s_setpc_b64 s[14:15]
.LBB2_14585:
	s_movk_i32 s4, 0x80
	v_cmp_eq_u16_sdwa s[12:13], v9, s4 src0_sel:BYTE_3 src1_sel:DWORD
	s_mov_b64 s[4:5], -1
                                        ; implicit-def: $sgpr10
	s_and_saveexec_b64 s[8:9], s[12:13]
; %bb.14586:
	s_mov_b32 s10, 0x7f800001
	s_xor_b64 s[4:5], exec, -1
; %bb.14587:
	s_or_b64 exec, exec, s[8:9]
	s_and_b64 s[4:5], s[4:5], exec
	s_or_saveexec_b64 s[6:7], s[6:7]
	v_mov_b32_e32 v2, s10
	s_xor_b64 exec, exec, s[6:7]
	s_cbranch_execnz .LBB2_14588
; %bb.50425:
	s_getpc_b64 s[14:15]
.Lpost_getpc28796:
	s_add_u32 s14, s14, (.LBB2_250-.Lpost_getpc28796)&4294967295
	s_addc_u32 s15, s15, (.LBB2_250-.Lpost_getpc28796)>>32
	s_setpc_b64 s[14:15]
.LBB2_14588:
	v_mov_b32_e32 v2, 0
	v_cmp_ne_u16_sdwa s[8:9], v9, v2 src0_sel:BYTE_3 src1_sel:DWORD
	s_andn2_b64 s[4:5], s[4:5], exec
	s_and_b64 s[8:9], s[8:9], exec
	s_or_b64 s[4:5], s[4:5], s[8:9]
	s_or_b64 exec, exec, s[6:7]
	s_and_saveexec_b64 s[6:7], s[4:5]
	s_cbranch_execz .LBB2_28797
; %bb.50427:
	s_getpc_b64 s[14:15]
.Lpost_getpc28797:
	s_add_u32 s14, s14, (.LBB2_251-.Lpost_getpc28797)&4294967295
	s_addc_u32 s15, s15, (.LBB2_251-.Lpost_getpc28797)>>32
	s_setpc_b64 s[14:15]
.LBB2_28797:
	s_getpc_b64 s[14:15]
.Lpost_getpc17982:
	s_add_u32 s14, s14, (.LBB2_252-.Lpost_getpc17982)&4294967295
	s_addc_u32 s15, s15, (.LBB2_252-.Lpost_getpc17982)>>32
	s_setpc_b64 s[14:15]
.LBB2_14589:
	s_movk_i32 s4, 0x80
	v_cmp_eq_u16_sdwa s[12:13], v5, s4 src0_sel:BYTE_3 src1_sel:DWORD
	s_mov_b64 s[4:5], -1
                                        ; implicit-def: $sgpr10
	s_and_saveexec_b64 s[8:9], s[12:13]
; %bb.14590:
	s_mov_b32 s10, 0x7f800001
	s_xor_b64 s[4:5], exec, -1
; %bb.14591:
	s_or_b64 exec, exec, s[8:9]
	s_and_b64 s[4:5], s[4:5], exec
	s_or_saveexec_b64 s[6:7], s[6:7]
	v_mov_b32_e32 v3, s10
	s_xor_b64 exec, exec, s[6:7]
	s_cbranch_execnz .LBB2_14592
; %bb.50429:
	s_getpc_b64 s[14:15]
.Lpost_getpc28798:
	s_add_u32 s14, s14, (.LBB2_254-.Lpost_getpc28798)&4294967295
	s_addc_u32 s15, s15, (.LBB2_254-.Lpost_getpc28798)>>32
	s_setpc_b64 s[14:15]
.LBB2_14592:
	v_mov_b32_e32 v3, 0
	v_cmp_ne_u16_sdwa s[8:9], v5, v3 src0_sel:BYTE_3 src1_sel:DWORD
	s_andn2_b64 s[4:5], s[4:5], exec
	s_and_b64 s[8:9], s[8:9], exec
	s_or_b64 s[4:5], s[4:5], s[8:9]
	s_or_b64 exec, exec, s[6:7]
	s_and_saveexec_b64 s[6:7], s[4:5]
	s_cbranch_execz .LBB2_28799
; %bb.50431:
	s_getpc_b64 s[14:15]
.Lpost_getpc28799:
	s_add_u32 s14, s14, (.LBB2_255-.Lpost_getpc28799)&4294967295
	s_addc_u32 s15, s15, (.LBB2_255-.Lpost_getpc28799)>>32
	s_setpc_b64 s[14:15]
.LBB2_28799:
	s_getpc_b64 s[14:15]
.Lpost_getpc17983:
	s_add_u32 s14, s14, (.LBB2_256-.Lpost_getpc17983)&4294967295
	s_addc_u32 s15, s15, (.LBB2_256-.Lpost_getpc17983)>>32
	s_setpc_b64 s[14:15]
.LBB2_14593:
	s_movk_i32 s4, 0x80
	v_cmp_eq_u16_sdwa s[12:13], v6, s4 src0_sel:BYTE_0 src1_sel:DWORD
	s_mov_b64 s[4:5], -1
                                        ; implicit-def: $sgpr10
	s_and_saveexec_b64 s[8:9], s[12:13]
; %bb.14594:
	s_mov_b32 s10, 0x7f800001
	s_xor_b64 s[4:5], exec, -1
; %bb.14595:
	s_or_b64 exec, exec, s[8:9]
	s_and_b64 s[4:5], s[4:5], exec
	s_or_saveexec_b64 s[6:7], s[6:7]
	v_mov_b32_e32 v12, s10
	s_xor_b64 exec, exec, s[6:7]
	s_cbranch_execnz .LBB2_14596
; %bb.50433:
	s_getpc_b64 s[14:15]
.Lpost_getpc28800:
	s_add_u32 s14, s14, (.LBB2_258-.Lpost_getpc28800)&4294967295
	s_addc_u32 s15, s15, (.LBB2_258-.Lpost_getpc28800)>>32
	s_setpc_b64 s[14:15]
.LBB2_14596:
	v_mov_b32_e32 v12, 0
	v_cmp_ne_u16_sdwa s[8:9], v6, v12 src0_sel:BYTE_0 src1_sel:DWORD
	s_andn2_b64 s[4:5], s[4:5], exec
	s_and_b64 s[8:9], s[8:9], exec
	s_or_b64 s[4:5], s[4:5], s[8:9]
	s_or_b64 exec, exec, s[6:7]
	s_and_saveexec_b64 s[6:7], s[4:5]
	s_cbranch_execz .LBB2_28801
; %bb.50435:
	s_getpc_b64 s[14:15]
.Lpost_getpc28801:
	s_add_u32 s14, s14, (.LBB2_259-.Lpost_getpc28801)&4294967295
	s_addc_u32 s15, s15, (.LBB2_259-.Lpost_getpc28801)>>32
	s_setpc_b64 s[14:15]
.LBB2_28801:
	s_getpc_b64 s[14:15]
.Lpost_getpc17984:
	s_add_u32 s14, s14, (.LBB2_260-.Lpost_getpc17984)&4294967295
	s_addc_u32 s15, s15, (.LBB2_260-.Lpost_getpc17984)>>32
	s_setpc_b64 s[14:15]
.LBB2_14597:
	s_movk_i32 s4, 0x80
	v_cmp_eq_u16_sdwa s[12:13], v2, s4 src0_sel:BYTE_0 src1_sel:DWORD
	s_mov_b64 s[4:5], -1
                                        ; implicit-def: $sgpr10
	s_and_saveexec_b64 s[8:9], s[12:13]
; %bb.14598:
	s_mov_b32 s10, 0x7f800001
	s_xor_b64 s[4:5], exec, -1
; %bb.14599:
	s_or_b64 exec, exec, s[8:9]
	s_and_b64 s[4:5], s[4:5], exec
	s_or_saveexec_b64 s[6:7], s[6:7]
	v_mov_b32_e32 v13, s10
	s_xor_b64 exec, exec, s[6:7]
	s_cbranch_execnz .LBB2_14600
; %bb.50437:
	s_getpc_b64 s[14:15]
.Lpost_getpc28802:
	s_add_u32 s14, s14, (.LBB2_262-.Lpost_getpc28802)&4294967295
	s_addc_u32 s15, s15, (.LBB2_262-.Lpost_getpc28802)>>32
	s_setpc_b64 s[14:15]
.LBB2_14600:
	v_mov_b32_e32 v13, 0
	v_cmp_ne_u16_sdwa s[8:9], v2, v13 src0_sel:BYTE_0 src1_sel:DWORD
	s_andn2_b64 s[4:5], s[4:5], exec
	s_and_b64 s[8:9], s[8:9], exec
	s_or_b64 s[4:5], s[4:5], s[8:9]
	s_or_b64 exec, exec, s[6:7]
	s_and_saveexec_b64 s[6:7], s[4:5]
	s_cbranch_execz .LBB2_28803
; %bb.50439:
	s_getpc_b64 s[14:15]
.Lpost_getpc28803:
	s_add_u32 s14, s14, (.LBB2_263-.Lpost_getpc28803)&4294967295
	s_addc_u32 s15, s15, (.LBB2_263-.Lpost_getpc28803)>>32
	s_setpc_b64 s[14:15]
.LBB2_28803:
	s_getpc_b64 s[14:15]
.Lpost_getpc17985:
	s_add_u32 s14, s14, (.LBB2_264-.Lpost_getpc17985)&4294967295
	s_addc_u32 s15, s15, (.LBB2_264-.Lpost_getpc17985)>>32
	s_setpc_b64 s[14:15]
.LBB2_14601:
	s_movk_i32 s4, 0x80
	v_cmp_eq_u16_sdwa s[12:13], v13, s4 src0_sel:BYTE_0 src1_sel:DWORD
	s_mov_b64 s[4:5], -1
                                        ; implicit-def: $sgpr10
	s_and_saveexec_b64 s[8:9], s[12:13]
; %bb.14602:
	s_mov_b32 s10, 0x7f800001
	s_xor_b64 s[4:5], exec, -1
; %bb.14603:
	s_or_b64 exec, exec, s[8:9]
	s_and_b64 s[4:5], s[4:5], exec
	s_or_saveexec_b64 s[6:7], s[6:7]
	v_mov_b32_e32 v12, s10
	s_xor_b64 exec, exec, s[6:7]
	s_cbranch_execnz .LBB2_14604
; %bb.50441:
	s_getpc_b64 s[14:15]
.Lpost_getpc28804:
	s_add_u32 s14, s14, (.LBB2_266-.Lpost_getpc28804)&4294967295
	s_addc_u32 s15, s15, (.LBB2_266-.Lpost_getpc28804)>>32
	s_setpc_b64 s[14:15]
.LBB2_14604:
	v_mov_b32_e32 v12, 0
	v_cmp_ne_u16_sdwa s[8:9], v13, v12 src0_sel:BYTE_0 src1_sel:DWORD
	s_andn2_b64 s[4:5], s[4:5], exec
	s_and_b64 s[8:9], s[8:9], exec
	s_or_b64 s[4:5], s[4:5], s[8:9]
	s_or_b64 exec, exec, s[6:7]
	s_and_saveexec_b64 s[6:7], s[4:5]
	s_cbranch_execz .LBB2_28805
; %bb.50443:
	s_getpc_b64 s[14:15]
.Lpost_getpc28805:
	s_add_u32 s14, s14, (.LBB2_267-.Lpost_getpc28805)&4294967295
	s_addc_u32 s15, s15, (.LBB2_267-.Lpost_getpc28805)>>32
	s_setpc_b64 s[14:15]
.LBB2_28805:
	s_getpc_b64 s[14:15]
.Lpost_getpc17986:
	s_add_u32 s14, s14, (.LBB2_268-.Lpost_getpc17986)&4294967295
	s_addc_u32 s15, s15, (.LBB2_268-.Lpost_getpc17986)>>32
	s_setpc_b64 s[14:15]
.LBB2_14605:
	s_movk_i32 s4, 0x80
	v_cmp_eq_u16_sdwa s[12:13], v13, s4 src0_sel:BYTE_0 src1_sel:DWORD
	s_mov_b64 s[4:5], -1
                                        ; implicit-def: $sgpr10
	s_and_saveexec_b64 s[8:9], s[12:13]
; %bb.14606:
	s_mov_b32 s10, 0x7f800001
	s_xor_b64 s[4:5], exec, -1
; %bb.14607:
	s_or_b64 exec, exec, s[8:9]
	s_and_b64 s[4:5], s[4:5], exec
	s_or_saveexec_b64 s[6:7], s[6:7]
	v_mov_b32_e32 v14, s10
	s_xor_b64 exec, exec, s[6:7]
	s_cbranch_execnz .LBB2_14608
; %bb.50445:
	s_getpc_b64 s[14:15]
.Lpost_getpc28806:
	s_add_u32 s14, s14, (.LBB2_270-.Lpost_getpc28806)&4294967295
	s_addc_u32 s15, s15, (.LBB2_270-.Lpost_getpc28806)>>32
	s_setpc_b64 s[14:15]
.LBB2_14608:
	v_mov_b32_e32 v14, 0
	v_cmp_ne_u16_sdwa s[8:9], v13, v14 src0_sel:BYTE_0 src1_sel:DWORD
	s_andn2_b64 s[4:5], s[4:5], exec
	s_and_b64 s[8:9], s[8:9], exec
	s_or_b64 s[4:5], s[4:5], s[8:9]
	s_or_b64 exec, exec, s[6:7]
	s_and_saveexec_b64 s[6:7], s[4:5]
	s_cbranch_execz .LBB2_28807
; %bb.50447:
	s_getpc_b64 s[14:15]
.Lpost_getpc28807:
	s_add_u32 s14, s14, (.LBB2_271-.Lpost_getpc28807)&4294967295
	s_addc_u32 s15, s15, (.LBB2_271-.Lpost_getpc28807)>>32
	s_setpc_b64 s[14:15]
.LBB2_28807:
	s_getpc_b64 s[14:15]
.Lpost_getpc17987:
	s_add_u32 s14, s14, (.LBB2_272-.Lpost_getpc17987)&4294967295
	s_addc_u32 s15, s15, (.LBB2_272-.Lpost_getpc17987)>>32
	s_setpc_b64 s[14:15]
.LBB2_14609:
	s_movk_i32 s4, 0x80
	v_cmp_eq_u16_e32 vcc, s4, v13
	s_mov_b64 s[4:5], -1
                                        ; implicit-def: $sgpr10
	s_and_saveexec_b64 s[8:9], vcc
; %bb.14610:
	s_mov_b32 s10, 0x7f800001
	s_xor_b64 s[4:5], exec, -1
; %bb.14611:
	s_or_b64 exec, exec, s[8:9]
	s_and_b64 s[4:5], s[4:5], exec
                                        ; implicit-def: $vgpr13
	s_or_saveexec_b64 s[6:7], s[6:7]
	v_mov_b32_e32 v12, s10
	s_xor_b64 exec, exec, s[6:7]
	s_cbranch_execnz .LBB2_14612
; %bb.50449:
	s_getpc_b64 s[14:15]
.Lpost_getpc28808:
	s_add_u32 s14, s14, (.LBB2_274-.Lpost_getpc28808)&4294967295
	s_addc_u32 s15, s15, (.LBB2_274-.Lpost_getpc28808)>>32
	s_setpc_b64 s[14:15]
.LBB2_14612:
	v_cmp_ne_u16_e32 vcc, 0, v13
	s_andn2_b64 s[4:5], s[4:5], exec
	s_and_b64 s[8:9], vcc, exec
	v_mov_b32_e32 v12, 0
	s_or_b64 s[4:5], s[4:5], s[8:9]
	s_or_b64 exec, exec, s[6:7]
	s_and_saveexec_b64 s[6:7], s[4:5]
	s_cbranch_execz .LBB2_28809
; %bb.50451:
	s_getpc_b64 s[14:15]
.Lpost_getpc28809:
	s_add_u32 s14, s14, (.LBB2_275-.Lpost_getpc28809)&4294967295
	s_addc_u32 s15, s15, (.LBB2_275-.Lpost_getpc28809)>>32
	s_setpc_b64 s[14:15]
.LBB2_28809:
	s_getpc_b64 s[14:15]
.Lpost_getpc17988:
	s_add_u32 s14, s14, (.LBB2_276-.Lpost_getpc17988)&4294967295
	s_addc_u32 s15, s15, (.LBB2_276-.Lpost_getpc17988)>>32
	s_setpc_b64 s[14:15]
.LBB2_14613:
	s_movk_i32 s4, 0x80
	v_cmp_eq_u16_e32 vcc, s4, v13
	s_mov_b64 s[4:5], -1
                                        ; implicit-def: $sgpr10
	s_and_saveexec_b64 s[8:9], vcc
; %bb.14614:
	s_mov_b32 s10, 0x7f800001
	s_xor_b64 s[4:5], exec, -1
; %bb.14615:
	s_or_b64 exec, exec, s[8:9]
	s_and_b64 s[4:5], s[4:5], exec
                                        ; implicit-def: $vgpr13
	s_or_saveexec_b64 s[6:7], s[6:7]
	v_mov_b32_e32 v14, s10
	s_xor_b64 exec, exec, s[6:7]
	s_cbranch_execnz .LBB2_14616
; %bb.50453:
	s_getpc_b64 s[14:15]
.Lpost_getpc28810:
	s_add_u32 s14, s14, (.LBB2_278-.Lpost_getpc28810)&4294967295
	s_addc_u32 s15, s15, (.LBB2_278-.Lpost_getpc28810)>>32
	s_setpc_b64 s[14:15]
.LBB2_14616:
	v_cmp_ne_u16_e32 vcc, 0, v13
	s_andn2_b64 s[4:5], s[4:5], exec
	s_and_b64 s[8:9], vcc, exec
	v_mov_b32_e32 v14, 0
	s_or_b64 s[4:5], s[4:5], s[8:9]
	s_or_b64 exec, exec, s[6:7]
	s_and_saveexec_b64 s[6:7], s[4:5]
	s_cbranch_execz .LBB2_28811
; %bb.50455:
	s_getpc_b64 s[14:15]
.Lpost_getpc28811:
	s_add_u32 s14, s14, (.LBB2_279-.Lpost_getpc28811)&4294967295
	s_addc_u32 s15, s15, (.LBB2_279-.Lpost_getpc28811)>>32
	s_setpc_b64 s[14:15]
.LBB2_28811:
	s_getpc_b64 s[14:15]
.Lpost_getpc17989:
	s_add_u32 s14, s14, (.LBB2_280-.Lpost_getpc17989)&4294967295
	s_addc_u32 s15, s15, (.LBB2_280-.Lpost_getpc17989)>>32
	s_setpc_b64 s[14:15]
.LBB2_14617:
	s_movk_i32 s4, 0x80
	v_cmp_eq_u16_sdwa s[12:13], v6, s4 src0_sel:BYTE_3 src1_sel:DWORD
	s_mov_b64 s[4:5], -1
                                        ; implicit-def: $sgpr10
	s_and_saveexec_b64 s[8:9], s[12:13]
; %bb.14618:
	s_mov_b32 s10, 0x7f800001
	s_xor_b64 s[4:5], exec, -1
; %bb.14619:
	s_or_b64 exec, exec, s[8:9]
	s_and_b64 s[4:5], s[4:5], exec
	s_or_saveexec_b64 s[6:7], s[6:7]
	v_mov_b32_e32 v12, s10
	s_xor_b64 exec, exec, s[6:7]
	s_cbranch_execnz .LBB2_14620
; %bb.50457:
	s_getpc_b64 s[14:15]
.Lpost_getpc28812:
	s_add_u32 s14, s14, (.LBB2_282-.Lpost_getpc28812)&4294967295
	s_addc_u32 s15, s15, (.LBB2_282-.Lpost_getpc28812)>>32
	s_setpc_b64 s[14:15]
.LBB2_14620:
	v_mov_b32_e32 v12, 0
	v_cmp_ne_u16_sdwa s[8:9], v6, v12 src0_sel:BYTE_3 src1_sel:DWORD
	s_andn2_b64 s[4:5], s[4:5], exec
	s_and_b64 s[8:9], s[8:9], exec
	s_or_b64 s[4:5], s[4:5], s[8:9]
	s_or_b64 exec, exec, s[6:7]
	s_and_saveexec_b64 s[6:7], s[4:5]
	s_cbranch_execz .LBB2_28813
; %bb.50459:
	s_getpc_b64 s[14:15]
.Lpost_getpc28813:
	s_add_u32 s14, s14, (.LBB2_283-.Lpost_getpc28813)&4294967295
	s_addc_u32 s15, s15, (.LBB2_283-.Lpost_getpc28813)>>32
	s_setpc_b64 s[14:15]
.LBB2_28813:
	s_getpc_b64 s[14:15]
.Lpost_getpc17990:
	s_add_u32 s14, s14, (.LBB2_284-.Lpost_getpc17990)&4294967295
	s_addc_u32 s15, s15, (.LBB2_284-.Lpost_getpc17990)>>32
	s_setpc_b64 s[14:15]
.LBB2_14621:
	s_movk_i32 s4, 0x80
	v_cmp_eq_u16_sdwa s[12:13], v2, s4 src0_sel:BYTE_3 src1_sel:DWORD
	s_mov_b64 s[4:5], -1
                                        ; implicit-def: $sgpr10
	s_and_saveexec_b64 s[8:9], s[12:13]
; %bb.14622:
	s_mov_b32 s10, 0x7f800001
	s_xor_b64 s[4:5], exec, -1
; %bb.14623:
	s_or_b64 exec, exec, s[8:9]
	s_and_b64 s[4:5], s[4:5], exec
	s_or_saveexec_b64 s[6:7], s[6:7]
	v_mov_b32_e32 v6, s10
	s_xor_b64 exec, exec, s[6:7]
	s_cbranch_execnz .LBB2_14624
; %bb.50461:
	s_getpc_b64 s[14:15]
.Lpost_getpc28814:
	s_add_u32 s14, s14, (.LBB2_286-.Lpost_getpc28814)&4294967295
	s_addc_u32 s15, s15, (.LBB2_286-.Lpost_getpc28814)>>32
	s_setpc_b64 s[14:15]
.LBB2_14624:
	v_mov_b32_e32 v6, 0
	v_cmp_ne_u16_sdwa s[8:9], v2, v6 src0_sel:BYTE_3 src1_sel:DWORD
	s_andn2_b64 s[4:5], s[4:5], exec
	s_and_b64 s[8:9], s[8:9], exec
	s_or_b64 s[4:5], s[4:5], s[8:9]
	s_or_b64 exec, exec, s[6:7]
	s_and_saveexec_b64 s[6:7], s[4:5]
	s_cbranch_execz .LBB2_28815
; %bb.50463:
	s_getpc_b64 s[14:15]
.Lpost_getpc28815:
	s_add_u32 s14, s14, (.LBB2_287-.Lpost_getpc28815)&4294967295
	s_addc_u32 s15, s15, (.LBB2_287-.Lpost_getpc28815)>>32
	s_setpc_b64 s[14:15]
.LBB2_28815:
	s_getpc_b64 s[14:15]
.Lpost_getpc17991:
	s_add_u32 s14, s14, (.LBB2_288-.Lpost_getpc17991)&4294967295
	s_addc_u32 s15, s15, (.LBB2_288-.Lpost_getpc17991)>>32
	s_setpc_b64 s[14:15]
.LBB2_14625:
	s_movk_i32 s4, 0x80
	v_cmp_eq_u16_sdwa s[12:13], v7, s4 src0_sel:BYTE_0 src1_sel:DWORD
	s_mov_b64 s[4:5], -1
                                        ; implicit-def: $sgpr10
	s_and_saveexec_b64 s[8:9], s[12:13]
; %bb.14626:
	s_mov_b32 s10, 0x7f800001
	s_xor_b64 s[4:5], exec, -1
; %bb.14627:
	s_or_b64 exec, exec, s[8:9]
	s_and_b64 s[4:5], s[4:5], exec
	s_or_saveexec_b64 s[6:7], s[6:7]
	v_mov_b32_e32 v2, s10
	s_xor_b64 exec, exec, s[6:7]
	s_cbranch_execnz .LBB2_14628
; %bb.50465:
	s_getpc_b64 s[14:15]
.Lpost_getpc28816:
	s_add_u32 s14, s14, (.LBB2_290-.Lpost_getpc28816)&4294967295
	s_addc_u32 s15, s15, (.LBB2_290-.Lpost_getpc28816)>>32
	s_setpc_b64 s[14:15]
.LBB2_14628:
	v_mov_b32_e32 v2, 0
	v_cmp_ne_u16_sdwa s[8:9], v7, v2 src0_sel:BYTE_0 src1_sel:DWORD
	s_andn2_b64 s[4:5], s[4:5], exec
	s_and_b64 s[8:9], s[8:9], exec
	s_or_b64 s[4:5], s[4:5], s[8:9]
	s_or_b64 exec, exec, s[6:7]
	s_and_saveexec_b64 s[6:7], s[4:5]
	s_cbranch_execz .LBB2_28817
; %bb.50467:
	s_getpc_b64 s[14:15]
.Lpost_getpc28817:
	s_add_u32 s14, s14, (.LBB2_291-.Lpost_getpc28817)&4294967295
	s_addc_u32 s15, s15, (.LBB2_291-.Lpost_getpc28817)>>32
	s_setpc_b64 s[14:15]
.LBB2_28817:
	s_getpc_b64 s[14:15]
.Lpost_getpc17992:
	s_add_u32 s14, s14, (.LBB2_292-.Lpost_getpc17992)&4294967295
	s_addc_u32 s15, s15, (.LBB2_292-.Lpost_getpc17992)>>32
	s_setpc_b64 s[14:15]
.LBB2_14629:
	s_movk_i32 s4, 0x80
	v_cmp_eq_u16_sdwa s[12:13], v3, s4 src0_sel:BYTE_0 src1_sel:DWORD
	s_mov_b64 s[4:5], -1
                                        ; implicit-def: $sgpr10
	s_and_saveexec_b64 s[8:9], s[12:13]
; %bb.14630:
	s_mov_b32 s10, 0x7f800001
	s_xor_b64 s[4:5], exec, -1
; %bb.14631:
	s_or_b64 exec, exec, s[8:9]
	s_and_b64 s[4:5], s[4:5], exec
	s_or_saveexec_b64 s[6:7], s[6:7]
	v_mov_b32_e32 v6, s10
	s_xor_b64 exec, exec, s[6:7]
	s_cbranch_execnz .LBB2_14632
; %bb.50469:
	s_getpc_b64 s[14:15]
.Lpost_getpc28818:
	s_add_u32 s14, s14, (.LBB2_294-.Lpost_getpc28818)&4294967295
	s_addc_u32 s15, s15, (.LBB2_294-.Lpost_getpc28818)>>32
	s_setpc_b64 s[14:15]
.LBB2_14632:
	v_mov_b32_e32 v6, 0
	v_cmp_ne_u16_sdwa s[8:9], v3, v6 src0_sel:BYTE_0 src1_sel:DWORD
	s_andn2_b64 s[4:5], s[4:5], exec
	s_and_b64 s[8:9], s[8:9], exec
	s_or_b64 s[4:5], s[4:5], s[8:9]
	s_or_b64 exec, exec, s[6:7]
	s_and_saveexec_b64 s[6:7], s[4:5]
	s_cbranch_execz .LBB2_28819
; %bb.50471:
	s_getpc_b64 s[14:15]
.Lpost_getpc28819:
	s_add_u32 s14, s14, (.LBB2_295-.Lpost_getpc28819)&4294967295
	s_addc_u32 s15, s15, (.LBB2_295-.Lpost_getpc28819)>>32
	s_setpc_b64 s[14:15]
.LBB2_28819:
	s_getpc_b64 s[14:15]
.Lpost_getpc17993:
	s_add_u32 s14, s14, (.LBB2_296-.Lpost_getpc17993)&4294967295
	s_addc_u32 s15, s15, (.LBB2_296-.Lpost_getpc17993)>>32
	s_setpc_b64 s[14:15]
.LBB2_14633:
	s_movk_i32 s4, 0x80
	v_cmp_eq_u16_sdwa s[12:13], v6, s4 src0_sel:BYTE_0 src1_sel:DWORD
	s_mov_b64 s[4:5], -1
                                        ; implicit-def: $sgpr10
	s_and_saveexec_b64 s[8:9], s[12:13]
; %bb.14634:
	s_mov_b32 s10, 0x7f800001
	s_xor_b64 s[4:5], exec, -1
; %bb.14635:
	s_or_b64 exec, exec, s[8:9]
	s_and_b64 s[4:5], s[4:5], exec
	s_or_saveexec_b64 s[6:7], s[6:7]
	v_mov_b32_e32 v2, s10
	s_xor_b64 exec, exec, s[6:7]
	s_cbranch_execnz .LBB2_14636
; %bb.50473:
	s_getpc_b64 s[14:15]
.Lpost_getpc28820:
	s_add_u32 s14, s14, (.LBB2_298-.Lpost_getpc28820)&4294967295
	s_addc_u32 s15, s15, (.LBB2_298-.Lpost_getpc28820)>>32
	s_setpc_b64 s[14:15]
.LBB2_14636:
	v_mov_b32_e32 v2, 0
	v_cmp_ne_u16_sdwa s[8:9], v6, v2 src0_sel:BYTE_0 src1_sel:DWORD
	s_andn2_b64 s[4:5], s[4:5], exec
	s_and_b64 s[8:9], s[8:9], exec
	s_or_b64 s[4:5], s[4:5], s[8:9]
	s_or_b64 exec, exec, s[6:7]
	s_and_saveexec_b64 s[6:7], s[4:5]
	s_cbranch_execz .LBB2_28821
; %bb.50475:
	s_getpc_b64 s[14:15]
.Lpost_getpc28821:
	s_add_u32 s14, s14, (.LBB2_299-.Lpost_getpc28821)&4294967295
	s_addc_u32 s15, s15, (.LBB2_299-.Lpost_getpc28821)>>32
	s_setpc_b64 s[14:15]
.LBB2_28821:
	s_getpc_b64 s[14:15]
.Lpost_getpc17994:
	s_add_u32 s14, s14, (.LBB2_300-.Lpost_getpc17994)&4294967295
	s_addc_u32 s15, s15, (.LBB2_300-.Lpost_getpc17994)>>32
	s_setpc_b64 s[14:15]
.LBB2_14637:
	s_movk_i32 s4, 0x80
	v_cmp_eq_u16_sdwa s[12:13], v6, s4 src0_sel:BYTE_0 src1_sel:DWORD
	s_mov_b64 s[4:5], -1
                                        ; implicit-def: $sgpr10
	s_and_saveexec_b64 s[8:9], s[12:13]
; %bb.14638:
	s_mov_b32 s10, 0x7f800001
	s_xor_b64 s[4:5], exec, -1
; %bb.14639:
	s_or_b64 exec, exec, s[8:9]
	s_and_b64 s[4:5], s[4:5], exec
	s_or_saveexec_b64 s[6:7], s[6:7]
	v_mov_b32_e32 v12, s10
	s_xor_b64 exec, exec, s[6:7]
	s_cbranch_execnz .LBB2_14640
; %bb.50477:
	s_getpc_b64 s[14:15]
.Lpost_getpc28822:
	s_add_u32 s14, s14, (.LBB2_302-.Lpost_getpc28822)&4294967295
	s_addc_u32 s15, s15, (.LBB2_302-.Lpost_getpc28822)>>32
	s_setpc_b64 s[14:15]
.LBB2_14640:
	v_mov_b32_e32 v12, 0
	v_cmp_ne_u16_sdwa s[8:9], v6, v12 src0_sel:BYTE_0 src1_sel:DWORD
	s_andn2_b64 s[4:5], s[4:5], exec
	s_and_b64 s[8:9], s[8:9], exec
	s_or_b64 s[4:5], s[4:5], s[8:9]
	s_or_b64 exec, exec, s[6:7]
	s_and_saveexec_b64 s[6:7], s[4:5]
	s_cbranch_execz .LBB2_28823
; %bb.50479:
	s_getpc_b64 s[14:15]
.Lpost_getpc28823:
	s_add_u32 s14, s14, (.LBB2_303-.Lpost_getpc28823)&4294967295
	s_addc_u32 s15, s15, (.LBB2_303-.Lpost_getpc28823)>>32
	s_setpc_b64 s[14:15]
.LBB2_28823:
	s_getpc_b64 s[14:15]
.Lpost_getpc17995:
	s_add_u32 s14, s14, (.LBB2_304-.Lpost_getpc17995)&4294967295
	s_addc_u32 s15, s15, (.LBB2_304-.Lpost_getpc17995)>>32
	s_setpc_b64 s[14:15]
.LBB2_14641:
	s_movk_i32 s4, 0x80
	v_cmp_eq_u16_e32 vcc, s4, v6
	s_mov_b64 s[4:5], -1
                                        ; implicit-def: $sgpr10
	s_and_saveexec_b64 s[8:9], vcc
; %bb.14642:
	s_mov_b32 s10, 0x7f800001
	s_xor_b64 s[4:5], exec, -1
; %bb.14643:
	s_or_b64 exec, exec, s[8:9]
	s_and_b64 s[4:5], s[4:5], exec
                                        ; implicit-def: $vgpr6
	s_or_saveexec_b64 s[6:7], s[6:7]
	v_mov_b32_e32 v2, s10
	s_xor_b64 exec, exec, s[6:7]
	s_cbranch_execnz .LBB2_14644
; %bb.50481:
	s_getpc_b64 s[14:15]
.Lpost_getpc28824:
	s_add_u32 s14, s14, (.LBB2_306-.Lpost_getpc28824)&4294967295
	s_addc_u32 s15, s15, (.LBB2_306-.Lpost_getpc28824)>>32
	s_setpc_b64 s[14:15]
.LBB2_14644:
	v_cmp_ne_u16_e32 vcc, 0, v6
	s_andn2_b64 s[4:5], s[4:5], exec
	s_and_b64 s[8:9], vcc, exec
	v_mov_b32_e32 v2, 0
	s_or_b64 s[4:5], s[4:5], s[8:9]
	s_or_b64 exec, exec, s[6:7]
	s_and_saveexec_b64 s[6:7], s[4:5]
	s_cbranch_execz .LBB2_28825
; %bb.50483:
	s_getpc_b64 s[14:15]
.Lpost_getpc28825:
	s_add_u32 s14, s14, (.LBB2_307-.Lpost_getpc28825)&4294967295
	s_addc_u32 s15, s15, (.LBB2_307-.Lpost_getpc28825)>>32
	s_setpc_b64 s[14:15]
.LBB2_28825:
	s_getpc_b64 s[14:15]
.Lpost_getpc17996:
	s_add_u32 s14, s14, (.LBB2_308-.Lpost_getpc17996)&4294967295
	s_addc_u32 s15, s15, (.LBB2_308-.Lpost_getpc17996)>>32
	s_setpc_b64 s[14:15]
.LBB2_14645:
	s_movk_i32 s4, 0x80
	v_cmp_eq_u16_e32 vcc, s4, v6
	s_mov_b64 s[4:5], -1
                                        ; implicit-def: $sgpr10
	s_and_saveexec_b64 s[8:9], vcc
; %bb.14646:
	s_mov_b32 s10, 0x7f800001
	s_xor_b64 s[4:5], exec, -1
; %bb.14647:
	s_or_b64 exec, exec, s[8:9]
	s_and_b64 s[4:5], s[4:5], exec
                                        ; implicit-def: $vgpr6
	s_or_saveexec_b64 s[6:7], s[6:7]
	v_mov_b32_e32 v12, s10
	s_xor_b64 exec, exec, s[6:7]
	s_cbranch_execnz .LBB2_14648
; %bb.50485:
	s_getpc_b64 s[14:15]
.Lpost_getpc28826:
	s_add_u32 s14, s14, (.LBB2_310-.Lpost_getpc28826)&4294967295
	s_addc_u32 s15, s15, (.LBB2_310-.Lpost_getpc28826)>>32
	s_setpc_b64 s[14:15]
.LBB2_14648:
	v_cmp_ne_u16_e32 vcc, 0, v6
	s_andn2_b64 s[4:5], s[4:5], exec
	s_and_b64 s[8:9], vcc, exec
	v_mov_b32_e32 v12, 0
	s_or_b64 s[4:5], s[4:5], s[8:9]
	s_or_b64 exec, exec, s[6:7]
	s_and_saveexec_b64 s[6:7], s[4:5]
	s_cbranch_execz .LBB2_28827
; %bb.50487:
	s_getpc_b64 s[14:15]
.Lpost_getpc28827:
	s_add_u32 s14, s14, (.LBB2_311-.Lpost_getpc28827)&4294967295
	s_addc_u32 s15, s15, (.LBB2_311-.Lpost_getpc28827)>>32
	s_setpc_b64 s[14:15]
.LBB2_28827:
	s_getpc_b64 s[14:15]
.Lpost_getpc17997:
	s_add_u32 s14, s14, (.LBB2_312-.Lpost_getpc17997)&4294967295
	s_addc_u32 s15, s15, (.LBB2_312-.Lpost_getpc17997)>>32
	s_setpc_b64 s[14:15]
.LBB2_14649:
	s_movk_i32 s4, 0x80
	v_cmp_eq_u16_sdwa s[12:13], v7, s4 src0_sel:BYTE_3 src1_sel:DWORD
	s_mov_b64 s[4:5], -1
                                        ; implicit-def: $sgpr10
	s_and_saveexec_b64 s[8:9], s[12:13]
; %bb.14650:
	s_mov_b32 s10, 0x7f800001
	s_xor_b64 s[4:5], exec, -1
; %bb.14651:
	s_or_b64 exec, exec, s[8:9]
	s_and_b64 s[4:5], s[4:5], exec
	s_or_saveexec_b64 s[6:7], s[6:7]
	v_mov_b32_e32 v2, s10
	s_xor_b64 exec, exec, s[6:7]
	s_cbranch_execnz .LBB2_14652
; %bb.50489:
	s_getpc_b64 s[14:15]
.Lpost_getpc28828:
	s_add_u32 s14, s14, (.LBB2_314-.Lpost_getpc28828)&4294967295
	s_addc_u32 s15, s15, (.LBB2_314-.Lpost_getpc28828)>>32
	s_setpc_b64 s[14:15]
.LBB2_14652:
	v_mov_b32_e32 v2, 0
	v_cmp_ne_u16_sdwa s[8:9], v7, v2 src0_sel:BYTE_3 src1_sel:DWORD
	s_andn2_b64 s[4:5], s[4:5], exec
	s_and_b64 s[8:9], s[8:9], exec
	s_or_b64 s[4:5], s[4:5], s[8:9]
	s_or_b64 exec, exec, s[6:7]
	s_and_saveexec_b64 s[6:7], s[4:5]
	s_cbranch_execz .LBB2_28829
; %bb.50491:
	s_getpc_b64 s[14:15]
.Lpost_getpc28829:
	s_add_u32 s14, s14, (.LBB2_315-.Lpost_getpc28829)&4294967295
	s_addc_u32 s15, s15, (.LBB2_315-.Lpost_getpc28829)>>32
	s_setpc_b64 s[14:15]
.LBB2_28829:
	s_getpc_b64 s[14:15]
.Lpost_getpc17998:
	s_add_u32 s14, s14, (.LBB2_316-.Lpost_getpc17998)&4294967295
	s_addc_u32 s15, s15, (.LBB2_316-.Lpost_getpc17998)>>32
	s_setpc_b64 s[14:15]
.LBB2_14653:
	s_movk_i32 s4, 0x80
	v_cmp_eq_u16_sdwa s[12:13], v3, s4 src0_sel:BYTE_3 src1_sel:DWORD
	s_mov_b64 s[4:5], -1
                                        ; implicit-def: $sgpr10
	s_and_saveexec_b64 s[8:9], s[12:13]
; %bb.14654:
	s_mov_b32 s10, 0x7f800001
	s_xor_b64 s[4:5], exec, -1
; %bb.14655:
	s_or_b64 exec, exec, s[8:9]
	s_and_b64 s[4:5], s[4:5], exec
	s_or_saveexec_b64 s[6:7], s[6:7]
	v_mov_b32_e32 v6, s10
	s_xor_b64 exec, exec, s[6:7]
	s_cbranch_execnz .LBB2_14656
; %bb.50493:
	s_getpc_b64 s[14:15]
.Lpost_getpc28830:
	s_add_u32 s14, s14, (.LBB2_318-.Lpost_getpc28830)&4294967295
	s_addc_u32 s15, s15, (.LBB2_318-.Lpost_getpc28830)>>32
	s_setpc_b64 s[14:15]
.LBB2_14656:
	v_mov_b32_e32 v6, 0
	v_cmp_ne_u16_sdwa s[8:9], v3, v6 src0_sel:BYTE_3 src1_sel:DWORD
	s_andn2_b64 s[4:5], s[4:5], exec
	s_and_b64 s[8:9], s[8:9], exec
	s_or_b64 s[4:5], s[4:5], s[8:9]
	s_or_b64 exec, exec, s[6:7]
	s_and_saveexec_b64 s[6:7], s[4:5]
	s_cbranch_execz .LBB2_28831
; %bb.50495:
	s_getpc_b64 s[14:15]
.Lpost_getpc28831:
	s_add_u32 s14, s14, (.LBB2_319-.Lpost_getpc28831)&4294967295
	s_addc_u32 s15, s15, (.LBB2_319-.Lpost_getpc28831)>>32
	s_setpc_b64 s[14:15]
.LBB2_28831:
	s_getpc_b64 s[14:15]
.Lpost_getpc17999:
	s_add_u32 s14, s14, (.LBB2_320-.Lpost_getpc17999)&4294967295
	s_addc_u32 s15, s15, (.LBB2_320-.Lpost_getpc17999)>>32
	s_setpc_b64 s[14:15]
.LBB2_14657:
	s_movk_i32 s4, 0x80
	v_cmp_eq_u16_sdwa s[12:13], v8, s4 src0_sel:BYTE_0 src1_sel:DWORD
	s_mov_b64 s[4:5], -1
                                        ; implicit-def: $sgpr10
	s_and_saveexec_b64 s[8:9], s[12:13]
; %bb.14658:
	s_mov_b32 s10, 0x7f800001
	s_xor_b64 s[4:5], exec, -1
; %bb.14659:
	s_or_b64 exec, exec, s[8:9]
	s_and_b64 s[4:5], s[4:5], exec
	s_or_saveexec_b64 s[6:7], s[6:7]
	v_mov_b32_e32 v2, s10
	s_xor_b64 exec, exec, s[6:7]
	s_cbranch_execnz .LBB2_14660
; %bb.50497:
	s_getpc_b64 s[14:15]
.Lpost_getpc28832:
	s_add_u32 s14, s14, (.LBB2_322-.Lpost_getpc28832)&4294967295
	s_addc_u32 s15, s15, (.LBB2_322-.Lpost_getpc28832)>>32
	s_setpc_b64 s[14:15]
.LBB2_14660:
	v_mov_b32_e32 v2, 0
	v_cmp_ne_u16_sdwa s[8:9], v8, v2 src0_sel:BYTE_0 src1_sel:DWORD
	s_andn2_b64 s[4:5], s[4:5], exec
	s_and_b64 s[8:9], s[8:9], exec
	s_or_b64 s[4:5], s[4:5], s[8:9]
	s_or_b64 exec, exec, s[6:7]
	s_and_saveexec_b64 s[6:7], s[4:5]
	s_cbranch_execz .LBB2_28833
; %bb.50499:
	s_getpc_b64 s[14:15]
.Lpost_getpc28833:
	s_add_u32 s14, s14, (.LBB2_323-.Lpost_getpc28833)&4294967295
	s_addc_u32 s15, s15, (.LBB2_323-.Lpost_getpc28833)>>32
	s_setpc_b64 s[14:15]
.LBB2_28833:
	s_getpc_b64 s[14:15]
.Lpost_getpc18000:
	s_add_u32 s14, s14, (.LBB2_324-.Lpost_getpc18000)&4294967295
	s_addc_u32 s15, s15, (.LBB2_324-.Lpost_getpc18000)>>32
	s_setpc_b64 s[14:15]
.LBB2_14661:
	s_movk_i32 s4, 0x80
	v_cmp_eq_u16_sdwa s[12:13], v4, s4 src0_sel:BYTE_0 src1_sel:DWORD
	s_mov_b64 s[4:5], -1
                                        ; implicit-def: $sgpr10
	s_and_saveexec_b64 s[8:9], s[12:13]
; %bb.14662:
	s_mov_b32 s10, 0x7f800001
	s_xor_b64 s[4:5], exec, -1
; %bb.14663:
	s_or_b64 exec, exec, s[8:9]
	s_and_b64 s[4:5], s[4:5], exec
	s_or_saveexec_b64 s[6:7], s[6:7]
	v_mov_b32_e32 v3, s10
	s_xor_b64 exec, exec, s[6:7]
	s_cbranch_execnz .LBB2_14664
; %bb.50501:
	s_getpc_b64 s[14:15]
.Lpost_getpc28834:
	s_add_u32 s14, s14, (.LBB2_326-.Lpost_getpc28834)&4294967295
	s_addc_u32 s15, s15, (.LBB2_326-.Lpost_getpc28834)>>32
	s_setpc_b64 s[14:15]
.LBB2_14664:
	v_mov_b32_e32 v3, 0
	v_cmp_ne_u16_sdwa s[8:9], v4, v3 src0_sel:BYTE_0 src1_sel:DWORD
	s_andn2_b64 s[4:5], s[4:5], exec
	s_and_b64 s[8:9], s[8:9], exec
	s_or_b64 s[4:5], s[4:5], s[8:9]
	s_or_b64 exec, exec, s[6:7]
	s_and_saveexec_b64 s[6:7], s[4:5]
	s_cbranch_execz .LBB2_28835
; %bb.50503:
	s_getpc_b64 s[14:15]
.Lpost_getpc28835:
	s_add_u32 s14, s14, (.LBB2_327-.Lpost_getpc28835)&4294967295
	s_addc_u32 s15, s15, (.LBB2_327-.Lpost_getpc28835)>>32
	s_setpc_b64 s[14:15]
.LBB2_28835:
	s_getpc_b64 s[14:15]
.Lpost_getpc18001:
	s_add_u32 s14, s14, (.LBB2_328-.Lpost_getpc18001)&4294967295
	s_addc_u32 s15, s15, (.LBB2_328-.Lpost_getpc18001)>>32
	s_setpc_b64 s[14:15]
.LBB2_14665:
	s_movk_i32 s4, 0x80
	v_cmp_eq_u16_sdwa s[12:13], v3, s4 src0_sel:BYTE_0 src1_sel:DWORD
	s_mov_b64 s[4:5], -1
                                        ; implicit-def: $sgpr10
	s_and_saveexec_b64 s[8:9], s[12:13]
; %bb.14666:
	s_mov_b32 s10, 0x7f800001
	s_xor_b64 s[4:5], exec, -1
; %bb.14667:
	s_or_b64 exec, exec, s[8:9]
	s_and_b64 s[4:5], s[4:5], exec
	s_or_saveexec_b64 s[6:7], s[6:7]
	v_mov_b32_e32 v2, s10
	s_xor_b64 exec, exec, s[6:7]
	s_cbranch_execnz .LBB2_14668
; %bb.50505:
	s_getpc_b64 s[14:15]
.Lpost_getpc28836:
	s_add_u32 s14, s14, (.LBB2_330-.Lpost_getpc28836)&4294967295
	s_addc_u32 s15, s15, (.LBB2_330-.Lpost_getpc28836)>>32
	s_setpc_b64 s[14:15]
.LBB2_14668:
	v_mov_b32_e32 v2, 0
	v_cmp_ne_u16_sdwa s[8:9], v3, v2 src0_sel:BYTE_0 src1_sel:DWORD
	s_andn2_b64 s[4:5], s[4:5], exec
	s_and_b64 s[8:9], s[8:9], exec
	s_or_b64 s[4:5], s[4:5], s[8:9]
	s_or_b64 exec, exec, s[6:7]
	s_and_saveexec_b64 s[6:7], s[4:5]
	s_cbranch_execz .LBB2_28837
; %bb.50507:
	s_getpc_b64 s[14:15]
.Lpost_getpc28837:
	s_add_u32 s14, s14, (.LBB2_331-.Lpost_getpc28837)&4294967295
	s_addc_u32 s15, s15, (.LBB2_331-.Lpost_getpc28837)>>32
	s_setpc_b64 s[14:15]
.LBB2_28837:
	s_getpc_b64 s[14:15]
.Lpost_getpc18002:
	s_add_u32 s14, s14, (.LBB2_332-.Lpost_getpc18002)&4294967295
	s_addc_u32 s15, s15, (.LBB2_332-.Lpost_getpc18002)>>32
	s_setpc_b64 s[14:15]
.LBB2_14669:
	s_movk_i32 s4, 0x80
	v_cmp_eq_u16_sdwa s[12:13], v3, s4 src0_sel:BYTE_0 src1_sel:DWORD
	s_mov_b64 s[4:5], -1
                                        ; implicit-def: $sgpr10
	s_and_saveexec_b64 s[8:9], s[12:13]
; %bb.14670:
	s_mov_b32 s10, 0x7f800001
	s_xor_b64 s[4:5], exec, -1
; %bb.14671:
	s_or_b64 exec, exec, s[8:9]
	s_and_b64 s[4:5], s[4:5], exec
	s_or_saveexec_b64 s[6:7], s[6:7]
	v_mov_b32_e32 v6, s10
	s_xor_b64 exec, exec, s[6:7]
	s_cbranch_execnz .LBB2_14672
; %bb.50509:
	s_getpc_b64 s[14:15]
.Lpost_getpc28838:
	s_add_u32 s14, s14, (.LBB2_334-.Lpost_getpc28838)&4294967295
	s_addc_u32 s15, s15, (.LBB2_334-.Lpost_getpc28838)>>32
	s_setpc_b64 s[14:15]
.LBB2_14672:
	v_mov_b32_e32 v6, 0
	v_cmp_ne_u16_sdwa s[8:9], v3, v6 src0_sel:BYTE_0 src1_sel:DWORD
	s_andn2_b64 s[4:5], s[4:5], exec
	s_and_b64 s[8:9], s[8:9], exec
	s_or_b64 s[4:5], s[4:5], s[8:9]
	s_or_b64 exec, exec, s[6:7]
	s_and_saveexec_b64 s[6:7], s[4:5]
	s_cbranch_execz .LBB2_28839
; %bb.50511:
	s_getpc_b64 s[14:15]
.Lpost_getpc28839:
	s_add_u32 s14, s14, (.LBB2_335-.Lpost_getpc28839)&4294967295
	s_addc_u32 s15, s15, (.LBB2_335-.Lpost_getpc28839)>>32
	s_setpc_b64 s[14:15]
.LBB2_28839:
	s_getpc_b64 s[14:15]
.Lpost_getpc18003:
	s_add_u32 s14, s14, (.LBB2_336-.Lpost_getpc18003)&4294967295
	s_addc_u32 s15, s15, (.LBB2_336-.Lpost_getpc18003)>>32
	s_setpc_b64 s[14:15]
.LBB2_14673:
	s_movk_i32 s4, 0x80
	v_cmp_eq_u16_e32 vcc, s4, v3
	s_mov_b64 s[4:5], -1
                                        ; implicit-def: $sgpr10
	s_and_saveexec_b64 s[8:9], vcc
; %bb.14674:
	s_mov_b32 s10, 0x7f800001
	s_xor_b64 s[4:5], exec, -1
; %bb.14675:
	s_or_b64 exec, exec, s[8:9]
	s_and_b64 s[4:5], s[4:5], exec
                                        ; implicit-def: $vgpr3
	s_or_saveexec_b64 s[6:7], s[6:7]
	v_mov_b32_e32 v2, s10
	s_xor_b64 exec, exec, s[6:7]
	s_cbranch_execnz .LBB2_14676
; %bb.50513:
	s_getpc_b64 s[14:15]
.Lpost_getpc28840:
	s_add_u32 s14, s14, (.LBB2_338-.Lpost_getpc28840)&4294967295
	s_addc_u32 s15, s15, (.LBB2_338-.Lpost_getpc28840)>>32
	s_setpc_b64 s[14:15]
.LBB2_14676:
	v_cmp_ne_u16_e32 vcc, 0, v3
	s_andn2_b64 s[4:5], s[4:5], exec
	s_and_b64 s[8:9], vcc, exec
	v_mov_b32_e32 v2, 0
	s_or_b64 s[4:5], s[4:5], s[8:9]
	s_or_b64 exec, exec, s[6:7]
	s_and_saveexec_b64 s[6:7], s[4:5]
	s_cbranch_execz .LBB2_28841
; %bb.50515:
	s_getpc_b64 s[14:15]
.Lpost_getpc28841:
	s_add_u32 s14, s14, (.LBB2_339-.Lpost_getpc28841)&4294967295
	s_addc_u32 s15, s15, (.LBB2_339-.Lpost_getpc28841)>>32
	s_setpc_b64 s[14:15]
.LBB2_28841:
	s_getpc_b64 s[14:15]
.Lpost_getpc18004:
	s_add_u32 s14, s14, (.LBB2_340-.Lpost_getpc18004)&4294967295
	s_addc_u32 s15, s15, (.LBB2_340-.Lpost_getpc18004)>>32
	s_setpc_b64 s[14:15]
.LBB2_14677:
	s_movk_i32 s4, 0x80
	v_cmp_eq_u16_e32 vcc, s4, v3
	s_mov_b64 s[4:5], -1
                                        ; implicit-def: $sgpr10
	s_and_saveexec_b64 s[8:9], vcc
; %bb.14678:
	s_mov_b32 s10, 0x7f800001
	s_xor_b64 s[4:5], exec, -1
; %bb.14679:
	s_or_b64 exec, exec, s[8:9]
	s_and_b64 s[4:5], s[4:5], exec
                                        ; implicit-def: $vgpr3
	s_or_saveexec_b64 s[6:7], s[6:7]
	v_mov_b32_e32 v6, s10
	s_xor_b64 exec, exec, s[6:7]
	s_cbranch_execnz .LBB2_14680
; %bb.50517:
	s_getpc_b64 s[14:15]
.Lpost_getpc28842:
	s_add_u32 s14, s14, (.LBB2_342-.Lpost_getpc28842)&4294967295
	s_addc_u32 s15, s15, (.LBB2_342-.Lpost_getpc28842)>>32
	s_setpc_b64 s[14:15]
.LBB2_14680:
	v_cmp_ne_u16_e32 vcc, 0, v3
	s_andn2_b64 s[4:5], s[4:5], exec
	s_and_b64 s[8:9], vcc, exec
	v_mov_b32_e32 v6, 0
	s_or_b64 s[4:5], s[4:5], s[8:9]
	s_or_b64 exec, exec, s[6:7]
	s_and_saveexec_b64 s[6:7], s[4:5]
	s_cbranch_execz .LBB2_28843
; %bb.50519:
	s_getpc_b64 s[14:15]
.Lpost_getpc28843:
	s_add_u32 s14, s14, (.LBB2_343-.Lpost_getpc28843)&4294967295
	s_addc_u32 s15, s15, (.LBB2_343-.Lpost_getpc28843)>>32
	s_setpc_b64 s[14:15]
.LBB2_28843:
	s_getpc_b64 s[14:15]
.Lpost_getpc18005:
	s_add_u32 s14, s14, (.LBB2_344-.Lpost_getpc18005)&4294967295
	s_addc_u32 s15, s15, (.LBB2_344-.Lpost_getpc18005)>>32
	s_setpc_b64 s[14:15]
.LBB2_14681:
	s_movk_i32 s4, 0x80
	v_cmp_eq_u16_sdwa s[12:13], v8, s4 src0_sel:BYTE_3 src1_sel:DWORD
	s_mov_b64 s[4:5], -1
                                        ; implicit-def: $sgpr10
	s_and_saveexec_b64 s[8:9], s[12:13]
; %bb.14682:
	s_mov_b32 s10, 0x7f800001
	s_xor_b64 s[4:5], exec, -1
; %bb.14683:
	s_or_b64 exec, exec, s[8:9]
	s_and_b64 s[4:5], s[4:5], exec
	s_or_saveexec_b64 s[6:7], s[6:7]
	v_mov_b32_e32 v2, s10
	s_xor_b64 exec, exec, s[6:7]
	s_cbranch_execnz .LBB2_14684
; %bb.50521:
	s_getpc_b64 s[14:15]
.Lpost_getpc28844:
	s_add_u32 s14, s14, (.LBB2_346-.Lpost_getpc28844)&4294967295
	s_addc_u32 s15, s15, (.LBB2_346-.Lpost_getpc28844)>>32
	s_setpc_b64 s[14:15]
.LBB2_14684:
	v_mov_b32_e32 v2, 0
	v_cmp_ne_u16_sdwa s[8:9], v8, v2 src0_sel:BYTE_3 src1_sel:DWORD
	s_andn2_b64 s[4:5], s[4:5], exec
	s_and_b64 s[8:9], s[8:9], exec
	s_or_b64 s[4:5], s[4:5], s[8:9]
	s_or_b64 exec, exec, s[6:7]
	s_and_saveexec_b64 s[6:7], s[4:5]
	s_cbranch_execz .LBB2_28845
; %bb.50523:
	s_getpc_b64 s[14:15]
.Lpost_getpc28845:
	s_add_u32 s14, s14, (.LBB2_347-.Lpost_getpc28845)&4294967295
	s_addc_u32 s15, s15, (.LBB2_347-.Lpost_getpc28845)>>32
	s_setpc_b64 s[14:15]
.LBB2_28845:
	s_getpc_b64 s[14:15]
.Lpost_getpc18006:
	s_add_u32 s14, s14, (.LBB2_348-.Lpost_getpc18006)&4294967295
	s_addc_u32 s15, s15, (.LBB2_348-.Lpost_getpc18006)>>32
	s_setpc_b64 s[14:15]
.LBB2_14685:
	s_movk_i32 s4, 0x80
	v_cmp_eq_u16_sdwa s[12:13], v4, s4 src0_sel:BYTE_3 src1_sel:DWORD
	s_mov_b64 s[4:5], -1
                                        ; implicit-def: $sgpr10
	s_and_saveexec_b64 s[8:9], s[12:13]
; %bb.14686:
	s_mov_b32 s10, 0x7f800001
	s_xor_b64 s[4:5], exec, -1
; %bb.14687:
	s_or_b64 exec, exec, s[8:9]
	s_and_b64 s[4:5], s[4:5], exec
	s_or_saveexec_b64 s[6:7], s[6:7]
	v_mov_b32_e32 v3, s10
	s_xor_b64 exec, exec, s[6:7]
	s_cbranch_execnz .LBB2_14688
; %bb.50525:
	s_getpc_b64 s[14:15]
.Lpost_getpc28846:
	s_add_u32 s14, s14, (.LBB2_350-.Lpost_getpc28846)&4294967295
	s_addc_u32 s15, s15, (.LBB2_350-.Lpost_getpc28846)>>32
	s_setpc_b64 s[14:15]
.LBB2_14688:
	v_mov_b32_e32 v3, 0
	v_cmp_ne_u16_sdwa s[8:9], v4, v3 src0_sel:BYTE_3 src1_sel:DWORD
	s_andn2_b64 s[4:5], s[4:5], exec
	s_and_b64 s[8:9], s[8:9], exec
	s_or_b64 s[4:5], s[4:5], s[8:9]
	s_or_b64 exec, exec, s[6:7]
	s_and_saveexec_b64 s[6:7], s[4:5]
	s_cbranch_execz .LBB2_28847
; %bb.50527:
	s_getpc_b64 s[14:15]
.Lpost_getpc28847:
	s_add_u32 s14, s14, (.LBB2_351-.Lpost_getpc28847)&4294967295
	s_addc_u32 s15, s15, (.LBB2_351-.Lpost_getpc28847)>>32
	s_setpc_b64 s[14:15]
.LBB2_28847:
	s_getpc_b64 s[14:15]
.Lpost_getpc18007:
	s_add_u32 s14, s14, (.LBB2_352-.Lpost_getpc18007)&4294967295
	s_addc_u32 s15, s15, (.LBB2_352-.Lpost_getpc18007)>>32
	s_setpc_b64 s[14:15]
.LBB2_14689:
	s_movk_i32 s4, 0x80
	v_cmp_eq_u16_sdwa s[12:13], v9, s4 src0_sel:BYTE_0 src1_sel:DWORD
	s_mov_b64 s[4:5], -1
                                        ; implicit-def: $sgpr10
	s_and_saveexec_b64 s[8:9], s[12:13]
; %bb.14690:
	s_mov_b32 s10, 0x7f800001
	s_xor_b64 s[4:5], exec, -1
; %bb.14691:
	s_or_b64 exec, exec, s[8:9]
	s_and_b64 s[4:5], s[4:5], exec
	s_or_saveexec_b64 s[6:7], s[6:7]
	v_mov_b32_e32 v2, s10
	s_xor_b64 exec, exec, s[6:7]
	s_cbranch_execnz .LBB2_14692
; %bb.50529:
	s_getpc_b64 s[14:15]
.Lpost_getpc28848:
	s_add_u32 s14, s14, (.LBB2_354-.Lpost_getpc28848)&4294967295
	s_addc_u32 s15, s15, (.LBB2_354-.Lpost_getpc28848)>>32
	s_setpc_b64 s[14:15]
.LBB2_14692:
	v_mov_b32_e32 v2, 0
	v_cmp_ne_u16_sdwa s[8:9], v9, v2 src0_sel:BYTE_0 src1_sel:DWORD
	s_andn2_b64 s[4:5], s[4:5], exec
	s_and_b64 s[8:9], s[8:9], exec
	s_or_b64 s[4:5], s[4:5], s[8:9]
	s_or_b64 exec, exec, s[6:7]
	s_and_saveexec_b64 s[6:7], s[4:5]
	s_cbranch_execz .LBB2_28849
; %bb.50531:
	s_getpc_b64 s[14:15]
.Lpost_getpc28849:
	s_add_u32 s14, s14, (.LBB2_355-.Lpost_getpc28849)&4294967295
	s_addc_u32 s15, s15, (.LBB2_355-.Lpost_getpc28849)>>32
	s_setpc_b64 s[14:15]
.LBB2_28849:
	s_getpc_b64 s[14:15]
.Lpost_getpc18008:
	s_add_u32 s14, s14, (.LBB2_356-.Lpost_getpc18008)&4294967295
	s_addc_u32 s15, s15, (.LBB2_356-.Lpost_getpc18008)>>32
	s_setpc_b64 s[14:15]
.LBB2_14693:
	s_movk_i32 s4, 0x80
	v_cmp_eq_u16_sdwa s[12:13], v5, s4 src0_sel:BYTE_0 src1_sel:DWORD
	s_mov_b64 s[4:5], -1
                                        ; implicit-def: $sgpr10
	s_and_saveexec_b64 s[8:9], s[12:13]
; %bb.14694:
	s_mov_b32 s10, 0x7f800001
	s_xor_b64 s[4:5], exec, -1
; %bb.14695:
	s_or_b64 exec, exec, s[8:9]
	s_and_b64 s[4:5], s[4:5], exec
	s_or_saveexec_b64 s[6:7], s[6:7]
	v_mov_b32_e32 v3, s10
	s_xor_b64 exec, exec, s[6:7]
	s_cbranch_execnz .LBB2_14696
; %bb.50533:
	s_getpc_b64 s[14:15]
.Lpost_getpc28850:
	s_add_u32 s14, s14, (.LBB2_358-.Lpost_getpc28850)&4294967295
	s_addc_u32 s15, s15, (.LBB2_358-.Lpost_getpc28850)>>32
	s_setpc_b64 s[14:15]
.LBB2_14696:
	v_mov_b32_e32 v3, 0
	v_cmp_ne_u16_sdwa s[8:9], v5, v3 src0_sel:BYTE_0 src1_sel:DWORD
	s_andn2_b64 s[4:5], s[4:5], exec
	s_and_b64 s[8:9], s[8:9], exec
	s_or_b64 s[4:5], s[4:5], s[8:9]
	s_or_b64 exec, exec, s[6:7]
	s_and_saveexec_b64 s[6:7], s[4:5]
	s_cbranch_execz .LBB2_28851
; %bb.50535:
	s_getpc_b64 s[14:15]
.Lpost_getpc28851:
	s_add_u32 s14, s14, (.LBB2_359-.Lpost_getpc28851)&4294967295
	s_addc_u32 s15, s15, (.LBB2_359-.Lpost_getpc28851)>>32
	s_setpc_b64 s[14:15]
.LBB2_28851:
	s_getpc_b64 s[14:15]
.Lpost_getpc18009:
	s_add_u32 s14, s14, (.LBB2_360-.Lpost_getpc18009)&4294967295
	s_addc_u32 s15, s15, (.LBB2_360-.Lpost_getpc18009)>>32
	s_setpc_b64 s[14:15]
.LBB2_14697:
	s_movk_i32 s4, 0x80
	v_cmp_eq_u16_sdwa s[12:13], v3, s4 src0_sel:BYTE_0 src1_sel:DWORD
	s_mov_b64 s[4:5], -1
                                        ; implicit-def: $sgpr10
	s_and_saveexec_b64 s[8:9], s[12:13]
; %bb.14698:
	s_mov_b32 s10, 0x7f800001
	s_xor_b64 s[4:5], exec, -1
; %bb.14699:
	s_or_b64 exec, exec, s[8:9]
	s_and_b64 s[4:5], s[4:5], exec
	s_or_saveexec_b64 s[6:7], s[6:7]
	v_mov_b32_e32 v2, s10
	s_xor_b64 exec, exec, s[6:7]
	s_cbranch_execnz .LBB2_14700
; %bb.50537:
	s_getpc_b64 s[14:15]
.Lpost_getpc28852:
	s_add_u32 s14, s14, (.LBB2_362-.Lpost_getpc28852)&4294967295
	s_addc_u32 s15, s15, (.LBB2_362-.Lpost_getpc28852)>>32
	s_setpc_b64 s[14:15]
.LBB2_14700:
	v_mov_b32_e32 v2, 0
	v_cmp_ne_u16_sdwa s[8:9], v3, v2 src0_sel:BYTE_0 src1_sel:DWORD
	s_andn2_b64 s[4:5], s[4:5], exec
	s_and_b64 s[8:9], s[8:9], exec
	s_or_b64 s[4:5], s[4:5], s[8:9]
	s_or_b64 exec, exec, s[6:7]
	s_and_saveexec_b64 s[6:7], s[4:5]
	s_cbranch_execz .LBB2_28853
; %bb.50539:
	s_getpc_b64 s[14:15]
.Lpost_getpc28853:
	s_add_u32 s14, s14, (.LBB2_363-.Lpost_getpc28853)&4294967295
	s_addc_u32 s15, s15, (.LBB2_363-.Lpost_getpc28853)>>32
	s_setpc_b64 s[14:15]
.LBB2_28853:
	s_getpc_b64 s[14:15]
.Lpost_getpc18010:
	s_add_u32 s14, s14, (.LBB2_364-.Lpost_getpc18010)&4294967295
	s_addc_u32 s15, s15, (.LBB2_364-.Lpost_getpc18010)>>32
	s_setpc_b64 s[14:15]
.LBB2_14701:
	s_movk_i32 s4, 0x80
	v_cmp_eq_u16_sdwa s[12:13], v3, s4 src0_sel:BYTE_0 src1_sel:DWORD
	s_mov_b64 s[4:5], -1
                                        ; implicit-def: $sgpr10
	s_and_saveexec_b64 s[8:9], s[12:13]
; %bb.14702:
	s_mov_b32 s10, 0x7f800001
	s_xor_b64 s[4:5], exec, -1
; %bb.14703:
	s_or_b64 exec, exec, s[8:9]
	s_and_b64 s[4:5], s[4:5], exec
	s_or_saveexec_b64 s[6:7], s[6:7]
	v_mov_b32_e32 v4, s10
	s_xor_b64 exec, exec, s[6:7]
	s_cbranch_execnz .LBB2_14704
; %bb.50541:
	s_getpc_b64 s[14:15]
.Lpost_getpc28854:
	s_add_u32 s14, s14, (.LBB2_366-.Lpost_getpc28854)&4294967295
	s_addc_u32 s15, s15, (.LBB2_366-.Lpost_getpc28854)>>32
	s_setpc_b64 s[14:15]
.LBB2_14704:
	v_mov_b32_e32 v4, 0
	v_cmp_ne_u16_sdwa s[8:9], v3, v4 src0_sel:BYTE_0 src1_sel:DWORD
	s_andn2_b64 s[4:5], s[4:5], exec
	s_and_b64 s[8:9], s[8:9], exec
	s_or_b64 s[4:5], s[4:5], s[8:9]
	s_or_b64 exec, exec, s[6:7]
	s_and_saveexec_b64 s[6:7], s[4:5]
	s_cbranch_execz .LBB2_28855
; %bb.50543:
	s_getpc_b64 s[14:15]
.Lpost_getpc28855:
	s_add_u32 s14, s14, (.LBB2_367-.Lpost_getpc28855)&4294967295
	s_addc_u32 s15, s15, (.LBB2_367-.Lpost_getpc28855)>>32
	s_setpc_b64 s[14:15]
.LBB2_28855:
	s_getpc_b64 s[14:15]
.Lpost_getpc18011:
	s_add_u32 s14, s14, (.LBB2_368-.Lpost_getpc18011)&4294967295
	s_addc_u32 s15, s15, (.LBB2_368-.Lpost_getpc18011)>>32
	s_setpc_b64 s[14:15]
.LBB2_14705:
	s_movk_i32 s4, 0x80
	v_cmp_eq_u16_e32 vcc, s4, v3
	s_mov_b64 s[4:5], -1
                                        ; implicit-def: $sgpr10
	s_and_saveexec_b64 s[8:9], vcc
; %bb.14706:
	s_mov_b32 s10, 0x7f800001
	s_xor_b64 s[4:5], exec, -1
; %bb.14707:
	s_or_b64 exec, exec, s[8:9]
	s_and_b64 s[4:5], s[4:5], exec
                                        ; implicit-def: $vgpr3
	s_or_saveexec_b64 s[6:7], s[6:7]
	v_mov_b32_e32 v2, s10
	s_xor_b64 exec, exec, s[6:7]
	s_cbranch_execnz .LBB2_14708
; %bb.50545:
	s_getpc_b64 s[14:15]
.Lpost_getpc28856:
	s_add_u32 s14, s14, (.LBB2_370-.Lpost_getpc28856)&4294967295
	s_addc_u32 s15, s15, (.LBB2_370-.Lpost_getpc28856)>>32
	s_setpc_b64 s[14:15]
.LBB2_14708:
	v_cmp_ne_u16_e32 vcc, 0, v3
	s_andn2_b64 s[4:5], s[4:5], exec
	s_and_b64 s[8:9], vcc, exec
	v_mov_b32_e32 v2, 0
	s_or_b64 s[4:5], s[4:5], s[8:9]
	s_or_b64 exec, exec, s[6:7]
	s_and_saveexec_b64 s[6:7], s[4:5]
	s_cbranch_execz .LBB2_28857
; %bb.50547:
	s_getpc_b64 s[14:15]
.Lpost_getpc28857:
	s_add_u32 s14, s14, (.LBB2_371-.Lpost_getpc28857)&4294967295
	s_addc_u32 s15, s15, (.LBB2_371-.Lpost_getpc28857)>>32
	s_setpc_b64 s[14:15]
.LBB2_28857:
	s_getpc_b64 s[14:15]
.Lpost_getpc18012:
	s_add_u32 s14, s14, (.LBB2_372-.Lpost_getpc18012)&4294967295
	s_addc_u32 s15, s15, (.LBB2_372-.Lpost_getpc18012)>>32
	s_setpc_b64 s[14:15]
.LBB2_14709:
	s_movk_i32 s4, 0x80
	v_cmp_eq_u16_e32 vcc, s4, v3
	s_mov_b64 s[4:5], -1
                                        ; implicit-def: $sgpr10
	s_and_saveexec_b64 s[8:9], vcc
; %bb.14710:
	s_mov_b32 s10, 0x7f800001
	s_xor_b64 s[4:5], exec, -1
; %bb.14711:
	s_or_b64 exec, exec, s[8:9]
	s_and_b64 s[4:5], s[4:5], exec
                                        ; implicit-def: $vgpr3
	s_or_saveexec_b64 s[6:7], s[6:7]
	v_mov_b32_e32 v4, s10
	s_xor_b64 exec, exec, s[6:7]
	s_cbranch_execnz .LBB2_14712
; %bb.50549:
	s_getpc_b64 s[14:15]
.Lpost_getpc28858:
	s_add_u32 s14, s14, (.LBB2_374-.Lpost_getpc28858)&4294967295
	s_addc_u32 s15, s15, (.LBB2_374-.Lpost_getpc28858)>>32
	s_setpc_b64 s[14:15]
.LBB2_14712:
	v_cmp_ne_u16_e32 vcc, 0, v3
	s_andn2_b64 s[4:5], s[4:5], exec
	s_and_b64 s[8:9], vcc, exec
	v_mov_b32_e32 v4, 0
	s_or_b64 s[4:5], s[4:5], s[8:9]
	s_or_b64 exec, exec, s[6:7]
	s_and_saveexec_b64 s[6:7], s[4:5]
	s_cbranch_execz .LBB2_28859
; %bb.50551:
	s_getpc_b64 s[14:15]
.Lpost_getpc28859:
	s_add_u32 s14, s14, (.LBB2_375-.Lpost_getpc28859)&4294967295
	s_addc_u32 s15, s15, (.LBB2_375-.Lpost_getpc28859)>>32
	s_setpc_b64 s[14:15]
.LBB2_28859:
	s_getpc_b64 s[14:15]
.Lpost_getpc18013:
	s_add_u32 s14, s14, (.LBB2_376-.Lpost_getpc18013)&4294967295
	s_addc_u32 s15, s15, (.LBB2_376-.Lpost_getpc18013)>>32
	s_setpc_b64 s[14:15]
.LBB2_14713:
	s_movk_i32 s4, 0x80
	v_cmp_eq_u16_sdwa s[12:13], v9, s4 src0_sel:BYTE_3 src1_sel:DWORD
	s_mov_b64 s[4:5], -1
                                        ; implicit-def: $sgpr10
	s_and_saveexec_b64 s[8:9], s[12:13]
; %bb.14714:
	s_mov_b32 s10, 0x7f800001
	s_xor_b64 s[4:5], exec, -1
; %bb.14715:
	s_or_b64 exec, exec, s[8:9]
	s_and_b64 s[4:5], s[4:5], exec
	s_or_saveexec_b64 s[6:7], s[6:7]
	v_mov_b32_e32 v2, s10
	s_xor_b64 exec, exec, s[6:7]
	s_cbranch_execnz .LBB2_14716
; %bb.50553:
	s_getpc_b64 s[14:15]
.Lpost_getpc28860:
	s_add_u32 s14, s14, (.LBB2_378-.Lpost_getpc28860)&4294967295
	s_addc_u32 s15, s15, (.LBB2_378-.Lpost_getpc28860)>>32
	s_setpc_b64 s[14:15]
.LBB2_14716:
	v_mov_b32_e32 v2, 0
	v_cmp_ne_u16_sdwa s[8:9], v9, v2 src0_sel:BYTE_3 src1_sel:DWORD
	s_andn2_b64 s[4:5], s[4:5], exec
	s_and_b64 s[8:9], s[8:9], exec
	s_or_b64 s[4:5], s[4:5], s[8:9]
	s_or_b64 exec, exec, s[6:7]
	s_and_saveexec_b64 s[6:7], s[4:5]
	s_cbranch_execz .LBB2_28861
; %bb.50555:
	s_getpc_b64 s[14:15]
.Lpost_getpc28861:
	s_add_u32 s14, s14, (.LBB2_379-.Lpost_getpc28861)&4294967295
	s_addc_u32 s15, s15, (.LBB2_379-.Lpost_getpc28861)>>32
	s_setpc_b64 s[14:15]
.LBB2_28861:
	s_getpc_b64 s[14:15]
.Lpost_getpc18014:
	s_add_u32 s14, s14, (.LBB2_380-.Lpost_getpc18014)&4294967295
	s_addc_u32 s15, s15, (.LBB2_380-.Lpost_getpc18014)>>32
	s_setpc_b64 s[14:15]
.LBB2_14717:
	s_movk_i32 s4, 0x80
	v_cmp_eq_u16_sdwa s[12:13], v5, s4 src0_sel:BYTE_3 src1_sel:DWORD
	s_mov_b64 s[4:5], -1
                                        ; implicit-def: $sgpr10
	s_and_saveexec_b64 s[8:9], s[12:13]
; %bb.14718:
	s_mov_b32 s10, 0x7f800001
	s_xor_b64 s[4:5], exec, -1
; %bb.14719:
	s_or_b64 exec, exec, s[8:9]
	s_and_b64 s[4:5], s[4:5], exec
	s_or_saveexec_b64 s[6:7], s[6:7]
	v_mov_b32_e32 v3, s10
	s_xor_b64 exec, exec, s[6:7]
	s_cbranch_execnz .LBB2_14720
; %bb.50557:
	s_getpc_b64 s[14:15]
.Lpost_getpc28862:
	s_add_u32 s14, s14, (.LBB2_382-.Lpost_getpc28862)&4294967295
	s_addc_u32 s15, s15, (.LBB2_382-.Lpost_getpc28862)>>32
	s_setpc_b64 s[14:15]
.LBB2_14720:
	v_mov_b32_e32 v3, 0
	v_cmp_ne_u16_sdwa s[8:9], v5, v3 src0_sel:BYTE_3 src1_sel:DWORD
	s_andn2_b64 s[4:5], s[4:5], exec
	s_and_b64 s[8:9], s[8:9], exec
	s_or_b64 s[4:5], s[4:5], s[8:9]
	s_or_b64 exec, exec, s[6:7]
	s_and_saveexec_b64 s[6:7], s[4:5]
	s_cbranch_execz .LBB2_28863
; %bb.50559:
	s_getpc_b64 s[14:15]
.Lpost_getpc28863:
	s_add_u32 s14, s14, (.LBB2_383-.Lpost_getpc28863)&4294967295
	s_addc_u32 s15, s15, (.LBB2_383-.Lpost_getpc28863)>>32
	s_setpc_b64 s[14:15]
.LBB2_28863:
	s_getpc_b64 s[14:15]
.Lpost_getpc18015:
	s_add_u32 s14, s14, (.LBB2_384-.Lpost_getpc18015)&4294967295
	s_addc_u32 s15, s15, (.LBB2_384-.Lpost_getpc18015)>>32
	s_setpc_b64 s[14:15]
.LBB2_14721:
	s_movk_i32 s4, 0x80
	v_cmp_eq_u16_sdwa s[12:13], v6, s4 src0_sel:BYTE_0 src1_sel:DWORD
	s_mov_b64 s[4:5], -1
                                        ; implicit-def: $sgpr10
	s_and_saveexec_b64 s[8:9], s[12:13]
; %bb.14722:
	s_mov_b32 s10, 0x7f800001
	s_xor_b64 s[4:5], exec, -1
; %bb.14723:
	s_or_b64 exec, exec, s[8:9]
	s_and_b64 s[4:5], s[4:5], exec
	s_or_saveexec_b64 s[6:7], s[6:7]
	v_mov_b32_e32 v12, s10
	s_xor_b64 exec, exec, s[6:7]
	s_cbranch_execnz .LBB2_14724
; %bb.50561:
	s_getpc_b64 s[14:15]
.Lpost_getpc28864:
	s_add_u32 s14, s14, (.LBB2_386-.Lpost_getpc28864)&4294967295
	s_addc_u32 s15, s15, (.LBB2_386-.Lpost_getpc28864)>>32
	s_setpc_b64 s[14:15]
.LBB2_14724:
	v_mov_b32_e32 v12, 0
	v_cmp_ne_u16_sdwa s[8:9], v6, v12 src0_sel:BYTE_0 src1_sel:DWORD
	s_andn2_b64 s[4:5], s[4:5], exec
	s_and_b64 s[8:9], s[8:9], exec
	s_or_b64 s[4:5], s[4:5], s[8:9]
	s_or_b64 exec, exec, s[6:7]
	s_and_saveexec_b64 s[6:7], s[4:5]
	s_cbranch_execz .LBB2_28865
; %bb.50563:
	s_getpc_b64 s[14:15]
.Lpost_getpc28865:
	s_add_u32 s14, s14, (.LBB2_387-.Lpost_getpc28865)&4294967295
	s_addc_u32 s15, s15, (.LBB2_387-.Lpost_getpc28865)>>32
	s_setpc_b64 s[14:15]
.LBB2_28865:
	s_getpc_b64 s[14:15]
.Lpost_getpc18016:
	s_add_u32 s14, s14, (.LBB2_388-.Lpost_getpc18016)&4294967295
	s_addc_u32 s15, s15, (.LBB2_388-.Lpost_getpc18016)>>32
	s_setpc_b64 s[14:15]
.LBB2_14725:
	s_movk_i32 s4, 0x80
	v_cmp_eq_u16_sdwa s[12:13], v2, s4 src0_sel:BYTE_0 src1_sel:DWORD
	s_mov_b64 s[4:5], -1
                                        ; implicit-def: $sgpr10
	s_and_saveexec_b64 s[8:9], s[12:13]
; %bb.14726:
	s_mov_b32 s10, 0x7f800001
	s_xor_b64 s[4:5], exec, -1
; %bb.14727:
	s_or_b64 exec, exec, s[8:9]
	s_and_b64 s[4:5], s[4:5], exec
	s_or_saveexec_b64 s[6:7], s[6:7]
	v_mov_b32_e32 v13, s10
	s_xor_b64 exec, exec, s[6:7]
	s_cbranch_execnz .LBB2_14728
; %bb.50565:
	s_getpc_b64 s[14:15]
.Lpost_getpc28866:
	s_add_u32 s14, s14, (.LBB2_390-.Lpost_getpc28866)&4294967295
	s_addc_u32 s15, s15, (.LBB2_390-.Lpost_getpc28866)>>32
	s_setpc_b64 s[14:15]
.LBB2_14728:
	v_mov_b32_e32 v13, 0
	v_cmp_ne_u16_sdwa s[8:9], v2, v13 src0_sel:BYTE_0 src1_sel:DWORD
	s_andn2_b64 s[4:5], s[4:5], exec
	s_and_b64 s[8:9], s[8:9], exec
	s_or_b64 s[4:5], s[4:5], s[8:9]
	s_or_b64 exec, exec, s[6:7]
	s_and_saveexec_b64 s[6:7], s[4:5]
	s_cbranch_execz .LBB2_28867
; %bb.50567:
	s_getpc_b64 s[14:15]
.Lpost_getpc28867:
	s_add_u32 s14, s14, (.LBB2_391-.Lpost_getpc28867)&4294967295
	s_addc_u32 s15, s15, (.LBB2_391-.Lpost_getpc28867)>>32
	s_setpc_b64 s[14:15]
.LBB2_28867:
	s_getpc_b64 s[14:15]
.Lpost_getpc18017:
	s_add_u32 s14, s14, (.LBB2_392-.Lpost_getpc18017)&4294967295
	s_addc_u32 s15, s15, (.LBB2_392-.Lpost_getpc18017)>>32
	s_setpc_b64 s[14:15]
.LBB2_14729:
	s_movk_i32 s4, 0x80
	v_cmp_eq_u16_sdwa s[12:13], v13, s4 src0_sel:BYTE_0 src1_sel:DWORD
	s_mov_b64 s[4:5], -1
                                        ; implicit-def: $sgpr10
	s_and_saveexec_b64 s[8:9], s[12:13]
; %bb.14730:
	s_mov_b32 s10, 0x7f800001
	s_xor_b64 s[4:5], exec, -1
; %bb.14731:
	s_or_b64 exec, exec, s[8:9]
	s_and_b64 s[4:5], s[4:5], exec
	s_or_saveexec_b64 s[6:7], s[6:7]
	v_mov_b32_e32 v12, s10
	s_xor_b64 exec, exec, s[6:7]
	s_cbranch_execnz .LBB2_14732
; %bb.50569:
	s_getpc_b64 s[14:15]
.Lpost_getpc28868:
	s_add_u32 s14, s14, (.LBB2_394-.Lpost_getpc28868)&4294967295
	s_addc_u32 s15, s15, (.LBB2_394-.Lpost_getpc28868)>>32
	s_setpc_b64 s[14:15]
.LBB2_14732:
	v_mov_b32_e32 v12, 0
	v_cmp_ne_u16_sdwa s[8:9], v13, v12 src0_sel:BYTE_0 src1_sel:DWORD
	s_andn2_b64 s[4:5], s[4:5], exec
	s_and_b64 s[8:9], s[8:9], exec
	s_or_b64 s[4:5], s[4:5], s[8:9]
	s_or_b64 exec, exec, s[6:7]
	s_and_saveexec_b64 s[6:7], s[4:5]
	s_cbranch_execz .LBB2_28869
; %bb.50571:
	s_getpc_b64 s[14:15]
.Lpost_getpc28869:
	s_add_u32 s14, s14, (.LBB2_395-.Lpost_getpc28869)&4294967295
	s_addc_u32 s15, s15, (.LBB2_395-.Lpost_getpc28869)>>32
	s_setpc_b64 s[14:15]
.LBB2_28869:
	s_getpc_b64 s[14:15]
.Lpost_getpc18018:
	s_add_u32 s14, s14, (.LBB2_396-.Lpost_getpc18018)&4294967295
	s_addc_u32 s15, s15, (.LBB2_396-.Lpost_getpc18018)>>32
	s_setpc_b64 s[14:15]
.LBB2_14733:
	s_movk_i32 s4, 0x80
	v_cmp_eq_u16_sdwa s[12:13], v13, s4 src0_sel:BYTE_0 src1_sel:DWORD
	s_mov_b64 s[4:5], -1
                                        ; implicit-def: $sgpr10
	s_and_saveexec_b64 s[8:9], s[12:13]
; %bb.14734:
	s_mov_b32 s10, 0x7f800001
	s_xor_b64 s[4:5], exec, -1
; %bb.14735:
	s_or_b64 exec, exec, s[8:9]
	s_and_b64 s[4:5], s[4:5], exec
	s_or_saveexec_b64 s[6:7], s[6:7]
	v_mov_b32_e32 v14, s10
	s_xor_b64 exec, exec, s[6:7]
	s_cbranch_execnz .LBB2_14736
; %bb.50573:
	s_getpc_b64 s[14:15]
.Lpost_getpc28870:
	s_add_u32 s14, s14, (.LBB2_398-.Lpost_getpc28870)&4294967295
	s_addc_u32 s15, s15, (.LBB2_398-.Lpost_getpc28870)>>32
	s_setpc_b64 s[14:15]
.LBB2_14736:
	v_mov_b32_e32 v14, 0
	v_cmp_ne_u16_sdwa s[8:9], v13, v14 src0_sel:BYTE_0 src1_sel:DWORD
	s_andn2_b64 s[4:5], s[4:5], exec
	s_and_b64 s[8:9], s[8:9], exec
	s_or_b64 s[4:5], s[4:5], s[8:9]
	s_or_b64 exec, exec, s[6:7]
	s_and_saveexec_b64 s[6:7], s[4:5]
	s_cbranch_execz .LBB2_28871
; %bb.50575:
	s_getpc_b64 s[14:15]
.Lpost_getpc28871:
	s_add_u32 s14, s14, (.LBB2_399-.Lpost_getpc28871)&4294967295
	s_addc_u32 s15, s15, (.LBB2_399-.Lpost_getpc28871)>>32
	s_setpc_b64 s[14:15]
.LBB2_28871:
	s_getpc_b64 s[14:15]
.Lpost_getpc18019:
	s_add_u32 s14, s14, (.LBB2_400-.Lpost_getpc18019)&4294967295
	s_addc_u32 s15, s15, (.LBB2_400-.Lpost_getpc18019)>>32
	s_setpc_b64 s[14:15]
.LBB2_14737:
	s_movk_i32 s4, 0x80
	v_cmp_eq_u16_e32 vcc, s4, v13
	s_mov_b64 s[4:5], -1
                                        ; implicit-def: $sgpr10
	s_and_saveexec_b64 s[8:9], vcc
; %bb.14738:
	s_mov_b32 s10, 0x7f800001
	s_xor_b64 s[4:5], exec, -1
; %bb.14739:
	s_or_b64 exec, exec, s[8:9]
	s_and_b64 s[4:5], s[4:5], exec
                                        ; implicit-def: $vgpr13
	s_or_saveexec_b64 s[6:7], s[6:7]
	v_mov_b32_e32 v12, s10
	s_xor_b64 exec, exec, s[6:7]
	s_cbranch_execnz .LBB2_14740
; %bb.50577:
	s_getpc_b64 s[14:15]
.Lpost_getpc28872:
	s_add_u32 s14, s14, (.LBB2_402-.Lpost_getpc28872)&4294967295
	s_addc_u32 s15, s15, (.LBB2_402-.Lpost_getpc28872)>>32
	s_setpc_b64 s[14:15]
.LBB2_14740:
	v_cmp_ne_u16_e32 vcc, 0, v13
	s_andn2_b64 s[4:5], s[4:5], exec
	s_and_b64 s[8:9], vcc, exec
	v_mov_b32_e32 v12, 0
	s_or_b64 s[4:5], s[4:5], s[8:9]
	s_or_b64 exec, exec, s[6:7]
	s_and_saveexec_b64 s[6:7], s[4:5]
	s_cbranch_execz .LBB2_28873
; %bb.50579:
	s_getpc_b64 s[14:15]
.Lpost_getpc28873:
	s_add_u32 s14, s14, (.LBB2_403-.Lpost_getpc28873)&4294967295
	s_addc_u32 s15, s15, (.LBB2_403-.Lpost_getpc28873)>>32
	s_setpc_b64 s[14:15]
.LBB2_28873:
	s_getpc_b64 s[14:15]
.Lpost_getpc18020:
	s_add_u32 s14, s14, (.LBB2_404-.Lpost_getpc18020)&4294967295
	s_addc_u32 s15, s15, (.LBB2_404-.Lpost_getpc18020)>>32
	s_setpc_b64 s[14:15]
.LBB2_14741:
	s_movk_i32 s4, 0x80
	v_cmp_eq_u16_e32 vcc, s4, v13
	s_mov_b64 s[4:5], -1
                                        ; implicit-def: $sgpr10
	s_and_saveexec_b64 s[8:9], vcc
; %bb.14742:
	s_mov_b32 s10, 0x7f800001
	s_xor_b64 s[4:5], exec, -1
; %bb.14743:
	s_or_b64 exec, exec, s[8:9]
	s_and_b64 s[4:5], s[4:5], exec
                                        ; implicit-def: $vgpr13
	s_or_saveexec_b64 s[6:7], s[6:7]
	v_mov_b32_e32 v14, s10
	s_xor_b64 exec, exec, s[6:7]
	s_cbranch_execnz .LBB2_14744
; %bb.50581:
	s_getpc_b64 s[14:15]
.Lpost_getpc28874:
	s_add_u32 s14, s14, (.LBB2_406-.Lpost_getpc28874)&4294967295
	s_addc_u32 s15, s15, (.LBB2_406-.Lpost_getpc28874)>>32
	s_setpc_b64 s[14:15]
.LBB2_14744:
	v_cmp_ne_u16_e32 vcc, 0, v13
	s_andn2_b64 s[4:5], s[4:5], exec
	s_and_b64 s[8:9], vcc, exec
	v_mov_b32_e32 v14, 0
	s_or_b64 s[4:5], s[4:5], s[8:9]
	s_or_b64 exec, exec, s[6:7]
	s_and_saveexec_b64 s[6:7], s[4:5]
	s_cbranch_execz .LBB2_28875
; %bb.50583:
	s_getpc_b64 s[14:15]
.Lpost_getpc28875:
	s_add_u32 s14, s14, (.LBB2_407-.Lpost_getpc28875)&4294967295
	s_addc_u32 s15, s15, (.LBB2_407-.Lpost_getpc28875)>>32
	s_setpc_b64 s[14:15]
.LBB2_28875:
	s_getpc_b64 s[14:15]
.Lpost_getpc18021:
	s_add_u32 s14, s14, (.LBB2_408-.Lpost_getpc18021)&4294967295
	s_addc_u32 s15, s15, (.LBB2_408-.Lpost_getpc18021)>>32
	s_setpc_b64 s[14:15]
.LBB2_14745:
	s_movk_i32 s4, 0x80
	v_cmp_eq_u16_sdwa s[12:13], v6, s4 src0_sel:BYTE_3 src1_sel:DWORD
	s_mov_b64 s[4:5], -1
                                        ; implicit-def: $sgpr10
	s_and_saveexec_b64 s[8:9], s[12:13]
; %bb.14746:
	s_mov_b32 s10, 0x7f800001
	s_xor_b64 s[4:5], exec, -1
; %bb.14747:
	s_or_b64 exec, exec, s[8:9]
	s_and_b64 s[4:5], s[4:5], exec
	s_or_saveexec_b64 s[6:7], s[6:7]
	v_mov_b32_e32 v12, s10
	s_xor_b64 exec, exec, s[6:7]
	s_cbranch_execnz .LBB2_14748
; %bb.50585:
	s_getpc_b64 s[14:15]
.Lpost_getpc28876:
	s_add_u32 s14, s14, (.LBB2_410-.Lpost_getpc28876)&4294967295
	s_addc_u32 s15, s15, (.LBB2_410-.Lpost_getpc28876)>>32
	s_setpc_b64 s[14:15]
.LBB2_14748:
	v_mov_b32_e32 v12, 0
	v_cmp_ne_u16_sdwa s[8:9], v6, v12 src0_sel:BYTE_3 src1_sel:DWORD
	s_andn2_b64 s[4:5], s[4:5], exec
	s_and_b64 s[8:9], s[8:9], exec
	s_or_b64 s[4:5], s[4:5], s[8:9]
	s_or_b64 exec, exec, s[6:7]
	s_and_saveexec_b64 s[6:7], s[4:5]
	s_cbranch_execz .LBB2_28877
; %bb.50587:
	s_getpc_b64 s[14:15]
.Lpost_getpc28877:
	s_add_u32 s14, s14, (.LBB2_411-.Lpost_getpc28877)&4294967295
	s_addc_u32 s15, s15, (.LBB2_411-.Lpost_getpc28877)>>32
	s_setpc_b64 s[14:15]
.LBB2_28877:
	s_getpc_b64 s[14:15]
.Lpost_getpc18022:
	s_add_u32 s14, s14, (.LBB2_412-.Lpost_getpc18022)&4294967295
	s_addc_u32 s15, s15, (.LBB2_412-.Lpost_getpc18022)>>32
	s_setpc_b64 s[14:15]
.LBB2_14749:
	s_movk_i32 s4, 0x80
	v_cmp_eq_u16_sdwa s[12:13], v2, s4 src0_sel:BYTE_3 src1_sel:DWORD
	s_mov_b64 s[4:5], -1
                                        ; implicit-def: $sgpr10
	s_and_saveexec_b64 s[8:9], s[12:13]
; %bb.14750:
	s_mov_b32 s10, 0x7f800001
	s_xor_b64 s[4:5], exec, -1
; %bb.14751:
	s_or_b64 exec, exec, s[8:9]
	s_and_b64 s[4:5], s[4:5], exec
	s_or_saveexec_b64 s[6:7], s[6:7]
	v_mov_b32_e32 v6, s10
	s_xor_b64 exec, exec, s[6:7]
	s_cbranch_execnz .LBB2_14752
; %bb.50589:
	s_getpc_b64 s[14:15]
.Lpost_getpc28878:
	s_add_u32 s14, s14, (.LBB2_414-.Lpost_getpc28878)&4294967295
	s_addc_u32 s15, s15, (.LBB2_414-.Lpost_getpc28878)>>32
	s_setpc_b64 s[14:15]
.LBB2_14752:
	v_mov_b32_e32 v6, 0
	v_cmp_ne_u16_sdwa s[8:9], v2, v6 src0_sel:BYTE_3 src1_sel:DWORD
	s_andn2_b64 s[4:5], s[4:5], exec
	s_and_b64 s[8:9], s[8:9], exec
	s_or_b64 s[4:5], s[4:5], s[8:9]
	s_or_b64 exec, exec, s[6:7]
	s_and_saveexec_b64 s[6:7], s[4:5]
	s_cbranch_execz .LBB2_28879
; %bb.50591:
	s_getpc_b64 s[14:15]
.Lpost_getpc28879:
	s_add_u32 s14, s14, (.LBB2_415-.Lpost_getpc28879)&4294967295
	s_addc_u32 s15, s15, (.LBB2_415-.Lpost_getpc28879)>>32
	s_setpc_b64 s[14:15]
.LBB2_28879:
	s_getpc_b64 s[14:15]
.Lpost_getpc18023:
	s_add_u32 s14, s14, (.LBB2_416-.Lpost_getpc18023)&4294967295
	s_addc_u32 s15, s15, (.LBB2_416-.Lpost_getpc18023)>>32
	s_setpc_b64 s[14:15]
.LBB2_14753:
	s_movk_i32 s4, 0x80
	v_cmp_eq_u16_sdwa s[12:13], v7, s4 src0_sel:BYTE_0 src1_sel:DWORD
	s_mov_b64 s[4:5], -1
                                        ; implicit-def: $sgpr10
	s_and_saveexec_b64 s[8:9], s[12:13]
; %bb.14754:
	s_mov_b32 s10, 0x7f800001
	s_xor_b64 s[4:5], exec, -1
; %bb.14755:
	s_or_b64 exec, exec, s[8:9]
	s_and_b64 s[4:5], s[4:5], exec
	s_or_saveexec_b64 s[6:7], s[6:7]
	v_mov_b32_e32 v2, s10
	s_xor_b64 exec, exec, s[6:7]
	s_cbranch_execnz .LBB2_14756
; %bb.50593:
	s_getpc_b64 s[14:15]
.Lpost_getpc28880:
	s_add_u32 s14, s14, (.LBB2_418-.Lpost_getpc28880)&4294967295
	s_addc_u32 s15, s15, (.LBB2_418-.Lpost_getpc28880)>>32
	s_setpc_b64 s[14:15]
.LBB2_14756:
	v_mov_b32_e32 v2, 0
	v_cmp_ne_u16_sdwa s[8:9], v7, v2 src0_sel:BYTE_0 src1_sel:DWORD
	s_andn2_b64 s[4:5], s[4:5], exec
	s_and_b64 s[8:9], s[8:9], exec
	s_or_b64 s[4:5], s[4:5], s[8:9]
	s_or_b64 exec, exec, s[6:7]
	s_and_saveexec_b64 s[6:7], s[4:5]
	s_cbranch_execz .LBB2_28881
; %bb.50595:
	s_getpc_b64 s[14:15]
.Lpost_getpc28881:
	s_add_u32 s14, s14, (.LBB2_419-.Lpost_getpc28881)&4294967295
	s_addc_u32 s15, s15, (.LBB2_419-.Lpost_getpc28881)>>32
	s_setpc_b64 s[14:15]
.LBB2_28881:
	s_getpc_b64 s[14:15]
.Lpost_getpc18024:
	s_add_u32 s14, s14, (.LBB2_420-.Lpost_getpc18024)&4294967295
	s_addc_u32 s15, s15, (.LBB2_420-.Lpost_getpc18024)>>32
	s_setpc_b64 s[14:15]
.LBB2_14757:
	s_movk_i32 s4, 0x80
	v_cmp_eq_u16_sdwa s[12:13], v3, s4 src0_sel:BYTE_0 src1_sel:DWORD
	s_mov_b64 s[4:5], -1
                                        ; implicit-def: $sgpr10
	s_and_saveexec_b64 s[8:9], s[12:13]
; %bb.14758:
	s_mov_b32 s10, 0x7f800001
	s_xor_b64 s[4:5], exec, -1
; %bb.14759:
	s_or_b64 exec, exec, s[8:9]
	s_and_b64 s[4:5], s[4:5], exec
	s_or_saveexec_b64 s[6:7], s[6:7]
	v_mov_b32_e32 v6, s10
	s_xor_b64 exec, exec, s[6:7]
	s_cbranch_execnz .LBB2_14760
; %bb.50597:
	s_getpc_b64 s[14:15]
.Lpost_getpc28882:
	s_add_u32 s14, s14, (.LBB2_422-.Lpost_getpc28882)&4294967295
	s_addc_u32 s15, s15, (.LBB2_422-.Lpost_getpc28882)>>32
	s_setpc_b64 s[14:15]
.LBB2_14760:
	v_mov_b32_e32 v6, 0
	v_cmp_ne_u16_sdwa s[8:9], v3, v6 src0_sel:BYTE_0 src1_sel:DWORD
	s_andn2_b64 s[4:5], s[4:5], exec
	s_and_b64 s[8:9], s[8:9], exec
	s_or_b64 s[4:5], s[4:5], s[8:9]
	s_or_b64 exec, exec, s[6:7]
	s_and_saveexec_b64 s[6:7], s[4:5]
	s_cbranch_execz .LBB2_28883
; %bb.50599:
	s_getpc_b64 s[14:15]
.Lpost_getpc28883:
	s_add_u32 s14, s14, (.LBB2_423-.Lpost_getpc28883)&4294967295
	s_addc_u32 s15, s15, (.LBB2_423-.Lpost_getpc28883)>>32
	s_setpc_b64 s[14:15]
.LBB2_28883:
	s_getpc_b64 s[14:15]
.Lpost_getpc18025:
	s_add_u32 s14, s14, (.LBB2_424-.Lpost_getpc18025)&4294967295
	s_addc_u32 s15, s15, (.LBB2_424-.Lpost_getpc18025)>>32
	s_setpc_b64 s[14:15]
.LBB2_14761:
	s_movk_i32 s4, 0x80
	v_cmp_eq_u16_sdwa s[12:13], v6, s4 src0_sel:BYTE_0 src1_sel:DWORD
	s_mov_b64 s[4:5], -1
                                        ; implicit-def: $sgpr10
	s_and_saveexec_b64 s[8:9], s[12:13]
; %bb.14762:
	s_mov_b32 s10, 0x7f800001
	s_xor_b64 s[4:5], exec, -1
; %bb.14763:
	s_or_b64 exec, exec, s[8:9]
	s_and_b64 s[4:5], s[4:5], exec
	s_or_saveexec_b64 s[6:7], s[6:7]
	v_mov_b32_e32 v2, s10
	s_xor_b64 exec, exec, s[6:7]
	s_cbranch_execnz .LBB2_14764
; %bb.50601:
	s_getpc_b64 s[14:15]
.Lpost_getpc28884:
	s_add_u32 s14, s14, (.LBB2_426-.Lpost_getpc28884)&4294967295
	s_addc_u32 s15, s15, (.LBB2_426-.Lpost_getpc28884)>>32
	s_setpc_b64 s[14:15]
.LBB2_14764:
	v_mov_b32_e32 v2, 0
	v_cmp_ne_u16_sdwa s[8:9], v6, v2 src0_sel:BYTE_0 src1_sel:DWORD
	s_andn2_b64 s[4:5], s[4:5], exec
	s_and_b64 s[8:9], s[8:9], exec
	s_or_b64 s[4:5], s[4:5], s[8:9]
	s_or_b64 exec, exec, s[6:7]
	s_and_saveexec_b64 s[6:7], s[4:5]
	s_cbranch_execz .LBB2_28885
; %bb.50603:
	s_getpc_b64 s[14:15]
.Lpost_getpc28885:
	s_add_u32 s14, s14, (.LBB2_427-.Lpost_getpc28885)&4294967295
	s_addc_u32 s15, s15, (.LBB2_427-.Lpost_getpc28885)>>32
	s_setpc_b64 s[14:15]
.LBB2_28885:
	s_getpc_b64 s[14:15]
.Lpost_getpc18026:
	s_add_u32 s14, s14, (.LBB2_428-.Lpost_getpc18026)&4294967295
	s_addc_u32 s15, s15, (.LBB2_428-.Lpost_getpc18026)>>32
	s_setpc_b64 s[14:15]
.LBB2_14765:
	s_movk_i32 s4, 0x80
	v_cmp_eq_u16_sdwa s[12:13], v6, s4 src0_sel:BYTE_0 src1_sel:DWORD
	s_mov_b64 s[4:5], -1
                                        ; implicit-def: $sgpr10
	s_and_saveexec_b64 s[8:9], s[12:13]
; %bb.14766:
	s_mov_b32 s10, 0x7f800001
	s_xor_b64 s[4:5], exec, -1
; %bb.14767:
	s_or_b64 exec, exec, s[8:9]
	s_and_b64 s[4:5], s[4:5], exec
	s_or_saveexec_b64 s[6:7], s[6:7]
	v_mov_b32_e32 v12, s10
	s_xor_b64 exec, exec, s[6:7]
	s_cbranch_execnz .LBB2_14768
; %bb.50605:
	s_getpc_b64 s[14:15]
.Lpost_getpc28886:
	s_add_u32 s14, s14, (.LBB2_430-.Lpost_getpc28886)&4294967295
	s_addc_u32 s15, s15, (.LBB2_430-.Lpost_getpc28886)>>32
	s_setpc_b64 s[14:15]
.LBB2_14768:
	v_mov_b32_e32 v12, 0
	v_cmp_ne_u16_sdwa s[8:9], v6, v12 src0_sel:BYTE_0 src1_sel:DWORD
	s_andn2_b64 s[4:5], s[4:5], exec
	s_and_b64 s[8:9], s[8:9], exec
	s_or_b64 s[4:5], s[4:5], s[8:9]
	s_or_b64 exec, exec, s[6:7]
	s_and_saveexec_b64 s[6:7], s[4:5]
	s_cbranch_execz .LBB2_28887
; %bb.50607:
	s_getpc_b64 s[14:15]
.Lpost_getpc28887:
	s_add_u32 s14, s14, (.LBB2_431-.Lpost_getpc28887)&4294967295
	s_addc_u32 s15, s15, (.LBB2_431-.Lpost_getpc28887)>>32
	s_setpc_b64 s[14:15]
.LBB2_28887:
	s_getpc_b64 s[14:15]
.Lpost_getpc18027:
	s_add_u32 s14, s14, (.LBB2_432-.Lpost_getpc18027)&4294967295
	s_addc_u32 s15, s15, (.LBB2_432-.Lpost_getpc18027)>>32
	s_setpc_b64 s[14:15]
.LBB2_14769:
	s_movk_i32 s4, 0x80
	v_cmp_eq_u16_e32 vcc, s4, v6
	s_mov_b64 s[4:5], -1
                                        ; implicit-def: $sgpr10
	s_and_saveexec_b64 s[8:9], vcc
; %bb.14770:
	s_mov_b32 s10, 0x7f800001
	s_xor_b64 s[4:5], exec, -1
; %bb.14771:
	s_or_b64 exec, exec, s[8:9]
	s_and_b64 s[4:5], s[4:5], exec
                                        ; implicit-def: $vgpr6
	s_or_saveexec_b64 s[6:7], s[6:7]
	v_mov_b32_e32 v2, s10
	s_xor_b64 exec, exec, s[6:7]
	s_cbranch_execnz .LBB2_14772
; %bb.50609:
	s_getpc_b64 s[14:15]
.Lpost_getpc28888:
	s_add_u32 s14, s14, (.LBB2_434-.Lpost_getpc28888)&4294967295
	s_addc_u32 s15, s15, (.LBB2_434-.Lpost_getpc28888)>>32
	s_setpc_b64 s[14:15]
.LBB2_14772:
	v_cmp_ne_u16_e32 vcc, 0, v6
	s_andn2_b64 s[4:5], s[4:5], exec
	s_and_b64 s[8:9], vcc, exec
	v_mov_b32_e32 v2, 0
	s_or_b64 s[4:5], s[4:5], s[8:9]
	s_or_b64 exec, exec, s[6:7]
	s_and_saveexec_b64 s[6:7], s[4:5]
	s_cbranch_execz .LBB2_28889
; %bb.50611:
	s_getpc_b64 s[14:15]
.Lpost_getpc28889:
	s_add_u32 s14, s14, (.LBB2_435-.Lpost_getpc28889)&4294967295
	s_addc_u32 s15, s15, (.LBB2_435-.Lpost_getpc28889)>>32
	s_setpc_b64 s[14:15]
.LBB2_28889:
	s_getpc_b64 s[14:15]
.Lpost_getpc18028:
	s_add_u32 s14, s14, (.LBB2_436-.Lpost_getpc18028)&4294967295
	s_addc_u32 s15, s15, (.LBB2_436-.Lpost_getpc18028)>>32
	s_setpc_b64 s[14:15]
.LBB2_14773:
	s_movk_i32 s4, 0x80
	v_cmp_eq_u16_e32 vcc, s4, v6
	s_mov_b64 s[4:5], -1
                                        ; implicit-def: $sgpr10
	s_and_saveexec_b64 s[8:9], vcc
; %bb.14774:
	s_mov_b32 s10, 0x7f800001
	s_xor_b64 s[4:5], exec, -1
; %bb.14775:
	s_or_b64 exec, exec, s[8:9]
	s_and_b64 s[4:5], s[4:5], exec
                                        ; implicit-def: $vgpr6
	s_or_saveexec_b64 s[6:7], s[6:7]
	v_mov_b32_e32 v12, s10
	s_xor_b64 exec, exec, s[6:7]
	s_cbranch_execnz .LBB2_14776
; %bb.50613:
	s_getpc_b64 s[14:15]
.Lpost_getpc28890:
	s_add_u32 s14, s14, (.LBB2_438-.Lpost_getpc28890)&4294967295
	s_addc_u32 s15, s15, (.LBB2_438-.Lpost_getpc28890)>>32
	s_setpc_b64 s[14:15]
.LBB2_14776:
	v_cmp_ne_u16_e32 vcc, 0, v6
	s_andn2_b64 s[4:5], s[4:5], exec
	s_and_b64 s[8:9], vcc, exec
	v_mov_b32_e32 v12, 0
	s_or_b64 s[4:5], s[4:5], s[8:9]
	s_or_b64 exec, exec, s[6:7]
	s_and_saveexec_b64 s[6:7], s[4:5]
	s_cbranch_execz .LBB2_28891
; %bb.50615:
	s_getpc_b64 s[14:15]
.Lpost_getpc28891:
	s_add_u32 s14, s14, (.LBB2_439-.Lpost_getpc28891)&4294967295
	s_addc_u32 s15, s15, (.LBB2_439-.Lpost_getpc28891)>>32
	s_setpc_b64 s[14:15]
.LBB2_28891:
	s_getpc_b64 s[14:15]
.Lpost_getpc18029:
	s_add_u32 s14, s14, (.LBB2_440-.Lpost_getpc18029)&4294967295
	s_addc_u32 s15, s15, (.LBB2_440-.Lpost_getpc18029)>>32
	s_setpc_b64 s[14:15]
.LBB2_14777:
	s_movk_i32 s4, 0x80
	v_cmp_eq_u16_sdwa s[12:13], v7, s4 src0_sel:BYTE_3 src1_sel:DWORD
	s_mov_b64 s[4:5], -1
                                        ; implicit-def: $sgpr10
	s_and_saveexec_b64 s[8:9], s[12:13]
; %bb.14778:
	s_mov_b32 s10, 0x7f800001
	s_xor_b64 s[4:5], exec, -1
; %bb.14779:
	s_or_b64 exec, exec, s[8:9]
	s_and_b64 s[4:5], s[4:5], exec
	s_or_saveexec_b64 s[6:7], s[6:7]
	v_mov_b32_e32 v2, s10
	s_xor_b64 exec, exec, s[6:7]
	s_cbranch_execnz .LBB2_14780
; %bb.50617:
	s_getpc_b64 s[14:15]
.Lpost_getpc28892:
	s_add_u32 s14, s14, (.LBB2_442-.Lpost_getpc28892)&4294967295
	s_addc_u32 s15, s15, (.LBB2_442-.Lpost_getpc28892)>>32
	s_setpc_b64 s[14:15]
.LBB2_14780:
	v_mov_b32_e32 v2, 0
	v_cmp_ne_u16_sdwa s[8:9], v7, v2 src0_sel:BYTE_3 src1_sel:DWORD
	s_andn2_b64 s[4:5], s[4:5], exec
	s_and_b64 s[8:9], s[8:9], exec
	s_or_b64 s[4:5], s[4:5], s[8:9]
	s_or_b64 exec, exec, s[6:7]
	s_and_saveexec_b64 s[6:7], s[4:5]
	s_cbranch_execz .LBB2_28893
; %bb.50619:
	s_getpc_b64 s[14:15]
.Lpost_getpc28893:
	s_add_u32 s14, s14, (.LBB2_443-.Lpost_getpc28893)&4294967295
	s_addc_u32 s15, s15, (.LBB2_443-.Lpost_getpc28893)>>32
	s_setpc_b64 s[14:15]
.LBB2_28893:
	s_getpc_b64 s[14:15]
.Lpost_getpc18030:
	s_add_u32 s14, s14, (.LBB2_444-.Lpost_getpc18030)&4294967295
	s_addc_u32 s15, s15, (.LBB2_444-.Lpost_getpc18030)>>32
	s_setpc_b64 s[14:15]
.LBB2_14781:
	s_movk_i32 s4, 0x80
	v_cmp_eq_u16_sdwa s[12:13], v3, s4 src0_sel:BYTE_3 src1_sel:DWORD
	s_mov_b64 s[4:5], -1
                                        ; implicit-def: $sgpr10
	s_and_saveexec_b64 s[8:9], s[12:13]
; %bb.14782:
	s_mov_b32 s10, 0x7f800001
	s_xor_b64 s[4:5], exec, -1
; %bb.14783:
	s_or_b64 exec, exec, s[8:9]
	s_and_b64 s[4:5], s[4:5], exec
	s_or_saveexec_b64 s[6:7], s[6:7]
	v_mov_b32_e32 v6, s10
	s_xor_b64 exec, exec, s[6:7]
	s_cbranch_execnz .LBB2_14784
; %bb.50621:
	s_getpc_b64 s[14:15]
.Lpost_getpc28894:
	s_add_u32 s14, s14, (.LBB2_446-.Lpost_getpc28894)&4294967295
	s_addc_u32 s15, s15, (.LBB2_446-.Lpost_getpc28894)>>32
	s_setpc_b64 s[14:15]
.LBB2_14784:
	v_mov_b32_e32 v6, 0
	v_cmp_ne_u16_sdwa s[8:9], v3, v6 src0_sel:BYTE_3 src1_sel:DWORD
	s_andn2_b64 s[4:5], s[4:5], exec
	s_and_b64 s[8:9], s[8:9], exec
	s_or_b64 s[4:5], s[4:5], s[8:9]
	s_or_b64 exec, exec, s[6:7]
	s_and_saveexec_b64 s[6:7], s[4:5]
	s_cbranch_execz .LBB2_28895
; %bb.50623:
	s_getpc_b64 s[14:15]
.Lpost_getpc28895:
	s_add_u32 s14, s14, (.LBB2_447-.Lpost_getpc28895)&4294967295
	s_addc_u32 s15, s15, (.LBB2_447-.Lpost_getpc28895)>>32
	s_setpc_b64 s[14:15]
.LBB2_28895:
	s_getpc_b64 s[14:15]
.Lpost_getpc18031:
	s_add_u32 s14, s14, (.LBB2_448-.Lpost_getpc18031)&4294967295
	s_addc_u32 s15, s15, (.LBB2_448-.Lpost_getpc18031)>>32
	s_setpc_b64 s[14:15]
.LBB2_14785:
	s_movk_i32 s4, 0x80
	v_cmp_eq_u16_sdwa s[12:13], v8, s4 src0_sel:BYTE_0 src1_sel:DWORD
	s_mov_b64 s[4:5], -1
                                        ; implicit-def: $sgpr10
	s_and_saveexec_b64 s[8:9], s[12:13]
; %bb.14786:
	s_mov_b32 s10, 0x7f800001
	s_xor_b64 s[4:5], exec, -1
; %bb.14787:
	s_or_b64 exec, exec, s[8:9]
	s_and_b64 s[4:5], s[4:5], exec
	s_or_saveexec_b64 s[6:7], s[6:7]
	v_mov_b32_e32 v2, s10
	s_xor_b64 exec, exec, s[6:7]
	s_cbranch_execnz .LBB2_14788
; %bb.50625:
	s_getpc_b64 s[14:15]
.Lpost_getpc28896:
	s_add_u32 s14, s14, (.LBB2_450-.Lpost_getpc28896)&4294967295
	s_addc_u32 s15, s15, (.LBB2_450-.Lpost_getpc28896)>>32
	s_setpc_b64 s[14:15]
.LBB2_14788:
	v_mov_b32_e32 v2, 0
	v_cmp_ne_u16_sdwa s[8:9], v8, v2 src0_sel:BYTE_0 src1_sel:DWORD
	s_andn2_b64 s[4:5], s[4:5], exec
	s_and_b64 s[8:9], s[8:9], exec
	s_or_b64 s[4:5], s[4:5], s[8:9]
	s_or_b64 exec, exec, s[6:7]
	s_and_saveexec_b64 s[6:7], s[4:5]
	s_cbranch_execz .LBB2_28897
; %bb.50627:
	s_getpc_b64 s[14:15]
.Lpost_getpc28897:
	s_add_u32 s14, s14, (.LBB2_451-.Lpost_getpc28897)&4294967295
	s_addc_u32 s15, s15, (.LBB2_451-.Lpost_getpc28897)>>32
	s_setpc_b64 s[14:15]
.LBB2_28897:
	s_getpc_b64 s[14:15]
.Lpost_getpc18032:
	s_add_u32 s14, s14, (.LBB2_452-.Lpost_getpc18032)&4294967295
	s_addc_u32 s15, s15, (.LBB2_452-.Lpost_getpc18032)>>32
	s_setpc_b64 s[14:15]
.LBB2_14789:
	s_movk_i32 s4, 0x80
	v_cmp_eq_u16_sdwa s[12:13], v4, s4 src0_sel:BYTE_0 src1_sel:DWORD
	s_mov_b64 s[4:5], -1
                                        ; implicit-def: $sgpr10
	s_and_saveexec_b64 s[8:9], s[12:13]
; %bb.14790:
	s_mov_b32 s10, 0x7f800001
	s_xor_b64 s[4:5], exec, -1
; %bb.14791:
	s_or_b64 exec, exec, s[8:9]
	s_and_b64 s[4:5], s[4:5], exec
	s_or_saveexec_b64 s[6:7], s[6:7]
	v_mov_b32_e32 v3, s10
	s_xor_b64 exec, exec, s[6:7]
	s_cbranch_execnz .LBB2_14792
; %bb.50629:
	s_getpc_b64 s[14:15]
.Lpost_getpc28898:
	s_add_u32 s14, s14, (.LBB2_454-.Lpost_getpc28898)&4294967295
	s_addc_u32 s15, s15, (.LBB2_454-.Lpost_getpc28898)>>32
	s_setpc_b64 s[14:15]
.LBB2_14792:
	v_mov_b32_e32 v3, 0
	v_cmp_ne_u16_sdwa s[8:9], v4, v3 src0_sel:BYTE_0 src1_sel:DWORD
	s_andn2_b64 s[4:5], s[4:5], exec
	s_and_b64 s[8:9], s[8:9], exec
	s_or_b64 s[4:5], s[4:5], s[8:9]
	s_or_b64 exec, exec, s[6:7]
	s_and_saveexec_b64 s[6:7], s[4:5]
	s_cbranch_execz .LBB2_28899
; %bb.50631:
	s_getpc_b64 s[14:15]
.Lpost_getpc28899:
	s_add_u32 s14, s14, (.LBB2_455-.Lpost_getpc28899)&4294967295
	s_addc_u32 s15, s15, (.LBB2_455-.Lpost_getpc28899)>>32
	s_setpc_b64 s[14:15]
.LBB2_28899:
	s_getpc_b64 s[14:15]
.Lpost_getpc18033:
	s_add_u32 s14, s14, (.LBB2_456-.Lpost_getpc18033)&4294967295
	s_addc_u32 s15, s15, (.LBB2_456-.Lpost_getpc18033)>>32
	s_setpc_b64 s[14:15]
.LBB2_14793:
	s_movk_i32 s4, 0x80
	v_cmp_eq_u16_sdwa s[12:13], v3, s4 src0_sel:BYTE_0 src1_sel:DWORD
	s_mov_b64 s[4:5], -1
                                        ; implicit-def: $sgpr10
	s_and_saveexec_b64 s[8:9], s[12:13]
; %bb.14794:
	s_mov_b32 s10, 0x7f800001
	s_xor_b64 s[4:5], exec, -1
; %bb.14795:
	s_or_b64 exec, exec, s[8:9]
	s_and_b64 s[4:5], s[4:5], exec
	s_or_saveexec_b64 s[6:7], s[6:7]
	v_mov_b32_e32 v2, s10
	s_xor_b64 exec, exec, s[6:7]
	s_cbranch_execnz .LBB2_14796
; %bb.50633:
	s_getpc_b64 s[14:15]
.Lpost_getpc28900:
	s_add_u32 s14, s14, (.LBB2_458-.Lpost_getpc28900)&4294967295
	s_addc_u32 s15, s15, (.LBB2_458-.Lpost_getpc28900)>>32
	s_setpc_b64 s[14:15]
.LBB2_14796:
	v_mov_b32_e32 v2, 0
	v_cmp_ne_u16_sdwa s[8:9], v3, v2 src0_sel:BYTE_0 src1_sel:DWORD
	s_andn2_b64 s[4:5], s[4:5], exec
	s_and_b64 s[8:9], s[8:9], exec
	s_or_b64 s[4:5], s[4:5], s[8:9]
	s_or_b64 exec, exec, s[6:7]
	s_and_saveexec_b64 s[6:7], s[4:5]
	s_cbranch_execz .LBB2_28901
; %bb.50635:
	s_getpc_b64 s[14:15]
.Lpost_getpc28901:
	s_add_u32 s14, s14, (.LBB2_459-.Lpost_getpc28901)&4294967295
	s_addc_u32 s15, s15, (.LBB2_459-.Lpost_getpc28901)>>32
	s_setpc_b64 s[14:15]
.LBB2_28901:
	s_getpc_b64 s[14:15]
.Lpost_getpc18034:
	s_add_u32 s14, s14, (.LBB2_460-.Lpost_getpc18034)&4294967295
	s_addc_u32 s15, s15, (.LBB2_460-.Lpost_getpc18034)>>32
	s_setpc_b64 s[14:15]
.LBB2_14797:
	s_movk_i32 s4, 0x80
	v_cmp_eq_u16_sdwa s[12:13], v3, s4 src0_sel:BYTE_0 src1_sel:DWORD
	s_mov_b64 s[4:5], -1
                                        ; implicit-def: $sgpr10
	s_and_saveexec_b64 s[8:9], s[12:13]
; %bb.14798:
	s_mov_b32 s10, 0x7f800001
	s_xor_b64 s[4:5], exec, -1
; %bb.14799:
	s_or_b64 exec, exec, s[8:9]
	s_and_b64 s[4:5], s[4:5], exec
	s_or_saveexec_b64 s[6:7], s[6:7]
	v_mov_b32_e32 v6, s10
	s_xor_b64 exec, exec, s[6:7]
	s_cbranch_execnz .LBB2_14800
; %bb.50637:
	s_getpc_b64 s[14:15]
.Lpost_getpc28902:
	s_add_u32 s14, s14, (.LBB2_462-.Lpost_getpc28902)&4294967295
	s_addc_u32 s15, s15, (.LBB2_462-.Lpost_getpc28902)>>32
	s_setpc_b64 s[14:15]
.LBB2_14800:
	v_mov_b32_e32 v6, 0
	v_cmp_ne_u16_sdwa s[8:9], v3, v6 src0_sel:BYTE_0 src1_sel:DWORD
	s_andn2_b64 s[4:5], s[4:5], exec
	s_and_b64 s[8:9], s[8:9], exec
	s_or_b64 s[4:5], s[4:5], s[8:9]
	s_or_b64 exec, exec, s[6:7]
	s_and_saveexec_b64 s[6:7], s[4:5]
	s_cbranch_execz .LBB2_28903
; %bb.50639:
	s_getpc_b64 s[14:15]
.Lpost_getpc28903:
	s_add_u32 s14, s14, (.LBB2_463-.Lpost_getpc28903)&4294967295
	s_addc_u32 s15, s15, (.LBB2_463-.Lpost_getpc28903)>>32
	s_setpc_b64 s[14:15]
.LBB2_28903:
	s_getpc_b64 s[14:15]
.Lpost_getpc18035:
	s_add_u32 s14, s14, (.LBB2_464-.Lpost_getpc18035)&4294967295
	s_addc_u32 s15, s15, (.LBB2_464-.Lpost_getpc18035)>>32
	s_setpc_b64 s[14:15]
.LBB2_14801:
	s_movk_i32 s4, 0x80
	v_cmp_eq_u16_e32 vcc, s4, v3
	s_mov_b64 s[4:5], -1
                                        ; implicit-def: $sgpr10
	s_and_saveexec_b64 s[8:9], vcc
; %bb.14802:
	s_mov_b32 s10, 0x7f800001
	s_xor_b64 s[4:5], exec, -1
; %bb.14803:
	s_or_b64 exec, exec, s[8:9]
	s_and_b64 s[4:5], s[4:5], exec
                                        ; implicit-def: $vgpr3
	s_or_saveexec_b64 s[6:7], s[6:7]
	v_mov_b32_e32 v2, s10
	s_xor_b64 exec, exec, s[6:7]
	s_cbranch_execnz .LBB2_14804
; %bb.50641:
	s_getpc_b64 s[14:15]
.Lpost_getpc28904:
	s_add_u32 s14, s14, (.LBB2_466-.Lpost_getpc28904)&4294967295
	s_addc_u32 s15, s15, (.LBB2_466-.Lpost_getpc28904)>>32
	s_setpc_b64 s[14:15]
.LBB2_14804:
	v_cmp_ne_u16_e32 vcc, 0, v3
	s_andn2_b64 s[4:5], s[4:5], exec
	s_and_b64 s[8:9], vcc, exec
	v_mov_b32_e32 v2, 0
	s_or_b64 s[4:5], s[4:5], s[8:9]
	s_or_b64 exec, exec, s[6:7]
	s_and_saveexec_b64 s[6:7], s[4:5]
	s_cbranch_execz .LBB2_28905
; %bb.50643:
	s_getpc_b64 s[14:15]
.Lpost_getpc28905:
	s_add_u32 s14, s14, (.LBB2_467-.Lpost_getpc28905)&4294967295
	s_addc_u32 s15, s15, (.LBB2_467-.Lpost_getpc28905)>>32
	s_setpc_b64 s[14:15]
.LBB2_28905:
	s_getpc_b64 s[14:15]
.Lpost_getpc18036:
	s_add_u32 s14, s14, (.LBB2_468-.Lpost_getpc18036)&4294967295
	s_addc_u32 s15, s15, (.LBB2_468-.Lpost_getpc18036)>>32
	s_setpc_b64 s[14:15]
.LBB2_14805:
	s_movk_i32 s4, 0x80
	v_cmp_eq_u16_e32 vcc, s4, v3
	s_mov_b64 s[4:5], -1
                                        ; implicit-def: $sgpr10
	s_and_saveexec_b64 s[8:9], vcc
; %bb.14806:
	s_mov_b32 s10, 0x7f800001
	s_xor_b64 s[4:5], exec, -1
; %bb.14807:
	s_or_b64 exec, exec, s[8:9]
	s_and_b64 s[4:5], s[4:5], exec
                                        ; implicit-def: $vgpr3
	s_or_saveexec_b64 s[6:7], s[6:7]
	v_mov_b32_e32 v6, s10
	s_xor_b64 exec, exec, s[6:7]
	s_cbranch_execnz .LBB2_14808
; %bb.50645:
	s_getpc_b64 s[14:15]
.Lpost_getpc28906:
	s_add_u32 s14, s14, (.LBB2_470-.Lpost_getpc28906)&4294967295
	s_addc_u32 s15, s15, (.LBB2_470-.Lpost_getpc28906)>>32
	s_setpc_b64 s[14:15]
.LBB2_14808:
	v_cmp_ne_u16_e32 vcc, 0, v3
	s_andn2_b64 s[4:5], s[4:5], exec
	s_and_b64 s[8:9], vcc, exec
	v_mov_b32_e32 v6, 0
	s_or_b64 s[4:5], s[4:5], s[8:9]
	s_or_b64 exec, exec, s[6:7]
	s_and_saveexec_b64 s[6:7], s[4:5]
	s_cbranch_execz .LBB2_28907
; %bb.50647:
	s_getpc_b64 s[14:15]
.Lpost_getpc28907:
	s_add_u32 s14, s14, (.LBB2_471-.Lpost_getpc28907)&4294967295
	s_addc_u32 s15, s15, (.LBB2_471-.Lpost_getpc28907)>>32
	s_setpc_b64 s[14:15]
.LBB2_28907:
	s_getpc_b64 s[14:15]
.Lpost_getpc18037:
	s_add_u32 s14, s14, (.LBB2_472-.Lpost_getpc18037)&4294967295
	s_addc_u32 s15, s15, (.LBB2_472-.Lpost_getpc18037)>>32
	s_setpc_b64 s[14:15]
.LBB2_14809:
	s_movk_i32 s4, 0x80
	v_cmp_eq_u16_sdwa s[12:13], v8, s4 src0_sel:BYTE_3 src1_sel:DWORD
	s_mov_b64 s[4:5], -1
                                        ; implicit-def: $sgpr10
	s_and_saveexec_b64 s[8:9], s[12:13]
; %bb.14810:
	s_mov_b32 s10, 0x7f800001
	s_xor_b64 s[4:5], exec, -1
; %bb.14811:
	s_or_b64 exec, exec, s[8:9]
	s_and_b64 s[4:5], s[4:5], exec
	s_or_saveexec_b64 s[6:7], s[6:7]
	v_mov_b32_e32 v2, s10
	s_xor_b64 exec, exec, s[6:7]
	s_cbranch_execnz .LBB2_14812
; %bb.50649:
	s_getpc_b64 s[14:15]
.Lpost_getpc28908:
	s_add_u32 s14, s14, (.LBB2_474-.Lpost_getpc28908)&4294967295
	s_addc_u32 s15, s15, (.LBB2_474-.Lpost_getpc28908)>>32
	s_setpc_b64 s[14:15]
.LBB2_14812:
	v_mov_b32_e32 v2, 0
	v_cmp_ne_u16_sdwa s[8:9], v8, v2 src0_sel:BYTE_3 src1_sel:DWORD
	s_andn2_b64 s[4:5], s[4:5], exec
	s_and_b64 s[8:9], s[8:9], exec
	s_or_b64 s[4:5], s[4:5], s[8:9]
	s_or_b64 exec, exec, s[6:7]
	s_and_saveexec_b64 s[6:7], s[4:5]
	s_cbranch_execz .LBB2_28909
; %bb.50651:
	s_getpc_b64 s[14:15]
.Lpost_getpc28909:
	s_add_u32 s14, s14, (.LBB2_475-.Lpost_getpc28909)&4294967295
	s_addc_u32 s15, s15, (.LBB2_475-.Lpost_getpc28909)>>32
	s_setpc_b64 s[14:15]
.LBB2_28909:
	s_getpc_b64 s[14:15]
.Lpost_getpc18038:
	s_add_u32 s14, s14, (.LBB2_476-.Lpost_getpc18038)&4294967295
	s_addc_u32 s15, s15, (.LBB2_476-.Lpost_getpc18038)>>32
	s_setpc_b64 s[14:15]
.LBB2_14813:
	s_movk_i32 s4, 0x80
	v_cmp_eq_u16_sdwa s[12:13], v4, s4 src0_sel:BYTE_3 src1_sel:DWORD
	s_mov_b64 s[4:5], -1
                                        ; implicit-def: $sgpr10
	s_and_saveexec_b64 s[8:9], s[12:13]
; %bb.14814:
	s_mov_b32 s10, 0x7f800001
	s_xor_b64 s[4:5], exec, -1
; %bb.14815:
	s_or_b64 exec, exec, s[8:9]
	s_and_b64 s[4:5], s[4:5], exec
	s_or_saveexec_b64 s[6:7], s[6:7]
	v_mov_b32_e32 v3, s10
	s_xor_b64 exec, exec, s[6:7]
	s_cbranch_execnz .LBB2_14816
; %bb.50653:
	s_getpc_b64 s[14:15]
.Lpost_getpc28910:
	s_add_u32 s14, s14, (.LBB2_478-.Lpost_getpc28910)&4294967295
	s_addc_u32 s15, s15, (.LBB2_478-.Lpost_getpc28910)>>32
	s_setpc_b64 s[14:15]
.LBB2_14816:
	v_mov_b32_e32 v3, 0
	v_cmp_ne_u16_sdwa s[8:9], v4, v3 src0_sel:BYTE_3 src1_sel:DWORD
	s_andn2_b64 s[4:5], s[4:5], exec
	s_and_b64 s[8:9], s[8:9], exec
	s_or_b64 s[4:5], s[4:5], s[8:9]
	s_or_b64 exec, exec, s[6:7]
	s_and_saveexec_b64 s[6:7], s[4:5]
	s_cbranch_execz .LBB2_28911
; %bb.50655:
	s_getpc_b64 s[14:15]
.Lpost_getpc28911:
	s_add_u32 s14, s14, (.LBB2_479-.Lpost_getpc28911)&4294967295
	s_addc_u32 s15, s15, (.LBB2_479-.Lpost_getpc28911)>>32
	s_setpc_b64 s[14:15]
.LBB2_28911:
	s_getpc_b64 s[14:15]
.Lpost_getpc18039:
	s_add_u32 s14, s14, (.LBB2_480-.Lpost_getpc18039)&4294967295
	s_addc_u32 s15, s15, (.LBB2_480-.Lpost_getpc18039)>>32
	s_setpc_b64 s[14:15]
.LBB2_14817:
	s_movk_i32 s4, 0x80
	v_cmp_eq_u16_sdwa s[12:13], v9, s4 src0_sel:BYTE_0 src1_sel:DWORD
	s_mov_b64 s[4:5], -1
                                        ; implicit-def: $sgpr10
	s_and_saveexec_b64 s[8:9], s[12:13]
; %bb.14818:
	s_mov_b32 s10, 0x7f800001
	s_xor_b64 s[4:5], exec, -1
; %bb.14819:
	s_or_b64 exec, exec, s[8:9]
	s_and_b64 s[4:5], s[4:5], exec
	s_or_saveexec_b64 s[6:7], s[6:7]
	v_mov_b32_e32 v2, s10
	s_xor_b64 exec, exec, s[6:7]
	s_cbranch_execnz .LBB2_14820
; %bb.50657:
	s_getpc_b64 s[14:15]
.Lpost_getpc28912:
	s_add_u32 s14, s14, (.LBB2_482-.Lpost_getpc28912)&4294967295
	s_addc_u32 s15, s15, (.LBB2_482-.Lpost_getpc28912)>>32
	s_setpc_b64 s[14:15]
.LBB2_14820:
	v_mov_b32_e32 v2, 0
	v_cmp_ne_u16_sdwa s[8:9], v9, v2 src0_sel:BYTE_0 src1_sel:DWORD
	s_andn2_b64 s[4:5], s[4:5], exec
	s_and_b64 s[8:9], s[8:9], exec
	s_or_b64 s[4:5], s[4:5], s[8:9]
	s_or_b64 exec, exec, s[6:7]
	s_and_saveexec_b64 s[6:7], s[4:5]
	s_cbranch_execz .LBB2_28913
; %bb.50659:
	s_getpc_b64 s[14:15]
.Lpost_getpc28913:
	s_add_u32 s14, s14, (.LBB2_483-.Lpost_getpc28913)&4294967295
	s_addc_u32 s15, s15, (.LBB2_483-.Lpost_getpc28913)>>32
	s_setpc_b64 s[14:15]
.LBB2_28913:
	s_getpc_b64 s[14:15]
.Lpost_getpc18040:
	s_add_u32 s14, s14, (.LBB2_484-.Lpost_getpc18040)&4294967295
	s_addc_u32 s15, s15, (.LBB2_484-.Lpost_getpc18040)>>32
	s_setpc_b64 s[14:15]
.LBB2_14821:
	s_movk_i32 s4, 0x80
	v_cmp_eq_u16_sdwa s[12:13], v5, s4 src0_sel:BYTE_0 src1_sel:DWORD
	s_mov_b64 s[4:5], -1
                                        ; implicit-def: $sgpr10
	s_and_saveexec_b64 s[8:9], s[12:13]
; %bb.14822:
	s_mov_b32 s10, 0x7f800001
	s_xor_b64 s[4:5], exec, -1
; %bb.14823:
	s_or_b64 exec, exec, s[8:9]
	s_and_b64 s[4:5], s[4:5], exec
	s_or_saveexec_b64 s[6:7], s[6:7]
	v_mov_b32_e32 v3, s10
	s_xor_b64 exec, exec, s[6:7]
	s_cbranch_execnz .LBB2_14824
; %bb.50661:
	s_getpc_b64 s[14:15]
.Lpost_getpc28914:
	s_add_u32 s14, s14, (.LBB2_486-.Lpost_getpc28914)&4294967295
	s_addc_u32 s15, s15, (.LBB2_486-.Lpost_getpc28914)>>32
	s_setpc_b64 s[14:15]
.LBB2_14824:
	v_mov_b32_e32 v3, 0
	v_cmp_ne_u16_sdwa s[8:9], v5, v3 src0_sel:BYTE_0 src1_sel:DWORD
	s_andn2_b64 s[4:5], s[4:5], exec
	s_and_b64 s[8:9], s[8:9], exec
	s_or_b64 s[4:5], s[4:5], s[8:9]
	s_or_b64 exec, exec, s[6:7]
	s_and_saveexec_b64 s[6:7], s[4:5]
	s_cbranch_execz .LBB2_28915
; %bb.50663:
	s_getpc_b64 s[14:15]
.Lpost_getpc28915:
	s_add_u32 s14, s14, (.LBB2_487-.Lpost_getpc28915)&4294967295
	s_addc_u32 s15, s15, (.LBB2_487-.Lpost_getpc28915)>>32
	s_setpc_b64 s[14:15]
.LBB2_28915:
	s_getpc_b64 s[14:15]
.Lpost_getpc18041:
	s_add_u32 s14, s14, (.LBB2_488-.Lpost_getpc18041)&4294967295
	s_addc_u32 s15, s15, (.LBB2_488-.Lpost_getpc18041)>>32
	s_setpc_b64 s[14:15]
.LBB2_14825:
	s_movk_i32 s4, 0x80
	v_cmp_eq_u16_sdwa s[12:13], v3, s4 src0_sel:BYTE_0 src1_sel:DWORD
	s_mov_b64 s[4:5], -1
                                        ; implicit-def: $sgpr10
	s_and_saveexec_b64 s[8:9], s[12:13]
; %bb.14826:
	s_mov_b32 s10, 0x7f800001
	s_xor_b64 s[4:5], exec, -1
; %bb.14827:
	s_or_b64 exec, exec, s[8:9]
	s_and_b64 s[4:5], s[4:5], exec
	s_or_saveexec_b64 s[6:7], s[6:7]
	v_mov_b32_e32 v2, s10
	s_xor_b64 exec, exec, s[6:7]
	s_cbranch_execnz .LBB2_14828
; %bb.50665:
	s_getpc_b64 s[14:15]
.Lpost_getpc28916:
	s_add_u32 s14, s14, (.LBB2_490-.Lpost_getpc28916)&4294967295
	s_addc_u32 s15, s15, (.LBB2_490-.Lpost_getpc28916)>>32
	s_setpc_b64 s[14:15]
.LBB2_14828:
	v_mov_b32_e32 v2, 0
	v_cmp_ne_u16_sdwa s[8:9], v3, v2 src0_sel:BYTE_0 src1_sel:DWORD
	s_andn2_b64 s[4:5], s[4:5], exec
	s_and_b64 s[8:9], s[8:9], exec
	s_or_b64 s[4:5], s[4:5], s[8:9]
	s_or_b64 exec, exec, s[6:7]
	s_and_saveexec_b64 s[6:7], s[4:5]
	s_cbranch_execz .LBB2_28917
; %bb.50667:
	s_getpc_b64 s[14:15]
.Lpost_getpc28917:
	s_add_u32 s14, s14, (.LBB2_491-.Lpost_getpc28917)&4294967295
	s_addc_u32 s15, s15, (.LBB2_491-.Lpost_getpc28917)>>32
	s_setpc_b64 s[14:15]
.LBB2_28917:
	s_getpc_b64 s[14:15]
.Lpost_getpc18042:
	s_add_u32 s14, s14, (.LBB2_492-.Lpost_getpc18042)&4294967295
	s_addc_u32 s15, s15, (.LBB2_492-.Lpost_getpc18042)>>32
	s_setpc_b64 s[14:15]
.LBB2_14829:
	s_movk_i32 s4, 0x80
	v_cmp_eq_u16_sdwa s[12:13], v3, s4 src0_sel:BYTE_0 src1_sel:DWORD
	s_mov_b64 s[4:5], -1
                                        ; implicit-def: $sgpr10
	s_and_saveexec_b64 s[8:9], s[12:13]
; %bb.14830:
	s_mov_b32 s10, 0x7f800001
	s_xor_b64 s[4:5], exec, -1
; %bb.14831:
	s_or_b64 exec, exec, s[8:9]
	s_and_b64 s[4:5], s[4:5], exec
	s_or_saveexec_b64 s[6:7], s[6:7]
	v_mov_b32_e32 v4, s10
	s_xor_b64 exec, exec, s[6:7]
	s_cbranch_execnz .LBB2_14832
; %bb.50669:
	s_getpc_b64 s[14:15]
.Lpost_getpc28918:
	s_add_u32 s14, s14, (.LBB2_494-.Lpost_getpc28918)&4294967295
	s_addc_u32 s15, s15, (.LBB2_494-.Lpost_getpc28918)>>32
	s_setpc_b64 s[14:15]
.LBB2_14832:
	v_mov_b32_e32 v4, 0
	v_cmp_ne_u16_sdwa s[8:9], v3, v4 src0_sel:BYTE_0 src1_sel:DWORD
	s_andn2_b64 s[4:5], s[4:5], exec
	s_and_b64 s[8:9], s[8:9], exec
	s_or_b64 s[4:5], s[4:5], s[8:9]
	s_or_b64 exec, exec, s[6:7]
	s_and_saveexec_b64 s[6:7], s[4:5]
	s_cbranch_execz .LBB2_28919
; %bb.50671:
	s_getpc_b64 s[14:15]
.Lpost_getpc28919:
	s_add_u32 s14, s14, (.LBB2_495-.Lpost_getpc28919)&4294967295
	s_addc_u32 s15, s15, (.LBB2_495-.Lpost_getpc28919)>>32
	s_setpc_b64 s[14:15]
.LBB2_28919:
	s_getpc_b64 s[14:15]
.Lpost_getpc18043:
	s_add_u32 s14, s14, (.LBB2_496-.Lpost_getpc18043)&4294967295
	s_addc_u32 s15, s15, (.LBB2_496-.Lpost_getpc18043)>>32
	s_setpc_b64 s[14:15]
.LBB2_14833:
	s_movk_i32 s4, 0x80
	v_cmp_eq_u16_e32 vcc, s4, v3
	s_mov_b64 s[4:5], -1
                                        ; implicit-def: $sgpr10
	s_and_saveexec_b64 s[8:9], vcc
; %bb.14834:
	s_mov_b32 s10, 0x7f800001
	s_xor_b64 s[4:5], exec, -1
; %bb.14835:
	s_or_b64 exec, exec, s[8:9]
	s_and_b64 s[4:5], s[4:5], exec
                                        ; implicit-def: $vgpr3
	s_or_saveexec_b64 s[6:7], s[6:7]
	v_mov_b32_e32 v2, s10
	s_xor_b64 exec, exec, s[6:7]
	s_cbranch_execnz .LBB2_14836
; %bb.50673:
	s_getpc_b64 s[14:15]
.Lpost_getpc28920:
	s_add_u32 s14, s14, (.LBB2_498-.Lpost_getpc28920)&4294967295
	s_addc_u32 s15, s15, (.LBB2_498-.Lpost_getpc28920)>>32
	s_setpc_b64 s[14:15]
.LBB2_14836:
	v_cmp_ne_u16_e32 vcc, 0, v3
	s_andn2_b64 s[4:5], s[4:5], exec
	s_and_b64 s[8:9], vcc, exec
	v_mov_b32_e32 v2, 0
	s_or_b64 s[4:5], s[4:5], s[8:9]
	s_or_b64 exec, exec, s[6:7]
	s_and_saveexec_b64 s[6:7], s[4:5]
	s_cbranch_execz .LBB2_28921
; %bb.50675:
	s_getpc_b64 s[14:15]
.Lpost_getpc28921:
	s_add_u32 s14, s14, (.LBB2_499-.Lpost_getpc28921)&4294967295
	s_addc_u32 s15, s15, (.LBB2_499-.Lpost_getpc28921)>>32
	s_setpc_b64 s[14:15]
.LBB2_28921:
	s_getpc_b64 s[14:15]
.Lpost_getpc18044:
	s_add_u32 s14, s14, (.LBB2_500-.Lpost_getpc18044)&4294967295
	s_addc_u32 s15, s15, (.LBB2_500-.Lpost_getpc18044)>>32
	s_setpc_b64 s[14:15]
.LBB2_14837:
	s_movk_i32 s4, 0x80
	v_cmp_eq_u16_e32 vcc, s4, v3
	s_mov_b64 s[4:5], -1
                                        ; implicit-def: $sgpr10
	s_and_saveexec_b64 s[8:9], vcc
; %bb.14838:
	s_mov_b32 s10, 0x7f800001
	s_xor_b64 s[4:5], exec, -1
; %bb.14839:
	s_or_b64 exec, exec, s[8:9]
	s_and_b64 s[4:5], s[4:5], exec
                                        ; implicit-def: $vgpr3
	s_or_saveexec_b64 s[6:7], s[6:7]
	v_mov_b32_e32 v4, s10
	s_xor_b64 exec, exec, s[6:7]
	s_cbranch_execnz .LBB2_14840
; %bb.50677:
	s_getpc_b64 s[14:15]
.Lpost_getpc28922:
	s_add_u32 s14, s14, (.LBB2_502-.Lpost_getpc28922)&4294967295
	s_addc_u32 s15, s15, (.LBB2_502-.Lpost_getpc28922)>>32
	s_setpc_b64 s[14:15]
.LBB2_14840:
	v_cmp_ne_u16_e32 vcc, 0, v3
	s_andn2_b64 s[4:5], s[4:5], exec
	s_and_b64 s[8:9], vcc, exec
	v_mov_b32_e32 v4, 0
	s_or_b64 s[4:5], s[4:5], s[8:9]
	s_or_b64 exec, exec, s[6:7]
	s_and_saveexec_b64 s[6:7], s[4:5]
	s_cbranch_execz .LBB2_28923
; %bb.50679:
	s_getpc_b64 s[14:15]
.Lpost_getpc28923:
	s_add_u32 s14, s14, (.LBB2_503-.Lpost_getpc28923)&4294967295
	s_addc_u32 s15, s15, (.LBB2_503-.Lpost_getpc28923)>>32
	s_setpc_b64 s[14:15]
.LBB2_28923:
	s_getpc_b64 s[14:15]
.Lpost_getpc18045:
	s_add_u32 s14, s14, (.LBB2_504-.Lpost_getpc18045)&4294967295
	s_addc_u32 s15, s15, (.LBB2_504-.Lpost_getpc18045)>>32
	s_setpc_b64 s[14:15]
.LBB2_14841:
	s_movk_i32 s4, 0x80
	v_cmp_eq_u16_sdwa s[12:13], v9, s4 src0_sel:BYTE_3 src1_sel:DWORD
	s_mov_b64 s[4:5], -1
                                        ; implicit-def: $sgpr10
	s_and_saveexec_b64 s[8:9], s[12:13]
; %bb.14842:
	s_mov_b32 s10, 0x7f800001
	s_xor_b64 s[4:5], exec, -1
; %bb.14843:
	s_or_b64 exec, exec, s[8:9]
	s_and_b64 s[4:5], s[4:5], exec
	s_or_saveexec_b64 s[6:7], s[6:7]
	v_mov_b32_e32 v2, s10
	s_xor_b64 exec, exec, s[6:7]
	s_cbranch_execnz .LBB2_14844
; %bb.50681:
	s_getpc_b64 s[14:15]
.Lpost_getpc28924:
	s_add_u32 s14, s14, (.LBB2_506-.Lpost_getpc28924)&4294967295
	s_addc_u32 s15, s15, (.LBB2_506-.Lpost_getpc28924)>>32
	s_setpc_b64 s[14:15]
.LBB2_14844:
	v_mov_b32_e32 v2, 0
	v_cmp_ne_u16_sdwa s[8:9], v9, v2 src0_sel:BYTE_3 src1_sel:DWORD
	s_andn2_b64 s[4:5], s[4:5], exec
	s_and_b64 s[8:9], s[8:9], exec
	s_or_b64 s[4:5], s[4:5], s[8:9]
	s_or_b64 exec, exec, s[6:7]
	s_and_saveexec_b64 s[6:7], s[4:5]
	s_cbranch_execz .LBB2_28925
; %bb.50683:
	s_getpc_b64 s[14:15]
.Lpost_getpc28925:
	s_add_u32 s14, s14, (.LBB2_507-.Lpost_getpc28925)&4294967295
	s_addc_u32 s15, s15, (.LBB2_507-.Lpost_getpc28925)>>32
	s_setpc_b64 s[14:15]
.LBB2_28925:
	s_getpc_b64 s[14:15]
.Lpost_getpc18046:
	s_add_u32 s14, s14, (.LBB2_508-.Lpost_getpc18046)&4294967295
	s_addc_u32 s15, s15, (.LBB2_508-.Lpost_getpc18046)>>32
	s_setpc_b64 s[14:15]
.LBB2_14845:
	s_movk_i32 s4, 0x80
	v_cmp_eq_u16_sdwa s[12:13], v5, s4 src0_sel:BYTE_3 src1_sel:DWORD
	s_mov_b64 s[4:5], -1
                                        ; implicit-def: $sgpr10
	s_and_saveexec_b64 s[8:9], s[12:13]
; %bb.14846:
	s_mov_b32 s10, 0x7f800001
	s_xor_b64 s[4:5], exec, -1
; %bb.14847:
	s_or_b64 exec, exec, s[8:9]
	s_and_b64 s[4:5], s[4:5], exec
	s_or_saveexec_b64 s[6:7], s[6:7]
	v_mov_b32_e32 v3, s10
	s_xor_b64 exec, exec, s[6:7]
	s_cbranch_execnz .LBB2_14848
; %bb.50685:
	s_getpc_b64 s[14:15]
.Lpost_getpc28926:
	s_add_u32 s14, s14, (.LBB2_510-.Lpost_getpc28926)&4294967295
	s_addc_u32 s15, s15, (.LBB2_510-.Lpost_getpc28926)>>32
	s_setpc_b64 s[14:15]
.LBB2_14848:
	v_mov_b32_e32 v3, 0
	v_cmp_ne_u16_sdwa s[8:9], v5, v3 src0_sel:BYTE_3 src1_sel:DWORD
	s_andn2_b64 s[4:5], s[4:5], exec
	s_and_b64 s[8:9], s[8:9], exec
	s_or_b64 s[4:5], s[4:5], s[8:9]
	s_or_b64 exec, exec, s[6:7]
	s_and_saveexec_b64 s[6:7], s[4:5]
	s_cbranch_execz .LBB2_28927
; %bb.50687:
	s_getpc_b64 s[14:15]
.Lpost_getpc28927:
	s_add_u32 s14, s14, (.LBB2_511-.Lpost_getpc28927)&4294967295
	s_addc_u32 s15, s15, (.LBB2_511-.Lpost_getpc28927)>>32
	s_setpc_b64 s[14:15]
.LBB2_28927:
	s_getpc_b64 s[14:15]
.Lpost_getpc18047:
	s_add_u32 s14, s14, (.LBB2_512-.Lpost_getpc18047)&4294967295
	s_addc_u32 s15, s15, (.LBB2_512-.Lpost_getpc18047)>>32
	s_setpc_b64 s[14:15]
.LBB2_14849:
	s_movk_i32 s4, 0x80
	v_cmp_eq_u16_sdwa s[12:13], v6, s4 src0_sel:BYTE_0 src1_sel:DWORD
	s_mov_b64 s[4:5], -1
                                        ; implicit-def: $sgpr10
	s_and_saveexec_b64 s[8:9], s[12:13]
; %bb.14850:
	s_mov_b32 s10, 0x7f800001
	s_xor_b64 s[4:5], exec, -1
; %bb.14851:
	s_or_b64 exec, exec, s[8:9]
	s_and_b64 s[4:5], s[4:5], exec
	s_or_saveexec_b64 s[6:7], s[6:7]
	v_mov_b32_e32 v12, s10
	s_xor_b64 exec, exec, s[6:7]
	s_cbranch_execnz .LBB2_14852
; %bb.50689:
	s_getpc_b64 s[14:15]
.Lpost_getpc28928:
	s_add_u32 s14, s14, (.LBB2_514-.Lpost_getpc28928)&4294967295
	s_addc_u32 s15, s15, (.LBB2_514-.Lpost_getpc28928)>>32
	s_setpc_b64 s[14:15]
.LBB2_14852:
	v_mov_b32_e32 v12, 0
	v_cmp_ne_u16_sdwa s[8:9], v6, v12 src0_sel:BYTE_0 src1_sel:DWORD
	s_andn2_b64 s[4:5], s[4:5], exec
	s_and_b64 s[8:9], s[8:9], exec
	s_or_b64 s[4:5], s[4:5], s[8:9]
	s_or_b64 exec, exec, s[6:7]
	s_and_saveexec_b64 s[6:7], s[4:5]
	s_cbranch_execz .LBB2_28929
; %bb.50691:
	s_getpc_b64 s[14:15]
.Lpost_getpc28929:
	s_add_u32 s14, s14, (.LBB2_515-.Lpost_getpc28929)&4294967295
	s_addc_u32 s15, s15, (.LBB2_515-.Lpost_getpc28929)>>32
	s_setpc_b64 s[14:15]
.LBB2_28929:
	s_getpc_b64 s[14:15]
.Lpost_getpc18048:
	s_add_u32 s14, s14, (.LBB2_516-.Lpost_getpc18048)&4294967295
	s_addc_u32 s15, s15, (.LBB2_516-.Lpost_getpc18048)>>32
	s_setpc_b64 s[14:15]
.LBB2_14853:
	s_movk_i32 s4, 0x80
	v_cmp_eq_u16_sdwa s[12:13], v2, s4 src0_sel:BYTE_0 src1_sel:DWORD
	s_mov_b64 s[4:5], -1
                                        ; implicit-def: $sgpr10
	s_and_saveexec_b64 s[8:9], s[12:13]
; %bb.14854:
	s_mov_b32 s10, 0x7f800001
	s_xor_b64 s[4:5], exec, -1
; %bb.14855:
	s_or_b64 exec, exec, s[8:9]
	s_and_b64 s[4:5], s[4:5], exec
	s_or_saveexec_b64 s[6:7], s[6:7]
	v_mov_b32_e32 v13, s10
	s_xor_b64 exec, exec, s[6:7]
	s_cbranch_execnz .LBB2_14856
; %bb.50693:
	s_getpc_b64 s[14:15]
.Lpost_getpc28930:
	s_add_u32 s14, s14, (.LBB2_518-.Lpost_getpc28930)&4294967295
	s_addc_u32 s15, s15, (.LBB2_518-.Lpost_getpc28930)>>32
	s_setpc_b64 s[14:15]
.LBB2_14856:
	v_mov_b32_e32 v13, 0
	v_cmp_ne_u16_sdwa s[8:9], v2, v13 src0_sel:BYTE_0 src1_sel:DWORD
	s_andn2_b64 s[4:5], s[4:5], exec
	s_and_b64 s[8:9], s[8:9], exec
	s_or_b64 s[4:5], s[4:5], s[8:9]
	s_or_b64 exec, exec, s[6:7]
	s_and_saveexec_b64 s[6:7], s[4:5]
	s_cbranch_execz .LBB2_28931
; %bb.50695:
	s_getpc_b64 s[14:15]
.Lpost_getpc28931:
	s_add_u32 s14, s14, (.LBB2_519-.Lpost_getpc28931)&4294967295
	s_addc_u32 s15, s15, (.LBB2_519-.Lpost_getpc28931)>>32
	s_setpc_b64 s[14:15]
.LBB2_28931:
	s_getpc_b64 s[14:15]
.Lpost_getpc18049:
	s_add_u32 s14, s14, (.LBB2_520-.Lpost_getpc18049)&4294967295
	s_addc_u32 s15, s15, (.LBB2_520-.Lpost_getpc18049)>>32
	s_setpc_b64 s[14:15]
.LBB2_14857:
	s_movk_i32 s4, 0x80
	v_cmp_eq_u16_sdwa s[12:13], v13, s4 src0_sel:BYTE_0 src1_sel:DWORD
	s_mov_b64 s[4:5], -1
                                        ; implicit-def: $sgpr10
	s_and_saveexec_b64 s[8:9], s[12:13]
; %bb.14858:
	s_mov_b32 s10, 0x7f800001
	s_xor_b64 s[4:5], exec, -1
; %bb.14859:
	s_or_b64 exec, exec, s[8:9]
	s_and_b64 s[4:5], s[4:5], exec
	s_or_saveexec_b64 s[6:7], s[6:7]
	v_mov_b32_e32 v12, s10
	s_xor_b64 exec, exec, s[6:7]
	s_cbranch_execnz .LBB2_14860
; %bb.50697:
	s_getpc_b64 s[14:15]
.Lpost_getpc28932:
	s_add_u32 s14, s14, (.LBB2_522-.Lpost_getpc28932)&4294967295
	s_addc_u32 s15, s15, (.LBB2_522-.Lpost_getpc28932)>>32
	s_setpc_b64 s[14:15]
.LBB2_14860:
	v_mov_b32_e32 v12, 0
	v_cmp_ne_u16_sdwa s[8:9], v13, v12 src0_sel:BYTE_0 src1_sel:DWORD
	s_andn2_b64 s[4:5], s[4:5], exec
	s_and_b64 s[8:9], s[8:9], exec
	s_or_b64 s[4:5], s[4:5], s[8:9]
	s_or_b64 exec, exec, s[6:7]
	s_and_saveexec_b64 s[6:7], s[4:5]
	s_cbranch_execz .LBB2_28933
; %bb.50699:
	s_getpc_b64 s[14:15]
.Lpost_getpc28933:
	s_add_u32 s14, s14, (.LBB2_523-.Lpost_getpc28933)&4294967295
	s_addc_u32 s15, s15, (.LBB2_523-.Lpost_getpc28933)>>32
	s_setpc_b64 s[14:15]
.LBB2_28933:
	s_getpc_b64 s[14:15]
.Lpost_getpc18050:
	s_add_u32 s14, s14, (.LBB2_524-.Lpost_getpc18050)&4294967295
	s_addc_u32 s15, s15, (.LBB2_524-.Lpost_getpc18050)>>32
	s_setpc_b64 s[14:15]
.LBB2_14861:
	s_movk_i32 s4, 0x80
	v_cmp_eq_u16_sdwa s[12:13], v13, s4 src0_sel:BYTE_0 src1_sel:DWORD
	s_mov_b64 s[4:5], -1
                                        ; implicit-def: $sgpr10
	s_and_saveexec_b64 s[8:9], s[12:13]
; %bb.14862:
	s_mov_b32 s10, 0x7f800001
	s_xor_b64 s[4:5], exec, -1
; %bb.14863:
	s_or_b64 exec, exec, s[8:9]
	s_and_b64 s[4:5], s[4:5], exec
	s_or_saveexec_b64 s[6:7], s[6:7]
	v_mov_b32_e32 v14, s10
	s_xor_b64 exec, exec, s[6:7]
	s_cbranch_execnz .LBB2_14864
; %bb.50701:
	s_getpc_b64 s[14:15]
.Lpost_getpc28934:
	s_add_u32 s14, s14, (.LBB2_526-.Lpost_getpc28934)&4294967295
	s_addc_u32 s15, s15, (.LBB2_526-.Lpost_getpc28934)>>32
	s_setpc_b64 s[14:15]
.LBB2_14864:
	v_mov_b32_e32 v14, 0
	v_cmp_ne_u16_sdwa s[8:9], v13, v14 src0_sel:BYTE_0 src1_sel:DWORD
	s_andn2_b64 s[4:5], s[4:5], exec
	s_and_b64 s[8:9], s[8:9], exec
	s_or_b64 s[4:5], s[4:5], s[8:9]
	s_or_b64 exec, exec, s[6:7]
	s_and_saveexec_b64 s[6:7], s[4:5]
	s_cbranch_execz .LBB2_28935
; %bb.50703:
	s_getpc_b64 s[14:15]
.Lpost_getpc28935:
	s_add_u32 s14, s14, (.LBB2_527-.Lpost_getpc28935)&4294967295
	s_addc_u32 s15, s15, (.LBB2_527-.Lpost_getpc28935)>>32
	s_setpc_b64 s[14:15]
.LBB2_28935:
	s_getpc_b64 s[14:15]
.Lpost_getpc18051:
	s_add_u32 s14, s14, (.LBB2_528-.Lpost_getpc18051)&4294967295
	s_addc_u32 s15, s15, (.LBB2_528-.Lpost_getpc18051)>>32
	s_setpc_b64 s[14:15]
.LBB2_14865:
	s_movk_i32 s4, 0x80
	v_cmp_eq_u16_e32 vcc, s4, v13
	s_mov_b64 s[4:5], -1
                                        ; implicit-def: $sgpr10
	s_and_saveexec_b64 s[8:9], vcc
; %bb.14866:
	s_mov_b32 s10, 0x7f800001
	s_xor_b64 s[4:5], exec, -1
; %bb.14867:
	s_or_b64 exec, exec, s[8:9]
	s_and_b64 s[4:5], s[4:5], exec
                                        ; implicit-def: $vgpr13
	s_or_saveexec_b64 s[6:7], s[6:7]
	v_mov_b32_e32 v12, s10
	s_xor_b64 exec, exec, s[6:7]
	s_cbranch_execnz .LBB2_14868
; %bb.50705:
	s_getpc_b64 s[14:15]
.Lpost_getpc28936:
	s_add_u32 s14, s14, (.LBB2_530-.Lpost_getpc28936)&4294967295
	s_addc_u32 s15, s15, (.LBB2_530-.Lpost_getpc28936)>>32
	s_setpc_b64 s[14:15]
.LBB2_14868:
	v_cmp_ne_u16_e32 vcc, 0, v13
	s_andn2_b64 s[4:5], s[4:5], exec
	s_and_b64 s[8:9], vcc, exec
	v_mov_b32_e32 v12, 0
	s_or_b64 s[4:5], s[4:5], s[8:9]
	s_or_b64 exec, exec, s[6:7]
	s_and_saveexec_b64 s[6:7], s[4:5]
	s_cbranch_execz .LBB2_28937
; %bb.50707:
	s_getpc_b64 s[14:15]
.Lpost_getpc28937:
	s_add_u32 s14, s14, (.LBB2_531-.Lpost_getpc28937)&4294967295
	s_addc_u32 s15, s15, (.LBB2_531-.Lpost_getpc28937)>>32
	s_setpc_b64 s[14:15]
.LBB2_28937:
	s_getpc_b64 s[14:15]
.Lpost_getpc18052:
	s_add_u32 s14, s14, (.LBB2_532-.Lpost_getpc18052)&4294967295
	s_addc_u32 s15, s15, (.LBB2_532-.Lpost_getpc18052)>>32
	s_setpc_b64 s[14:15]
.LBB2_14869:
	s_movk_i32 s4, 0x80
	v_cmp_eq_u16_e32 vcc, s4, v13
	s_mov_b64 s[4:5], -1
                                        ; implicit-def: $sgpr10
	s_and_saveexec_b64 s[8:9], vcc
; %bb.14870:
	s_mov_b32 s10, 0x7f800001
	s_xor_b64 s[4:5], exec, -1
; %bb.14871:
	s_or_b64 exec, exec, s[8:9]
	s_and_b64 s[4:5], s[4:5], exec
                                        ; implicit-def: $vgpr13
	s_or_saveexec_b64 s[6:7], s[6:7]
	v_mov_b32_e32 v14, s10
	s_xor_b64 exec, exec, s[6:7]
	s_cbranch_execnz .LBB2_14872
; %bb.50709:
	s_getpc_b64 s[14:15]
.Lpost_getpc28938:
	s_add_u32 s14, s14, (.LBB2_534-.Lpost_getpc28938)&4294967295
	s_addc_u32 s15, s15, (.LBB2_534-.Lpost_getpc28938)>>32
	s_setpc_b64 s[14:15]
.LBB2_14872:
	v_cmp_ne_u16_e32 vcc, 0, v13
	s_andn2_b64 s[4:5], s[4:5], exec
	s_and_b64 s[8:9], vcc, exec
	v_mov_b32_e32 v14, 0
	s_or_b64 s[4:5], s[4:5], s[8:9]
	s_or_b64 exec, exec, s[6:7]
	s_and_saveexec_b64 s[6:7], s[4:5]
	s_cbranch_execz .LBB2_28939
; %bb.50711:
	s_getpc_b64 s[14:15]
.Lpost_getpc28939:
	s_add_u32 s14, s14, (.LBB2_535-.Lpost_getpc28939)&4294967295
	s_addc_u32 s15, s15, (.LBB2_535-.Lpost_getpc28939)>>32
	s_setpc_b64 s[14:15]
.LBB2_28939:
	s_getpc_b64 s[14:15]
.Lpost_getpc18053:
	s_add_u32 s14, s14, (.LBB2_536-.Lpost_getpc18053)&4294967295
	s_addc_u32 s15, s15, (.LBB2_536-.Lpost_getpc18053)>>32
	s_setpc_b64 s[14:15]
.LBB2_14873:
	s_movk_i32 s4, 0x80
	v_cmp_eq_u16_sdwa s[12:13], v6, s4 src0_sel:BYTE_3 src1_sel:DWORD
	s_mov_b64 s[4:5], -1
                                        ; implicit-def: $sgpr10
	s_and_saveexec_b64 s[8:9], s[12:13]
; %bb.14874:
	s_mov_b32 s10, 0x7f800001
	s_xor_b64 s[4:5], exec, -1
; %bb.14875:
	s_or_b64 exec, exec, s[8:9]
	s_and_b64 s[4:5], s[4:5], exec
	s_or_saveexec_b64 s[6:7], s[6:7]
	v_mov_b32_e32 v12, s10
	s_xor_b64 exec, exec, s[6:7]
	s_cbranch_execnz .LBB2_14876
; %bb.50713:
	s_getpc_b64 s[14:15]
.Lpost_getpc28940:
	s_add_u32 s14, s14, (.LBB2_538-.Lpost_getpc28940)&4294967295
	s_addc_u32 s15, s15, (.LBB2_538-.Lpost_getpc28940)>>32
	s_setpc_b64 s[14:15]
.LBB2_14876:
	v_mov_b32_e32 v12, 0
	v_cmp_ne_u16_sdwa s[8:9], v6, v12 src0_sel:BYTE_3 src1_sel:DWORD
	s_andn2_b64 s[4:5], s[4:5], exec
	s_and_b64 s[8:9], s[8:9], exec
	s_or_b64 s[4:5], s[4:5], s[8:9]
	s_or_b64 exec, exec, s[6:7]
	s_and_saveexec_b64 s[6:7], s[4:5]
	s_cbranch_execz .LBB2_28941
; %bb.50715:
	s_getpc_b64 s[14:15]
.Lpost_getpc28941:
	s_add_u32 s14, s14, (.LBB2_539-.Lpost_getpc28941)&4294967295
	s_addc_u32 s15, s15, (.LBB2_539-.Lpost_getpc28941)>>32
	s_setpc_b64 s[14:15]
.LBB2_28941:
	s_getpc_b64 s[14:15]
.Lpost_getpc18054:
	s_add_u32 s14, s14, (.LBB2_540-.Lpost_getpc18054)&4294967295
	s_addc_u32 s15, s15, (.LBB2_540-.Lpost_getpc18054)>>32
	s_setpc_b64 s[14:15]
.LBB2_14877:
	s_movk_i32 s4, 0x80
	v_cmp_eq_u16_sdwa s[12:13], v2, s4 src0_sel:BYTE_3 src1_sel:DWORD
	s_mov_b64 s[4:5], -1
                                        ; implicit-def: $sgpr10
	s_and_saveexec_b64 s[8:9], s[12:13]
; %bb.14878:
	s_mov_b32 s10, 0x7f800001
	s_xor_b64 s[4:5], exec, -1
; %bb.14879:
	s_or_b64 exec, exec, s[8:9]
	s_and_b64 s[4:5], s[4:5], exec
	s_or_saveexec_b64 s[6:7], s[6:7]
	v_mov_b32_e32 v6, s10
	s_xor_b64 exec, exec, s[6:7]
	s_cbranch_execnz .LBB2_14880
; %bb.50717:
	s_getpc_b64 s[14:15]
.Lpost_getpc28942:
	s_add_u32 s14, s14, (.LBB2_542-.Lpost_getpc28942)&4294967295
	s_addc_u32 s15, s15, (.LBB2_542-.Lpost_getpc28942)>>32
	s_setpc_b64 s[14:15]
.LBB2_14880:
	v_mov_b32_e32 v6, 0
	v_cmp_ne_u16_sdwa s[8:9], v2, v6 src0_sel:BYTE_3 src1_sel:DWORD
	s_andn2_b64 s[4:5], s[4:5], exec
	s_and_b64 s[8:9], s[8:9], exec
	s_or_b64 s[4:5], s[4:5], s[8:9]
	s_or_b64 exec, exec, s[6:7]
	s_and_saveexec_b64 s[6:7], s[4:5]
	s_cbranch_execz .LBB2_28943
; %bb.50719:
	s_getpc_b64 s[14:15]
.Lpost_getpc28943:
	s_add_u32 s14, s14, (.LBB2_543-.Lpost_getpc28943)&4294967295
	s_addc_u32 s15, s15, (.LBB2_543-.Lpost_getpc28943)>>32
	s_setpc_b64 s[14:15]
.LBB2_28943:
	s_getpc_b64 s[14:15]
.Lpost_getpc18055:
	s_add_u32 s14, s14, (.LBB2_544-.Lpost_getpc18055)&4294967295
	s_addc_u32 s15, s15, (.LBB2_544-.Lpost_getpc18055)>>32
	s_setpc_b64 s[14:15]
.LBB2_14881:
	s_movk_i32 s4, 0x80
	v_cmp_eq_u16_sdwa s[12:13], v7, s4 src0_sel:BYTE_0 src1_sel:DWORD
	s_mov_b64 s[4:5], -1
                                        ; implicit-def: $sgpr10
	s_and_saveexec_b64 s[8:9], s[12:13]
; %bb.14882:
	s_mov_b32 s10, 0x7f800001
	s_xor_b64 s[4:5], exec, -1
; %bb.14883:
	s_or_b64 exec, exec, s[8:9]
	s_and_b64 s[4:5], s[4:5], exec
	s_or_saveexec_b64 s[6:7], s[6:7]
	v_mov_b32_e32 v2, s10
	s_xor_b64 exec, exec, s[6:7]
	s_cbranch_execnz .LBB2_14884
; %bb.50721:
	s_getpc_b64 s[14:15]
.Lpost_getpc28944:
	s_add_u32 s14, s14, (.LBB2_546-.Lpost_getpc28944)&4294967295
	s_addc_u32 s15, s15, (.LBB2_546-.Lpost_getpc28944)>>32
	s_setpc_b64 s[14:15]
.LBB2_14884:
	v_mov_b32_e32 v2, 0
	v_cmp_ne_u16_sdwa s[8:9], v7, v2 src0_sel:BYTE_0 src1_sel:DWORD
	s_andn2_b64 s[4:5], s[4:5], exec
	s_and_b64 s[8:9], s[8:9], exec
	s_or_b64 s[4:5], s[4:5], s[8:9]
	s_or_b64 exec, exec, s[6:7]
	s_and_saveexec_b64 s[6:7], s[4:5]
	s_cbranch_execz .LBB2_28945
; %bb.50723:
	s_getpc_b64 s[14:15]
.Lpost_getpc28945:
	s_add_u32 s14, s14, (.LBB2_547-.Lpost_getpc28945)&4294967295
	s_addc_u32 s15, s15, (.LBB2_547-.Lpost_getpc28945)>>32
	s_setpc_b64 s[14:15]
.LBB2_28945:
	s_getpc_b64 s[14:15]
.Lpost_getpc18056:
	s_add_u32 s14, s14, (.LBB2_548-.Lpost_getpc18056)&4294967295
	s_addc_u32 s15, s15, (.LBB2_548-.Lpost_getpc18056)>>32
	s_setpc_b64 s[14:15]
.LBB2_14885:
	s_movk_i32 s4, 0x80
	v_cmp_eq_u16_sdwa s[12:13], v3, s4 src0_sel:BYTE_0 src1_sel:DWORD
	s_mov_b64 s[4:5], -1
                                        ; implicit-def: $sgpr10
	s_and_saveexec_b64 s[8:9], s[12:13]
; %bb.14886:
	s_mov_b32 s10, 0x7f800001
	s_xor_b64 s[4:5], exec, -1
; %bb.14887:
	s_or_b64 exec, exec, s[8:9]
	s_and_b64 s[4:5], s[4:5], exec
	s_or_saveexec_b64 s[6:7], s[6:7]
	v_mov_b32_e32 v6, s10
	s_xor_b64 exec, exec, s[6:7]
	s_cbranch_execnz .LBB2_14888
; %bb.50725:
	s_getpc_b64 s[14:15]
.Lpost_getpc28946:
	s_add_u32 s14, s14, (.LBB2_550-.Lpost_getpc28946)&4294967295
	s_addc_u32 s15, s15, (.LBB2_550-.Lpost_getpc28946)>>32
	s_setpc_b64 s[14:15]
.LBB2_14888:
	v_mov_b32_e32 v6, 0
	v_cmp_ne_u16_sdwa s[8:9], v3, v6 src0_sel:BYTE_0 src1_sel:DWORD
	s_andn2_b64 s[4:5], s[4:5], exec
	s_and_b64 s[8:9], s[8:9], exec
	s_or_b64 s[4:5], s[4:5], s[8:9]
	s_or_b64 exec, exec, s[6:7]
	s_and_saveexec_b64 s[6:7], s[4:5]
	s_cbranch_execz .LBB2_28947
; %bb.50727:
	s_getpc_b64 s[14:15]
.Lpost_getpc28947:
	s_add_u32 s14, s14, (.LBB2_551-.Lpost_getpc28947)&4294967295
	s_addc_u32 s15, s15, (.LBB2_551-.Lpost_getpc28947)>>32
	s_setpc_b64 s[14:15]
.LBB2_28947:
	s_getpc_b64 s[14:15]
.Lpost_getpc18057:
	s_add_u32 s14, s14, (.LBB2_552-.Lpost_getpc18057)&4294967295
	s_addc_u32 s15, s15, (.LBB2_552-.Lpost_getpc18057)>>32
	s_setpc_b64 s[14:15]
.LBB2_14889:
	s_movk_i32 s4, 0x80
	v_cmp_eq_u16_sdwa s[12:13], v6, s4 src0_sel:BYTE_0 src1_sel:DWORD
	s_mov_b64 s[4:5], -1
                                        ; implicit-def: $sgpr10
	s_and_saveexec_b64 s[8:9], s[12:13]
; %bb.14890:
	s_mov_b32 s10, 0x7f800001
	s_xor_b64 s[4:5], exec, -1
; %bb.14891:
	s_or_b64 exec, exec, s[8:9]
	s_and_b64 s[4:5], s[4:5], exec
	s_or_saveexec_b64 s[6:7], s[6:7]
	v_mov_b32_e32 v2, s10
	s_xor_b64 exec, exec, s[6:7]
	s_cbranch_execnz .LBB2_14892
; %bb.50729:
	s_getpc_b64 s[14:15]
.Lpost_getpc28948:
	s_add_u32 s14, s14, (.LBB2_554-.Lpost_getpc28948)&4294967295
	s_addc_u32 s15, s15, (.LBB2_554-.Lpost_getpc28948)>>32
	s_setpc_b64 s[14:15]
.LBB2_14892:
	v_mov_b32_e32 v2, 0
	v_cmp_ne_u16_sdwa s[8:9], v6, v2 src0_sel:BYTE_0 src1_sel:DWORD
	s_andn2_b64 s[4:5], s[4:5], exec
	s_and_b64 s[8:9], s[8:9], exec
	s_or_b64 s[4:5], s[4:5], s[8:9]
	s_or_b64 exec, exec, s[6:7]
	s_and_saveexec_b64 s[6:7], s[4:5]
	s_cbranch_execz .LBB2_28949
; %bb.50731:
	s_getpc_b64 s[14:15]
.Lpost_getpc28949:
	s_add_u32 s14, s14, (.LBB2_555-.Lpost_getpc28949)&4294967295
	s_addc_u32 s15, s15, (.LBB2_555-.Lpost_getpc28949)>>32
	s_setpc_b64 s[14:15]
.LBB2_28949:
	s_getpc_b64 s[14:15]
.Lpost_getpc18058:
	s_add_u32 s14, s14, (.LBB2_556-.Lpost_getpc18058)&4294967295
	s_addc_u32 s15, s15, (.LBB2_556-.Lpost_getpc18058)>>32
	s_setpc_b64 s[14:15]
.LBB2_14893:
	s_movk_i32 s4, 0x80
	v_cmp_eq_u16_sdwa s[12:13], v6, s4 src0_sel:BYTE_0 src1_sel:DWORD
	s_mov_b64 s[4:5], -1
                                        ; implicit-def: $sgpr10
	s_and_saveexec_b64 s[8:9], s[12:13]
; %bb.14894:
	s_mov_b32 s10, 0x7f800001
	s_xor_b64 s[4:5], exec, -1
; %bb.14895:
	s_or_b64 exec, exec, s[8:9]
	s_and_b64 s[4:5], s[4:5], exec
	s_or_saveexec_b64 s[6:7], s[6:7]
	v_mov_b32_e32 v12, s10
	s_xor_b64 exec, exec, s[6:7]
	s_cbranch_execnz .LBB2_14896
; %bb.50733:
	s_getpc_b64 s[14:15]
.Lpost_getpc28950:
	s_add_u32 s14, s14, (.LBB2_558-.Lpost_getpc28950)&4294967295
	s_addc_u32 s15, s15, (.LBB2_558-.Lpost_getpc28950)>>32
	s_setpc_b64 s[14:15]
.LBB2_14896:
	v_mov_b32_e32 v12, 0
	v_cmp_ne_u16_sdwa s[8:9], v6, v12 src0_sel:BYTE_0 src1_sel:DWORD
	s_andn2_b64 s[4:5], s[4:5], exec
	s_and_b64 s[8:9], s[8:9], exec
	s_or_b64 s[4:5], s[4:5], s[8:9]
	s_or_b64 exec, exec, s[6:7]
	s_and_saveexec_b64 s[6:7], s[4:5]
	s_cbranch_execz .LBB2_28951
; %bb.50735:
	s_getpc_b64 s[14:15]
.Lpost_getpc28951:
	s_add_u32 s14, s14, (.LBB2_559-.Lpost_getpc28951)&4294967295
	s_addc_u32 s15, s15, (.LBB2_559-.Lpost_getpc28951)>>32
	s_setpc_b64 s[14:15]
.LBB2_28951:
	s_getpc_b64 s[14:15]
.Lpost_getpc18059:
	s_add_u32 s14, s14, (.LBB2_560-.Lpost_getpc18059)&4294967295
	s_addc_u32 s15, s15, (.LBB2_560-.Lpost_getpc18059)>>32
	s_setpc_b64 s[14:15]
.LBB2_14897:
	s_movk_i32 s4, 0x80
	v_cmp_eq_u16_e32 vcc, s4, v6
	s_mov_b64 s[4:5], -1
                                        ; implicit-def: $sgpr10
	s_and_saveexec_b64 s[8:9], vcc
; %bb.14898:
	s_mov_b32 s10, 0x7f800001
	s_xor_b64 s[4:5], exec, -1
; %bb.14899:
	s_or_b64 exec, exec, s[8:9]
	s_and_b64 s[4:5], s[4:5], exec
                                        ; implicit-def: $vgpr6
	s_or_saveexec_b64 s[6:7], s[6:7]
	v_mov_b32_e32 v2, s10
	s_xor_b64 exec, exec, s[6:7]
	s_cbranch_execnz .LBB2_14900
; %bb.50737:
	s_getpc_b64 s[14:15]
.Lpost_getpc28952:
	s_add_u32 s14, s14, (.LBB2_562-.Lpost_getpc28952)&4294967295
	s_addc_u32 s15, s15, (.LBB2_562-.Lpost_getpc28952)>>32
	s_setpc_b64 s[14:15]
.LBB2_14900:
	v_cmp_ne_u16_e32 vcc, 0, v6
	s_andn2_b64 s[4:5], s[4:5], exec
	s_and_b64 s[8:9], vcc, exec
	v_mov_b32_e32 v2, 0
	s_or_b64 s[4:5], s[4:5], s[8:9]
	s_or_b64 exec, exec, s[6:7]
	s_and_saveexec_b64 s[6:7], s[4:5]
	s_cbranch_execz .LBB2_28953
; %bb.50739:
	s_getpc_b64 s[14:15]
.Lpost_getpc28953:
	s_add_u32 s14, s14, (.LBB2_563-.Lpost_getpc28953)&4294967295
	s_addc_u32 s15, s15, (.LBB2_563-.Lpost_getpc28953)>>32
	s_setpc_b64 s[14:15]
.LBB2_28953:
	s_getpc_b64 s[14:15]
.Lpost_getpc18060:
	s_add_u32 s14, s14, (.LBB2_564-.Lpost_getpc18060)&4294967295
	s_addc_u32 s15, s15, (.LBB2_564-.Lpost_getpc18060)>>32
	s_setpc_b64 s[14:15]
.LBB2_14901:
	s_movk_i32 s4, 0x80
	v_cmp_eq_u16_e32 vcc, s4, v6
	s_mov_b64 s[4:5], -1
                                        ; implicit-def: $sgpr10
	s_and_saveexec_b64 s[8:9], vcc
; %bb.14902:
	s_mov_b32 s10, 0x7f800001
	s_xor_b64 s[4:5], exec, -1
; %bb.14903:
	s_or_b64 exec, exec, s[8:9]
	s_and_b64 s[4:5], s[4:5], exec
                                        ; implicit-def: $vgpr6
	s_or_saveexec_b64 s[6:7], s[6:7]
	v_mov_b32_e32 v12, s10
	s_xor_b64 exec, exec, s[6:7]
	s_cbranch_execnz .LBB2_14904
; %bb.50741:
	s_getpc_b64 s[14:15]
.Lpost_getpc28954:
	s_add_u32 s14, s14, (.LBB2_566-.Lpost_getpc28954)&4294967295
	s_addc_u32 s15, s15, (.LBB2_566-.Lpost_getpc28954)>>32
	s_setpc_b64 s[14:15]
.LBB2_14904:
	v_cmp_ne_u16_e32 vcc, 0, v6
	s_andn2_b64 s[4:5], s[4:5], exec
	s_and_b64 s[8:9], vcc, exec
	v_mov_b32_e32 v12, 0
	s_or_b64 s[4:5], s[4:5], s[8:9]
	s_or_b64 exec, exec, s[6:7]
	s_and_saveexec_b64 s[6:7], s[4:5]
	s_cbranch_execz .LBB2_28955
; %bb.50743:
	s_getpc_b64 s[14:15]
.Lpost_getpc28955:
	s_add_u32 s14, s14, (.LBB2_567-.Lpost_getpc28955)&4294967295
	s_addc_u32 s15, s15, (.LBB2_567-.Lpost_getpc28955)>>32
	s_setpc_b64 s[14:15]
.LBB2_28955:
	s_getpc_b64 s[14:15]
.Lpost_getpc18061:
	s_add_u32 s14, s14, (.LBB2_568-.Lpost_getpc18061)&4294967295
	s_addc_u32 s15, s15, (.LBB2_568-.Lpost_getpc18061)>>32
	s_setpc_b64 s[14:15]
.LBB2_14905:
	s_movk_i32 s4, 0x80
	v_cmp_eq_u16_sdwa s[12:13], v7, s4 src0_sel:BYTE_3 src1_sel:DWORD
	s_mov_b64 s[4:5], -1
                                        ; implicit-def: $sgpr10
	s_and_saveexec_b64 s[8:9], s[12:13]
; %bb.14906:
	s_mov_b32 s10, 0x7f800001
	s_xor_b64 s[4:5], exec, -1
; %bb.14907:
	s_or_b64 exec, exec, s[8:9]
	s_and_b64 s[4:5], s[4:5], exec
	s_or_saveexec_b64 s[6:7], s[6:7]
	v_mov_b32_e32 v2, s10
	s_xor_b64 exec, exec, s[6:7]
	s_cbranch_execnz .LBB2_14908
; %bb.50745:
	s_getpc_b64 s[14:15]
.Lpost_getpc28956:
	s_add_u32 s14, s14, (.LBB2_570-.Lpost_getpc28956)&4294967295
	s_addc_u32 s15, s15, (.LBB2_570-.Lpost_getpc28956)>>32
	s_setpc_b64 s[14:15]
.LBB2_14908:
	v_mov_b32_e32 v2, 0
	v_cmp_ne_u16_sdwa s[8:9], v7, v2 src0_sel:BYTE_3 src1_sel:DWORD
	s_andn2_b64 s[4:5], s[4:5], exec
	s_and_b64 s[8:9], s[8:9], exec
	s_or_b64 s[4:5], s[4:5], s[8:9]
	s_or_b64 exec, exec, s[6:7]
	s_and_saveexec_b64 s[6:7], s[4:5]
	s_cbranch_execz .LBB2_28957
; %bb.50747:
	s_getpc_b64 s[14:15]
.Lpost_getpc28957:
	s_add_u32 s14, s14, (.LBB2_571-.Lpost_getpc28957)&4294967295
	s_addc_u32 s15, s15, (.LBB2_571-.Lpost_getpc28957)>>32
	s_setpc_b64 s[14:15]
.LBB2_28957:
	s_getpc_b64 s[14:15]
.Lpost_getpc18062:
	s_add_u32 s14, s14, (.LBB2_572-.Lpost_getpc18062)&4294967295
	s_addc_u32 s15, s15, (.LBB2_572-.Lpost_getpc18062)>>32
	s_setpc_b64 s[14:15]
.LBB2_14909:
	s_movk_i32 s4, 0x80
	v_cmp_eq_u16_sdwa s[12:13], v3, s4 src0_sel:BYTE_3 src1_sel:DWORD
	s_mov_b64 s[4:5], -1
                                        ; implicit-def: $sgpr10
	s_and_saveexec_b64 s[8:9], s[12:13]
; %bb.14910:
	s_mov_b32 s10, 0x7f800001
	s_xor_b64 s[4:5], exec, -1
; %bb.14911:
	s_or_b64 exec, exec, s[8:9]
	s_and_b64 s[4:5], s[4:5], exec
	s_or_saveexec_b64 s[6:7], s[6:7]
	v_mov_b32_e32 v6, s10
	s_xor_b64 exec, exec, s[6:7]
	s_cbranch_execnz .LBB2_14912
; %bb.50749:
	s_getpc_b64 s[14:15]
.Lpost_getpc28958:
	s_add_u32 s14, s14, (.LBB2_574-.Lpost_getpc28958)&4294967295
	s_addc_u32 s15, s15, (.LBB2_574-.Lpost_getpc28958)>>32
	s_setpc_b64 s[14:15]
.LBB2_14912:
	v_mov_b32_e32 v6, 0
	v_cmp_ne_u16_sdwa s[8:9], v3, v6 src0_sel:BYTE_3 src1_sel:DWORD
	s_andn2_b64 s[4:5], s[4:5], exec
	s_and_b64 s[8:9], s[8:9], exec
	s_or_b64 s[4:5], s[4:5], s[8:9]
	s_or_b64 exec, exec, s[6:7]
	s_and_saveexec_b64 s[6:7], s[4:5]
	s_cbranch_execz .LBB2_28959
; %bb.50751:
	s_getpc_b64 s[14:15]
.Lpost_getpc28959:
	s_add_u32 s14, s14, (.LBB2_575-.Lpost_getpc28959)&4294967295
	s_addc_u32 s15, s15, (.LBB2_575-.Lpost_getpc28959)>>32
	s_setpc_b64 s[14:15]
.LBB2_28959:
	s_getpc_b64 s[14:15]
.Lpost_getpc18063:
	s_add_u32 s14, s14, (.LBB2_576-.Lpost_getpc18063)&4294967295
	s_addc_u32 s15, s15, (.LBB2_576-.Lpost_getpc18063)>>32
	s_setpc_b64 s[14:15]
.LBB2_14913:
	s_movk_i32 s4, 0x80
	v_cmp_eq_u16_sdwa s[12:13], v8, s4 src0_sel:BYTE_0 src1_sel:DWORD
	s_mov_b64 s[4:5], -1
                                        ; implicit-def: $sgpr10
	s_and_saveexec_b64 s[8:9], s[12:13]
; %bb.14914:
	s_mov_b32 s10, 0x7f800001
	s_xor_b64 s[4:5], exec, -1
; %bb.14915:
	s_or_b64 exec, exec, s[8:9]
	s_and_b64 s[4:5], s[4:5], exec
	s_or_saveexec_b64 s[6:7], s[6:7]
	v_mov_b32_e32 v2, s10
	s_xor_b64 exec, exec, s[6:7]
	s_cbranch_execnz .LBB2_14916
; %bb.50753:
	s_getpc_b64 s[14:15]
.Lpost_getpc28960:
	s_add_u32 s14, s14, (.LBB2_578-.Lpost_getpc28960)&4294967295
	s_addc_u32 s15, s15, (.LBB2_578-.Lpost_getpc28960)>>32
	s_setpc_b64 s[14:15]
.LBB2_14916:
	v_mov_b32_e32 v2, 0
	v_cmp_ne_u16_sdwa s[8:9], v8, v2 src0_sel:BYTE_0 src1_sel:DWORD
	s_andn2_b64 s[4:5], s[4:5], exec
	s_and_b64 s[8:9], s[8:9], exec
	s_or_b64 s[4:5], s[4:5], s[8:9]
	s_or_b64 exec, exec, s[6:7]
	s_and_saveexec_b64 s[6:7], s[4:5]
	s_cbranch_execz .LBB2_28961
; %bb.50755:
	s_getpc_b64 s[14:15]
.Lpost_getpc28961:
	s_add_u32 s14, s14, (.LBB2_579-.Lpost_getpc28961)&4294967295
	s_addc_u32 s15, s15, (.LBB2_579-.Lpost_getpc28961)>>32
	s_setpc_b64 s[14:15]
.LBB2_28961:
	s_getpc_b64 s[14:15]
.Lpost_getpc18064:
	s_add_u32 s14, s14, (.LBB2_580-.Lpost_getpc18064)&4294967295
	s_addc_u32 s15, s15, (.LBB2_580-.Lpost_getpc18064)>>32
	s_setpc_b64 s[14:15]
.LBB2_14917:
	s_movk_i32 s4, 0x80
	v_cmp_eq_u16_sdwa s[12:13], v4, s4 src0_sel:BYTE_0 src1_sel:DWORD
	s_mov_b64 s[4:5], -1
                                        ; implicit-def: $sgpr10
	s_and_saveexec_b64 s[8:9], s[12:13]
; %bb.14918:
	s_mov_b32 s10, 0x7f800001
	s_xor_b64 s[4:5], exec, -1
; %bb.14919:
	s_or_b64 exec, exec, s[8:9]
	s_and_b64 s[4:5], s[4:5], exec
	s_or_saveexec_b64 s[6:7], s[6:7]
	v_mov_b32_e32 v3, s10
	s_xor_b64 exec, exec, s[6:7]
	s_cbranch_execnz .LBB2_14920
; %bb.50757:
	s_getpc_b64 s[14:15]
.Lpost_getpc28962:
	s_add_u32 s14, s14, (.LBB2_582-.Lpost_getpc28962)&4294967295
	s_addc_u32 s15, s15, (.LBB2_582-.Lpost_getpc28962)>>32
	s_setpc_b64 s[14:15]
.LBB2_14920:
	v_mov_b32_e32 v3, 0
	v_cmp_ne_u16_sdwa s[8:9], v4, v3 src0_sel:BYTE_0 src1_sel:DWORD
	s_andn2_b64 s[4:5], s[4:5], exec
	s_and_b64 s[8:9], s[8:9], exec
	s_or_b64 s[4:5], s[4:5], s[8:9]
	s_or_b64 exec, exec, s[6:7]
	s_and_saveexec_b64 s[6:7], s[4:5]
	s_cbranch_execz .LBB2_28963
; %bb.50759:
	s_getpc_b64 s[14:15]
.Lpost_getpc28963:
	s_add_u32 s14, s14, (.LBB2_583-.Lpost_getpc28963)&4294967295
	s_addc_u32 s15, s15, (.LBB2_583-.Lpost_getpc28963)>>32
	s_setpc_b64 s[14:15]
.LBB2_28963:
	s_getpc_b64 s[14:15]
.Lpost_getpc18065:
	s_add_u32 s14, s14, (.LBB2_584-.Lpost_getpc18065)&4294967295
	s_addc_u32 s15, s15, (.LBB2_584-.Lpost_getpc18065)>>32
	s_setpc_b64 s[14:15]
.LBB2_14921:
	s_movk_i32 s4, 0x80
	v_cmp_eq_u16_sdwa s[12:13], v3, s4 src0_sel:BYTE_0 src1_sel:DWORD
	s_mov_b64 s[4:5], -1
                                        ; implicit-def: $sgpr10
	s_and_saveexec_b64 s[8:9], s[12:13]
; %bb.14922:
	s_mov_b32 s10, 0x7f800001
	s_xor_b64 s[4:5], exec, -1
; %bb.14923:
	s_or_b64 exec, exec, s[8:9]
	s_and_b64 s[4:5], s[4:5], exec
	s_or_saveexec_b64 s[6:7], s[6:7]
	v_mov_b32_e32 v2, s10
	s_xor_b64 exec, exec, s[6:7]
	s_cbranch_execnz .LBB2_14924
; %bb.50761:
	s_getpc_b64 s[14:15]
.Lpost_getpc28964:
	s_add_u32 s14, s14, (.LBB2_586-.Lpost_getpc28964)&4294967295
	s_addc_u32 s15, s15, (.LBB2_586-.Lpost_getpc28964)>>32
	s_setpc_b64 s[14:15]
.LBB2_14924:
	v_mov_b32_e32 v2, 0
	v_cmp_ne_u16_sdwa s[8:9], v3, v2 src0_sel:BYTE_0 src1_sel:DWORD
	s_andn2_b64 s[4:5], s[4:5], exec
	s_and_b64 s[8:9], s[8:9], exec
	s_or_b64 s[4:5], s[4:5], s[8:9]
	s_or_b64 exec, exec, s[6:7]
	s_and_saveexec_b64 s[6:7], s[4:5]
	s_cbranch_execz .LBB2_28965
; %bb.50763:
	s_getpc_b64 s[14:15]
.Lpost_getpc28965:
	s_add_u32 s14, s14, (.LBB2_587-.Lpost_getpc28965)&4294967295
	s_addc_u32 s15, s15, (.LBB2_587-.Lpost_getpc28965)>>32
	s_setpc_b64 s[14:15]
.LBB2_28965:
	s_getpc_b64 s[14:15]
.Lpost_getpc18066:
	s_add_u32 s14, s14, (.LBB2_588-.Lpost_getpc18066)&4294967295
	s_addc_u32 s15, s15, (.LBB2_588-.Lpost_getpc18066)>>32
	s_setpc_b64 s[14:15]
.LBB2_14925:
	s_movk_i32 s4, 0x80
	v_cmp_eq_u16_sdwa s[12:13], v3, s4 src0_sel:BYTE_0 src1_sel:DWORD
	s_mov_b64 s[4:5], -1
                                        ; implicit-def: $sgpr10
	s_and_saveexec_b64 s[8:9], s[12:13]
; %bb.14926:
	s_mov_b32 s10, 0x7f800001
	s_xor_b64 s[4:5], exec, -1
; %bb.14927:
	s_or_b64 exec, exec, s[8:9]
	s_and_b64 s[4:5], s[4:5], exec
	s_or_saveexec_b64 s[6:7], s[6:7]
	v_mov_b32_e32 v6, s10
	s_xor_b64 exec, exec, s[6:7]
	s_cbranch_execnz .LBB2_14928
; %bb.50765:
	s_getpc_b64 s[14:15]
.Lpost_getpc28966:
	s_add_u32 s14, s14, (.LBB2_590-.Lpost_getpc28966)&4294967295
	s_addc_u32 s15, s15, (.LBB2_590-.Lpost_getpc28966)>>32
	s_setpc_b64 s[14:15]
.LBB2_14928:
	v_mov_b32_e32 v6, 0
	v_cmp_ne_u16_sdwa s[8:9], v3, v6 src0_sel:BYTE_0 src1_sel:DWORD
	s_andn2_b64 s[4:5], s[4:5], exec
	s_and_b64 s[8:9], s[8:9], exec
	s_or_b64 s[4:5], s[4:5], s[8:9]
	s_or_b64 exec, exec, s[6:7]
	s_and_saveexec_b64 s[6:7], s[4:5]
	s_cbranch_execz .LBB2_28967
; %bb.50767:
	s_getpc_b64 s[14:15]
.Lpost_getpc28967:
	s_add_u32 s14, s14, (.LBB2_591-.Lpost_getpc28967)&4294967295
	s_addc_u32 s15, s15, (.LBB2_591-.Lpost_getpc28967)>>32
	s_setpc_b64 s[14:15]
.LBB2_28967:
	s_getpc_b64 s[14:15]
.Lpost_getpc18067:
	s_add_u32 s14, s14, (.LBB2_592-.Lpost_getpc18067)&4294967295
	s_addc_u32 s15, s15, (.LBB2_592-.Lpost_getpc18067)>>32
	s_setpc_b64 s[14:15]
.LBB2_14929:
	s_movk_i32 s4, 0x80
	v_cmp_eq_u16_e32 vcc, s4, v3
	s_mov_b64 s[4:5], -1
                                        ; implicit-def: $sgpr10
	s_and_saveexec_b64 s[8:9], vcc
; %bb.14930:
	s_mov_b32 s10, 0x7f800001
	s_xor_b64 s[4:5], exec, -1
; %bb.14931:
	s_or_b64 exec, exec, s[8:9]
	s_and_b64 s[4:5], s[4:5], exec
                                        ; implicit-def: $vgpr3
	s_or_saveexec_b64 s[6:7], s[6:7]
	v_mov_b32_e32 v2, s10
	s_xor_b64 exec, exec, s[6:7]
	s_cbranch_execnz .LBB2_14932
; %bb.50769:
	s_getpc_b64 s[14:15]
.Lpost_getpc28968:
	s_add_u32 s14, s14, (.LBB2_594-.Lpost_getpc28968)&4294967295
	s_addc_u32 s15, s15, (.LBB2_594-.Lpost_getpc28968)>>32
	s_setpc_b64 s[14:15]
.LBB2_14932:
	v_cmp_ne_u16_e32 vcc, 0, v3
	s_andn2_b64 s[4:5], s[4:5], exec
	s_and_b64 s[8:9], vcc, exec
	v_mov_b32_e32 v2, 0
	s_or_b64 s[4:5], s[4:5], s[8:9]
	s_or_b64 exec, exec, s[6:7]
	s_and_saveexec_b64 s[6:7], s[4:5]
	s_cbranch_execz .LBB2_28969
; %bb.50771:
	s_getpc_b64 s[14:15]
.Lpost_getpc28969:
	s_add_u32 s14, s14, (.LBB2_595-.Lpost_getpc28969)&4294967295
	s_addc_u32 s15, s15, (.LBB2_595-.Lpost_getpc28969)>>32
	s_setpc_b64 s[14:15]
.LBB2_28969:
	s_getpc_b64 s[14:15]
.Lpost_getpc18068:
	s_add_u32 s14, s14, (.LBB2_596-.Lpost_getpc18068)&4294967295
	s_addc_u32 s15, s15, (.LBB2_596-.Lpost_getpc18068)>>32
	s_setpc_b64 s[14:15]
.LBB2_14933:
	s_movk_i32 s4, 0x80
	v_cmp_eq_u16_e32 vcc, s4, v3
	s_mov_b64 s[4:5], -1
                                        ; implicit-def: $sgpr10
	s_and_saveexec_b64 s[8:9], vcc
; %bb.14934:
	s_mov_b32 s10, 0x7f800001
	s_xor_b64 s[4:5], exec, -1
; %bb.14935:
	s_or_b64 exec, exec, s[8:9]
	s_and_b64 s[4:5], s[4:5], exec
                                        ; implicit-def: $vgpr3
	s_or_saveexec_b64 s[6:7], s[6:7]
	v_mov_b32_e32 v6, s10
	s_xor_b64 exec, exec, s[6:7]
	s_cbranch_execnz .LBB2_14936
; %bb.50773:
	s_getpc_b64 s[14:15]
.Lpost_getpc28970:
	s_add_u32 s14, s14, (.LBB2_598-.Lpost_getpc28970)&4294967295
	s_addc_u32 s15, s15, (.LBB2_598-.Lpost_getpc28970)>>32
	s_setpc_b64 s[14:15]
.LBB2_14936:
	v_cmp_ne_u16_e32 vcc, 0, v3
	s_andn2_b64 s[4:5], s[4:5], exec
	s_and_b64 s[8:9], vcc, exec
	v_mov_b32_e32 v6, 0
	s_or_b64 s[4:5], s[4:5], s[8:9]
	s_or_b64 exec, exec, s[6:7]
	s_and_saveexec_b64 s[6:7], s[4:5]
	s_cbranch_execz .LBB2_28971
; %bb.50775:
	s_getpc_b64 s[14:15]
.Lpost_getpc28971:
	s_add_u32 s14, s14, (.LBB2_599-.Lpost_getpc28971)&4294967295
	s_addc_u32 s15, s15, (.LBB2_599-.Lpost_getpc28971)>>32
	s_setpc_b64 s[14:15]
.LBB2_28971:
	s_getpc_b64 s[14:15]
.Lpost_getpc18069:
	s_add_u32 s14, s14, (.LBB2_600-.Lpost_getpc18069)&4294967295
	s_addc_u32 s15, s15, (.LBB2_600-.Lpost_getpc18069)>>32
	s_setpc_b64 s[14:15]
.LBB2_14937:
	s_movk_i32 s4, 0x80
	v_cmp_eq_u16_sdwa s[12:13], v8, s4 src0_sel:BYTE_3 src1_sel:DWORD
	s_mov_b64 s[4:5], -1
                                        ; implicit-def: $sgpr10
	s_and_saveexec_b64 s[8:9], s[12:13]
; %bb.14938:
	s_mov_b32 s10, 0x7f800001
	s_xor_b64 s[4:5], exec, -1
; %bb.14939:
	s_or_b64 exec, exec, s[8:9]
	s_and_b64 s[4:5], s[4:5], exec
	s_or_saveexec_b64 s[6:7], s[6:7]
	v_mov_b32_e32 v2, s10
	s_xor_b64 exec, exec, s[6:7]
	s_cbranch_execnz .LBB2_14940
; %bb.50777:
	s_getpc_b64 s[14:15]
.Lpost_getpc28972:
	s_add_u32 s14, s14, (.LBB2_602-.Lpost_getpc28972)&4294967295
	s_addc_u32 s15, s15, (.LBB2_602-.Lpost_getpc28972)>>32
	s_setpc_b64 s[14:15]
.LBB2_14940:
	v_mov_b32_e32 v2, 0
	v_cmp_ne_u16_sdwa s[8:9], v8, v2 src0_sel:BYTE_3 src1_sel:DWORD
	s_andn2_b64 s[4:5], s[4:5], exec
	s_and_b64 s[8:9], s[8:9], exec
	s_or_b64 s[4:5], s[4:5], s[8:9]
	s_or_b64 exec, exec, s[6:7]
	s_and_saveexec_b64 s[6:7], s[4:5]
	s_cbranch_execz .LBB2_28973
; %bb.50779:
	s_getpc_b64 s[14:15]
.Lpost_getpc28973:
	s_add_u32 s14, s14, (.LBB2_603-.Lpost_getpc28973)&4294967295
	s_addc_u32 s15, s15, (.LBB2_603-.Lpost_getpc28973)>>32
	s_setpc_b64 s[14:15]
.LBB2_28973:
	s_getpc_b64 s[14:15]
.Lpost_getpc18070:
	s_add_u32 s14, s14, (.LBB2_604-.Lpost_getpc18070)&4294967295
	s_addc_u32 s15, s15, (.LBB2_604-.Lpost_getpc18070)>>32
	s_setpc_b64 s[14:15]
.LBB2_14941:
	s_movk_i32 s4, 0x80
	v_cmp_eq_u16_sdwa s[12:13], v4, s4 src0_sel:BYTE_3 src1_sel:DWORD
	s_mov_b64 s[4:5], -1
                                        ; implicit-def: $sgpr10
	s_and_saveexec_b64 s[8:9], s[12:13]
; %bb.14942:
	s_mov_b32 s10, 0x7f800001
	s_xor_b64 s[4:5], exec, -1
; %bb.14943:
	s_or_b64 exec, exec, s[8:9]
	s_and_b64 s[4:5], s[4:5], exec
	s_or_saveexec_b64 s[6:7], s[6:7]
	v_mov_b32_e32 v3, s10
	s_xor_b64 exec, exec, s[6:7]
	s_cbranch_execnz .LBB2_14944
; %bb.50781:
	s_getpc_b64 s[14:15]
.Lpost_getpc28974:
	s_add_u32 s14, s14, (.LBB2_606-.Lpost_getpc28974)&4294967295
	s_addc_u32 s15, s15, (.LBB2_606-.Lpost_getpc28974)>>32
	s_setpc_b64 s[14:15]
.LBB2_14944:
	v_mov_b32_e32 v3, 0
	v_cmp_ne_u16_sdwa s[8:9], v4, v3 src0_sel:BYTE_3 src1_sel:DWORD
	s_andn2_b64 s[4:5], s[4:5], exec
	s_and_b64 s[8:9], s[8:9], exec
	s_or_b64 s[4:5], s[4:5], s[8:9]
	s_or_b64 exec, exec, s[6:7]
	s_and_saveexec_b64 s[6:7], s[4:5]
	s_cbranch_execz .LBB2_28975
; %bb.50783:
	s_getpc_b64 s[14:15]
.Lpost_getpc28975:
	s_add_u32 s14, s14, (.LBB2_607-.Lpost_getpc28975)&4294967295
	s_addc_u32 s15, s15, (.LBB2_607-.Lpost_getpc28975)>>32
	s_setpc_b64 s[14:15]
.LBB2_28975:
	s_getpc_b64 s[14:15]
.Lpost_getpc18071:
	s_add_u32 s14, s14, (.LBB2_608-.Lpost_getpc18071)&4294967295
	s_addc_u32 s15, s15, (.LBB2_608-.Lpost_getpc18071)>>32
	s_setpc_b64 s[14:15]
.LBB2_14945:
	s_movk_i32 s4, 0x80
	v_cmp_eq_u16_sdwa s[12:13], v9, s4 src0_sel:BYTE_0 src1_sel:DWORD
	s_mov_b64 s[4:5], -1
                                        ; implicit-def: $sgpr10
	s_and_saveexec_b64 s[8:9], s[12:13]
; %bb.14946:
	s_mov_b32 s10, 0x7f800001
	s_xor_b64 s[4:5], exec, -1
; %bb.14947:
	s_or_b64 exec, exec, s[8:9]
	s_and_b64 s[4:5], s[4:5], exec
	s_or_saveexec_b64 s[6:7], s[6:7]
	v_mov_b32_e32 v2, s10
	s_xor_b64 exec, exec, s[6:7]
	s_cbranch_execnz .LBB2_14948
; %bb.50785:
	s_getpc_b64 s[14:15]
.Lpost_getpc28976:
	s_add_u32 s14, s14, (.LBB2_610-.Lpost_getpc28976)&4294967295
	s_addc_u32 s15, s15, (.LBB2_610-.Lpost_getpc28976)>>32
	s_setpc_b64 s[14:15]
.LBB2_14948:
	v_mov_b32_e32 v2, 0
	v_cmp_ne_u16_sdwa s[8:9], v9, v2 src0_sel:BYTE_0 src1_sel:DWORD
	s_andn2_b64 s[4:5], s[4:5], exec
	s_and_b64 s[8:9], s[8:9], exec
	s_or_b64 s[4:5], s[4:5], s[8:9]
	s_or_b64 exec, exec, s[6:7]
	s_and_saveexec_b64 s[6:7], s[4:5]
	s_cbranch_execz .LBB2_28977
; %bb.50787:
	s_getpc_b64 s[14:15]
.Lpost_getpc28977:
	s_add_u32 s14, s14, (.LBB2_611-.Lpost_getpc28977)&4294967295
	s_addc_u32 s15, s15, (.LBB2_611-.Lpost_getpc28977)>>32
	s_setpc_b64 s[14:15]
.LBB2_28977:
	s_getpc_b64 s[14:15]
.Lpost_getpc18072:
	s_add_u32 s14, s14, (.LBB2_612-.Lpost_getpc18072)&4294967295
	s_addc_u32 s15, s15, (.LBB2_612-.Lpost_getpc18072)>>32
	s_setpc_b64 s[14:15]
.LBB2_14949:
	s_movk_i32 s4, 0x80
	v_cmp_eq_u16_sdwa s[12:13], v5, s4 src0_sel:BYTE_0 src1_sel:DWORD
	s_mov_b64 s[4:5], -1
                                        ; implicit-def: $sgpr10
	s_and_saveexec_b64 s[8:9], s[12:13]
; %bb.14950:
	s_mov_b32 s10, 0x7f800001
	s_xor_b64 s[4:5], exec, -1
; %bb.14951:
	s_or_b64 exec, exec, s[8:9]
	s_and_b64 s[4:5], s[4:5], exec
	s_or_saveexec_b64 s[6:7], s[6:7]
	v_mov_b32_e32 v3, s10
	s_xor_b64 exec, exec, s[6:7]
	s_cbranch_execnz .LBB2_14952
; %bb.50789:
	s_getpc_b64 s[14:15]
.Lpost_getpc28978:
	s_add_u32 s14, s14, (.LBB2_614-.Lpost_getpc28978)&4294967295
	s_addc_u32 s15, s15, (.LBB2_614-.Lpost_getpc28978)>>32
	s_setpc_b64 s[14:15]
.LBB2_14952:
	v_mov_b32_e32 v3, 0
	v_cmp_ne_u16_sdwa s[8:9], v5, v3 src0_sel:BYTE_0 src1_sel:DWORD
	s_andn2_b64 s[4:5], s[4:5], exec
	s_and_b64 s[8:9], s[8:9], exec
	s_or_b64 s[4:5], s[4:5], s[8:9]
	s_or_b64 exec, exec, s[6:7]
	s_and_saveexec_b64 s[6:7], s[4:5]
	s_cbranch_execz .LBB2_28979
; %bb.50791:
	s_getpc_b64 s[14:15]
.Lpost_getpc28979:
	s_add_u32 s14, s14, (.LBB2_615-.Lpost_getpc28979)&4294967295
	s_addc_u32 s15, s15, (.LBB2_615-.Lpost_getpc28979)>>32
	s_setpc_b64 s[14:15]
.LBB2_28979:
	s_getpc_b64 s[14:15]
.Lpost_getpc18073:
	s_add_u32 s14, s14, (.LBB2_616-.Lpost_getpc18073)&4294967295
	s_addc_u32 s15, s15, (.LBB2_616-.Lpost_getpc18073)>>32
	s_setpc_b64 s[14:15]
.LBB2_14953:
	s_movk_i32 s4, 0x80
	v_cmp_eq_u16_sdwa s[12:13], v3, s4 src0_sel:BYTE_0 src1_sel:DWORD
	s_mov_b64 s[4:5], -1
                                        ; implicit-def: $sgpr10
	s_and_saveexec_b64 s[8:9], s[12:13]
; %bb.14954:
	s_mov_b32 s10, 0x7f800001
	s_xor_b64 s[4:5], exec, -1
; %bb.14955:
	s_or_b64 exec, exec, s[8:9]
	s_and_b64 s[4:5], s[4:5], exec
	s_or_saveexec_b64 s[6:7], s[6:7]
	v_mov_b32_e32 v2, s10
	s_xor_b64 exec, exec, s[6:7]
	s_cbranch_execnz .LBB2_14956
; %bb.50793:
	s_getpc_b64 s[14:15]
.Lpost_getpc28980:
	s_add_u32 s14, s14, (.LBB2_618-.Lpost_getpc28980)&4294967295
	s_addc_u32 s15, s15, (.LBB2_618-.Lpost_getpc28980)>>32
	s_setpc_b64 s[14:15]
.LBB2_14956:
	v_mov_b32_e32 v2, 0
	v_cmp_ne_u16_sdwa s[8:9], v3, v2 src0_sel:BYTE_0 src1_sel:DWORD
	s_andn2_b64 s[4:5], s[4:5], exec
	s_and_b64 s[8:9], s[8:9], exec
	s_or_b64 s[4:5], s[4:5], s[8:9]
	s_or_b64 exec, exec, s[6:7]
	s_and_saveexec_b64 s[6:7], s[4:5]
	s_cbranch_execz .LBB2_28981
; %bb.50795:
	s_getpc_b64 s[14:15]
.Lpost_getpc28981:
	s_add_u32 s14, s14, (.LBB2_619-.Lpost_getpc28981)&4294967295
	s_addc_u32 s15, s15, (.LBB2_619-.Lpost_getpc28981)>>32
	s_setpc_b64 s[14:15]
.LBB2_28981:
	s_getpc_b64 s[14:15]
.Lpost_getpc18074:
	s_add_u32 s14, s14, (.LBB2_620-.Lpost_getpc18074)&4294967295
	s_addc_u32 s15, s15, (.LBB2_620-.Lpost_getpc18074)>>32
	s_setpc_b64 s[14:15]
.LBB2_14957:
	s_movk_i32 s4, 0x80
	v_cmp_eq_u16_sdwa s[12:13], v3, s4 src0_sel:BYTE_0 src1_sel:DWORD
	s_mov_b64 s[4:5], -1
                                        ; implicit-def: $sgpr10
	s_and_saveexec_b64 s[8:9], s[12:13]
; %bb.14958:
	s_mov_b32 s10, 0x7f800001
	s_xor_b64 s[4:5], exec, -1
; %bb.14959:
	s_or_b64 exec, exec, s[8:9]
	s_and_b64 s[4:5], s[4:5], exec
	s_or_saveexec_b64 s[6:7], s[6:7]
	v_mov_b32_e32 v4, s10
	s_xor_b64 exec, exec, s[6:7]
	s_cbranch_execnz .LBB2_14960
; %bb.50797:
	s_getpc_b64 s[14:15]
.Lpost_getpc28982:
	s_add_u32 s14, s14, (.LBB2_622-.Lpost_getpc28982)&4294967295
	s_addc_u32 s15, s15, (.LBB2_622-.Lpost_getpc28982)>>32
	s_setpc_b64 s[14:15]
.LBB2_14960:
	v_mov_b32_e32 v4, 0
	v_cmp_ne_u16_sdwa s[8:9], v3, v4 src0_sel:BYTE_0 src1_sel:DWORD
	s_andn2_b64 s[4:5], s[4:5], exec
	s_and_b64 s[8:9], s[8:9], exec
	s_or_b64 s[4:5], s[4:5], s[8:9]
	s_or_b64 exec, exec, s[6:7]
	s_and_saveexec_b64 s[6:7], s[4:5]
	s_cbranch_execz .LBB2_28983
; %bb.50799:
	s_getpc_b64 s[14:15]
.Lpost_getpc28983:
	s_add_u32 s14, s14, (.LBB2_623-.Lpost_getpc28983)&4294967295
	s_addc_u32 s15, s15, (.LBB2_623-.Lpost_getpc28983)>>32
	s_setpc_b64 s[14:15]
.LBB2_28983:
	s_getpc_b64 s[14:15]
.Lpost_getpc18075:
	s_add_u32 s14, s14, (.LBB2_624-.Lpost_getpc18075)&4294967295
	s_addc_u32 s15, s15, (.LBB2_624-.Lpost_getpc18075)>>32
	s_setpc_b64 s[14:15]
.LBB2_14961:
	s_movk_i32 s4, 0x80
	v_cmp_eq_u16_e32 vcc, s4, v3
	s_mov_b64 s[4:5], -1
                                        ; implicit-def: $sgpr10
	s_and_saveexec_b64 s[8:9], vcc
; %bb.14962:
	s_mov_b32 s10, 0x7f800001
	s_xor_b64 s[4:5], exec, -1
; %bb.14963:
	s_or_b64 exec, exec, s[8:9]
	s_and_b64 s[4:5], s[4:5], exec
                                        ; implicit-def: $vgpr3
	s_or_saveexec_b64 s[6:7], s[6:7]
	v_mov_b32_e32 v2, s10
	s_xor_b64 exec, exec, s[6:7]
	s_cbranch_execnz .LBB2_14964
; %bb.50801:
	s_getpc_b64 s[14:15]
.Lpost_getpc28984:
	s_add_u32 s14, s14, (.LBB2_626-.Lpost_getpc28984)&4294967295
	s_addc_u32 s15, s15, (.LBB2_626-.Lpost_getpc28984)>>32
	s_setpc_b64 s[14:15]
.LBB2_14964:
	v_cmp_ne_u16_e32 vcc, 0, v3
	s_andn2_b64 s[4:5], s[4:5], exec
	s_and_b64 s[8:9], vcc, exec
	v_mov_b32_e32 v2, 0
	s_or_b64 s[4:5], s[4:5], s[8:9]
	s_or_b64 exec, exec, s[6:7]
	s_and_saveexec_b64 s[6:7], s[4:5]
	s_cbranch_execz .LBB2_28985
; %bb.50803:
	s_getpc_b64 s[14:15]
.Lpost_getpc28985:
	s_add_u32 s14, s14, (.LBB2_627-.Lpost_getpc28985)&4294967295
	s_addc_u32 s15, s15, (.LBB2_627-.Lpost_getpc28985)>>32
	s_setpc_b64 s[14:15]
.LBB2_28985:
	s_getpc_b64 s[14:15]
.Lpost_getpc18076:
	s_add_u32 s14, s14, (.LBB2_628-.Lpost_getpc18076)&4294967295
	s_addc_u32 s15, s15, (.LBB2_628-.Lpost_getpc18076)>>32
	s_setpc_b64 s[14:15]
.LBB2_14965:
	s_movk_i32 s4, 0x80
	v_cmp_eq_u16_e32 vcc, s4, v3
	s_mov_b64 s[4:5], -1
                                        ; implicit-def: $sgpr10
	s_and_saveexec_b64 s[8:9], vcc
; %bb.14966:
	s_mov_b32 s10, 0x7f800001
	s_xor_b64 s[4:5], exec, -1
; %bb.14967:
	s_or_b64 exec, exec, s[8:9]
	s_and_b64 s[4:5], s[4:5], exec
                                        ; implicit-def: $vgpr3
	s_or_saveexec_b64 s[6:7], s[6:7]
	v_mov_b32_e32 v4, s10
	s_xor_b64 exec, exec, s[6:7]
	s_cbranch_execnz .LBB2_14968
; %bb.50805:
	s_getpc_b64 s[14:15]
.Lpost_getpc28986:
	s_add_u32 s14, s14, (.LBB2_630-.Lpost_getpc28986)&4294967295
	s_addc_u32 s15, s15, (.LBB2_630-.Lpost_getpc28986)>>32
	s_setpc_b64 s[14:15]
.LBB2_14968:
	v_cmp_ne_u16_e32 vcc, 0, v3
	s_andn2_b64 s[4:5], s[4:5], exec
	s_and_b64 s[8:9], vcc, exec
	v_mov_b32_e32 v4, 0
	s_or_b64 s[4:5], s[4:5], s[8:9]
	s_or_b64 exec, exec, s[6:7]
	s_and_saveexec_b64 s[6:7], s[4:5]
	s_cbranch_execz .LBB2_28987
; %bb.50807:
	s_getpc_b64 s[14:15]
.Lpost_getpc28987:
	s_add_u32 s14, s14, (.LBB2_631-.Lpost_getpc28987)&4294967295
	s_addc_u32 s15, s15, (.LBB2_631-.Lpost_getpc28987)>>32
	s_setpc_b64 s[14:15]
.LBB2_28987:
	s_getpc_b64 s[14:15]
.Lpost_getpc18077:
	s_add_u32 s14, s14, (.LBB2_632-.Lpost_getpc18077)&4294967295
	s_addc_u32 s15, s15, (.LBB2_632-.Lpost_getpc18077)>>32
	s_setpc_b64 s[14:15]
.LBB2_14969:
	s_movk_i32 s4, 0x80
	v_cmp_eq_u16_sdwa s[12:13], v9, s4 src0_sel:BYTE_3 src1_sel:DWORD
	s_mov_b64 s[4:5], -1
                                        ; implicit-def: $sgpr10
	s_and_saveexec_b64 s[8:9], s[12:13]
; %bb.14970:
	s_mov_b32 s10, 0x7f800001
	s_xor_b64 s[4:5], exec, -1
; %bb.14971:
	s_or_b64 exec, exec, s[8:9]
	s_and_b64 s[4:5], s[4:5], exec
	s_or_saveexec_b64 s[6:7], s[6:7]
	v_mov_b32_e32 v2, s10
	s_xor_b64 exec, exec, s[6:7]
	s_cbranch_execnz .LBB2_14972
; %bb.50809:
	s_getpc_b64 s[14:15]
.Lpost_getpc28988:
	s_add_u32 s14, s14, (.LBB2_634-.Lpost_getpc28988)&4294967295
	s_addc_u32 s15, s15, (.LBB2_634-.Lpost_getpc28988)>>32
	s_setpc_b64 s[14:15]
.LBB2_14972:
	v_mov_b32_e32 v2, 0
	v_cmp_ne_u16_sdwa s[8:9], v9, v2 src0_sel:BYTE_3 src1_sel:DWORD
	s_andn2_b64 s[4:5], s[4:5], exec
	s_and_b64 s[8:9], s[8:9], exec
	s_or_b64 s[4:5], s[4:5], s[8:9]
	s_or_b64 exec, exec, s[6:7]
	s_and_saveexec_b64 s[6:7], s[4:5]
	s_cbranch_execz .LBB2_28989
; %bb.50811:
	s_getpc_b64 s[14:15]
.Lpost_getpc28989:
	s_add_u32 s14, s14, (.LBB2_635-.Lpost_getpc28989)&4294967295
	s_addc_u32 s15, s15, (.LBB2_635-.Lpost_getpc28989)>>32
	s_setpc_b64 s[14:15]
.LBB2_28989:
	s_getpc_b64 s[14:15]
.Lpost_getpc18078:
	s_add_u32 s14, s14, (.LBB2_636-.Lpost_getpc18078)&4294967295
	s_addc_u32 s15, s15, (.LBB2_636-.Lpost_getpc18078)>>32
	s_setpc_b64 s[14:15]
.LBB2_14973:
	s_movk_i32 s4, 0x80
	v_cmp_eq_u16_sdwa s[12:13], v5, s4 src0_sel:BYTE_3 src1_sel:DWORD
	s_mov_b64 s[4:5], -1
                                        ; implicit-def: $sgpr10
	s_and_saveexec_b64 s[8:9], s[12:13]
; %bb.14974:
	s_mov_b32 s10, 0x7f800001
	s_xor_b64 s[4:5], exec, -1
; %bb.14975:
	s_or_b64 exec, exec, s[8:9]
	s_and_b64 s[4:5], s[4:5], exec
	s_or_saveexec_b64 s[6:7], s[6:7]
	v_mov_b32_e32 v3, s10
	s_xor_b64 exec, exec, s[6:7]
	s_cbranch_execnz .LBB2_14976
; %bb.50813:
	s_getpc_b64 s[14:15]
.Lpost_getpc28990:
	s_add_u32 s14, s14, (.LBB2_638-.Lpost_getpc28990)&4294967295
	s_addc_u32 s15, s15, (.LBB2_638-.Lpost_getpc28990)>>32
	s_setpc_b64 s[14:15]
.LBB2_14976:
	v_mov_b32_e32 v3, 0
	v_cmp_ne_u16_sdwa s[8:9], v5, v3 src0_sel:BYTE_3 src1_sel:DWORD
	s_andn2_b64 s[4:5], s[4:5], exec
	s_and_b64 s[8:9], s[8:9], exec
	s_or_b64 s[4:5], s[4:5], s[8:9]
	s_or_b64 exec, exec, s[6:7]
	s_and_saveexec_b64 s[6:7], s[4:5]
	s_cbranch_execz .LBB2_28991
; %bb.50815:
	s_getpc_b64 s[14:15]
.Lpost_getpc28991:
	s_add_u32 s14, s14, (.LBB2_639-.Lpost_getpc28991)&4294967295
	s_addc_u32 s15, s15, (.LBB2_639-.Lpost_getpc28991)>>32
	s_setpc_b64 s[14:15]
.LBB2_28991:
	s_getpc_b64 s[14:15]
.Lpost_getpc18079:
	s_add_u32 s14, s14, (.LBB2_640-.Lpost_getpc18079)&4294967295
	s_addc_u32 s15, s15, (.LBB2_640-.Lpost_getpc18079)>>32
	s_setpc_b64 s[14:15]
.LBB2_14977:
	s_movk_i32 s4, 0x80
	v_cmp_eq_u16_sdwa s[12:13], v6, s4 src0_sel:BYTE_0 src1_sel:DWORD
	s_mov_b64 s[4:5], -1
                                        ; implicit-def: $sgpr10
	s_and_saveexec_b64 s[8:9], s[12:13]
; %bb.14978:
	s_mov_b32 s10, 0x7f800001
	s_xor_b64 s[4:5], exec, -1
; %bb.14979:
	s_or_b64 exec, exec, s[8:9]
	s_and_b64 s[4:5], s[4:5], exec
	s_or_saveexec_b64 s[6:7], s[6:7]
	v_mov_b32_e32 v12, s10
	s_xor_b64 exec, exec, s[6:7]
	s_cbranch_execnz .LBB2_14980
; %bb.50817:
	s_getpc_b64 s[14:15]
.Lpost_getpc28992:
	s_add_u32 s14, s14, (.LBB2_642-.Lpost_getpc28992)&4294967295
	s_addc_u32 s15, s15, (.LBB2_642-.Lpost_getpc28992)>>32
	s_setpc_b64 s[14:15]
.LBB2_14980:
	v_mov_b32_e32 v12, 0
	v_cmp_ne_u16_sdwa s[8:9], v6, v12 src0_sel:BYTE_0 src1_sel:DWORD
	s_andn2_b64 s[4:5], s[4:5], exec
	s_and_b64 s[8:9], s[8:9], exec
	s_or_b64 s[4:5], s[4:5], s[8:9]
	s_or_b64 exec, exec, s[6:7]
	s_and_saveexec_b64 s[6:7], s[4:5]
	s_cbranch_execz .LBB2_28993
; %bb.50819:
	s_getpc_b64 s[14:15]
.Lpost_getpc28993:
	s_add_u32 s14, s14, (.LBB2_643-.Lpost_getpc28993)&4294967295
	s_addc_u32 s15, s15, (.LBB2_643-.Lpost_getpc28993)>>32
	s_setpc_b64 s[14:15]
.LBB2_28993:
	s_getpc_b64 s[14:15]
.Lpost_getpc18080:
	s_add_u32 s14, s14, (.LBB2_644-.Lpost_getpc18080)&4294967295
	s_addc_u32 s15, s15, (.LBB2_644-.Lpost_getpc18080)>>32
	s_setpc_b64 s[14:15]
.LBB2_14981:
	s_movk_i32 s4, 0x80
	v_cmp_eq_u16_sdwa s[12:13], v2, s4 src0_sel:BYTE_0 src1_sel:DWORD
	s_mov_b64 s[4:5], -1
                                        ; implicit-def: $sgpr10
	s_and_saveexec_b64 s[8:9], s[12:13]
; %bb.14982:
	s_mov_b32 s10, 0x7f800001
	s_xor_b64 s[4:5], exec, -1
; %bb.14983:
	s_or_b64 exec, exec, s[8:9]
	s_and_b64 s[4:5], s[4:5], exec
	s_or_saveexec_b64 s[6:7], s[6:7]
	v_mov_b32_e32 v13, s10
	s_xor_b64 exec, exec, s[6:7]
	s_cbranch_execnz .LBB2_14984
; %bb.50821:
	s_getpc_b64 s[14:15]
.Lpost_getpc28994:
	s_add_u32 s14, s14, (.LBB2_646-.Lpost_getpc28994)&4294967295
	s_addc_u32 s15, s15, (.LBB2_646-.Lpost_getpc28994)>>32
	s_setpc_b64 s[14:15]
.LBB2_14984:
	v_mov_b32_e32 v13, 0
	v_cmp_ne_u16_sdwa s[8:9], v2, v13 src0_sel:BYTE_0 src1_sel:DWORD
	s_andn2_b64 s[4:5], s[4:5], exec
	s_and_b64 s[8:9], s[8:9], exec
	s_or_b64 s[4:5], s[4:5], s[8:9]
	s_or_b64 exec, exec, s[6:7]
	s_and_saveexec_b64 s[6:7], s[4:5]
	s_cbranch_execz .LBB2_28995
; %bb.50823:
	s_getpc_b64 s[14:15]
.Lpost_getpc28995:
	s_add_u32 s14, s14, (.LBB2_647-.Lpost_getpc28995)&4294967295
	s_addc_u32 s15, s15, (.LBB2_647-.Lpost_getpc28995)>>32
	s_setpc_b64 s[14:15]
.LBB2_28995:
	s_getpc_b64 s[14:15]
.Lpost_getpc18081:
	s_add_u32 s14, s14, (.LBB2_648-.Lpost_getpc18081)&4294967295
	s_addc_u32 s15, s15, (.LBB2_648-.Lpost_getpc18081)>>32
	s_setpc_b64 s[14:15]
.LBB2_14985:
	s_movk_i32 s4, 0x80
	v_cmp_eq_u16_sdwa s[12:13], v13, s4 src0_sel:BYTE_0 src1_sel:DWORD
	s_mov_b64 s[4:5], -1
                                        ; implicit-def: $sgpr10
	s_and_saveexec_b64 s[8:9], s[12:13]
; %bb.14986:
	s_mov_b32 s10, 0x7f800001
	s_xor_b64 s[4:5], exec, -1
; %bb.14987:
	s_or_b64 exec, exec, s[8:9]
	s_and_b64 s[4:5], s[4:5], exec
	s_or_saveexec_b64 s[6:7], s[6:7]
	v_mov_b32_e32 v12, s10
	s_xor_b64 exec, exec, s[6:7]
	s_cbranch_execnz .LBB2_14988
; %bb.50825:
	s_getpc_b64 s[14:15]
.Lpost_getpc28996:
	s_add_u32 s14, s14, (.LBB2_650-.Lpost_getpc28996)&4294967295
	s_addc_u32 s15, s15, (.LBB2_650-.Lpost_getpc28996)>>32
	s_setpc_b64 s[14:15]
.LBB2_14988:
	v_mov_b32_e32 v12, 0
	v_cmp_ne_u16_sdwa s[8:9], v13, v12 src0_sel:BYTE_0 src1_sel:DWORD
	s_andn2_b64 s[4:5], s[4:5], exec
	s_and_b64 s[8:9], s[8:9], exec
	s_or_b64 s[4:5], s[4:5], s[8:9]
	s_or_b64 exec, exec, s[6:7]
	s_and_saveexec_b64 s[6:7], s[4:5]
	s_cbranch_execz .LBB2_28997
; %bb.50827:
	s_getpc_b64 s[14:15]
.Lpost_getpc28997:
	s_add_u32 s14, s14, (.LBB2_651-.Lpost_getpc28997)&4294967295
	s_addc_u32 s15, s15, (.LBB2_651-.Lpost_getpc28997)>>32
	s_setpc_b64 s[14:15]
.LBB2_28997:
	s_getpc_b64 s[14:15]
.Lpost_getpc18082:
	s_add_u32 s14, s14, (.LBB2_652-.Lpost_getpc18082)&4294967295
	s_addc_u32 s15, s15, (.LBB2_652-.Lpost_getpc18082)>>32
	s_setpc_b64 s[14:15]
.LBB2_14989:
	s_movk_i32 s4, 0x80
	v_cmp_eq_u16_sdwa s[12:13], v13, s4 src0_sel:BYTE_0 src1_sel:DWORD
	s_mov_b64 s[4:5], -1
                                        ; implicit-def: $sgpr10
	s_and_saveexec_b64 s[8:9], s[12:13]
; %bb.14990:
	s_mov_b32 s10, 0x7f800001
	s_xor_b64 s[4:5], exec, -1
; %bb.14991:
	s_or_b64 exec, exec, s[8:9]
	s_and_b64 s[4:5], s[4:5], exec
	s_or_saveexec_b64 s[6:7], s[6:7]
	v_mov_b32_e32 v14, s10
	s_xor_b64 exec, exec, s[6:7]
	s_cbranch_execnz .LBB2_14992
; %bb.50829:
	s_getpc_b64 s[14:15]
.Lpost_getpc28998:
	s_add_u32 s14, s14, (.LBB2_654-.Lpost_getpc28998)&4294967295
	s_addc_u32 s15, s15, (.LBB2_654-.Lpost_getpc28998)>>32
	s_setpc_b64 s[14:15]
.LBB2_14992:
	v_mov_b32_e32 v14, 0
	v_cmp_ne_u16_sdwa s[8:9], v13, v14 src0_sel:BYTE_0 src1_sel:DWORD
	s_andn2_b64 s[4:5], s[4:5], exec
	s_and_b64 s[8:9], s[8:9], exec
	s_or_b64 s[4:5], s[4:5], s[8:9]
	s_or_b64 exec, exec, s[6:7]
	s_and_saveexec_b64 s[6:7], s[4:5]
	s_cbranch_execz .LBB2_28999
; %bb.50831:
	s_getpc_b64 s[14:15]
.Lpost_getpc28999:
	s_add_u32 s14, s14, (.LBB2_655-.Lpost_getpc28999)&4294967295
	s_addc_u32 s15, s15, (.LBB2_655-.Lpost_getpc28999)>>32
	s_setpc_b64 s[14:15]
.LBB2_28999:
	s_getpc_b64 s[14:15]
.Lpost_getpc18083:
	s_add_u32 s14, s14, (.LBB2_656-.Lpost_getpc18083)&4294967295
	s_addc_u32 s15, s15, (.LBB2_656-.Lpost_getpc18083)>>32
	s_setpc_b64 s[14:15]
.LBB2_14993:
	s_movk_i32 s4, 0x80
	v_cmp_eq_u16_e32 vcc, s4, v13
	s_mov_b64 s[4:5], -1
                                        ; implicit-def: $sgpr10
	s_and_saveexec_b64 s[8:9], vcc
; %bb.14994:
	s_mov_b32 s10, 0x7f800001
	s_xor_b64 s[4:5], exec, -1
; %bb.14995:
	s_or_b64 exec, exec, s[8:9]
	s_and_b64 s[4:5], s[4:5], exec
                                        ; implicit-def: $vgpr13
	s_or_saveexec_b64 s[6:7], s[6:7]
	v_mov_b32_e32 v12, s10
	s_xor_b64 exec, exec, s[6:7]
	s_cbranch_execnz .LBB2_14996
; %bb.50833:
	s_getpc_b64 s[14:15]
.Lpost_getpc29000:
	s_add_u32 s14, s14, (.LBB2_658-.Lpost_getpc29000)&4294967295
	s_addc_u32 s15, s15, (.LBB2_658-.Lpost_getpc29000)>>32
	s_setpc_b64 s[14:15]
.LBB2_14996:
	v_cmp_ne_u16_e32 vcc, 0, v13
	s_andn2_b64 s[4:5], s[4:5], exec
	s_and_b64 s[8:9], vcc, exec
	v_mov_b32_e32 v12, 0
	s_or_b64 s[4:5], s[4:5], s[8:9]
	s_or_b64 exec, exec, s[6:7]
	s_and_saveexec_b64 s[6:7], s[4:5]
	s_cbranch_execz .LBB2_29001
; %bb.50835:
	s_getpc_b64 s[14:15]
.Lpost_getpc29001:
	s_add_u32 s14, s14, (.LBB2_659-.Lpost_getpc29001)&4294967295
	s_addc_u32 s15, s15, (.LBB2_659-.Lpost_getpc29001)>>32
	s_setpc_b64 s[14:15]
.LBB2_29001:
	s_getpc_b64 s[14:15]
.Lpost_getpc18084:
	s_add_u32 s14, s14, (.LBB2_660-.Lpost_getpc18084)&4294967295
	s_addc_u32 s15, s15, (.LBB2_660-.Lpost_getpc18084)>>32
	s_setpc_b64 s[14:15]
.LBB2_14997:
	s_movk_i32 s4, 0x80
	v_cmp_eq_u16_e32 vcc, s4, v13
	s_mov_b64 s[4:5], -1
                                        ; implicit-def: $sgpr10
	s_and_saveexec_b64 s[8:9], vcc
; %bb.14998:
	s_mov_b32 s10, 0x7f800001
	s_xor_b64 s[4:5], exec, -1
; %bb.14999:
	s_or_b64 exec, exec, s[8:9]
	s_and_b64 s[4:5], s[4:5], exec
                                        ; implicit-def: $vgpr13
	s_or_saveexec_b64 s[6:7], s[6:7]
	v_mov_b32_e32 v14, s10
	s_xor_b64 exec, exec, s[6:7]
	s_cbranch_execnz .LBB2_15000
; %bb.50837:
	s_getpc_b64 s[14:15]
.Lpost_getpc29002:
	s_add_u32 s14, s14, (.LBB2_662-.Lpost_getpc29002)&4294967295
	s_addc_u32 s15, s15, (.LBB2_662-.Lpost_getpc29002)>>32
	s_setpc_b64 s[14:15]
.LBB2_15000:
	v_cmp_ne_u16_e32 vcc, 0, v13
	s_andn2_b64 s[4:5], s[4:5], exec
	s_and_b64 s[8:9], vcc, exec
	v_mov_b32_e32 v14, 0
	s_or_b64 s[4:5], s[4:5], s[8:9]
	s_or_b64 exec, exec, s[6:7]
	s_and_saveexec_b64 s[6:7], s[4:5]
	s_cbranch_execz .LBB2_29003
; %bb.50839:
	s_getpc_b64 s[14:15]
.Lpost_getpc29003:
	s_add_u32 s14, s14, (.LBB2_663-.Lpost_getpc29003)&4294967295
	s_addc_u32 s15, s15, (.LBB2_663-.Lpost_getpc29003)>>32
	s_setpc_b64 s[14:15]
.LBB2_29003:
	s_getpc_b64 s[14:15]
.Lpost_getpc18085:
	s_add_u32 s14, s14, (.LBB2_664-.Lpost_getpc18085)&4294967295
	s_addc_u32 s15, s15, (.LBB2_664-.Lpost_getpc18085)>>32
	s_setpc_b64 s[14:15]
.LBB2_15001:
	s_movk_i32 s4, 0x80
	v_cmp_eq_u16_sdwa s[12:13], v6, s4 src0_sel:BYTE_3 src1_sel:DWORD
	s_mov_b64 s[4:5], -1
                                        ; implicit-def: $sgpr10
	s_and_saveexec_b64 s[8:9], s[12:13]
; %bb.15002:
	s_mov_b32 s10, 0x7f800001
	s_xor_b64 s[4:5], exec, -1
; %bb.15003:
	s_or_b64 exec, exec, s[8:9]
	s_and_b64 s[4:5], s[4:5], exec
	s_or_saveexec_b64 s[6:7], s[6:7]
	v_mov_b32_e32 v12, s10
	s_xor_b64 exec, exec, s[6:7]
	s_cbranch_execnz .LBB2_15004
; %bb.50841:
	s_getpc_b64 s[14:15]
.Lpost_getpc29004:
	s_add_u32 s14, s14, (.LBB2_666-.Lpost_getpc29004)&4294967295
	s_addc_u32 s15, s15, (.LBB2_666-.Lpost_getpc29004)>>32
	s_setpc_b64 s[14:15]
.LBB2_15004:
	v_mov_b32_e32 v12, 0
	v_cmp_ne_u16_sdwa s[8:9], v6, v12 src0_sel:BYTE_3 src1_sel:DWORD
	s_andn2_b64 s[4:5], s[4:5], exec
	s_and_b64 s[8:9], s[8:9], exec
	s_or_b64 s[4:5], s[4:5], s[8:9]
	s_or_b64 exec, exec, s[6:7]
	s_and_saveexec_b64 s[6:7], s[4:5]
	s_cbranch_execz .LBB2_29005
; %bb.50843:
	s_getpc_b64 s[14:15]
.Lpost_getpc29005:
	s_add_u32 s14, s14, (.LBB2_667-.Lpost_getpc29005)&4294967295
	s_addc_u32 s15, s15, (.LBB2_667-.Lpost_getpc29005)>>32
	s_setpc_b64 s[14:15]
.LBB2_29005:
	s_getpc_b64 s[14:15]
.Lpost_getpc18086:
	s_add_u32 s14, s14, (.LBB2_668-.Lpost_getpc18086)&4294967295
	s_addc_u32 s15, s15, (.LBB2_668-.Lpost_getpc18086)>>32
	s_setpc_b64 s[14:15]
.LBB2_15005:
	s_movk_i32 s4, 0x80
	v_cmp_eq_u16_sdwa s[12:13], v2, s4 src0_sel:BYTE_3 src1_sel:DWORD
	s_mov_b64 s[4:5], -1
                                        ; implicit-def: $sgpr10
	s_and_saveexec_b64 s[8:9], s[12:13]
; %bb.15006:
	s_mov_b32 s10, 0x7f800001
	s_xor_b64 s[4:5], exec, -1
; %bb.15007:
	s_or_b64 exec, exec, s[8:9]
	s_and_b64 s[4:5], s[4:5], exec
	s_or_saveexec_b64 s[6:7], s[6:7]
	v_mov_b32_e32 v6, s10
	s_xor_b64 exec, exec, s[6:7]
	s_cbranch_execnz .LBB2_15008
; %bb.50845:
	s_getpc_b64 s[14:15]
.Lpost_getpc29006:
	s_add_u32 s14, s14, (.LBB2_670-.Lpost_getpc29006)&4294967295
	s_addc_u32 s15, s15, (.LBB2_670-.Lpost_getpc29006)>>32
	s_setpc_b64 s[14:15]
.LBB2_15008:
	v_mov_b32_e32 v6, 0
	v_cmp_ne_u16_sdwa s[8:9], v2, v6 src0_sel:BYTE_3 src1_sel:DWORD
	s_andn2_b64 s[4:5], s[4:5], exec
	s_and_b64 s[8:9], s[8:9], exec
	s_or_b64 s[4:5], s[4:5], s[8:9]
	s_or_b64 exec, exec, s[6:7]
	s_and_saveexec_b64 s[6:7], s[4:5]
	s_cbranch_execz .LBB2_29007
; %bb.50847:
	s_getpc_b64 s[14:15]
.Lpost_getpc29007:
	s_add_u32 s14, s14, (.LBB2_671-.Lpost_getpc29007)&4294967295
	s_addc_u32 s15, s15, (.LBB2_671-.Lpost_getpc29007)>>32
	s_setpc_b64 s[14:15]
.LBB2_29007:
	s_getpc_b64 s[14:15]
.Lpost_getpc18087:
	s_add_u32 s14, s14, (.LBB2_672-.Lpost_getpc18087)&4294967295
	s_addc_u32 s15, s15, (.LBB2_672-.Lpost_getpc18087)>>32
	s_setpc_b64 s[14:15]
.LBB2_15009:
	s_movk_i32 s4, 0x80
	v_cmp_eq_u16_sdwa s[12:13], v7, s4 src0_sel:BYTE_0 src1_sel:DWORD
	s_mov_b64 s[4:5], -1
                                        ; implicit-def: $sgpr10
	s_and_saveexec_b64 s[8:9], s[12:13]
; %bb.15010:
	s_mov_b32 s10, 0x7f800001
	s_xor_b64 s[4:5], exec, -1
; %bb.15011:
	s_or_b64 exec, exec, s[8:9]
	s_and_b64 s[4:5], s[4:5], exec
	s_or_saveexec_b64 s[6:7], s[6:7]
	v_mov_b32_e32 v2, s10
	s_xor_b64 exec, exec, s[6:7]
	s_cbranch_execnz .LBB2_15012
; %bb.50849:
	s_getpc_b64 s[14:15]
.Lpost_getpc29008:
	s_add_u32 s14, s14, (.LBB2_674-.Lpost_getpc29008)&4294967295
	s_addc_u32 s15, s15, (.LBB2_674-.Lpost_getpc29008)>>32
	s_setpc_b64 s[14:15]
.LBB2_15012:
	v_mov_b32_e32 v2, 0
	v_cmp_ne_u16_sdwa s[8:9], v7, v2 src0_sel:BYTE_0 src1_sel:DWORD
	s_andn2_b64 s[4:5], s[4:5], exec
	s_and_b64 s[8:9], s[8:9], exec
	s_or_b64 s[4:5], s[4:5], s[8:9]
	s_or_b64 exec, exec, s[6:7]
	s_and_saveexec_b64 s[6:7], s[4:5]
	s_cbranch_execz .LBB2_29009
; %bb.50851:
	s_getpc_b64 s[14:15]
.Lpost_getpc29009:
	s_add_u32 s14, s14, (.LBB2_675-.Lpost_getpc29009)&4294967295
	s_addc_u32 s15, s15, (.LBB2_675-.Lpost_getpc29009)>>32
	s_setpc_b64 s[14:15]
.LBB2_29009:
	s_getpc_b64 s[14:15]
.Lpost_getpc18088:
	s_add_u32 s14, s14, (.LBB2_676-.Lpost_getpc18088)&4294967295
	s_addc_u32 s15, s15, (.LBB2_676-.Lpost_getpc18088)>>32
	s_setpc_b64 s[14:15]
.LBB2_15013:
	s_movk_i32 s4, 0x80
	v_cmp_eq_u16_sdwa s[12:13], v3, s4 src0_sel:BYTE_0 src1_sel:DWORD
	s_mov_b64 s[4:5], -1
                                        ; implicit-def: $sgpr10
	s_and_saveexec_b64 s[8:9], s[12:13]
; %bb.15014:
	s_mov_b32 s10, 0x7f800001
	s_xor_b64 s[4:5], exec, -1
; %bb.15015:
	s_or_b64 exec, exec, s[8:9]
	s_and_b64 s[4:5], s[4:5], exec
	s_or_saveexec_b64 s[6:7], s[6:7]
	v_mov_b32_e32 v6, s10
	s_xor_b64 exec, exec, s[6:7]
	s_cbranch_execnz .LBB2_15016
; %bb.50853:
	s_getpc_b64 s[14:15]
.Lpost_getpc29010:
	s_add_u32 s14, s14, (.LBB2_678-.Lpost_getpc29010)&4294967295
	s_addc_u32 s15, s15, (.LBB2_678-.Lpost_getpc29010)>>32
	s_setpc_b64 s[14:15]
.LBB2_15016:
	v_mov_b32_e32 v6, 0
	v_cmp_ne_u16_sdwa s[8:9], v3, v6 src0_sel:BYTE_0 src1_sel:DWORD
	s_andn2_b64 s[4:5], s[4:5], exec
	s_and_b64 s[8:9], s[8:9], exec
	s_or_b64 s[4:5], s[4:5], s[8:9]
	s_or_b64 exec, exec, s[6:7]
	s_and_saveexec_b64 s[6:7], s[4:5]
	s_cbranch_execz .LBB2_29011
; %bb.50855:
	s_getpc_b64 s[14:15]
.Lpost_getpc29011:
	s_add_u32 s14, s14, (.LBB2_679-.Lpost_getpc29011)&4294967295
	s_addc_u32 s15, s15, (.LBB2_679-.Lpost_getpc29011)>>32
	s_setpc_b64 s[14:15]
.LBB2_29011:
	s_getpc_b64 s[14:15]
.Lpost_getpc18089:
	s_add_u32 s14, s14, (.LBB2_680-.Lpost_getpc18089)&4294967295
	s_addc_u32 s15, s15, (.LBB2_680-.Lpost_getpc18089)>>32
	s_setpc_b64 s[14:15]
.LBB2_15017:
	s_movk_i32 s4, 0x80
	v_cmp_eq_u16_sdwa s[12:13], v6, s4 src0_sel:BYTE_0 src1_sel:DWORD
	s_mov_b64 s[4:5], -1
                                        ; implicit-def: $sgpr10
	s_and_saveexec_b64 s[8:9], s[12:13]
; %bb.15018:
	s_mov_b32 s10, 0x7f800001
	s_xor_b64 s[4:5], exec, -1
; %bb.15019:
	s_or_b64 exec, exec, s[8:9]
	s_and_b64 s[4:5], s[4:5], exec
	s_or_saveexec_b64 s[6:7], s[6:7]
	v_mov_b32_e32 v2, s10
	s_xor_b64 exec, exec, s[6:7]
	s_cbranch_execnz .LBB2_15020
; %bb.50857:
	s_getpc_b64 s[14:15]
.Lpost_getpc29012:
	s_add_u32 s14, s14, (.LBB2_682-.Lpost_getpc29012)&4294967295
	s_addc_u32 s15, s15, (.LBB2_682-.Lpost_getpc29012)>>32
	s_setpc_b64 s[14:15]
.LBB2_15020:
	v_mov_b32_e32 v2, 0
	v_cmp_ne_u16_sdwa s[8:9], v6, v2 src0_sel:BYTE_0 src1_sel:DWORD
	s_andn2_b64 s[4:5], s[4:5], exec
	s_and_b64 s[8:9], s[8:9], exec
	s_or_b64 s[4:5], s[4:5], s[8:9]
	s_or_b64 exec, exec, s[6:7]
	s_and_saveexec_b64 s[6:7], s[4:5]
	s_cbranch_execz .LBB2_29013
; %bb.50859:
	s_getpc_b64 s[14:15]
.Lpost_getpc29013:
	s_add_u32 s14, s14, (.LBB2_683-.Lpost_getpc29013)&4294967295
	s_addc_u32 s15, s15, (.LBB2_683-.Lpost_getpc29013)>>32
	s_setpc_b64 s[14:15]
.LBB2_29013:
	s_getpc_b64 s[14:15]
.Lpost_getpc18090:
	s_add_u32 s14, s14, (.LBB2_684-.Lpost_getpc18090)&4294967295
	s_addc_u32 s15, s15, (.LBB2_684-.Lpost_getpc18090)>>32
	s_setpc_b64 s[14:15]
.LBB2_15021:
	s_movk_i32 s4, 0x80
	v_cmp_eq_u16_sdwa s[12:13], v6, s4 src0_sel:BYTE_0 src1_sel:DWORD
	s_mov_b64 s[4:5], -1
                                        ; implicit-def: $sgpr10
	s_and_saveexec_b64 s[8:9], s[12:13]
; %bb.15022:
	s_mov_b32 s10, 0x7f800001
	s_xor_b64 s[4:5], exec, -1
; %bb.15023:
	s_or_b64 exec, exec, s[8:9]
	s_and_b64 s[4:5], s[4:5], exec
	s_or_saveexec_b64 s[6:7], s[6:7]
	v_mov_b32_e32 v12, s10
	s_xor_b64 exec, exec, s[6:7]
	s_cbranch_execnz .LBB2_15024
; %bb.50861:
	s_getpc_b64 s[14:15]
.Lpost_getpc29014:
	s_add_u32 s14, s14, (.LBB2_686-.Lpost_getpc29014)&4294967295
	s_addc_u32 s15, s15, (.LBB2_686-.Lpost_getpc29014)>>32
	s_setpc_b64 s[14:15]
.LBB2_15024:
	v_mov_b32_e32 v12, 0
	v_cmp_ne_u16_sdwa s[8:9], v6, v12 src0_sel:BYTE_0 src1_sel:DWORD
	s_andn2_b64 s[4:5], s[4:5], exec
	s_and_b64 s[8:9], s[8:9], exec
	s_or_b64 s[4:5], s[4:5], s[8:9]
	s_or_b64 exec, exec, s[6:7]
	s_and_saveexec_b64 s[6:7], s[4:5]
	s_cbranch_execz .LBB2_29015
; %bb.50863:
	s_getpc_b64 s[14:15]
.Lpost_getpc29015:
	s_add_u32 s14, s14, (.LBB2_687-.Lpost_getpc29015)&4294967295
	s_addc_u32 s15, s15, (.LBB2_687-.Lpost_getpc29015)>>32
	s_setpc_b64 s[14:15]
.LBB2_29015:
	s_getpc_b64 s[14:15]
.Lpost_getpc18091:
	s_add_u32 s14, s14, (.LBB2_688-.Lpost_getpc18091)&4294967295
	s_addc_u32 s15, s15, (.LBB2_688-.Lpost_getpc18091)>>32
	s_setpc_b64 s[14:15]
.LBB2_15025:
	s_movk_i32 s4, 0x80
	v_cmp_eq_u16_e32 vcc, s4, v6
	s_mov_b64 s[4:5], -1
                                        ; implicit-def: $sgpr10
	s_and_saveexec_b64 s[8:9], vcc
; %bb.15026:
	s_mov_b32 s10, 0x7f800001
	s_xor_b64 s[4:5], exec, -1
; %bb.15027:
	s_or_b64 exec, exec, s[8:9]
	s_and_b64 s[4:5], s[4:5], exec
                                        ; implicit-def: $vgpr6
	s_or_saveexec_b64 s[6:7], s[6:7]
	v_mov_b32_e32 v2, s10
	s_xor_b64 exec, exec, s[6:7]
	s_cbranch_execnz .LBB2_15028
; %bb.50865:
	s_getpc_b64 s[14:15]
.Lpost_getpc29016:
	s_add_u32 s14, s14, (.LBB2_690-.Lpost_getpc29016)&4294967295
	s_addc_u32 s15, s15, (.LBB2_690-.Lpost_getpc29016)>>32
	s_setpc_b64 s[14:15]
.LBB2_15028:
	v_cmp_ne_u16_e32 vcc, 0, v6
	s_andn2_b64 s[4:5], s[4:5], exec
	s_and_b64 s[8:9], vcc, exec
	v_mov_b32_e32 v2, 0
	s_or_b64 s[4:5], s[4:5], s[8:9]
	s_or_b64 exec, exec, s[6:7]
	s_and_saveexec_b64 s[6:7], s[4:5]
	s_cbranch_execz .LBB2_29017
; %bb.50867:
	s_getpc_b64 s[14:15]
.Lpost_getpc29017:
	s_add_u32 s14, s14, (.LBB2_691-.Lpost_getpc29017)&4294967295
	s_addc_u32 s15, s15, (.LBB2_691-.Lpost_getpc29017)>>32
	s_setpc_b64 s[14:15]
.LBB2_29017:
	s_getpc_b64 s[14:15]
.Lpost_getpc18092:
	s_add_u32 s14, s14, (.LBB2_692-.Lpost_getpc18092)&4294967295
	s_addc_u32 s15, s15, (.LBB2_692-.Lpost_getpc18092)>>32
	s_setpc_b64 s[14:15]
.LBB2_15029:
	s_movk_i32 s4, 0x80
	v_cmp_eq_u16_e32 vcc, s4, v6
	s_mov_b64 s[4:5], -1
                                        ; implicit-def: $sgpr10
	s_and_saveexec_b64 s[8:9], vcc
; %bb.15030:
	s_mov_b32 s10, 0x7f800001
	s_xor_b64 s[4:5], exec, -1
; %bb.15031:
	s_or_b64 exec, exec, s[8:9]
	s_and_b64 s[4:5], s[4:5], exec
                                        ; implicit-def: $vgpr6
	s_or_saveexec_b64 s[6:7], s[6:7]
	v_mov_b32_e32 v12, s10
	s_xor_b64 exec, exec, s[6:7]
	s_cbranch_execnz .LBB2_15032
; %bb.50869:
	s_getpc_b64 s[14:15]
.Lpost_getpc29018:
	s_add_u32 s14, s14, (.LBB2_694-.Lpost_getpc29018)&4294967295
	s_addc_u32 s15, s15, (.LBB2_694-.Lpost_getpc29018)>>32
	s_setpc_b64 s[14:15]
.LBB2_15032:
	v_cmp_ne_u16_e32 vcc, 0, v6
	s_andn2_b64 s[4:5], s[4:5], exec
	s_and_b64 s[8:9], vcc, exec
	v_mov_b32_e32 v12, 0
	s_or_b64 s[4:5], s[4:5], s[8:9]
	s_or_b64 exec, exec, s[6:7]
	s_and_saveexec_b64 s[6:7], s[4:5]
	s_cbranch_execz .LBB2_29019
; %bb.50871:
	s_getpc_b64 s[14:15]
.Lpost_getpc29019:
	s_add_u32 s14, s14, (.LBB2_695-.Lpost_getpc29019)&4294967295
	s_addc_u32 s15, s15, (.LBB2_695-.Lpost_getpc29019)>>32
	s_setpc_b64 s[14:15]
.LBB2_29019:
	s_getpc_b64 s[14:15]
.Lpost_getpc18093:
	s_add_u32 s14, s14, (.LBB2_696-.Lpost_getpc18093)&4294967295
	s_addc_u32 s15, s15, (.LBB2_696-.Lpost_getpc18093)>>32
	s_setpc_b64 s[14:15]
.LBB2_15033:
	s_movk_i32 s4, 0x80
	v_cmp_eq_u16_sdwa s[12:13], v7, s4 src0_sel:BYTE_3 src1_sel:DWORD
	s_mov_b64 s[4:5], -1
                                        ; implicit-def: $sgpr10
	s_and_saveexec_b64 s[8:9], s[12:13]
; %bb.15034:
	s_mov_b32 s10, 0x7f800001
	s_xor_b64 s[4:5], exec, -1
; %bb.15035:
	s_or_b64 exec, exec, s[8:9]
	s_and_b64 s[4:5], s[4:5], exec
	s_or_saveexec_b64 s[6:7], s[6:7]
	v_mov_b32_e32 v2, s10
	s_xor_b64 exec, exec, s[6:7]
	s_cbranch_execnz .LBB2_15036
; %bb.50873:
	s_getpc_b64 s[14:15]
.Lpost_getpc29020:
	s_add_u32 s14, s14, (.LBB2_698-.Lpost_getpc29020)&4294967295
	s_addc_u32 s15, s15, (.LBB2_698-.Lpost_getpc29020)>>32
	s_setpc_b64 s[14:15]
.LBB2_15036:
	v_mov_b32_e32 v2, 0
	v_cmp_ne_u16_sdwa s[8:9], v7, v2 src0_sel:BYTE_3 src1_sel:DWORD
	s_andn2_b64 s[4:5], s[4:5], exec
	s_and_b64 s[8:9], s[8:9], exec
	s_or_b64 s[4:5], s[4:5], s[8:9]
	s_or_b64 exec, exec, s[6:7]
	s_and_saveexec_b64 s[6:7], s[4:5]
	s_cbranch_execz .LBB2_29021
; %bb.50875:
	s_getpc_b64 s[14:15]
.Lpost_getpc29021:
	s_add_u32 s14, s14, (.LBB2_699-.Lpost_getpc29021)&4294967295
	s_addc_u32 s15, s15, (.LBB2_699-.Lpost_getpc29021)>>32
	s_setpc_b64 s[14:15]
.LBB2_29021:
	s_getpc_b64 s[14:15]
.Lpost_getpc18094:
	s_add_u32 s14, s14, (.LBB2_700-.Lpost_getpc18094)&4294967295
	s_addc_u32 s15, s15, (.LBB2_700-.Lpost_getpc18094)>>32
	s_setpc_b64 s[14:15]
.LBB2_15037:
	s_movk_i32 s4, 0x80
	v_cmp_eq_u16_sdwa s[12:13], v3, s4 src0_sel:BYTE_3 src1_sel:DWORD
	s_mov_b64 s[4:5], -1
                                        ; implicit-def: $sgpr10
	s_and_saveexec_b64 s[8:9], s[12:13]
; %bb.15038:
	s_mov_b32 s10, 0x7f800001
	s_xor_b64 s[4:5], exec, -1
; %bb.15039:
	s_or_b64 exec, exec, s[8:9]
	s_and_b64 s[4:5], s[4:5], exec
	s_or_saveexec_b64 s[6:7], s[6:7]
	v_mov_b32_e32 v6, s10
	s_xor_b64 exec, exec, s[6:7]
	s_cbranch_execnz .LBB2_15040
; %bb.50877:
	s_getpc_b64 s[14:15]
.Lpost_getpc29022:
	s_add_u32 s14, s14, (.LBB2_702-.Lpost_getpc29022)&4294967295
	s_addc_u32 s15, s15, (.LBB2_702-.Lpost_getpc29022)>>32
	s_setpc_b64 s[14:15]
.LBB2_15040:
	v_mov_b32_e32 v6, 0
	v_cmp_ne_u16_sdwa s[8:9], v3, v6 src0_sel:BYTE_3 src1_sel:DWORD
	s_andn2_b64 s[4:5], s[4:5], exec
	s_and_b64 s[8:9], s[8:9], exec
	s_or_b64 s[4:5], s[4:5], s[8:9]
	s_or_b64 exec, exec, s[6:7]
	s_and_saveexec_b64 s[6:7], s[4:5]
	s_cbranch_execz .LBB2_29023
; %bb.50879:
	s_getpc_b64 s[14:15]
.Lpost_getpc29023:
	s_add_u32 s14, s14, (.LBB2_703-.Lpost_getpc29023)&4294967295
	s_addc_u32 s15, s15, (.LBB2_703-.Lpost_getpc29023)>>32
	s_setpc_b64 s[14:15]
.LBB2_29023:
	s_getpc_b64 s[14:15]
.Lpost_getpc18095:
	s_add_u32 s14, s14, (.LBB2_704-.Lpost_getpc18095)&4294967295
	s_addc_u32 s15, s15, (.LBB2_704-.Lpost_getpc18095)>>32
	s_setpc_b64 s[14:15]
.LBB2_15041:
	s_movk_i32 s4, 0x80
	v_cmp_eq_u16_sdwa s[12:13], v8, s4 src0_sel:BYTE_0 src1_sel:DWORD
	s_mov_b64 s[4:5], -1
                                        ; implicit-def: $sgpr10
	s_and_saveexec_b64 s[8:9], s[12:13]
; %bb.15042:
	s_mov_b32 s10, 0x7f800001
	s_xor_b64 s[4:5], exec, -1
; %bb.15043:
	s_or_b64 exec, exec, s[8:9]
	s_and_b64 s[4:5], s[4:5], exec
	s_or_saveexec_b64 s[6:7], s[6:7]
	v_mov_b32_e32 v2, s10
	s_xor_b64 exec, exec, s[6:7]
	s_cbranch_execnz .LBB2_15044
; %bb.50881:
	s_getpc_b64 s[14:15]
.Lpost_getpc29024:
	s_add_u32 s14, s14, (.LBB2_706-.Lpost_getpc29024)&4294967295
	s_addc_u32 s15, s15, (.LBB2_706-.Lpost_getpc29024)>>32
	s_setpc_b64 s[14:15]
.LBB2_15044:
	v_mov_b32_e32 v2, 0
	v_cmp_ne_u16_sdwa s[8:9], v8, v2 src0_sel:BYTE_0 src1_sel:DWORD
	s_andn2_b64 s[4:5], s[4:5], exec
	s_and_b64 s[8:9], s[8:9], exec
	s_or_b64 s[4:5], s[4:5], s[8:9]
	s_or_b64 exec, exec, s[6:7]
	s_and_saveexec_b64 s[6:7], s[4:5]
	s_cbranch_execz .LBB2_29025
; %bb.50883:
	s_getpc_b64 s[14:15]
.Lpost_getpc29025:
	s_add_u32 s14, s14, (.LBB2_707-.Lpost_getpc29025)&4294967295
	s_addc_u32 s15, s15, (.LBB2_707-.Lpost_getpc29025)>>32
	s_setpc_b64 s[14:15]
.LBB2_29025:
	s_getpc_b64 s[14:15]
.Lpost_getpc18096:
	s_add_u32 s14, s14, (.LBB2_708-.Lpost_getpc18096)&4294967295
	s_addc_u32 s15, s15, (.LBB2_708-.Lpost_getpc18096)>>32
	s_setpc_b64 s[14:15]
.LBB2_15045:
	s_movk_i32 s4, 0x80
	v_cmp_eq_u16_sdwa s[12:13], v4, s4 src0_sel:BYTE_0 src1_sel:DWORD
	s_mov_b64 s[4:5], -1
                                        ; implicit-def: $sgpr10
	s_and_saveexec_b64 s[8:9], s[12:13]
; %bb.15046:
	s_mov_b32 s10, 0x7f800001
	s_xor_b64 s[4:5], exec, -1
; %bb.15047:
	s_or_b64 exec, exec, s[8:9]
	s_and_b64 s[4:5], s[4:5], exec
	s_or_saveexec_b64 s[6:7], s[6:7]
	v_mov_b32_e32 v3, s10
	s_xor_b64 exec, exec, s[6:7]
	s_cbranch_execnz .LBB2_15048
; %bb.50885:
	s_getpc_b64 s[14:15]
.Lpost_getpc29026:
	s_add_u32 s14, s14, (.LBB2_710-.Lpost_getpc29026)&4294967295
	s_addc_u32 s15, s15, (.LBB2_710-.Lpost_getpc29026)>>32
	s_setpc_b64 s[14:15]
.LBB2_15048:
	v_mov_b32_e32 v3, 0
	v_cmp_ne_u16_sdwa s[8:9], v4, v3 src0_sel:BYTE_0 src1_sel:DWORD
	s_andn2_b64 s[4:5], s[4:5], exec
	s_and_b64 s[8:9], s[8:9], exec
	s_or_b64 s[4:5], s[4:5], s[8:9]
	s_or_b64 exec, exec, s[6:7]
	s_and_saveexec_b64 s[6:7], s[4:5]
	s_cbranch_execz .LBB2_29027
; %bb.50887:
	s_getpc_b64 s[14:15]
.Lpost_getpc29027:
	s_add_u32 s14, s14, (.LBB2_711-.Lpost_getpc29027)&4294967295
	s_addc_u32 s15, s15, (.LBB2_711-.Lpost_getpc29027)>>32
	s_setpc_b64 s[14:15]
.LBB2_29027:
	s_getpc_b64 s[14:15]
.Lpost_getpc18097:
	s_add_u32 s14, s14, (.LBB2_712-.Lpost_getpc18097)&4294967295
	s_addc_u32 s15, s15, (.LBB2_712-.Lpost_getpc18097)>>32
	s_setpc_b64 s[14:15]
.LBB2_15049:
	s_movk_i32 s4, 0x80
	v_cmp_eq_u16_sdwa s[12:13], v3, s4 src0_sel:BYTE_0 src1_sel:DWORD
	s_mov_b64 s[4:5], -1
                                        ; implicit-def: $sgpr10
	s_and_saveexec_b64 s[8:9], s[12:13]
; %bb.15050:
	s_mov_b32 s10, 0x7f800001
	s_xor_b64 s[4:5], exec, -1
; %bb.15051:
	s_or_b64 exec, exec, s[8:9]
	s_and_b64 s[4:5], s[4:5], exec
	s_or_saveexec_b64 s[6:7], s[6:7]
	v_mov_b32_e32 v2, s10
	s_xor_b64 exec, exec, s[6:7]
	s_cbranch_execnz .LBB2_15052
; %bb.50889:
	s_getpc_b64 s[14:15]
.Lpost_getpc29028:
	s_add_u32 s14, s14, (.LBB2_714-.Lpost_getpc29028)&4294967295
	s_addc_u32 s15, s15, (.LBB2_714-.Lpost_getpc29028)>>32
	s_setpc_b64 s[14:15]
.LBB2_15052:
	v_mov_b32_e32 v2, 0
	v_cmp_ne_u16_sdwa s[8:9], v3, v2 src0_sel:BYTE_0 src1_sel:DWORD
	s_andn2_b64 s[4:5], s[4:5], exec
	s_and_b64 s[8:9], s[8:9], exec
	s_or_b64 s[4:5], s[4:5], s[8:9]
	s_or_b64 exec, exec, s[6:7]
	s_and_saveexec_b64 s[6:7], s[4:5]
	s_cbranch_execz .LBB2_29029
; %bb.50891:
	s_getpc_b64 s[14:15]
.Lpost_getpc29029:
	s_add_u32 s14, s14, (.LBB2_715-.Lpost_getpc29029)&4294967295
	s_addc_u32 s15, s15, (.LBB2_715-.Lpost_getpc29029)>>32
	s_setpc_b64 s[14:15]
.LBB2_29029:
	s_getpc_b64 s[14:15]
.Lpost_getpc18098:
	s_add_u32 s14, s14, (.LBB2_716-.Lpost_getpc18098)&4294967295
	s_addc_u32 s15, s15, (.LBB2_716-.Lpost_getpc18098)>>32
	s_setpc_b64 s[14:15]
.LBB2_15053:
	s_movk_i32 s4, 0x80
	v_cmp_eq_u16_sdwa s[12:13], v3, s4 src0_sel:BYTE_0 src1_sel:DWORD
	s_mov_b64 s[4:5], -1
                                        ; implicit-def: $sgpr10
	s_and_saveexec_b64 s[8:9], s[12:13]
; %bb.15054:
	s_mov_b32 s10, 0x7f800001
	s_xor_b64 s[4:5], exec, -1
; %bb.15055:
	s_or_b64 exec, exec, s[8:9]
	s_and_b64 s[4:5], s[4:5], exec
	s_or_saveexec_b64 s[6:7], s[6:7]
	v_mov_b32_e32 v6, s10
	s_xor_b64 exec, exec, s[6:7]
	s_cbranch_execnz .LBB2_15056
; %bb.50893:
	s_getpc_b64 s[14:15]
.Lpost_getpc29030:
	s_add_u32 s14, s14, (.LBB2_718-.Lpost_getpc29030)&4294967295
	s_addc_u32 s15, s15, (.LBB2_718-.Lpost_getpc29030)>>32
	s_setpc_b64 s[14:15]
.LBB2_15056:
	v_mov_b32_e32 v6, 0
	v_cmp_ne_u16_sdwa s[8:9], v3, v6 src0_sel:BYTE_0 src1_sel:DWORD
	s_andn2_b64 s[4:5], s[4:5], exec
	s_and_b64 s[8:9], s[8:9], exec
	s_or_b64 s[4:5], s[4:5], s[8:9]
	s_or_b64 exec, exec, s[6:7]
	s_and_saveexec_b64 s[6:7], s[4:5]
	s_cbranch_execz .LBB2_29031
; %bb.50895:
	s_getpc_b64 s[14:15]
.Lpost_getpc29031:
	s_add_u32 s14, s14, (.LBB2_719-.Lpost_getpc29031)&4294967295
	s_addc_u32 s15, s15, (.LBB2_719-.Lpost_getpc29031)>>32
	s_setpc_b64 s[14:15]
.LBB2_29031:
	s_getpc_b64 s[14:15]
.Lpost_getpc18099:
	s_add_u32 s14, s14, (.LBB2_720-.Lpost_getpc18099)&4294967295
	s_addc_u32 s15, s15, (.LBB2_720-.Lpost_getpc18099)>>32
	s_setpc_b64 s[14:15]
.LBB2_15057:
	s_movk_i32 s4, 0x80
	v_cmp_eq_u16_e32 vcc, s4, v3
	s_mov_b64 s[4:5], -1
                                        ; implicit-def: $sgpr10
	s_and_saveexec_b64 s[8:9], vcc
; %bb.15058:
	s_mov_b32 s10, 0x7f800001
	s_xor_b64 s[4:5], exec, -1
; %bb.15059:
	s_or_b64 exec, exec, s[8:9]
	s_and_b64 s[4:5], s[4:5], exec
                                        ; implicit-def: $vgpr3
	s_or_saveexec_b64 s[6:7], s[6:7]
	v_mov_b32_e32 v2, s10
	s_xor_b64 exec, exec, s[6:7]
	s_cbranch_execnz .LBB2_15060
; %bb.50897:
	s_getpc_b64 s[14:15]
.Lpost_getpc29032:
	s_add_u32 s14, s14, (.LBB2_722-.Lpost_getpc29032)&4294967295
	s_addc_u32 s15, s15, (.LBB2_722-.Lpost_getpc29032)>>32
	s_setpc_b64 s[14:15]
.LBB2_15060:
	v_cmp_ne_u16_e32 vcc, 0, v3
	s_andn2_b64 s[4:5], s[4:5], exec
	s_and_b64 s[8:9], vcc, exec
	v_mov_b32_e32 v2, 0
	s_or_b64 s[4:5], s[4:5], s[8:9]
	s_or_b64 exec, exec, s[6:7]
	s_and_saveexec_b64 s[6:7], s[4:5]
	s_cbranch_execz .LBB2_29033
; %bb.50899:
	s_getpc_b64 s[14:15]
.Lpost_getpc29033:
	s_add_u32 s14, s14, (.LBB2_723-.Lpost_getpc29033)&4294967295
	s_addc_u32 s15, s15, (.LBB2_723-.Lpost_getpc29033)>>32
	s_setpc_b64 s[14:15]
.LBB2_29033:
	s_getpc_b64 s[14:15]
.Lpost_getpc18100:
	s_add_u32 s14, s14, (.LBB2_724-.Lpost_getpc18100)&4294967295
	s_addc_u32 s15, s15, (.LBB2_724-.Lpost_getpc18100)>>32
	s_setpc_b64 s[14:15]
.LBB2_15061:
	s_movk_i32 s4, 0x80
	v_cmp_eq_u16_e32 vcc, s4, v3
	s_mov_b64 s[4:5], -1
                                        ; implicit-def: $sgpr10
	s_and_saveexec_b64 s[8:9], vcc
; %bb.15062:
	s_mov_b32 s10, 0x7f800001
	s_xor_b64 s[4:5], exec, -1
; %bb.15063:
	s_or_b64 exec, exec, s[8:9]
	s_and_b64 s[4:5], s[4:5], exec
                                        ; implicit-def: $vgpr3
	s_or_saveexec_b64 s[6:7], s[6:7]
	v_mov_b32_e32 v6, s10
	s_xor_b64 exec, exec, s[6:7]
	s_cbranch_execnz .LBB2_15064
; %bb.50901:
	s_getpc_b64 s[14:15]
.Lpost_getpc29034:
	s_add_u32 s14, s14, (.LBB2_726-.Lpost_getpc29034)&4294967295
	s_addc_u32 s15, s15, (.LBB2_726-.Lpost_getpc29034)>>32
	s_setpc_b64 s[14:15]
.LBB2_15064:
	v_cmp_ne_u16_e32 vcc, 0, v3
	s_andn2_b64 s[4:5], s[4:5], exec
	s_and_b64 s[8:9], vcc, exec
	v_mov_b32_e32 v6, 0
	s_or_b64 s[4:5], s[4:5], s[8:9]
	s_or_b64 exec, exec, s[6:7]
	s_and_saveexec_b64 s[6:7], s[4:5]
	s_cbranch_execz .LBB2_29035
; %bb.50903:
	s_getpc_b64 s[14:15]
.Lpost_getpc29035:
	s_add_u32 s14, s14, (.LBB2_727-.Lpost_getpc29035)&4294967295
	s_addc_u32 s15, s15, (.LBB2_727-.Lpost_getpc29035)>>32
	s_setpc_b64 s[14:15]
.LBB2_29035:
	s_getpc_b64 s[14:15]
.Lpost_getpc18101:
	s_add_u32 s14, s14, (.LBB2_728-.Lpost_getpc18101)&4294967295
	s_addc_u32 s15, s15, (.LBB2_728-.Lpost_getpc18101)>>32
	s_setpc_b64 s[14:15]
.LBB2_15065:
	s_movk_i32 s4, 0x80
	v_cmp_eq_u16_sdwa s[12:13], v8, s4 src0_sel:BYTE_3 src1_sel:DWORD
	s_mov_b64 s[4:5], -1
                                        ; implicit-def: $sgpr10
	s_and_saveexec_b64 s[8:9], s[12:13]
; %bb.15066:
	s_mov_b32 s10, 0x7f800001
	s_xor_b64 s[4:5], exec, -1
; %bb.15067:
	s_or_b64 exec, exec, s[8:9]
	s_and_b64 s[4:5], s[4:5], exec
	s_or_saveexec_b64 s[6:7], s[6:7]
	v_mov_b32_e32 v2, s10
	s_xor_b64 exec, exec, s[6:7]
	s_cbranch_execnz .LBB2_15068
; %bb.50905:
	s_getpc_b64 s[14:15]
.Lpost_getpc29036:
	s_add_u32 s14, s14, (.LBB2_730-.Lpost_getpc29036)&4294967295
	s_addc_u32 s15, s15, (.LBB2_730-.Lpost_getpc29036)>>32
	s_setpc_b64 s[14:15]
.LBB2_15068:
	v_mov_b32_e32 v2, 0
	v_cmp_ne_u16_sdwa s[8:9], v8, v2 src0_sel:BYTE_3 src1_sel:DWORD
	s_andn2_b64 s[4:5], s[4:5], exec
	s_and_b64 s[8:9], s[8:9], exec
	s_or_b64 s[4:5], s[4:5], s[8:9]
	s_or_b64 exec, exec, s[6:7]
	s_and_saveexec_b64 s[6:7], s[4:5]
	s_cbranch_execz .LBB2_29037
; %bb.50907:
	s_getpc_b64 s[14:15]
.Lpost_getpc29037:
	s_add_u32 s14, s14, (.LBB2_731-.Lpost_getpc29037)&4294967295
	s_addc_u32 s15, s15, (.LBB2_731-.Lpost_getpc29037)>>32
	s_setpc_b64 s[14:15]
.LBB2_29037:
	s_getpc_b64 s[14:15]
.Lpost_getpc18102:
	s_add_u32 s14, s14, (.LBB2_732-.Lpost_getpc18102)&4294967295
	s_addc_u32 s15, s15, (.LBB2_732-.Lpost_getpc18102)>>32
	s_setpc_b64 s[14:15]
.LBB2_15069:
	s_movk_i32 s4, 0x80
	v_cmp_eq_u16_sdwa s[12:13], v4, s4 src0_sel:BYTE_3 src1_sel:DWORD
	s_mov_b64 s[4:5], -1
                                        ; implicit-def: $sgpr10
	s_and_saveexec_b64 s[8:9], s[12:13]
; %bb.15070:
	s_mov_b32 s10, 0x7f800001
	s_xor_b64 s[4:5], exec, -1
; %bb.15071:
	s_or_b64 exec, exec, s[8:9]
	s_and_b64 s[4:5], s[4:5], exec
	s_or_saveexec_b64 s[6:7], s[6:7]
	v_mov_b32_e32 v3, s10
	s_xor_b64 exec, exec, s[6:7]
	s_cbranch_execnz .LBB2_15072
; %bb.50909:
	s_getpc_b64 s[14:15]
.Lpost_getpc29038:
	s_add_u32 s14, s14, (.LBB2_734-.Lpost_getpc29038)&4294967295
	s_addc_u32 s15, s15, (.LBB2_734-.Lpost_getpc29038)>>32
	s_setpc_b64 s[14:15]
.LBB2_15072:
	v_mov_b32_e32 v3, 0
	v_cmp_ne_u16_sdwa s[8:9], v4, v3 src0_sel:BYTE_3 src1_sel:DWORD
	s_andn2_b64 s[4:5], s[4:5], exec
	s_and_b64 s[8:9], s[8:9], exec
	s_or_b64 s[4:5], s[4:5], s[8:9]
	s_or_b64 exec, exec, s[6:7]
	s_and_saveexec_b64 s[6:7], s[4:5]
	s_cbranch_execz .LBB2_29039
; %bb.50911:
	s_getpc_b64 s[14:15]
.Lpost_getpc29039:
	s_add_u32 s14, s14, (.LBB2_735-.Lpost_getpc29039)&4294967295
	s_addc_u32 s15, s15, (.LBB2_735-.Lpost_getpc29039)>>32
	s_setpc_b64 s[14:15]
.LBB2_29039:
	s_getpc_b64 s[14:15]
.Lpost_getpc18103:
	s_add_u32 s14, s14, (.LBB2_736-.Lpost_getpc18103)&4294967295
	s_addc_u32 s15, s15, (.LBB2_736-.Lpost_getpc18103)>>32
	s_setpc_b64 s[14:15]
.LBB2_15073:
	s_movk_i32 s4, 0x80
	v_cmp_eq_u16_sdwa s[12:13], v9, s4 src0_sel:BYTE_0 src1_sel:DWORD
	s_mov_b64 s[4:5], -1
                                        ; implicit-def: $sgpr10
	s_and_saveexec_b64 s[8:9], s[12:13]
; %bb.15074:
	s_mov_b32 s10, 0x7f800001
	s_xor_b64 s[4:5], exec, -1
; %bb.15075:
	s_or_b64 exec, exec, s[8:9]
	s_and_b64 s[4:5], s[4:5], exec
	s_or_saveexec_b64 s[6:7], s[6:7]
	v_mov_b32_e32 v2, s10
	s_xor_b64 exec, exec, s[6:7]
	s_cbranch_execnz .LBB2_15076
; %bb.50913:
	s_getpc_b64 s[14:15]
.Lpost_getpc29040:
	s_add_u32 s14, s14, (.LBB2_738-.Lpost_getpc29040)&4294967295
	s_addc_u32 s15, s15, (.LBB2_738-.Lpost_getpc29040)>>32
	s_setpc_b64 s[14:15]
.LBB2_15076:
	v_mov_b32_e32 v2, 0
	v_cmp_ne_u16_sdwa s[8:9], v9, v2 src0_sel:BYTE_0 src1_sel:DWORD
	s_andn2_b64 s[4:5], s[4:5], exec
	s_and_b64 s[8:9], s[8:9], exec
	s_or_b64 s[4:5], s[4:5], s[8:9]
	s_or_b64 exec, exec, s[6:7]
	s_and_saveexec_b64 s[6:7], s[4:5]
	s_cbranch_execz .LBB2_29041
; %bb.50915:
	s_getpc_b64 s[14:15]
.Lpost_getpc29041:
	s_add_u32 s14, s14, (.LBB2_739-.Lpost_getpc29041)&4294967295
	s_addc_u32 s15, s15, (.LBB2_739-.Lpost_getpc29041)>>32
	s_setpc_b64 s[14:15]
.LBB2_29041:
	s_getpc_b64 s[14:15]
.Lpost_getpc18104:
	s_add_u32 s14, s14, (.LBB2_740-.Lpost_getpc18104)&4294967295
	s_addc_u32 s15, s15, (.LBB2_740-.Lpost_getpc18104)>>32
	s_setpc_b64 s[14:15]
.LBB2_15077:
	s_movk_i32 s4, 0x80
	v_cmp_eq_u16_sdwa s[12:13], v5, s4 src0_sel:BYTE_0 src1_sel:DWORD
	s_mov_b64 s[4:5], -1
                                        ; implicit-def: $sgpr10
	s_and_saveexec_b64 s[8:9], s[12:13]
; %bb.15078:
	s_mov_b32 s10, 0x7f800001
	s_xor_b64 s[4:5], exec, -1
; %bb.15079:
	s_or_b64 exec, exec, s[8:9]
	s_and_b64 s[4:5], s[4:5], exec
	s_or_saveexec_b64 s[6:7], s[6:7]
	v_mov_b32_e32 v3, s10
	s_xor_b64 exec, exec, s[6:7]
	s_cbranch_execnz .LBB2_15080
; %bb.50917:
	s_getpc_b64 s[14:15]
.Lpost_getpc29042:
	s_add_u32 s14, s14, (.LBB2_742-.Lpost_getpc29042)&4294967295
	s_addc_u32 s15, s15, (.LBB2_742-.Lpost_getpc29042)>>32
	s_setpc_b64 s[14:15]
.LBB2_15080:
	v_mov_b32_e32 v3, 0
	v_cmp_ne_u16_sdwa s[8:9], v5, v3 src0_sel:BYTE_0 src1_sel:DWORD
	s_andn2_b64 s[4:5], s[4:5], exec
	s_and_b64 s[8:9], s[8:9], exec
	s_or_b64 s[4:5], s[4:5], s[8:9]
	s_or_b64 exec, exec, s[6:7]
	s_and_saveexec_b64 s[6:7], s[4:5]
	s_cbranch_execz .LBB2_29043
; %bb.50919:
	s_getpc_b64 s[14:15]
.Lpost_getpc29043:
	s_add_u32 s14, s14, (.LBB2_743-.Lpost_getpc29043)&4294967295
	s_addc_u32 s15, s15, (.LBB2_743-.Lpost_getpc29043)>>32
	s_setpc_b64 s[14:15]
.LBB2_29043:
	s_getpc_b64 s[14:15]
.Lpost_getpc18105:
	s_add_u32 s14, s14, (.LBB2_744-.Lpost_getpc18105)&4294967295
	s_addc_u32 s15, s15, (.LBB2_744-.Lpost_getpc18105)>>32
	s_setpc_b64 s[14:15]
.LBB2_15081:
	s_movk_i32 s4, 0x80
	v_cmp_eq_u16_sdwa s[12:13], v3, s4 src0_sel:BYTE_0 src1_sel:DWORD
	s_mov_b64 s[4:5], -1
                                        ; implicit-def: $sgpr10
	s_and_saveexec_b64 s[8:9], s[12:13]
; %bb.15082:
	s_mov_b32 s10, 0x7f800001
	s_xor_b64 s[4:5], exec, -1
; %bb.15083:
	s_or_b64 exec, exec, s[8:9]
	s_and_b64 s[4:5], s[4:5], exec
	s_or_saveexec_b64 s[6:7], s[6:7]
	v_mov_b32_e32 v2, s10
	s_xor_b64 exec, exec, s[6:7]
	s_cbranch_execnz .LBB2_15084
; %bb.50921:
	s_getpc_b64 s[14:15]
.Lpost_getpc29044:
	s_add_u32 s14, s14, (.LBB2_746-.Lpost_getpc29044)&4294967295
	s_addc_u32 s15, s15, (.LBB2_746-.Lpost_getpc29044)>>32
	s_setpc_b64 s[14:15]
.LBB2_15084:
	v_mov_b32_e32 v2, 0
	v_cmp_ne_u16_sdwa s[8:9], v3, v2 src0_sel:BYTE_0 src1_sel:DWORD
	s_andn2_b64 s[4:5], s[4:5], exec
	s_and_b64 s[8:9], s[8:9], exec
	s_or_b64 s[4:5], s[4:5], s[8:9]
	s_or_b64 exec, exec, s[6:7]
	s_and_saveexec_b64 s[6:7], s[4:5]
	s_cbranch_execz .LBB2_29045
; %bb.50923:
	s_getpc_b64 s[14:15]
.Lpost_getpc29045:
	s_add_u32 s14, s14, (.LBB2_747-.Lpost_getpc29045)&4294967295
	s_addc_u32 s15, s15, (.LBB2_747-.Lpost_getpc29045)>>32
	s_setpc_b64 s[14:15]
.LBB2_29045:
	s_getpc_b64 s[14:15]
.Lpost_getpc18106:
	s_add_u32 s14, s14, (.LBB2_748-.Lpost_getpc18106)&4294967295
	s_addc_u32 s15, s15, (.LBB2_748-.Lpost_getpc18106)>>32
	s_setpc_b64 s[14:15]
.LBB2_15085:
	s_movk_i32 s4, 0x80
	v_cmp_eq_u16_sdwa s[12:13], v3, s4 src0_sel:BYTE_0 src1_sel:DWORD
	s_mov_b64 s[4:5], -1
                                        ; implicit-def: $sgpr10
	s_and_saveexec_b64 s[8:9], s[12:13]
; %bb.15086:
	s_mov_b32 s10, 0x7f800001
	s_xor_b64 s[4:5], exec, -1
; %bb.15087:
	s_or_b64 exec, exec, s[8:9]
	s_and_b64 s[4:5], s[4:5], exec
	s_or_saveexec_b64 s[6:7], s[6:7]
	v_mov_b32_e32 v4, s10
	s_xor_b64 exec, exec, s[6:7]
	s_cbranch_execnz .LBB2_15088
; %bb.50925:
	s_getpc_b64 s[14:15]
.Lpost_getpc29046:
	s_add_u32 s14, s14, (.LBB2_750-.Lpost_getpc29046)&4294967295
	s_addc_u32 s15, s15, (.LBB2_750-.Lpost_getpc29046)>>32
	s_setpc_b64 s[14:15]
.LBB2_15088:
	v_mov_b32_e32 v4, 0
	v_cmp_ne_u16_sdwa s[8:9], v3, v4 src0_sel:BYTE_0 src1_sel:DWORD
	s_andn2_b64 s[4:5], s[4:5], exec
	s_and_b64 s[8:9], s[8:9], exec
	s_or_b64 s[4:5], s[4:5], s[8:9]
	s_or_b64 exec, exec, s[6:7]
	s_and_saveexec_b64 s[6:7], s[4:5]
	s_cbranch_execz .LBB2_29047
; %bb.50927:
	s_getpc_b64 s[14:15]
.Lpost_getpc29047:
	s_add_u32 s14, s14, (.LBB2_751-.Lpost_getpc29047)&4294967295
	s_addc_u32 s15, s15, (.LBB2_751-.Lpost_getpc29047)>>32
	s_setpc_b64 s[14:15]
.LBB2_29047:
	s_getpc_b64 s[14:15]
.Lpost_getpc18107:
	s_add_u32 s14, s14, (.LBB2_752-.Lpost_getpc18107)&4294967295
	s_addc_u32 s15, s15, (.LBB2_752-.Lpost_getpc18107)>>32
	s_setpc_b64 s[14:15]
.LBB2_15089:
	s_movk_i32 s4, 0x80
	v_cmp_eq_u16_e32 vcc, s4, v3
	s_mov_b64 s[4:5], -1
                                        ; implicit-def: $sgpr10
	s_and_saveexec_b64 s[8:9], vcc
; %bb.15090:
	s_mov_b32 s10, 0x7f800001
	s_xor_b64 s[4:5], exec, -1
; %bb.15091:
	s_or_b64 exec, exec, s[8:9]
	s_and_b64 s[4:5], s[4:5], exec
                                        ; implicit-def: $vgpr3
	s_or_saveexec_b64 s[6:7], s[6:7]
	v_mov_b32_e32 v2, s10
	s_xor_b64 exec, exec, s[6:7]
	s_cbranch_execnz .LBB2_15092
; %bb.50929:
	s_getpc_b64 s[14:15]
.Lpost_getpc29048:
	s_add_u32 s14, s14, (.LBB2_754-.Lpost_getpc29048)&4294967295
	s_addc_u32 s15, s15, (.LBB2_754-.Lpost_getpc29048)>>32
	s_setpc_b64 s[14:15]
.LBB2_15092:
	v_cmp_ne_u16_e32 vcc, 0, v3
	s_andn2_b64 s[4:5], s[4:5], exec
	s_and_b64 s[8:9], vcc, exec
	v_mov_b32_e32 v2, 0
	s_or_b64 s[4:5], s[4:5], s[8:9]
	s_or_b64 exec, exec, s[6:7]
	s_and_saveexec_b64 s[6:7], s[4:5]
	s_cbranch_execz .LBB2_29049
; %bb.50931:
	s_getpc_b64 s[14:15]
.Lpost_getpc29049:
	s_add_u32 s14, s14, (.LBB2_755-.Lpost_getpc29049)&4294967295
	s_addc_u32 s15, s15, (.LBB2_755-.Lpost_getpc29049)>>32
	s_setpc_b64 s[14:15]
.LBB2_29049:
	s_getpc_b64 s[14:15]
.Lpost_getpc18108:
	s_add_u32 s14, s14, (.LBB2_756-.Lpost_getpc18108)&4294967295
	s_addc_u32 s15, s15, (.LBB2_756-.Lpost_getpc18108)>>32
	s_setpc_b64 s[14:15]
.LBB2_15093:
	s_movk_i32 s4, 0x80
	v_cmp_eq_u16_e32 vcc, s4, v3
	s_mov_b64 s[4:5], -1
                                        ; implicit-def: $sgpr10
	s_and_saveexec_b64 s[8:9], vcc
; %bb.15094:
	s_mov_b32 s10, 0x7f800001
	s_xor_b64 s[4:5], exec, -1
; %bb.15095:
	s_or_b64 exec, exec, s[8:9]
	s_and_b64 s[4:5], s[4:5], exec
                                        ; implicit-def: $vgpr3
	s_or_saveexec_b64 s[6:7], s[6:7]
	v_mov_b32_e32 v4, s10
	s_xor_b64 exec, exec, s[6:7]
	s_cbranch_execnz .LBB2_15096
; %bb.50933:
	s_getpc_b64 s[14:15]
.Lpost_getpc29050:
	s_add_u32 s14, s14, (.LBB2_758-.Lpost_getpc29050)&4294967295
	s_addc_u32 s15, s15, (.LBB2_758-.Lpost_getpc29050)>>32
	s_setpc_b64 s[14:15]
.LBB2_15096:
	v_cmp_ne_u16_e32 vcc, 0, v3
	s_andn2_b64 s[4:5], s[4:5], exec
	s_and_b64 s[8:9], vcc, exec
	v_mov_b32_e32 v4, 0
	s_or_b64 s[4:5], s[4:5], s[8:9]
	s_or_b64 exec, exec, s[6:7]
	s_and_saveexec_b64 s[6:7], s[4:5]
	s_cbranch_execz .LBB2_29051
; %bb.50935:
	s_getpc_b64 s[14:15]
.Lpost_getpc29051:
	s_add_u32 s14, s14, (.LBB2_759-.Lpost_getpc29051)&4294967295
	s_addc_u32 s15, s15, (.LBB2_759-.Lpost_getpc29051)>>32
	s_setpc_b64 s[14:15]
.LBB2_29051:
	s_getpc_b64 s[14:15]
.Lpost_getpc18109:
	s_add_u32 s14, s14, (.LBB2_760-.Lpost_getpc18109)&4294967295
	s_addc_u32 s15, s15, (.LBB2_760-.Lpost_getpc18109)>>32
	s_setpc_b64 s[14:15]
.LBB2_15097:
	s_movk_i32 s4, 0x80
	v_cmp_eq_u16_sdwa s[12:13], v9, s4 src0_sel:BYTE_3 src1_sel:DWORD
	s_mov_b64 s[4:5], -1
                                        ; implicit-def: $sgpr10
	s_and_saveexec_b64 s[8:9], s[12:13]
; %bb.15098:
	s_mov_b32 s10, 0x7f800001
	s_xor_b64 s[4:5], exec, -1
; %bb.15099:
	s_or_b64 exec, exec, s[8:9]
	s_and_b64 s[4:5], s[4:5], exec
	s_or_saveexec_b64 s[6:7], s[6:7]
	v_mov_b32_e32 v2, s10
	s_xor_b64 exec, exec, s[6:7]
	s_cbranch_execnz .LBB2_15100
; %bb.50937:
	s_getpc_b64 s[14:15]
.Lpost_getpc29052:
	s_add_u32 s14, s14, (.LBB2_762-.Lpost_getpc29052)&4294967295
	s_addc_u32 s15, s15, (.LBB2_762-.Lpost_getpc29052)>>32
	s_setpc_b64 s[14:15]
.LBB2_15100:
	v_mov_b32_e32 v2, 0
	v_cmp_ne_u16_sdwa s[8:9], v9, v2 src0_sel:BYTE_3 src1_sel:DWORD
	s_andn2_b64 s[4:5], s[4:5], exec
	s_and_b64 s[8:9], s[8:9], exec
	s_or_b64 s[4:5], s[4:5], s[8:9]
	s_or_b64 exec, exec, s[6:7]
	s_and_saveexec_b64 s[6:7], s[4:5]
	s_cbranch_execz .LBB2_29053
; %bb.50939:
	s_getpc_b64 s[14:15]
.Lpost_getpc29053:
	s_add_u32 s14, s14, (.LBB2_763-.Lpost_getpc29053)&4294967295
	s_addc_u32 s15, s15, (.LBB2_763-.Lpost_getpc29053)>>32
	s_setpc_b64 s[14:15]
.LBB2_29053:
	s_getpc_b64 s[14:15]
.Lpost_getpc18110:
	s_add_u32 s14, s14, (.LBB2_764-.Lpost_getpc18110)&4294967295
	s_addc_u32 s15, s15, (.LBB2_764-.Lpost_getpc18110)>>32
	s_setpc_b64 s[14:15]
.LBB2_15101:
	s_movk_i32 s4, 0x80
	v_cmp_eq_u16_sdwa s[12:13], v5, s4 src0_sel:BYTE_3 src1_sel:DWORD
	s_mov_b64 s[4:5], -1
                                        ; implicit-def: $sgpr10
	s_and_saveexec_b64 s[8:9], s[12:13]
; %bb.15102:
	s_mov_b32 s10, 0x7f800001
	s_xor_b64 s[4:5], exec, -1
; %bb.15103:
	s_or_b64 exec, exec, s[8:9]
	s_and_b64 s[4:5], s[4:5], exec
	s_or_saveexec_b64 s[6:7], s[6:7]
	v_mov_b32_e32 v3, s10
	s_xor_b64 exec, exec, s[6:7]
	s_cbranch_execnz .LBB2_15104
; %bb.50941:
	s_getpc_b64 s[14:15]
.Lpost_getpc29054:
	s_add_u32 s14, s14, (.LBB2_766-.Lpost_getpc29054)&4294967295
	s_addc_u32 s15, s15, (.LBB2_766-.Lpost_getpc29054)>>32
	s_setpc_b64 s[14:15]
.LBB2_15104:
	v_mov_b32_e32 v3, 0
	v_cmp_ne_u16_sdwa s[8:9], v5, v3 src0_sel:BYTE_3 src1_sel:DWORD
	s_andn2_b64 s[4:5], s[4:5], exec
	s_and_b64 s[8:9], s[8:9], exec
	s_or_b64 s[4:5], s[4:5], s[8:9]
	s_or_b64 exec, exec, s[6:7]
	s_and_saveexec_b64 s[6:7], s[4:5]
	s_cbranch_execz .LBB2_29055
; %bb.50943:
	s_getpc_b64 s[14:15]
.Lpost_getpc29055:
	s_add_u32 s14, s14, (.LBB2_767-.Lpost_getpc29055)&4294967295
	s_addc_u32 s15, s15, (.LBB2_767-.Lpost_getpc29055)>>32
	s_setpc_b64 s[14:15]
.LBB2_29055:
	s_getpc_b64 s[14:15]
.Lpost_getpc18111:
	s_add_u32 s14, s14, (.LBB2_768-.Lpost_getpc18111)&4294967295
	s_addc_u32 s15, s15, (.LBB2_768-.Lpost_getpc18111)>>32
	s_setpc_b64 s[14:15]
.LBB2_15105:
	s_movk_i32 s4, 0x80
	v_cmp_eq_u16_sdwa s[12:13], v6, s4 src0_sel:BYTE_0 src1_sel:DWORD
	s_mov_b64 s[4:5], -1
                                        ; implicit-def: $sgpr10
	s_and_saveexec_b64 s[8:9], s[12:13]
; %bb.15106:
	s_mov_b32 s10, 0x7f800001
	s_xor_b64 s[4:5], exec, -1
; %bb.15107:
	s_or_b64 exec, exec, s[8:9]
	s_and_b64 s[4:5], s[4:5], exec
	s_or_saveexec_b64 s[6:7], s[6:7]
	v_mov_b32_e32 v12, s10
	s_xor_b64 exec, exec, s[6:7]
	s_cbranch_execnz .LBB2_15108
; %bb.50945:
	s_getpc_b64 s[14:15]
.Lpost_getpc29056:
	s_add_u32 s14, s14, (.LBB2_770-.Lpost_getpc29056)&4294967295
	s_addc_u32 s15, s15, (.LBB2_770-.Lpost_getpc29056)>>32
	s_setpc_b64 s[14:15]
.LBB2_15108:
	v_mov_b32_e32 v12, 0
	v_cmp_ne_u16_sdwa s[8:9], v6, v12 src0_sel:BYTE_0 src1_sel:DWORD
	s_andn2_b64 s[4:5], s[4:5], exec
	s_and_b64 s[8:9], s[8:9], exec
	s_or_b64 s[4:5], s[4:5], s[8:9]
	s_or_b64 exec, exec, s[6:7]
	s_and_saveexec_b64 s[6:7], s[4:5]
	s_cbranch_execz .LBB2_29057
; %bb.50947:
	s_getpc_b64 s[14:15]
.Lpost_getpc29057:
	s_add_u32 s14, s14, (.LBB2_771-.Lpost_getpc29057)&4294967295
	s_addc_u32 s15, s15, (.LBB2_771-.Lpost_getpc29057)>>32
	s_setpc_b64 s[14:15]
.LBB2_29057:
	s_getpc_b64 s[14:15]
.Lpost_getpc18112:
	s_add_u32 s14, s14, (.LBB2_772-.Lpost_getpc18112)&4294967295
	s_addc_u32 s15, s15, (.LBB2_772-.Lpost_getpc18112)>>32
	s_setpc_b64 s[14:15]
.LBB2_15109:
	s_movk_i32 s4, 0x80
	v_cmp_eq_u16_sdwa s[12:13], v2, s4 src0_sel:BYTE_0 src1_sel:DWORD
	s_mov_b64 s[4:5], -1
                                        ; implicit-def: $sgpr10
	s_and_saveexec_b64 s[8:9], s[12:13]
; %bb.15110:
	s_mov_b32 s10, 0x7f800001
	s_xor_b64 s[4:5], exec, -1
; %bb.15111:
	s_or_b64 exec, exec, s[8:9]
	s_and_b64 s[4:5], s[4:5], exec
	s_or_saveexec_b64 s[6:7], s[6:7]
	v_mov_b32_e32 v13, s10
	s_xor_b64 exec, exec, s[6:7]
	s_cbranch_execnz .LBB2_15112
; %bb.50949:
	s_getpc_b64 s[14:15]
.Lpost_getpc29058:
	s_add_u32 s14, s14, (.LBB2_774-.Lpost_getpc29058)&4294967295
	s_addc_u32 s15, s15, (.LBB2_774-.Lpost_getpc29058)>>32
	s_setpc_b64 s[14:15]
.LBB2_15112:
	v_mov_b32_e32 v13, 0
	v_cmp_ne_u16_sdwa s[8:9], v2, v13 src0_sel:BYTE_0 src1_sel:DWORD
	s_andn2_b64 s[4:5], s[4:5], exec
	s_and_b64 s[8:9], s[8:9], exec
	s_or_b64 s[4:5], s[4:5], s[8:9]
	s_or_b64 exec, exec, s[6:7]
	s_and_saveexec_b64 s[6:7], s[4:5]
	s_cbranch_execz .LBB2_29059
; %bb.50951:
	s_getpc_b64 s[14:15]
.Lpost_getpc29059:
	s_add_u32 s14, s14, (.LBB2_775-.Lpost_getpc29059)&4294967295
	s_addc_u32 s15, s15, (.LBB2_775-.Lpost_getpc29059)>>32
	s_setpc_b64 s[14:15]
.LBB2_29059:
	s_getpc_b64 s[14:15]
.Lpost_getpc18113:
	s_add_u32 s14, s14, (.LBB2_776-.Lpost_getpc18113)&4294967295
	s_addc_u32 s15, s15, (.LBB2_776-.Lpost_getpc18113)>>32
	s_setpc_b64 s[14:15]
.LBB2_15113:
	s_movk_i32 s4, 0x80
	v_cmp_eq_u16_sdwa s[12:13], v13, s4 src0_sel:BYTE_0 src1_sel:DWORD
	s_mov_b64 s[4:5], -1
                                        ; implicit-def: $sgpr10
	s_and_saveexec_b64 s[8:9], s[12:13]
; %bb.15114:
	s_mov_b32 s10, 0x7f800001
	s_xor_b64 s[4:5], exec, -1
; %bb.15115:
	s_or_b64 exec, exec, s[8:9]
	s_and_b64 s[4:5], s[4:5], exec
	s_or_saveexec_b64 s[6:7], s[6:7]
	v_mov_b32_e32 v12, s10
	s_xor_b64 exec, exec, s[6:7]
	s_cbranch_execnz .LBB2_15116
; %bb.50953:
	s_getpc_b64 s[14:15]
.Lpost_getpc29060:
	s_add_u32 s14, s14, (.LBB2_778-.Lpost_getpc29060)&4294967295
	s_addc_u32 s15, s15, (.LBB2_778-.Lpost_getpc29060)>>32
	s_setpc_b64 s[14:15]
.LBB2_15116:
	v_mov_b32_e32 v12, 0
	v_cmp_ne_u16_sdwa s[8:9], v13, v12 src0_sel:BYTE_0 src1_sel:DWORD
	s_andn2_b64 s[4:5], s[4:5], exec
	s_and_b64 s[8:9], s[8:9], exec
	s_or_b64 s[4:5], s[4:5], s[8:9]
	s_or_b64 exec, exec, s[6:7]
	s_and_saveexec_b64 s[6:7], s[4:5]
	s_cbranch_execz .LBB2_29061
; %bb.50955:
	s_getpc_b64 s[14:15]
.Lpost_getpc29061:
	s_add_u32 s14, s14, (.LBB2_779-.Lpost_getpc29061)&4294967295
	s_addc_u32 s15, s15, (.LBB2_779-.Lpost_getpc29061)>>32
	s_setpc_b64 s[14:15]
.LBB2_29061:
	s_getpc_b64 s[14:15]
.Lpost_getpc18114:
	s_add_u32 s14, s14, (.LBB2_780-.Lpost_getpc18114)&4294967295
	s_addc_u32 s15, s15, (.LBB2_780-.Lpost_getpc18114)>>32
	s_setpc_b64 s[14:15]
.LBB2_15117:
	s_movk_i32 s4, 0x80
	v_cmp_eq_u16_sdwa s[12:13], v13, s4 src0_sel:BYTE_0 src1_sel:DWORD
	s_mov_b64 s[4:5], -1
                                        ; implicit-def: $sgpr10
	s_and_saveexec_b64 s[8:9], s[12:13]
; %bb.15118:
	s_mov_b32 s10, 0x7f800001
	s_xor_b64 s[4:5], exec, -1
; %bb.15119:
	s_or_b64 exec, exec, s[8:9]
	s_and_b64 s[4:5], s[4:5], exec
	s_or_saveexec_b64 s[6:7], s[6:7]
	v_mov_b32_e32 v14, s10
	s_xor_b64 exec, exec, s[6:7]
	s_cbranch_execnz .LBB2_15120
; %bb.50957:
	s_getpc_b64 s[14:15]
.Lpost_getpc29062:
	s_add_u32 s14, s14, (.LBB2_782-.Lpost_getpc29062)&4294967295
	s_addc_u32 s15, s15, (.LBB2_782-.Lpost_getpc29062)>>32
	s_setpc_b64 s[14:15]
.LBB2_15120:
	v_mov_b32_e32 v14, 0
	v_cmp_ne_u16_sdwa s[8:9], v13, v14 src0_sel:BYTE_0 src1_sel:DWORD
	s_andn2_b64 s[4:5], s[4:5], exec
	s_and_b64 s[8:9], s[8:9], exec
	s_or_b64 s[4:5], s[4:5], s[8:9]
	s_or_b64 exec, exec, s[6:7]
	s_and_saveexec_b64 s[6:7], s[4:5]
	s_cbranch_execz .LBB2_29063
; %bb.50959:
	s_getpc_b64 s[14:15]
.Lpost_getpc29063:
	s_add_u32 s14, s14, (.LBB2_783-.Lpost_getpc29063)&4294967295
	s_addc_u32 s15, s15, (.LBB2_783-.Lpost_getpc29063)>>32
	s_setpc_b64 s[14:15]
.LBB2_29063:
	s_getpc_b64 s[14:15]
.Lpost_getpc18115:
	s_add_u32 s14, s14, (.LBB2_784-.Lpost_getpc18115)&4294967295
	s_addc_u32 s15, s15, (.LBB2_784-.Lpost_getpc18115)>>32
	s_setpc_b64 s[14:15]
.LBB2_15121:
	s_movk_i32 s4, 0x80
	v_cmp_eq_u16_e32 vcc, s4, v13
	s_mov_b64 s[4:5], -1
                                        ; implicit-def: $sgpr10
	s_and_saveexec_b64 s[8:9], vcc
; %bb.15122:
	s_mov_b32 s10, 0x7f800001
	s_xor_b64 s[4:5], exec, -1
; %bb.15123:
	s_or_b64 exec, exec, s[8:9]
	s_and_b64 s[4:5], s[4:5], exec
                                        ; implicit-def: $vgpr13
	s_or_saveexec_b64 s[6:7], s[6:7]
	v_mov_b32_e32 v12, s10
	s_xor_b64 exec, exec, s[6:7]
	s_cbranch_execnz .LBB2_15124
; %bb.50961:
	s_getpc_b64 s[14:15]
.Lpost_getpc29064:
	s_add_u32 s14, s14, (.LBB2_786-.Lpost_getpc29064)&4294967295
	s_addc_u32 s15, s15, (.LBB2_786-.Lpost_getpc29064)>>32
	s_setpc_b64 s[14:15]
.LBB2_15124:
	v_cmp_ne_u16_e32 vcc, 0, v13
	s_andn2_b64 s[4:5], s[4:5], exec
	s_and_b64 s[8:9], vcc, exec
	v_mov_b32_e32 v12, 0
	s_or_b64 s[4:5], s[4:5], s[8:9]
	s_or_b64 exec, exec, s[6:7]
	s_and_saveexec_b64 s[6:7], s[4:5]
	s_cbranch_execz .LBB2_29065
; %bb.50963:
	s_getpc_b64 s[14:15]
.Lpost_getpc29065:
	s_add_u32 s14, s14, (.LBB2_787-.Lpost_getpc29065)&4294967295
	s_addc_u32 s15, s15, (.LBB2_787-.Lpost_getpc29065)>>32
	s_setpc_b64 s[14:15]
.LBB2_29065:
	s_getpc_b64 s[14:15]
.Lpost_getpc18116:
	s_add_u32 s14, s14, (.LBB2_788-.Lpost_getpc18116)&4294967295
	s_addc_u32 s15, s15, (.LBB2_788-.Lpost_getpc18116)>>32
	s_setpc_b64 s[14:15]
.LBB2_15125:
	s_movk_i32 s4, 0x80
	v_cmp_eq_u16_e32 vcc, s4, v13
	s_mov_b64 s[4:5], -1
                                        ; implicit-def: $sgpr10
	s_and_saveexec_b64 s[8:9], vcc
; %bb.15126:
	s_mov_b32 s10, 0x7f800001
	s_xor_b64 s[4:5], exec, -1
; %bb.15127:
	s_or_b64 exec, exec, s[8:9]
	s_and_b64 s[4:5], s[4:5], exec
                                        ; implicit-def: $vgpr13
	s_or_saveexec_b64 s[6:7], s[6:7]
	v_mov_b32_e32 v14, s10
	s_xor_b64 exec, exec, s[6:7]
	s_cbranch_execnz .LBB2_15128
; %bb.50965:
	s_getpc_b64 s[14:15]
.Lpost_getpc29066:
	s_add_u32 s14, s14, (.LBB2_790-.Lpost_getpc29066)&4294967295
	s_addc_u32 s15, s15, (.LBB2_790-.Lpost_getpc29066)>>32
	s_setpc_b64 s[14:15]
.LBB2_15128:
	v_cmp_ne_u16_e32 vcc, 0, v13
	s_andn2_b64 s[4:5], s[4:5], exec
	s_and_b64 s[8:9], vcc, exec
	v_mov_b32_e32 v14, 0
	s_or_b64 s[4:5], s[4:5], s[8:9]
	s_or_b64 exec, exec, s[6:7]
	s_and_saveexec_b64 s[6:7], s[4:5]
	s_cbranch_execz .LBB2_29067
; %bb.50967:
	s_getpc_b64 s[14:15]
.Lpost_getpc29067:
	s_add_u32 s14, s14, (.LBB2_791-.Lpost_getpc29067)&4294967295
	s_addc_u32 s15, s15, (.LBB2_791-.Lpost_getpc29067)>>32
	s_setpc_b64 s[14:15]
.LBB2_29067:
	s_getpc_b64 s[14:15]
.Lpost_getpc18117:
	s_add_u32 s14, s14, (.LBB2_792-.Lpost_getpc18117)&4294967295
	s_addc_u32 s15, s15, (.LBB2_792-.Lpost_getpc18117)>>32
	s_setpc_b64 s[14:15]
.LBB2_15129:
	s_movk_i32 s4, 0x80
	v_cmp_eq_u16_sdwa s[12:13], v6, s4 src0_sel:BYTE_3 src1_sel:DWORD
	s_mov_b64 s[4:5], -1
                                        ; implicit-def: $sgpr10
	s_and_saveexec_b64 s[8:9], s[12:13]
; %bb.15130:
	s_mov_b32 s10, 0x7f800001
	s_xor_b64 s[4:5], exec, -1
; %bb.15131:
	s_or_b64 exec, exec, s[8:9]
	s_and_b64 s[4:5], s[4:5], exec
	s_or_saveexec_b64 s[6:7], s[6:7]
	v_mov_b32_e32 v12, s10
	s_xor_b64 exec, exec, s[6:7]
	s_cbranch_execnz .LBB2_15132
; %bb.50969:
	s_getpc_b64 s[14:15]
.Lpost_getpc29068:
	s_add_u32 s14, s14, (.LBB2_794-.Lpost_getpc29068)&4294967295
	s_addc_u32 s15, s15, (.LBB2_794-.Lpost_getpc29068)>>32
	s_setpc_b64 s[14:15]
.LBB2_15132:
	v_mov_b32_e32 v12, 0
	v_cmp_ne_u16_sdwa s[8:9], v6, v12 src0_sel:BYTE_3 src1_sel:DWORD
	s_andn2_b64 s[4:5], s[4:5], exec
	s_and_b64 s[8:9], s[8:9], exec
	s_or_b64 s[4:5], s[4:5], s[8:9]
	s_or_b64 exec, exec, s[6:7]
	s_and_saveexec_b64 s[6:7], s[4:5]
	s_cbranch_execz .LBB2_29069
; %bb.50971:
	s_getpc_b64 s[14:15]
.Lpost_getpc29069:
	s_add_u32 s14, s14, (.LBB2_795-.Lpost_getpc29069)&4294967295
	s_addc_u32 s15, s15, (.LBB2_795-.Lpost_getpc29069)>>32
	s_setpc_b64 s[14:15]
.LBB2_29069:
	s_getpc_b64 s[14:15]
.Lpost_getpc18118:
	s_add_u32 s14, s14, (.LBB2_796-.Lpost_getpc18118)&4294967295
	s_addc_u32 s15, s15, (.LBB2_796-.Lpost_getpc18118)>>32
	s_setpc_b64 s[14:15]
.LBB2_15133:
	s_movk_i32 s4, 0x80
	v_cmp_eq_u16_sdwa s[12:13], v2, s4 src0_sel:BYTE_3 src1_sel:DWORD
	s_mov_b64 s[4:5], -1
                                        ; implicit-def: $sgpr10
	s_and_saveexec_b64 s[8:9], s[12:13]
; %bb.15134:
	s_mov_b32 s10, 0x7f800001
	s_xor_b64 s[4:5], exec, -1
; %bb.15135:
	s_or_b64 exec, exec, s[8:9]
	s_and_b64 s[4:5], s[4:5], exec
	s_or_saveexec_b64 s[6:7], s[6:7]
	v_mov_b32_e32 v6, s10
	s_xor_b64 exec, exec, s[6:7]
	s_cbranch_execnz .LBB2_15136
; %bb.50973:
	s_getpc_b64 s[14:15]
.Lpost_getpc29070:
	s_add_u32 s14, s14, (.LBB2_798-.Lpost_getpc29070)&4294967295
	s_addc_u32 s15, s15, (.LBB2_798-.Lpost_getpc29070)>>32
	s_setpc_b64 s[14:15]
.LBB2_15136:
	v_mov_b32_e32 v6, 0
	v_cmp_ne_u16_sdwa s[8:9], v2, v6 src0_sel:BYTE_3 src1_sel:DWORD
	s_andn2_b64 s[4:5], s[4:5], exec
	s_and_b64 s[8:9], s[8:9], exec
	s_or_b64 s[4:5], s[4:5], s[8:9]
	s_or_b64 exec, exec, s[6:7]
	s_and_saveexec_b64 s[6:7], s[4:5]
	s_cbranch_execz .LBB2_29071
; %bb.50975:
	s_getpc_b64 s[14:15]
.Lpost_getpc29071:
	s_add_u32 s14, s14, (.LBB2_799-.Lpost_getpc29071)&4294967295
	s_addc_u32 s15, s15, (.LBB2_799-.Lpost_getpc29071)>>32
	s_setpc_b64 s[14:15]
.LBB2_29071:
	s_getpc_b64 s[14:15]
.Lpost_getpc18119:
	s_add_u32 s14, s14, (.LBB2_800-.Lpost_getpc18119)&4294967295
	s_addc_u32 s15, s15, (.LBB2_800-.Lpost_getpc18119)>>32
	s_setpc_b64 s[14:15]
.LBB2_15137:
	s_movk_i32 s4, 0x80
	v_cmp_eq_u16_sdwa s[12:13], v7, s4 src0_sel:BYTE_0 src1_sel:DWORD
	s_mov_b64 s[4:5], -1
                                        ; implicit-def: $sgpr10
	s_and_saveexec_b64 s[8:9], s[12:13]
; %bb.15138:
	s_mov_b32 s10, 0x7f800001
	s_xor_b64 s[4:5], exec, -1
; %bb.15139:
	s_or_b64 exec, exec, s[8:9]
	s_and_b64 s[4:5], s[4:5], exec
	s_or_saveexec_b64 s[6:7], s[6:7]
	v_mov_b32_e32 v2, s10
	s_xor_b64 exec, exec, s[6:7]
	s_cbranch_execnz .LBB2_15140
; %bb.50977:
	s_getpc_b64 s[14:15]
.Lpost_getpc29072:
	s_add_u32 s14, s14, (.LBB2_802-.Lpost_getpc29072)&4294967295
	s_addc_u32 s15, s15, (.LBB2_802-.Lpost_getpc29072)>>32
	s_setpc_b64 s[14:15]
.LBB2_15140:
	v_mov_b32_e32 v2, 0
	v_cmp_ne_u16_sdwa s[8:9], v7, v2 src0_sel:BYTE_0 src1_sel:DWORD
	s_andn2_b64 s[4:5], s[4:5], exec
	s_and_b64 s[8:9], s[8:9], exec
	s_or_b64 s[4:5], s[4:5], s[8:9]
	s_or_b64 exec, exec, s[6:7]
	s_and_saveexec_b64 s[6:7], s[4:5]
	s_cbranch_execz .LBB2_29073
; %bb.50979:
	s_getpc_b64 s[14:15]
.Lpost_getpc29073:
	s_add_u32 s14, s14, (.LBB2_803-.Lpost_getpc29073)&4294967295
	s_addc_u32 s15, s15, (.LBB2_803-.Lpost_getpc29073)>>32
	s_setpc_b64 s[14:15]
.LBB2_29073:
	s_getpc_b64 s[14:15]
.Lpost_getpc18120:
	s_add_u32 s14, s14, (.LBB2_804-.Lpost_getpc18120)&4294967295
	s_addc_u32 s15, s15, (.LBB2_804-.Lpost_getpc18120)>>32
	s_setpc_b64 s[14:15]
.LBB2_15141:
	s_movk_i32 s4, 0x80
	v_cmp_eq_u16_sdwa s[12:13], v3, s4 src0_sel:BYTE_0 src1_sel:DWORD
	s_mov_b64 s[4:5], -1
                                        ; implicit-def: $sgpr10
	s_and_saveexec_b64 s[8:9], s[12:13]
; %bb.15142:
	s_mov_b32 s10, 0x7f800001
	s_xor_b64 s[4:5], exec, -1
; %bb.15143:
	s_or_b64 exec, exec, s[8:9]
	s_and_b64 s[4:5], s[4:5], exec
	s_or_saveexec_b64 s[6:7], s[6:7]
	v_mov_b32_e32 v6, s10
	s_xor_b64 exec, exec, s[6:7]
	s_cbranch_execnz .LBB2_15144
; %bb.50981:
	s_getpc_b64 s[14:15]
.Lpost_getpc29074:
	s_add_u32 s14, s14, (.LBB2_806-.Lpost_getpc29074)&4294967295
	s_addc_u32 s15, s15, (.LBB2_806-.Lpost_getpc29074)>>32
	s_setpc_b64 s[14:15]
.LBB2_15144:
	v_mov_b32_e32 v6, 0
	v_cmp_ne_u16_sdwa s[8:9], v3, v6 src0_sel:BYTE_0 src1_sel:DWORD
	s_andn2_b64 s[4:5], s[4:5], exec
	s_and_b64 s[8:9], s[8:9], exec
	s_or_b64 s[4:5], s[4:5], s[8:9]
	s_or_b64 exec, exec, s[6:7]
	s_and_saveexec_b64 s[6:7], s[4:5]
	s_cbranch_execz .LBB2_29075
; %bb.50983:
	s_getpc_b64 s[14:15]
.Lpost_getpc29075:
	s_add_u32 s14, s14, (.LBB2_807-.Lpost_getpc29075)&4294967295
	s_addc_u32 s15, s15, (.LBB2_807-.Lpost_getpc29075)>>32
	s_setpc_b64 s[14:15]
.LBB2_29075:
	s_getpc_b64 s[14:15]
.Lpost_getpc18121:
	s_add_u32 s14, s14, (.LBB2_808-.Lpost_getpc18121)&4294967295
	s_addc_u32 s15, s15, (.LBB2_808-.Lpost_getpc18121)>>32
	s_setpc_b64 s[14:15]
.LBB2_15145:
	s_movk_i32 s4, 0x80
	v_cmp_eq_u16_sdwa s[12:13], v6, s4 src0_sel:BYTE_0 src1_sel:DWORD
	s_mov_b64 s[4:5], -1
                                        ; implicit-def: $sgpr10
	s_and_saveexec_b64 s[8:9], s[12:13]
; %bb.15146:
	s_mov_b32 s10, 0x7f800001
	s_xor_b64 s[4:5], exec, -1
; %bb.15147:
	s_or_b64 exec, exec, s[8:9]
	s_and_b64 s[4:5], s[4:5], exec
	s_or_saveexec_b64 s[6:7], s[6:7]
	v_mov_b32_e32 v2, s10
	s_xor_b64 exec, exec, s[6:7]
	s_cbranch_execnz .LBB2_15148
; %bb.50985:
	s_getpc_b64 s[14:15]
.Lpost_getpc29076:
	s_add_u32 s14, s14, (.LBB2_810-.Lpost_getpc29076)&4294967295
	s_addc_u32 s15, s15, (.LBB2_810-.Lpost_getpc29076)>>32
	s_setpc_b64 s[14:15]
.LBB2_15148:
	v_mov_b32_e32 v2, 0
	v_cmp_ne_u16_sdwa s[8:9], v6, v2 src0_sel:BYTE_0 src1_sel:DWORD
	s_andn2_b64 s[4:5], s[4:5], exec
	s_and_b64 s[8:9], s[8:9], exec
	s_or_b64 s[4:5], s[4:5], s[8:9]
	s_or_b64 exec, exec, s[6:7]
	s_and_saveexec_b64 s[6:7], s[4:5]
	s_cbranch_execz .LBB2_29077
; %bb.50987:
	s_getpc_b64 s[14:15]
.Lpost_getpc29077:
	s_add_u32 s14, s14, (.LBB2_811-.Lpost_getpc29077)&4294967295
	s_addc_u32 s15, s15, (.LBB2_811-.Lpost_getpc29077)>>32
	s_setpc_b64 s[14:15]
.LBB2_29077:
	s_getpc_b64 s[14:15]
.Lpost_getpc18122:
	s_add_u32 s14, s14, (.LBB2_812-.Lpost_getpc18122)&4294967295
	s_addc_u32 s15, s15, (.LBB2_812-.Lpost_getpc18122)>>32
	s_setpc_b64 s[14:15]
.LBB2_15149:
	s_movk_i32 s4, 0x80
	v_cmp_eq_u16_sdwa s[12:13], v6, s4 src0_sel:BYTE_0 src1_sel:DWORD
	s_mov_b64 s[4:5], -1
                                        ; implicit-def: $sgpr10
	s_and_saveexec_b64 s[8:9], s[12:13]
; %bb.15150:
	s_mov_b32 s10, 0x7f800001
	s_xor_b64 s[4:5], exec, -1
; %bb.15151:
	s_or_b64 exec, exec, s[8:9]
	s_and_b64 s[4:5], s[4:5], exec
	s_or_saveexec_b64 s[6:7], s[6:7]
	v_mov_b32_e32 v12, s10
	s_xor_b64 exec, exec, s[6:7]
	s_cbranch_execnz .LBB2_15152
; %bb.50989:
	s_getpc_b64 s[14:15]
.Lpost_getpc29078:
	s_add_u32 s14, s14, (.LBB2_814-.Lpost_getpc29078)&4294967295
	s_addc_u32 s15, s15, (.LBB2_814-.Lpost_getpc29078)>>32
	s_setpc_b64 s[14:15]
.LBB2_15152:
	v_mov_b32_e32 v12, 0
	v_cmp_ne_u16_sdwa s[8:9], v6, v12 src0_sel:BYTE_0 src1_sel:DWORD
	s_andn2_b64 s[4:5], s[4:5], exec
	s_and_b64 s[8:9], s[8:9], exec
	s_or_b64 s[4:5], s[4:5], s[8:9]
	s_or_b64 exec, exec, s[6:7]
	s_and_saveexec_b64 s[6:7], s[4:5]
	s_cbranch_execz .LBB2_29079
; %bb.50991:
	s_getpc_b64 s[14:15]
.Lpost_getpc29079:
	s_add_u32 s14, s14, (.LBB2_815-.Lpost_getpc29079)&4294967295
	s_addc_u32 s15, s15, (.LBB2_815-.Lpost_getpc29079)>>32
	s_setpc_b64 s[14:15]
.LBB2_29079:
	s_getpc_b64 s[14:15]
.Lpost_getpc18123:
	s_add_u32 s14, s14, (.LBB2_816-.Lpost_getpc18123)&4294967295
	s_addc_u32 s15, s15, (.LBB2_816-.Lpost_getpc18123)>>32
	s_setpc_b64 s[14:15]
.LBB2_15153:
	s_movk_i32 s4, 0x80
	v_cmp_eq_u16_e32 vcc, s4, v6
	s_mov_b64 s[4:5], -1
                                        ; implicit-def: $sgpr10
	s_and_saveexec_b64 s[8:9], vcc
; %bb.15154:
	s_mov_b32 s10, 0x7f800001
	s_xor_b64 s[4:5], exec, -1
; %bb.15155:
	s_or_b64 exec, exec, s[8:9]
	s_and_b64 s[4:5], s[4:5], exec
                                        ; implicit-def: $vgpr6
	s_or_saveexec_b64 s[6:7], s[6:7]
	v_mov_b32_e32 v2, s10
	s_xor_b64 exec, exec, s[6:7]
	s_cbranch_execnz .LBB2_15156
; %bb.50993:
	s_getpc_b64 s[14:15]
.Lpost_getpc29080:
	s_add_u32 s14, s14, (.LBB2_818-.Lpost_getpc29080)&4294967295
	s_addc_u32 s15, s15, (.LBB2_818-.Lpost_getpc29080)>>32
	s_setpc_b64 s[14:15]
.LBB2_15156:
	v_cmp_ne_u16_e32 vcc, 0, v6
	s_andn2_b64 s[4:5], s[4:5], exec
	s_and_b64 s[8:9], vcc, exec
	v_mov_b32_e32 v2, 0
	s_or_b64 s[4:5], s[4:5], s[8:9]
	s_or_b64 exec, exec, s[6:7]
	s_and_saveexec_b64 s[6:7], s[4:5]
	s_cbranch_execz .LBB2_29081
; %bb.50995:
	s_getpc_b64 s[14:15]
.Lpost_getpc29081:
	s_add_u32 s14, s14, (.LBB2_819-.Lpost_getpc29081)&4294967295
	s_addc_u32 s15, s15, (.LBB2_819-.Lpost_getpc29081)>>32
	s_setpc_b64 s[14:15]
.LBB2_29081:
	s_getpc_b64 s[14:15]
.Lpost_getpc18124:
	s_add_u32 s14, s14, (.LBB2_820-.Lpost_getpc18124)&4294967295
	s_addc_u32 s15, s15, (.LBB2_820-.Lpost_getpc18124)>>32
	s_setpc_b64 s[14:15]
.LBB2_15157:
	s_movk_i32 s4, 0x80
	v_cmp_eq_u16_e32 vcc, s4, v6
	s_mov_b64 s[4:5], -1
                                        ; implicit-def: $sgpr10
	s_and_saveexec_b64 s[8:9], vcc
; %bb.15158:
	s_mov_b32 s10, 0x7f800001
	s_xor_b64 s[4:5], exec, -1
; %bb.15159:
	s_or_b64 exec, exec, s[8:9]
	s_and_b64 s[4:5], s[4:5], exec
                                        ; implicit-def: $vgpr6
	s_or_saveexec_b64 s[6:7], s[6:7]
	v_mov_b32_e32 v12, s10
	s_xor_b64 exec, exec, s[6:7]
	s_cbranch_execnz .LBB2_15160
; %bb.50997:
	s_getpc_b64 s[14:15]
.Lpost_getpc29082:
	s_add_u32 s14, s14, (.LBB2_822-.Lpost_getpc29082)&4294967295
	s_addc_u32 s15, s15, (.LBB2_822-.Lpost_getpc29082)>>32
	s_setpc_b64 s[14:15]
.LBB2_15160:
	v_cmp_ne_u16_e32 vcc, 0, v6
	s_andn2_b64 s[4:5], s[4:5], exec
	s_and_b64 s[8:9], vcc, exec
	v_mov_b32_e32 v12, 0
	s_or_b64 s[4:5], s[4:5], s[8:9]
	s_or_b64 exec, exec, s[6:7]
	s_and_saveexec_b64 s[6:7], s[4:5]
	s_cbranch_execz .LBB2_29083
; %bb.50999:
	s_getpc_b64 s[14:15]
.Lpost_getpc29083:
	s_add_u32 s14, s14, (.LBB2_823-.Lpost_getpc29083)&4294967295
	s_addc_u32 s15, s15, (.LBB2_823-.Lpost_getpc29083)>>32
	s_setpc_b64 s[14:15]
.LBB2_29083:
	s_getpc_b64 s[14:15]
.Lpost_getpc18125:
	s_add_u32 s14, s14, (.LBB2_824-.Lpost_getpc18125)&4294967295
	s_addc_u32 s15, s15, (.LBB2_824-.Lpost_getpc18125)>>32
	s_setpc_b64 s[14:15]
.LBB2_15161:
	s_movk_i32 s4, 0x80
	v_cmp_eq_u16_sdwa s[12:13], v7, s4 src0_sel:BYTE_3 src1_sel:DWORD
	s_mov_b64 s[4:5], -1
                                        ; implicit-def: $sgpr10
	s_and_saveexec_b64 s[8:9], s[12:13]
; %bb.15162:
	s_mov_b32 s10, 0x7f800001
	s_xor_b64 s[4:5], exec, -1
; %bb.15163:
	s_or_b64 exec, exec, s[8:9]
	s_and_b64 s[4:5], s[4:5], exec
	s_or_saveexec_b64 s[6:7], s[6:7]
	v_mov_b32_e32 v2, s10
	s_xor_b64 exec, exec, s[6:7]
	s_cbranch_execnz .LBB2_15164
; %bb.51001:
	s_getpc_b64 s[14:15]
.Lpost_getpc29084:
	s_add_u32 s14, s14, (.LBB2_826-.Lpost_getpc29084)&4294967295
	s_addc_u32 s15, s15, (.LBB2_826-.Lpost_getpc29084)>>32
	s_setpc_b64 s[14:15]
.LBB2_15164:
	v_mov_b32_e32 v2, 0
	v_cmp_ne_u16_sdwa s[8:9], v7, v2 src0_sel:BYTE_3 src1_sel:DWORD
	s_andn2_b64 s[4:5], s[4:5], exec
	s_and_b64 s[8:9], s[8:9], exec
	s_or_b64 s[4:5], s[4:5], s[8:9]
	s_or_b64 exec, exec, s[6:7]
	s_and_saveexec_b64 s[6:7], s[4:5]
	s_cbranch_execz .LBB2_29085
; %bb.51003:
	s_getpc_b64 s[14:15]
.Lpost_getpc29085:
	s_add_u32 s14, s14, (.LBB2_827-.Lpost_getpc29085)&4294967295
	s_addc_u32 s15, s15, (.LBB2_827-.Lpost_getpc29085)>>32
	s_setpc_b64 s[14:15]
.LBB2_29085:
	s_getpc_b64 s[14:15]
.Lpost_getpc18126:
	s_add_u32 s14, s14, (.LBB2_828-.Lpost_getpc18126)&4294967295
	s_addc_u32 s15, s15, (.LBB2_828-.Lpost_getpc18126)>>32
	s_setpc_b64 s[14:15]
.LBB2_15165:
	s_movk_i32 s4, 0x80
	v_cmp_eq_u16_sdwa s[12:13], v3, s4 src0_sel:BYTE_3 src1_sel:DWORD
	s_mov_b64 s[4:5], -1
                                        ; implicit-def: $sgpr10
	s_and_saveexec_b64 s[8:9], s[12:13]
; %bb.15166:
	s_mov_b32 s10, 0x7f800001
	s_xor_b64 s[4:5], exec, -1
; %bb.15167:
	s_or_b64 exec, exec, s[8:9]
	s_and_b64 s[4:5], s[4:5], exec
	s_or_saveexec_b64 s[6:7], s[6:7]
	v_mov_b32_e32 v6, s10
	s_xor_b64 exec, exec, s[6:7]
	s_cbranch_execnz .LBB2_15168
; %bb.51005:
	s_getpc_b64 s[14:15]
.Lpost_getpc29086:
	s_add_u32 s14, s14, (.LBB2_830-.Lpost_getpc29086)&4294967295
	s_addc_u32 s15, s15, (.LBB2_830-.Lpost_getpc29086)>>32
	s_setpc_b64 s[14:15]
.LBB2_15168:
	v_mov_b32_e32 v6, 0
	v_cmp_ne_u16_sdwa s[8:9], v3, v6 src0_sel:BYTE_3 src1_sel:DWORD
	s_andn2_b64 s[4:5], s[4:5], exec
	s_and_b64 s[8:9], s[8:9], exec
	s_or_b64 s[4:5], s[4:5], s[8:9]
	s_or_b64 exec, exec, s[6:7]
	s_and_saveexec_b64 s[6:7], s[4:5]
	s_cbranch_execz .LBB2_29087
; %bb.51007:
	s_getpc_b64 s[14:15]
.Lpost_getpc29087:
	s_add_u32 s14, s14, (.LBB2_831-.Lpost_getpc29087)&4294967295
	s_addc_u32 s15, s15, (.LBB2_831-.Lpost_getpc29087)>>32
	s_setpc_b64 s[14:15]
.LBB2_29087:
	s_getpc_b64 s[14:15]
.Lpost_getpc18127:
	s_add_u32 s14, s14, (.LBB2_832-.Lpost_getpc18127)&4294967295
	s_addc_u32 s15, s15, (.LBB2_832-.Lpost_getpc18127)>>32
	s_setpc_b64 s[14:15]
.LBB2_15169:
	s_movk_i32 s4, 0x80
	v_cmp_eq_u16_sdwa s[12:13], v8, s4 src0_sel:BYTE_0 src1_sel:DWORD
	s_mov_b64 s[4:5], -1
                                        ; implicit-def: $sgpr10
	s_and_saveexec_b64 s[8:9], s[12:13]
; %bb.15170:
	s_mov_b32 s10, 0x7f800001
	s_xor_b64 s[4:5], exec, -1
; %bb.15171:
	s_or_b64 exec, exec, s[8:9]
	s_and_b64 s[4:5], s[4:5], exec
	s_or_saveexec_b64 s[6:7], s[6:7]
	v_mov_b32_e32 v2, s10
	s_xor_b64 exec, exec, s[6:7]
	s_cbranch_execnz .LBB2_15172
; %bb.51009:
	s_getpc_b64 s[14:15]
.Lpost_getpc29088:
	s_add_u32 s14, s14, (.LBB2_834-.Lpost_getpc29088)&4294967295
	s_addc_u32 s15, s15, (.LBB2_834-.Lpost_getpc29088)>>32
	s_setpc_b64 s[14:15]
.LBB2_15172:
	v_mov_b32_e32 v2, 0
	v_cmp_ne_u16_sdwa s[8:9], v8, v2 src0_sel:BYTE_0 src1_sel:DWORD
	s_andn2_b64 s[4:5], s[4:5], exec
	s_and_b64 s[8:9], s[8:9], exec
	s_or_b64 s[4:5], s[4:5], s[8:9]
	s_or_b64 exec, exec, s[6:7]
	s_and_saveexec_b64 s[6:7], s[4:5]
	s_cbranch_execz .LBB2_29089
; %bb.51011:
	s_getpc_b64 s[14:15]
.Lpost_getpc29089:
	s_add_u32 s14, s14, (.LBB2_835-.Lpost_getpc29089)&4294967295
	s_addc_u32 s15, s15, (.LBB2_835-.Lpost_getpc29089)>>32
	s_setpc_b64 s[14:15]
.LBB2_29089:
	s_getpc_b64 s[14:15]
.Lpost_getpc18128:
	s_add_u32 s14, s14, (.LBB2_836-.Lpost_getpc18128)&4294967295
	s_addc_u32 s15, s15, (.LBB2_836-.Lpost_getpc18128)>>32
	s_setpc_b64 s[14:15]
.LBB2_15173:
	s_movk_i32 s4, 0x80
	v_cmp_eq_u16_sdwa s[12:13], v4, s4 src0_sel:BYTE_0 src1_sel:DWORD
	s_mov_b64 s[4:5], -1
                                        ; implicit-def: $sgpr10
	s_and_saveexec_b64 s[8:9], s[12:13]
; %bb.15174:
	s_mov_b32 s10, 0x7f800001
	s_xor_b64 s[4:5], exec, -1
; %bb.15175:
	s_or_b64 exec, exec, s[8:9]
	s_and_b64 s[4:5], s[4:5], exec
	s_or_saveexec_b64 s[6:7], s[6:7]
	v_mov_b32_e32 v3, s10
	s_xor_b64 exec, exec, s[6:7]
	s_cbranch_execnz .LBB2_15176
; %bb.51013:
	s_getpc_b64 s[14:15]
.Lpost_getpc29090:
	s_add_u32 s14, s14, (.LBB2_838-.Lpost_getpc29090)&4294967295
	s_addc_u32 s15, s15, (.LBB2_838-.Lpost_getpc29090)>>32
	s_setpc_b64 s[14:15]
.LBB2_15176:
	v_mov_b32_e32 v3, 0
	v_cmp_ne_u16_sdwa s[8:9], v4, v3 src0_sel:BYTE_0 src1_sel:DWORD
	s_andn2_b64 s[4:5], s[4:5], exec
	s_and_b64 s[8:9], s[8:9], exec
	s_or_b64 s[4:5], s[4:5], s[8:9]
	s_or_b64 exec, exec, s[6:7]
	s_and_saveexec_b64 s[6:7], s[4:5]
	s_cbranch_execz .LBB2_29091
; %bb.51015:
	s_getpc_b64 s[14:15]
.Lpost_getpc29091:
	s_add_u32 s14, s14, (.LBB2_839-.Lpost_getpc29091)&4294967295
	s_addc_u32 s15, s15, (.LBB2_839-.Lpost_getpc29091)>>32
	s_setpc_b64 s[14:15]
.LBB2_29091:
	s_getpc_b64 s[14:15]
.Lpost_getpc18129:
	s_add_u32 s14, s14, (.LBB2_840-.Lpost_getpc18129)&4294967295
	s_addc_u32 s15, s15, (.LBB2_840-.Lpost_getpc18129)>>32
	s_setpc_b64 s[14:15]
.LBB2_15177:
	s_movk_i32 s4, 0x80
	v_cmp_eq_u16_sdwa s[12:13], v3, s4 src0_sel:BYTE_0 src1_sel:DWORD
	s_mov_b64 s[4:5], -1
                                        ; implicit-def: $sgpr10
	s_and_saveexec_b64 s[8:9], s[12:13]
; %bb.15178:
	s_mov_b32 s10, 0x7f800001
	s_xor_b64 s[4:5], exec, -1
; %bb.15179:
	s_or_b64 exec, exec, s[8:9]
	s_and_b64 s[4:5], s[4:5], exec
	s_or_saveexec_b64 s[6:7], s[6:7]
	v_mov_b32_e32 v2, s10
	s_xor_b64 exec, exec, s[6:7]
	s_cbranch_execnz .LBB2_15180
; %bb.51017:
	s_getpc_b64 s[14:15]
.Lpost_getpc29092:
	s_add_u32 s14, s14, (.LBB2_842-.Lpost_getpc29092)&4294967295
	s_addc_u32 s15, s15, (.LBB2_842-.Lpost_getpc29092)>>32
	s_setpc_b64 s[14:15]
.LBB2_15180:
	v_mov_b32_e32 v2, 0
	v_cmp_ne_u16_sdwa s[8:9], v3, v2 src0_sel:BYTE_0 src1_sel:DWORD
	s_andn2_b64 s[4:5], s[4:5], exec
	s_and_b64 s[8:9], s[8:9], exec
	s_or_b64 s[4:5], s[4:5], s[8:9]
	s_or_b64 exec, exec, s[6:7]
	s_and_saveexec_b64 s[6:7], s[4:5]
	s_cbranch_execz .LBB2_29093
; %bb.51019:
	s_getpc_b64 s[14:15]
.Lpost_getpc29093:
	s_add_u32 s14, s14, (.LBB2_843-.Lpost_getpc29093)&4294967295
	s_addc_u32 s15, s15, (.LBB2_843-.Lpost_getpc29093)>>32
	s_setpc_b64 s[14:15]
.LBB2_29093:
	s_getpc_b64 s[14:15]
.Lpost_getpc18130:
	s_add_u32 s14, s14, (.LBB2_844-.Lpost_getpc18130)&4294967295
	s_addc_u32 s15, s15, (.LBB2_844-.Lpost_getpc18130)>>32
	s_setpc_b64 s[14:15]
.LBB2_15181:
	s_movk_i32 s4, 0x80
	v_cmp_eq_u16_sdwa s[12:13], v3, s4 src0_sel:BYTE_0 src1_sel:DWORD
	s_mov_b64 s[4:5], -1
                                        ; implicit-def: $sgpr10
	s_and_saveexec_b64 s[8:9], s[12:13]
; %bb.15182:
	s_mov_b32 s10, 0x7f800001
	s_xor_b64 s[4:5], exec, -1
; %bb.15183:
	s_or_b64 exec, exec, s[8:9]
	s_and_b64 s[4:5], s[4:5], exec
	s_or_saveexec_b64 s[6:7], s[6:7]
	v_mov_b32_e32 v6, s10
	s_xor_b64 exec, exec, s[6:7]
	s_cbranch_execnz .LBB2_15184
; %bb.51021:
	s_getpc_b64 s[14:15]
.Lpost_getpc29094:
	s_add_u32 s14, s14, (.LBB2_846-.Lpost_getpc29094)&4294967295
	s_addc_u32 s15, s15, (.LBB2_846-.Lpost_getpc29094)>>32
	s_setpc_b64 s[14:15]
.LBB2_15184:
	v_mov_b32_e32 v6, 0
	v_cmp_ne_u16_sdwa s[8:9], v3, v6 src0_sel:BYTE_0 src1_sel:DWORD
	s_andn2_b64 s[4:5], s[4:5], exec
	s_and_b64 s[8:9], s[8:9], exec
	s_or_b64 s[4:5], s[4:5], s[8:9]
	s_or_b64 exec, exec, s[6:7]
	s_and_saveexec_b64 s[6:7], s[4:5]
	s_cbranch_execz .LBB2_29095
; %bb.51023:
	s_getpc_b64 s[14:15]
.Lpost_getpc29095:
	s_add_u32 s14, s14, (.LBB2_847-.Lpost_getpc29095)&4294967295
	s_addc_u32 s15, s15, (.LBB2_847-.Lpost_getpc29095)>>32
	s_setpc_b64 s[14:15]
.LBB2_29095:
	s_getpc_b64 s[14:15]
.Lpost_getpc18131:
	s_add_u32 s14, s14, (.LBB2_848-.Lpost_getpc18131)&4294967295
	s_addc_u32 s15, s15, (.LBB2_848-.Lpost_getpc18131)>>32
	s_setpc_b64 s[14:15]
.LBB2_15185:
	s_movk_i32 s4, 0x80
	v_cmp_eq_u16_e32 vcc, s4, v3
	s_mov_b64 s[4:5], -1
                                        ; implicit-def: $sgpr10
	s_and_saveexec_b64 s[8:9], vcc
; %bb.15186:
	s_mov_b32 s10, 0x7f800001
	s_xor_b64 s[4:5], exec, -1
; %bb.15187:
	s_or_b64 exec, exec, s[8:9]
	s_and_b64 s[4:5], s[4:5], exec
                                        ; implicit-def: $vgpr3
	s_or_saveexec_b64 s[6:7], s[6:7]
	v_mov_b32_e32 v2, s10
	s_xor_b64 exec, exec, s[6:7]
	s_cbranch_execnz .LBB2_15188
; %bb.51025:
	s_getpc_b64 s[14:15]
.Lpost_getpc29096:
	s_add_u32 s14, s14, (.LBB2_850-.Lpost_getpc29096)&4294967295
	s_addc_u32 s15, s15, (.LBB2_850-.Lpost_getpc29096)>>32
	s_setpc_b64 s[14:15]
.LBB2_15188:
	v_cmp_ne_u16_e32 vcc, 0, v3
	s_andn2_b64 s[4:5], s[4:5], exec
	s_and_b64 s[8:9], vcc, exec
	v_mov_b32_e32 v2, 0
	s_or_b64 s[4:5], s[4:5], s[8:9]
	s_or_b64 exec, exec, s[6:7]
	s_and_saveexec_b64 s[6:7], s[4:5]
	s_cbranch_execz .LBB2_29097
; %bb.51027:
	s_getpc_b64 s[14:15]
.Lpost_getpc29097:
	s_add_u32 s14, s14, (.LBB2_851-.Lpost_getpc29097)&4294967295
	s_addc_u32 s15, s15, (.LBB2_851-.Lpost_getpc29097)>>32
	s_setpc_b64 s[14:15]
.LBB2_29097:
	s_getpc_b64 s[14:15]
.Lpost_getpc18132:
	s_add_u32 s14, s14, (.LBB2_852-.Lpost_getpc18132)&4294967295
	s_addc_u32 s15, s15, (.LBB2_852-.Lpost_getpc18132)>>32
	s_setpc_b64 s[14:15]
.LBB2_15189:
	s_movk_i32 s4, 0x80
	v_cmp_eq_u16_e32 vcc, s4, v3
	s_mov_b64 s[4:5], -1
                                        ; implicit-def: $sgpr10
	s_and_saveexec_b64 s[8:9], vcc
; %bb.15190:
	s_mov_b32 s10, 0x7f800001
	s_xor_b64 s[4:5], exec, -1
; %bb.15191:
	s_or_b64 exec, exec, s[8:9]
	s_and_b64 s[4:5], s[4:5], exec
                                        ; implicit-def: $vgpr3
	s_or_saveexec_b64 s[6:7], s[6:7]
	v_mov_b32_e32 v6, s10
	s_xor_b64 exec, exec, s[6:7]
	s_cbranch_execnz .LBB2_15192
; %bb.51029:
	s_getpc_b64 s[14:15]
.Lpost_getpc29098:
	s_add_u32 s14, s14, (.LBB2_854-.Lpost_getpc29098)&4294967295
	s_addc_u32 s15, s15, (.LBB2_854-.Lpost_getpc29098)>>32
	s_setpc_b64 s[14:15]
.LBB2_15192:
	v_cmp_ne_u16_e32 vcc, 0, v3
	s_andn2_b64 s[4:5], s[4:5], exec
	s_and_b64 s[8:9], vcc, exec
	v_mov_b32_e32 v6, 0
	s_or_b64 s[4:5], s[4:5], s[8:9]
	s_or_b64 exec, exec, s[6:7]
	s_and_saveexec_b64 s[6:7], s[4:5]
	s_cbranch_execz .LBB2_29099
; %bb.51031:
	s_getpc_b64 s[14:15]
.Lpost_getpc29099:
	s_add_u32 s14, s14, (.LBB2_855-.Lpost_getpc29099)&4294967295
	s_addc_u32 s15, s15, (.LBB2_855-.Lpost_getpc29099)>>32
	s_setpc_b64 s[14:15]
.LBB2_29099:
	s_getpc_b64 s[14:15]
.Lpost_getpc18133:
	s_add_u32 s14, s14, (.LBB2_856-.Lpost_getpc18133)&4294967295
	s_addc_u32 s15, s15, (.LBB2_856-.Lpost_getpc18133)>>32
	s_setpc_b64 s[14:15]
.LBB2_15193:
	s_movk_i32 s4, 0x80
	v_cmp_eq_u16_sdwa s[12:13], v8, s4 src0_sel:BYTE_3 src1_sel:DWORD
	s_mov_b64 s[4:5], -1
                                        ; implicit-def: $sgpr10
	s_and_saveexec_b64 s[8:9], s[12:13]
; %bb.15194:
	s_mov_b32 s10, 0x7f800001
	s_xor_b64 s[4:5], exec, -1
; %bb.15195:
	s_or_b64 exec, exec, s[8:9]
	s_and_b64 s[4:5], s[4:5], exec
	s_or_saveexec_b64 s[6:7], s[6:7]
	v_mov_b32_e32 v2, s10
	s_xor_b64 exec, exec, s[6:7]
	s_cbranch_execnz .LBB2_15196
; %bb.51033:
	s_getpc_b64 s[14:15]
.Lpost_getpc29100:
	s_add_u32 s14, s14, (.LBB2_858-.Lpost_getpc29100)&4294967295
	s_addc_u32 s15, s15, (.LBB2_858-.Lpost_getpc29100)>>32
	s_setpc_b64 s[14:15]
.LBB2_15196:
	v_mov_b32_e32 v2, 0
	v_cmp_ne_u16_sdwa s[8:9], v8, v2 src0_sel:BYTE_3 src1_sel:DWORD
	s_andn2_b64 s[4:5], s[4:5], exec
	s_and_b64 s[8:9], s[8:9], exec
	s_or_b64 s[4:5], s[4:5], s[8:9]
	s_or_b64 exec, exec, s[6:7]
	s_and_saveexec_b64 s[6:7], s[4:5]
	s_cbranch_execz .LBB2_29101
; %bb.51035:
	s_getpc_b64 s[14:15]
.Lpost_getpc29101:
	s_add_u32 s14, s14, (.LBB2_859-.Lpost_getpc29101)&4294967295
	s_addc_u32 s15, s15, (.LBB2_859-.Lpost_getpc29101)>>32
	s_setpc_b64 s[14:15]
.LBB2_29101:
	s_getpc_b64 s[14:15]
.Lpost_getpc18134:
	s_add_u32 s14, s14, (.LBB2_860-.Lpost_getpc18134)&4294967295
	s_addc_u32 s15, s15, (.LBB2_860-.Lpost_getpc18134)>>32
	s_setpc_b64 s[14:15]
.LBB2_15197:
	s_movk_i32 s4, 0x80
	v_cmp_eq_u16_sdwa s[12:13], v4, s4 src0_sel:BYTE_3 src1_sel:DWORD
	s_mov_b64 s[4:5], -1
                                        ; implicit-def: $sgpr10
	s_and_saveexec_b64 s[8:9], s[12:13]
; %bb.15198:
	s_mov_b32 s10, 0x7f800001
	s_xor_b64 s[4:5], exec, -1
; %bb.15199:
	s_or_b64 exec, exec, s[8:9]
	s_and_b64 s[4:5], s[4:5], exec
	s_or_saveexec_b64 s[6:7], s[6:7]
	v_mov_b32_e32 v3, s10
	s_xor_b64 exec, exec, s[6:7]
	s_cbranch_execnz .LBB2_15200
; %bb.51037:
	s_getpc_b64 s[14:15]
.Lpost_getpc29102:
	s_add_u32 s14, s14, (.LBB2_862-.Lpost_getpc29102)&4294967295
	s_addc_u32 s15, s15, (.LBB2_862-.Lpost_getpc29102)>>32
	s_setpc_b64 s[14:15]
.LBB2_15200:
	v_mov_b32_e32 v3, 0
	v_cmp_ne_u16_sdwa s[8:9], v4, v3 src0_sel:BYTE_3 src1_sel:DWORD
	s_andn2_b64 s[4:5], s[4:5], exec
	s_and_b64 s[8:9], s[8:9], exec
	s_or_b64 s[4:5], s[4:5], s[8:9]
	s_or_b64 exec, exec, s[6:7]
	s_and_saveexec_b64 s[6:7], s[4:5]
	s_cbranch_execz .LBB2_29103
; %bb.51039:
	s_getpc_b64 s[14:15]
.Lpost_getpc29103:
	s_add_u32 s14, s14, (.LBB2_863-.Lpost_getpc29103)&4294967295
	s_addc_u32 s15, s15, (.LBB2_863-.Lpost_getpc29103)>>32
	s_setpc_b64 s[14:15]
.LBB2_29103:
	s_getpc_b64 s[14:15]
.Lpost_getpc18135:
	s_add_u32 s14, s14, (.LBB2_864-.Lpost_getpc18135)&4294967295
	s_addc_u32 s15, s15, (.LBB2_864-.Lpost_getpc18135)>>32
	s_setpc_b64 s[14:15]
.LBB2_15201:
	s_movk_i32 s4, 0x80
	v_cmp_eq_u16_sdwa s[12:13], v9, s4 src0_sel:BYTE_0 src1_sel:DWORD
	s_mov_b64 s[4:5], -1
                                        ; implicit-def: $sgpr10
	s_and_saveexec_b64 s[8:9], s[12:13]
; %bb.15202:
	s_mov_b32 s10, 0x7f800001
	s_xor_b64 s[4:5], exec, -1
; %bb.15203:
	s_or_b64 exec, exec, s[8:9]
	s_and_b64 s[4:5], s[4:5], exec
	s_or_saveexec_b64 s[6:7], s[6:7]
	v_mov_b32_e32 v2, s10
	s_xor_b64 exec, exec, s[6:7]
	s_cbranch_execnz .LBB2_15204
; %bb.51041:
	s_getpc_b64 s[14:15]
.Lpost_getpc29104:
	s_add_u32 s14, s14, (.LBB2_866-.Lpost_getpc29104)&4294967295
	s_addc_u32 s15, s15, (.LBB2_866-.Lpost_getpc29104)>>32
	s_setpc_b64 s[14:15]
.LBB2_15204:
	v_mov_b32_e32 v2, 0
	v_cmp_ne_u16_sdwa s[8:9], v9, v2 src0_sel:BYTE_0 src1_sel:DWORD
	s_andn2_b64 s[4:5], s[4:5], exec
	s_and_b64 s[8:9], s[8:9], exec
	s_or_b64 s[4:5], s[4:5], s[8:9]
	s_or_b64 exec, exec, s[6:7]
	s_and_saveexec_b64 s[6:7], s[4:5]
	s_cbranch_execz .LBB2_29105
; %bb.51043:
	s_getpc_b64 s[14:15]
.Lpost_getpc29105:
	s_add_u32 s14, s14, (.LBB2_867-.Lpost_getpc29105)&4294967295
	s_addc_u32 s15, s15, (.LBB2_867-.Lpost_getpc29105)>>32
	s_setpc_b64 s[14:15]
.LBB2_29105:
	s_getpc_b64 s[14:15]
.Lpost_getpc18136:
	s_add_u32 s14, s14, (.LBB2_868-.Lpost_getpc18136)&4294967295
	s_addc_u32 s15, s15, (.LBB2_868-.Lpost_getpc18136)>>32
	s_setpc_b64 s[14:15]
.LBB2_15205:
	s_movk_i32 s4, 0x80
	v_cmp_eq_u16_sdwa s[12:13], v5, s4 src0_sel:BYTE_0 src1_sel:DWORD
	s_mov_b64 s[4:5], -1
                                        ; implicit-def: $sgpr10
	s_and_saveexec_b64 s[8:9], s[12:13]
; %bb.15206:
	s_mov_b32 s10, 0x7f800001
	s_xor_b64 s[4:5], exec, -1
; %bb.15207:
	s_or_b64 exec, exec, s[8:9]
	s_and_b64 s[4:5], s[4:5], exec
	s_or_saveexec_b64 s[6:7], s[6:7]
	v_mov_b32_e32 v3, s10
	s_xor_b64 exec, exec, s[6:7]
	s_cbranch_execnz .LBB2_15208
; %bb.51045:
	s_getpc_b64 s[14:15]
.Lpost_getpc29106:
	s_add_u32 s14, s14, (.LBB2_870-.Lpost_getpc29106)&4294967295
	s_addc_u32 s15, s15, (.LBB2_870-.Lpost_getpc29106)>>32
	s_setpc_b64 s[14:15]
.LBB2_15208:
	v_mov_b32_e32 v3, 0
	v_cmp_ne_u16_sdwa s[8:9], v5, v3 src0_sel:BYTE_0 src1_sel:DWORD
	s_andn2_b64 s[4:5], s[4:5], exec
	s_and_b64 s[8:9], s[8:9], exec
	s_or_b64 s[4:5], s[4:5], s[8:9]
	s_or_b64 exec, exec, s[6:7]
	s_and_saveexec_b64 s[6:7], s[4:5]
	s_cbranch_execz .LBB2_29107
; %bb.51047:
	s_getpc_b64 s[14:15]
.Lpost_getpc29107:
	s_add_u32 s14, s14, (.LBB2_871-.Lpost_getpc29107)&4294967295
	s_addc_u32 s15, s15, (.LBB2_871-.Lpost_getpc29107)>>32
	s_setpc_b64 s[14:15]
.LBB2_29107:
	s_getpc_b64 s[14:15]
.Lpost_getpc18137:
	s_add_u32 s14, s14, (.LBB2_872-.Lpost_getpc18137)&4294967295
	s_addc_u32 s15, s15, (.LBB2_872-.Lpost_getpc18137)>>32
	s_setpc_b64 s[14:15]
.LBB2_15209:
	s_movk_i32 s4, 0x80
	v_cmp_eq_u16_sdwa s[12:13], v3, s4 src0_sel:BYTE_0 src1_sel:DWORD
	s_mov_b64 s[4:5], -1
                                        ; implicit-def: $sgpr10
	s_and_saveexec_b64 s[8:9], s[12:13]
; %bb.15210:
	s_mov_b32 s10, 0x7f800001
	s_xor_b64 s[4:5], exec, -1
; %bb.15211:
	s_or_b64 exec, exec, s[8:9]
	s_and_b64 s[4:5], s[4:5], exec
	s_or_saveexec_b64 s[6:7], s[6:7]
	v_mov_b32_e32 v2, s10
	s_xor_b64 exec, exec, s[6:7]
	s_cbranch_execnz .LBB2_15212
; %bb.51049:
	s_getpc_b64 s[14:15]
.Lpost_getpc29108:
	s_add_u32 s14, s14, (.LBB2_874-.Lpost_getpc29108)&4294967295
	s_addc_u32 s15, s15, (.LBB2_874-.Lpost_getpc29108)>>32
	s_setpc_b64 s[14:15]
.LBB2_15212:
	v_mov_b32_e32 v2, 0
	v_cmp_ne_u16_sdwa s[8:9], v3, v2 src0_sel:BYTE_0 src1_sel:DWORD
	s_andn2_b64 s[4:5], s[4:5], exec
	s_and_b64 s[8:9], s[8:9], exec
	s_or_b64 s[4:5], s[4:5], s[8:9]
	s_or_b64 exec, exec, s[6:7]
	s_and_saveexec_b64 s[6:7], s[4:5]
	s_cbranch_execz .LBB2_29109
; %bb.51051:
	s_getpc_b64 s[14:15]
.Lpost_getpc29109:
	s_add_u32 s14, s14, (.LBB2_875-.Lpost_getpc29109)&4294967295
	s_addc_u32 s15, s15, (.LBB2_875-.Lpost_getpc29109)>>32
	s_setpc_b64 s[14:15]
.LBB2_29109:
	s_getpc_b64 s[14:15]
.Lpost_getpc18138:
	s_add_u32 s14, s14, (.LBB2_876-.Lpost_getpc18138)&4294967295
	s_addc_u32 s15, s15, (.LBB2_876-.Lpost_getpc18138)>>32
	s_setpc_b64 s[14:15]
.LBB2_15213:
	s_movk_i32 s4, 0x80
	v_cmp_eq_u16_sdwa s[12:13], v3, s4 src0_sel:BYTE_0 src1_sel:DWORD
	s_mov_b64 s[4:5], -1
                                        ; implicit-def: $sgpr10
	s_and_saveexec_b64 s[8:9], s[12:13]
; %bb.15214:
	s_mov_b32 s10, 0x7f800001
	s_xor_b64 s[4:5], exec, -1
; %bb.15215:
	s_or_b64 exec, exec, s[8:9]
	s_and_b64 s[4:5], s[4:5], exec
	s_or_saveexec_b64 s[6:7], s[6:7]
	v_mov_b32_e32 v4, s10
	s_xor_b64 exec, exec, s[6:7]
	s_cbranch_execnz .LBB2_15216
; %bb.51053:
	s_getpc_b64 s[14:15]
.Lpost_getpc29110:
	s_add_u32 s14, s14, (.LBB2_878-.Lpost_getpc29110)&4294967295
	s_addc_u32 s15, s15, (.LBB2_878-.Lpost_getpc29110)>>32
	s_setpc_b64 s[14:15]
.LBB2_15216:
	v_mov_b32_e32 v4, 0
	v_cmp_ne_u16_sdwa s[8:9], v3, v4 src0_sel:BYTE_0 src1_sel:DWORD
	s_andn2_b64 s[4:5], s[4:5], exec
	s_and_b64 s[8:9], s[8:9], exec
	s_or_b64 s[4:5], s[4:5], s[8:9]
	s_or_b64 exec, exec, s[6:7]
	s_and_saveexec_b64 s[6:7], s[4:5]
	s_cbranch_execz .LBB2_29111
; %bb.51055:
	s_getpc_b64 s[14:15]
.Lpost_getpc29111:
	s_add_u32 s14, s14, (.LBB2_879-.Lpost_getpc29111)&4294967295
	s_addc_u32 s15, s15, (.LBB2_879-.Lpost_getpc29111)>>32
	s_setpc_b64 s[14:15]
.LBB2_29111:
	s_getpc_b64 s[14:15]
.Lpost_getpc18139:
	s_add_u32 s14, s14, (.LBB2_880-.Lpost_getpc18139)&4294967295
	s_addc_u32 s15, s15, (.LBB2_880-.Lpost_getpc18139)>>32
	s_setpc_b64 s[14:15]
.LBB2_15217:
	s_movk_i32 s4, 0x80
	v_cmp_eq_u16_e32 vcc, s4, v3
	s_mov_b64 s[4:5], -1
                                        ; implicit-def: $sgpr10
	s_and_saveexec_b64 s[8:9], vcc
; %bb.15218:
	s_mov_b32 s10, 0x7f800001
	s_xor_b64 s[4:5], exec, -1
; %bb.15219:
	s_or_b64 exec, exec, s[8:9]
	s_and_b64 s[4:5], s[4:5], exec
                                        ; implicit-def: $vgpr3
	s_or_saveexec_b64 s[6:7], s[6:7]
	v_mov_b32_e32 v2, s10
	s_xor_b64 exec, exec, s[6:7]
	s_cbranch_execnz .LBB2_15220
; %bb.51057:
	s_getpc_b64 s[14:15]
.Lpost_getpc29112:
	s_add_u32 s14, s14, (.LBB2_882-.Lpost_getpc29112)&4294967295
	s_addc_u32 s15, s15, (.LBB2_882-.Lpost_getpc29112)>>32
	s_setpc_b64 s[14:15]
.LBB2_15220:
	v_cmp_ne_u16_e32 vcc, 0, v3
	s_andn2_b64 s[4:5], s[4:5], exec
	s_and_b64 s[8:9], vcc, exec
	v_mov_b32_e32 v2, 0
	s_or_b64 s[4:5], s[4:5], s[8:9]
	s_or_b64 exec, exec, s[6:7]
	s_and_saveexec_b64 s[6:7], s[4:5]
	s_cbranch_execz .LBB2_29113
; %bb.51059:
	s_getpc_b64 s[14:15]
.Lpost_getpc29113:
	s_add_u32 s14, s14, (.LBB2_883-.Lpost_getpc29113)&4294967295
	s_addc_u32 s15, s15, (.LBB2_883-.Lpost_getpc29113)>>32
	s_setpc_b64 s[14:15]
.LBB2_29113:
	s_getpc_b64 s[14:15]
.Lpost_getpc18140:
	s_add_u32 s14, s14, (.LBB2_884-.Lpost_getpc18140)&4294967295
	s_addc_u32 s15, s15, (.LBB2_884-.Lpost_getpc18140)>>32
	s_setpc_b64 s[14:15]
.LBB2_15221:
	s_movk_i32 s4, 0x80
	v_cmp_eq_u16_e32 vcc, s4, v3
	s_mov_b64 s[4:5], -1
                                        ; implicit-def: $sgpr10
	s_and_saveexec_b64 s[8:9], vcc
; %bb.15222:
	s_mov_b32 s10, 0x7f800001
	s_xor_b64 s[4:5], exec, -1
; %bb.15223:
	s_or_b64 exec, exec, s[8:9]
	s_and_b64 s[4:5], s[4:5], exec
                                        ; implicit-def: $vgpr3
	s_or_saveexec_b64 s[6:7], s[6:7]
	v_mov_b32_e32 v4, s10
	s_xor_b64 exec, exec, s[6:7]
	s_cbranch_execnz .LBB2_15224
; %bb.51061:
	s_getpc_b64 s[14:15]
.Lpost_getpc29114:
	s_add_u32 s14, s14, (.LBB2_886-.Lpost_getpc29114)&4294967295
	s_addc_u32 s15, s15, (.LBB2_886-.Lpost_getpc29114)>>32
	s_setpc_b64 s[14:15]
.LBB2_15224:
	v_cmp_ne_u16_e32 vcc, 0, v3
	s_andn2_b64 s[4:5], s[4:5], exec
	s_and_b64 s[8:9], vcc, exec
	v_mov_b32_e32 v4, 0
	s_or_b64 s[4:5], s[4:5], s[8:9]
	s_or_b64 exec, exec, s[6:7]
	s_and_saveexec_b64 s[6:7], s[4:5]
	s_cbranch_execz .LBB2_29115
; %bb.51063:
	s_getpc_b64 s[14:15]
.Lpost_getpc29115:
	s_add_u32 s14, s14, (.LBB2_887-.Lpost_getpc29115)&4294967295
	s_addc_u32 s15, s15, (.LBB2_887-.Lpost_getpc29115)>>32
	s_setpc_b64 s[14:15]
.LBB2_29115:
	s_getpc_b64 s[14:15]
.Lpost_getpc18141:
	s_add_u32 s14, s14, (.LBB2_888-.Lpost_getpc18141)&4294967295
	s_addc_u32 s15, s15, (.LBB2_888-.Lpost_getpc18141)>>32
	s_setpc_b64 s[14:15]
.LBB2_15225:
	s_movk_i32 s4, 0x80
	v_cmp_eq_u16_sdwa s[12:13], v9, s4 src0_sel:BYTE_3 src1_sel:DWORD
	s_mov_b64 s[4:5], -1
                                        ; implicit-def: $sgpr10
	s_and_saveexec_b64 s[8:9], s[12:13]
; %bb.15226:
	s_mov_b32 s10, 0x7f800001
	s_xor_b64 s[4:5], exec, -1
; %bb.15227:
	s_or_b64 exec, exec, s[8:9]
	s_and_b64 s[4:5], s[4:5], exec
	s_or_saveexec_b64 s[6:7], s[6:7]
	v_mov_b32_e32 v2, s10
	s_xor_b64 exec, exec, s[6:7]
	s_cbranch_execnz .LBB2_15228
; %bb.51065:
	s_getpc_b64 s[14:15]
.Lpost_getpc29116:
	s_add_u32 s14, s14, (.LBB2_890-.Lpost_getpc29116)&4294967295
	s_addc_u32 s15, s15, (.LBB2_890-.Lpost_getpc29116)>>32
	s_setpc_b64 s[14:15]
.LBB2_15228:
	v_mov_b32_e32 v2, 0
	v_cmp_ne_u16_sdwa s[8:9], v9, v2 src0_sel:BYTE_3 src1_sel:DWORD
	s_andn2_b64 s[4:5], s[4:5], exec
	s_and_b64 s[8:9], s[8:9], exec
	s_or_b64 s[4:5], s[4:5], s[8:9]
	s_or_b64 exec, exec, s[6:7]
	s_and_saveexec_b64 s[6:7], s[4:5]
	s_cbranch_execz .LBB2_29117
; %bb.51067:
	s_getpc_b64 s[14:15]
.Lpost_getpc29117:
	s_add_u32 s14, s14, (.LBB2_891-.Lpost_getpc29117)&4294967295
	s_addc_u32 s15, s15, (.LBB2_891-.Lpost_getpc29117)>>32
	s_setpc_b64 s[14:15]
.LBB2_29117:
	s_getpc_b64 s[14:15]
.Lpost_getpc18142:
	s_add_u32 s14, s14, (.LBB2_892-.Lpost_getpc18142)&4294967295
	s_addc_u32 s15, s15, (.LBB2_892-.Lpost_getpc18142)>>32
	s_setpc_b64 s[14:15]
.LBB2_15229:
	s_movk_i32 s4, 0x80
	v_cmp_eq_u16_sdwa s[12:13], v5, s4 src0_sel:BYTE_3 src1_sel:DWORD
	s_mov_b64 s[4:5], -1
                                        ; implicit-def: $sgpr10
	s_and_saveexec_b64 s[8:9], s[12:13]
; %bb.15230:
	s_mov_b32 s10, 0x7f800001
	s_xor_b64 s[4:5], exec, -1
; %bb.15231:
	s_or_b64 exec, exec, s[8:9]
	s_and_b64 s[4:5], s[4:5], exec
	s_or_saveexec_b64 s[6:7], s[6:7]
	v_mov_b32_e32 v3, s10
	s_xor_b64 exec, exec, s[6:7]
	s_cbranch_execnz .LBB2_15232
; %bb.51069:
	s_getpc_b64 s[14:15]
.Lpost_getpc29118:
	s_add_u32 s14, s14, (.LBB2_894-.Lpost_getpc29118)&4294967295
	s_addc_u32 s15, s15, (.LBB2_894-.Lpost_getpc29118)>>32
	s_setpc_b64 s[14:15]
.LBB2_15232:
	v_mov_b32_e32 v3, 0
	v_cmp_ne_u16_sdwa s[8:9], v5, v3 src0_sel:BYTE_3 src1_sel:DWORD
	s_andn2_b64 s[4:5], s[4:5], exec
	s_and_b64 s[8:9], s[8:9], exec
	s_or_b64 s[4:5], s[4:5], s[8:9]
	s_or_b64 exec, exec, s[6:7]
	s_and_saveexec_b64 s[6:7], s[4:5]
	s_cbranch_execz .LBB2_29119
; %bb.51071:
	s_getpc_b64 s[14:15]
.Lpost_getpc29119:
	s_add_u32 s14, s14, (.LBB2_895-.Lpost_getpc29119)&4294967295
	s_addc_u32 s15, s15, (.LBB2_895-.Lpost_getpc29119)>>32
	s_setpc_b64 s[14:15]
.LBB2_29119:
	s_getpc_b64 s[14:15]
.Lpost_getpc18143:
	s_add_u32 s14, s14, (.LBB2_896-.Lpost_getpc18143)&4294967295
	s_addc_u32 s15, s15, (.LBB2_896-.Lpost_getpc18143)>>32
	s_setpc_b64 s[14:15]
.LBB2_15233:
	s_movk_i32 s4, 0x80
	v_cmp_eq_u16_sdwa s[12:13], v6, s4 src0_sel:BYTE_0 src1_sel:DWORD
	s_mov_b64 s[4:5], -1
                                        ; implicit-def: $sgpr10
	s_and_saveexec_b64 s[8:9], s[12:13]
; %bb.15234:
	s_mov_b32 s10, 0x7f800001
	s_xor_b64 s[4:5], exec, -1
; %bb.15235:
	s_or_b64 exec, exec, s[8:9]
	s_and_b64 s[4:5], s[4:5], exec
	s_or_saveexec_b64 s[6:7], s[6:7]
	v_mov_b32_e32 v12, s10
	s_xor_b64 exec, exec, s[6:7]
	s_cbranch_execnz .LBB2_15236
; %bb.51073:
	s_getpc_b64 s[14:15]
.Lpost_getpc29120:
	s_add_u32 s14, s14, (.LBB2_898-.Lpost_getpc29120)&4294967295
	s_addc_u32 s15, s15, (.LBB2_898-.Lpost_getpc29120)>>32
	s_setpc_b64 s[14:15]
.LBB2_15236:
	v_mov_b32_e32 v12, 0
	v_cmp_ne_u16_sdwa s[8:9], v6, v12 src0_sel:BYTE_0 src1_sel:DWORD
	s_andn2_b64 s[4:5], s[4:5], exec
	s_and_b64 s[8:9], s[8:9], exec
	s_or_b64 s[4:5], s[4:5], s[8:9]
	s_or_b64 exec, exec, s[6:7]
	s_and_saveexec_b64 s[6:7], s[4:5]
	s_cbranch_execz .LBB2_29121
; %bb.51075:
	s_getpc_b64 s[14:15]
.Lpost_getpc29121:
	s_add_u32 s14, s14, (.LBB2_899-.Lpost_getpc29121)&4294967295
	s_addc_u32 s15, s15, (.LBB2_899-.Lpost_getpc29121)>>32
	s_setpc_b64 s[14:15]
.LBB2_29121:
	s_getpc_b64 s[14:15]
.Lpost_getpc18144:
	s_add_u32 s14, s14, (.LBB2_900-.Lpost_getpc18144)&4294967295
	s_addc_u32 s15, s15, (.LBB2_900-.Lpost_getpc18144)>>32
	s_setpc_b64 s[14:15]
.LBB2_15237:
	s_movk_i32 s4, 0x80
	v_cmp_eq_u16_sdwa s[12:13], v2, s4 src0_sel:BYTE_0 src1_sel:DWORD
	s_mov_b64 s[4:5], -1
                                        ; implicit-def: $sgpr10
	s_and_saveexec_b64 s[8:9], s[12:13]
; %bb.15238:
	s_mov_b32 s10, 0x7f800001
	s_xor_b64 s[4:5], exec, -1
; %bb.15239:
	s_or_b64 exec, exec, s[8:9]
	s_and_b64 s[4:5], s[4:5], exec
	s_or_saveexec_b64 s[6:7], s[6:7]
	v_mov_b32_e32 v13, s10
	s_xor_b64 exec, exec, s[6:7]
	s_cbranch_execnz .LBB2_15240
; %bb.51077:
	s_getpc_b64 s[14:15]
.Lpost_getpc29122:
	s_add_u32 s14, s14, (.LBB2_902-.Lpost_getpc29122)&4294967295
	s_addc_u32 s15, s15, (.LBB2_902-.Lpost_getpc29122)>>32
	s_setpc_b64 s[14:15]
.LBB2_15240:
	v_mov_b32_e32 v13, 0
	v_cmp_ne_u16_sdwa s[8:9], v2, v13 src0_sel:BYTE_0 src1_sel:DWORD
	s_andn2_b64 s[4:5], s[4:5], exec
	s_and_b64 s[8:9], s[8:9], exec
	s_or_b64 s[4:5], s[4:5], s[8:9]
	s_or_b64 exec, exec, s[6:7]
	s_and_saveexec_b64 s[6:7], s[4:5]
	s_cbranch_execz .LBB2_29123
; %bb.51079:
	s_getpc_b64 s[14:15]
.Lpost_getpc29123:
	s_add_u32 s14, s14, (.LBB2_903-.Lpost_getpc29123)&4294967295
	s_addc_u32 s15, s15, (.LBB2_903-.Lpost_getpc29123)>>32
	s_setpc_b64 s[14:15]
.LBB2_29123:
	s_getpc_b64 s[14:15]
.Lpost_getpc18145:
	s_add_u32 s14, s14, (.LBB2_904-.Lpost_getpc18145)&4294967295
	s_addc_u32 s15, s15, (.LBB2_904-.Lpost_getpc18145)>>32
	s_setpc_b64 s[14:15]
.LBB2_15241:
	s_movk_i32 s4, 0x80
	v_cmp_eq_u16_sdwa s[12:13], v13, s4 src0_sel:BYTE_0 src1_sel:DWORD
	s_mov_b64 s[4:5], -1
                                        ; implicit-def: $sgpr10
	s_and_saveexec_b64 s[8:9], s[12:13]
; %bb.15242:
	s_mov_b32 s10, 0x7f800001
	s_xor_b64 s[4:5], exec, -1
; %bb.15243:
	s_or_b64 exec, exec, s[8:9]
	s_and_b64 s[4:5], s[4:5], exec
	s_or_saveexec_b64 s[6:7], s[6:7]
	v_mov_b32_e32 v12, s10
	s_xor_b64 exec, exec, s[6:7]
	s_cbranch_execnz .LBB2_15244
; %bb.51081:
	s_getpc_b64 s[14:15]
.Lpost_getpc29124:
	s_add_u32 s14, s14, (.LBB2_906-.Lpost_getpc29124)&4294967295
	s_addc_u32 s15, s15, (.LBB2_906-.Lpost_getpc29124)>>32
	s_setpc_b64 s[14:15]
.LBB2_15244:
	v_mov_b32_e32 v12, 0
	v_cmp_ne_u16_sdwa s[8:9], v13, v12 src0_sel:BYTE_0 src1_sel:DWORD
	s_andn2_b64 s[4:5], s[4:5], exec
	s_and_b64 s[8:9], s[8:9], exec
	s_or_b64 s[4:5], s[4:5], s[8:9]
	s_or_b64 exec, exec, s[6:7]
	s_and_saveexec_b64 s[6:7], s[4:5]
	s_cbranch_execz .LBB2_29125
; %bb.51083:
	s_getpc_b64 s[14:15]
.Lpost_getpc29125:
	s_add_u32 s14, s14, (.LBB2_907-.Lpost_getpc29125)&4294967295
	s_addc_u32 s15, s15, (.LBB2_907-.Lpost_getpc29125)>>32
	s_setpc_b64 s[14:15]
.LBB2_29125:
	s_getpc_b64 s[14:15]
.Lpost_getpc18146:
	s_add_u32 s14, s14, (.LBB2_908-.Lpost_getpc18146)&4294967295
	s_addc_u32 s15, s15, (.LBB2_908-.Lpost_getpc18146)>>32
	s_setpc_b64 s[14:15]
.LBB2_15245:
	s_movk_i32 s4, 0x80
	v_cmp_eq_u16_sdwa s[12:13], v13, s4 src0_sel:BYTE_0 src1_sel:DWORD
	s_mov_b64 s[4:5], -1
                                        ; implicit-def: $sgpr10
	s_and_saveexec_b64 s[8:9], s[12:13]
; %bb.15246:
	s_mov_b32 s10, 0x7f800001
	s_xor_b64 s[4:5], exec, -1
; %bb.15247:
	s_or_b64 exec, exec, s[8:9]
	s_and_b64 s[4:5], s[4:5], exec
	s_or_saveexec_b64 s[6:7], s[6:7]
	v_mov_b32_e32 v14, s10
	s_xor_b64 exec, exec, s[6:7]
	s_cbranch_execnz .LBB2_15248
; %bb.51085:
	s_getpc_b64 s[14:15]
.Lpost_getpc29126:
	s_add_u32 s14, s14, (.LBB2_910-.Lpost_getpc29126)&4294967295
	s_addc_u32 s15, s15, (.LBB2_910-.Lpost_getpc29126)>>32
	s_setpc_b64 s[14:15]
.LBB2_15248:
	v_mov_b32_e32 v14, 0
	v_cmp_ne_u16_sdwa s[8:9], v13, v14 src0_sel:BYTE_0 src1_sel:DWORD
	s_andn2_b64 s[4:5], s[4:5], exec
	s_and_b64 s[8:9], s[8:9], exec
	s_or_b64 s[4:5], s[4:5], s[8:9]
	s_or_b64 exec, exec, s[6:7]
	s_and_saveexec_b64 s[6:7], s[4:5]
	s_cbranch_execz .LBB2_29127
; %bb.51087:
	s_getpc_b64 s[14:15]
.Lpost_getpc29127:
	s_add_u32 s14, s14, (.LBB2_911-.Lpost_getpc29127)&4294967295
	s_addc_u32 s15, s15, (.LBB2_911-.Lpost_getpc29127)>>32
	s_setpc_b64 s[14:15]
.LBB2_29127:
	s_getpc_b64 s[14:15]
.Lpost_getpc18147:
	s_add_u32 s14, s14, (.LBB2_912-.Lpost_getpc18147)&4294967295
	s_addc_u32 s15, s15, (.LBB2_912-.Lpost_getpc18147)>>32
	s_setpc_b64 s[14:15]
.LBB2_15249:
	s_movk_i32 s4, 0x80
	v_cmp_eq_u16_e32 vcc, s4, v13
	s_mov_b64 s[4:5], -1
                                        ; implicit-def: $sgpr10
	s_and_saveexec_b64 s[8:9], vcc
; %bb.15250:
	s_mov_b32 s10, 0x7f800001
	s_xor_b64 s[4:5], exec, -1
; %bb.15251:
	s_or_b64 exec, exec, s[8:9]
	s_and_b64 s[4:5], s[4:5], exec
                                        ; implicit-def: $vgpr13
	s_or_saveexec_b64 s[6:7], s[6:7]
	v_mov_b32_e32 v12, s10
	s_xor_b64 exec, exec, s[6:7]
	s_cbranch_execnz .LBB2_15252
; %bb.51089:
	s_getpc_b64 s[14:15]
.Lpost_getpc29128:
	s_add_u32 s14, s14, (.LBB2_914-.Lpost_getpc29128)&4294967295
	s_addc_u32 s15, s15, (.LBB2_914-.Lpost_getpc29128)>>32
	s_setpc_b64 s[14:15]
.LBB2_15252:
	v_cmp_ne_u16_e32 vcc, 0, v13
	s_andn2_b64 s[4:5], s[4:5], exec
	s_and_b64 s[8:9], vcc, exec
	v_mov_b32_e32 v12, 0
	s_or_b64 s[4:5], s[4:5], s[8:9]
	s_or_b64 exec, exec, s[6:7]
	s_and_saveexec_b64 s[6:7], s[4:5]
	s_cbranch_execz .LBB2_29129
; %bb.51091:
	s_getpc_b64 s[14:15]
.Lpost_getpc29129:
	s_add_u32 s14, s14, (.LBB2_915-.Lpost_getpc29129)&4294967295
	s_addc_u32 s15, s15, (.LBB2_915-.Lpost_getpc29129)>>32
	s_setpc_b64 s[14:15]
.LBB2_29129:
	s_getpc_b64 s[14:15]
.Lpost_getpc18148:
	s_add_u32 s14, s14, (.LBB2_916-.Lpost_getpc18148)&4294967295
	s_addc_u32 s15, s15, (.LBB2_916-.Lpost_getpc18148)>>32
	s_setpc_b64 s[14:15]
.LBB2_15253:
	s_movk_i32 s4, 0x80
	v_cmp_eq_u16_e32 vcc, s4, v13
	s_mov_b64 s[4:5], -1
                                        ; implicit-def: $sgpr10
	s_and_saveexec_b64 s[8:9], vcc
; %bb.15254:
	s_mov_b32 s10, 0x7f800001
	s_xor_b64 s[4:5], exec, -1
; %bb.15255:
	s_or_b64 exec, exec, s[8:9]
	s_and_b64 s[4:5], s[4:5], exec
                                        ; implicit-def: $vgpr13
	s_or_saveexec_b64 s[6:7], s[6:7]
	v_mov_b32_e32 v14, s10
	s_xor_b64 exec, exec, s[6:7]
	s_cbranch_execnz .LBB2_15256
; %bb.51093:
	s_getpc_b64 s[14:15]
.Lpost_getpc29130:
	s_add_u32 s14, s14, (.LBB2_918-.Lpost_getpc29130)&4294967295
	s_addc_u32 s15, s15, (.LBB2_918-.Lpost_getpc29130)>>32
	s_setpc_b64 s[14:15]
.LBB2_15256:
	v_cmp_ne_u16_e32 vcc, 0, v13
	s_andn2_b64 s[4:5], s[4:5], exec
	s_and_b64 s[8:9], vcc, exec
	v_mov_b32_e32 v14, 0
	s_or_b64 s[4:5], s[4:5], s[8:9]
	s_or_b64 exec, exec, s[6:7]
	s_and_saveexec_b64 s[6:7], s[4:5]
	s_cbranch_execz .LBB2_29131
; %bb.51095:
	s_getpc_b64 s[14:15]
.Lpost_getpc29131:
	s_add_u32 s14, s14, (.LBB2_919-.Lpost_getpc29131)&4294967295
	s_addc_u32 s15, s15, (.LBB2_919-.Lpost_getpc29131)>>32
	s_setpc_b64 s[14:15]
.LBB2_29131:
	s_getpc_b64 s[14:15]
.Lpost_getpc18149:
	s_add_u32 s14, s14, (.LBB2_920-.Lpost_getpc18149)&4294967295
	s_addc_u32 s15, s15, (.LBB2_920-.Lpost_getpc18149)>>32
	s_setpc_b64 s[14:15]
.LBB2_15257:
	s_movk_i32 s4, 0x80
	v_cmp_eq_u16_sdwa s[12:13], v6, s4 src0_sel:BYTE_3 src1_sel:DWORD
	s_mov_b64 s[4:5], -1
                                        ; implicit-def: $sgpr10
	s_and_saveexec_b64 s[8:9], s[12:13]
; %bb.15258:
	s_mov_b32 s10, 0x7f800001
	s_xor_b64 s[4:5], exec, -1
; %bb.15259:
	s_or_b64 exec, exec, s[8:9]
	s_and_b64 s[4:5], s[4:5], exec
	s_or_saveexec_b64 s[6:7], s[6:7]
	v_mov_b32_e32 v12, s10
	s_xor_b64 exec, exec, s[6:7]
	s_cbranch_execnz .LBB2_15260
; %bb.51097:
	s_getpc_b64 s[14:15]
.Lpost_getpc29132:
	s_add_u32 s14, s14, (.LBB2_922-.Lpost_getpc29132)&4294967295
	s_addc_u32 s15, s15, (.LBB2_922-.Lpost_getpc29132)>>32
	s_setpc_b64 s[14:15]
.LBB2_15260:
	v_mov_b32_e32 v12, 0
	v_cmp_ne_u16_sdwa s[8:9], v6, v12 src0_sel:BYTE_3 src1_sel:DWORD
	s_andn2_b64 s[4:5], s[4:5], exec
	s_and_b64 s[8:9], s[8:9], exec
	s_or_b64 s[4:5], s[4:5], s[8:9]
	s_or_b64 exec, exec, s[6:7]
	s_and_saveexec_b64 s[6:7], s[4:5]
	s_cbranch_execz .LBB2_29133
; %bb.51099:
	s_getpc_b64 s[14:15]
.Lpost_getpc29133:
	s_add_u32 s14, s14, (.LBB2_923-.Lpost_getpc29133)&4294967295
	s_addc_u32 s15, s15, (.LBB2_923-.Lpost_getpc29133)>>32
	s_setpc_b64 s[14:15]
.LBB2_29133:
	s_getpc_b64 s[14:15]
.Lpost_getpc18150:
	s_add_u32 s14, s14, (.LBB2_924-.Lpost_getpc18150)&4294967295
	s_addc_u32 s15, s15, (.LBB2_924-.Lpost_getpc18150)>>32
	s_setpc_b64 s[14:15]
.LBB2_15261:
	s_movk_i32 s4, 0x80
	v_cmp_eq_u16_sdwa s[12:13], v2, s4 src0_sel:BYTE_3 src1_sel:DWORD
	s_mov_b64 s[4:5], -1
                                        ; implicit-def: $sgpr10
	s_and_saveexec_b64 s[8:9], s[12:13]
; %bb.15262:
	s_mov_b32 s10, 0x7f800001
	s_xor_b64 s[4:5], exec, -1
; %bb.15263:
	s_or_b64 exec, exec, s[8:9]
	s_and_b64 s[4:5], s[4:5], exec
	s_or_saveexec_b64 s[6:7], s[6:7]
	v_mov_b32_e32 v6, s10
	s_xor_b64 exec, exec, s[6:7]
	s_cbranch_execnz .LBB2_15264
; %bb.51101:
	s_getpc_b64 s[14:15]
.Lpost_getpc29134:
	s_add_u32 s14, s14, (.LBB2_926-.Lpost_getpc29134)&4294967295
	s_addc_u32 s15, s15, (.LBB2_926-.Lpost_getpc29134)>>32
	s_setpc_b64 s[14:15]
.LBB2_15264:
	v_mov_b32_e32 v6, 0
	v_cmp_ne_u16_sdwa s[8:9], v2, v6 src0_sel:BYTE_3 src1_sel:DWORD
	s_andn2_b64 s[4:5], s[4:5], exec
	s_and_b64 s[8:9], s[8:9], exec
	s_or_b64 s[4:5], s[4:5], s[8:9]
	s_or_b64 exec, exec, s[6:7]
	s_and_saveexec_b64 s[6:7], s[4:5]
	s_cbranch_execz .LBB2_29135
; %bb.51103:
	s_getpc_b64 s[14:15]
.Lpost_getpc29135:
	s_add_u32 s14, s14, (.LBB2_927-.Lpost_getpc29135)&4294967295
	s_addc_u32 s15, s15, (.LBB2_927-.Lpost_getpc29135)>>32
	s_setpc_b64 s[14:15]
.LBB2_29135:
	s_getpc_b64 s[14:15]
.Lpost_getpc18151:
	s_add_u32 s14, s14, (.LBB2_928-.Lpost_getpc18151)&4294967295
	s_addc_u32 s15, s15, (.LBB2_928-.Lpost_getpc18151)>>32
	s_setpc_b64 s[14:15]
.LBB2_15265:
	s_movk_i32 s4, 0x80
	v_cmp_eq_u16_sdwa s[12:13], v7, s4 src0_sel:BYTE_0 src1_sel:DWORD
	s_mov_b64 s[4:5], -1
                                        ; implicit-def: $sgpr10
	s_and_saveexec_b64 s[8:9], s[12:13]
; %bb.15266:
	s_mov_b32 s10, 0x7f800001
	s_xor_b64 s[4:5], exec, -1
; %bb.15267:
	s_or_b64 exec, exec, s[8:9]
	s_and_b64 s[4:5], s[4:5], exec
	s_or_saveexec_b64 s[6:7], s[6:7]
	v_mov_b32_e32 v2, s10
	s_xor_b64 exec, exec, s[6:7]
	s_cbranch_execnz .LBB2_15268
; %bb.51105:
	s_getpc_b64 s[14:15]
.Lpost_getpc29136:
	s_add_u32 s14, s14, (.LBB2_930-.Lpost_getpc29136)&4294967295
	s_addc_u32 s15, s15, (.LBB2_930-.Lpost_getpc29136)>>32
	s_setpc_b64 s[14:15]
.LBB2_15268:
	v_mov_b32_e32 v2, 0
	v_cmp_ne_u16_sdwa s[8:9], v7, v2 src0_sel:BYTE_0 src1_sel:DWORD
	s_andn2_b64 s[4:5], s[4:5], exec
	s_and_b64 s[8:9], s[8:9], exec
	s_or_b64 s[4:5], s[4:5], s[8:9]
	s_or_b64 exec, exec, s[6:7]
	s_and_saveexec_b64 s[6:7], s[4:5]
	s_cbranch_execz .LBB2_29137
; %bb.51107:
	s_getpc_b64 s[14:15]
.Lpost_getpc29137:
	s_add_u32 s14, s14, (.LBB2_931-.Lpost_getpc29137)&4294967295
	s_addc_u32 s15, s15, (.LBB2_931-.Lpost_getpc29137)>>32
	s_setpc_b64 s[14:15]
.LBB2_29137:
	s_getpc_b64 s[14:15]
.Lpost_getpc18152:
	s_add_u32 s14, s14, (.LBB2_932-.Lpost_getpc18152)&4294967295
	s_addc_u32 s15, s15, (.LBB2_932-.Lpost_getpc18152)>>32
	s_setpc_b64 s[14:15]
.LBB2_15269:
	s_movk_i32 s4, 0x80
	v_cmp_eq_u16_sdwa s[12:13], v3, s4 src0_sel:BYTE_0 src1_sel:DWORD
	s_mov_b64 s[4:5], -1
                                        ; implicit-def: $sgpr10
	s_and_saveexec_b64 s[8:9], s[12:13]
; %bb.15270:
	s_mov_b32 s10, 0x7f800001
	s_xor_b64 s[4:5], exec, -1
; %bb.15271:
	s_or_b64 exec, exec, s[8:9]
	s_and_b64 s[4:5], s[4:5], exec
	s_or_saveexec_b64 s[6:7], s[6:7]
	v_mov_b32_e32 v6, s10
	s_xor_b64 exec, exec, s[6:7]
	s_cbranch_execnz .LBB2_15272
; %bb.51109:
	s_getpc_b64 s[14:15]
.Lpost_getpc29138:
	s_add_u32 s14, s14, (.LBB2_934-.Lpost_getpc29138)&4294967295
	s_addc_u32 s15, s15, (.LBB2_934-.Lpost_getpc29138)>>32
	s_setpc_b64 s[14:15]
.LBB2_15272:
	v_mov_b32_e32 v6, 0
	v_cmp_ne_u16_sdwa s[8:9], v3, v6 src0_sel:BYTE_0 src1_sel:DWORD
	s_andn2_b64 s[4:5], s[4:5], exec
	s_and_b64 s[8:9], s[8:9], exec
	s_or_b64 s[4:5], s[4:5], s[8:9]
	s_or_b64 exec, exec, s[6:7]
	s_and_saveexec_b64 s[6:7], s[4:5]
	s_cbranch_execz .LBB2_29139
; %bb.51111:
	s_getpc_b64 s[14:15]
.Lpost_getpc29139:
	s_add_u32 s14, s14, (.LBB2_935-.Lpost_getpc29139)&4294967295
	s_addc_u32 s15, s15, (.LBB2_935-.Lpost_getpc29139)>>32
	s_setpc_b64 s[14:15]
.LBB2_29139:
	s_getpc_b64 s[14:15]
.Lpost_getpc18153:
	s_add_u32 s14, s14, (.LBB2_936-.Lpost_getpc18153)&4294967295
	s_addc_u32 s15, s15, (.LBB2_936-.Lpost_getpc18153)>>32
	s_setpc_b64 s[14:15]
.LBB2_15273:
	s_movk_i32 s4, 0x80
	v_cmp_eq_u16_sdwa s[12:13], v6, s4 src0_sel:BYTE_0 src1_sel:DWORD
	s_mov_b64 s[4:5], -1
                                        ; implicit-def: $sgpr10
	s_and_saveexec_b64 s[8:9], s[12:13]
; %bb.15274:
	s_mov_b32 s10, 0x7f800001
	s_xor_b64 s[4:5], exec, -1
; %bb.15275:
	s_or_b64 exec, exec, s[8:9]
	s_and_b64 s[4:5], s[4:5], exec
	s_or_saveexec_b64 s[6:7], s[6:7]
	v_mov_b32_e32 v2, s10
	s_xor_b64 exec, exec, s[6:7]
	s_cbranch_execnz .LBB2_15276
; %bb.51113:
	s_getpc_b64 s[14:15]
.Lpost_getpc29140:
	s_add_u32 s14, s14, (.LBB2_938-.Lpost_getpc29140)&4294967295
	s_addc_u32 s15, s15, (.LBB2_938-.Lpost_getpc29140)>>32
	s_setpc_b64 s[14:15]
.LBB2_15276:
	v_mov_b32_e32 v2, 0
	v_cmp_ne_u16_sdwa s[8:9], v6, v2 src0_sel:BYTE_0 src1_sel:DWORD
	s_andn2_b64 s[4:5], s[4:5], exec
	s_and_b64 s[8:9], s[8:9], exec
	s_or_b64 s[4:5], s[4:5], s[8:9]
	s_or_b64 exec, exec, s[6:7]
	s_and_saveexec_b64 s[6:7], s[4:5]
	s_cbranch_execz .LBB2_29141
; %bb.51115:
	s_getpc_b64 s[14:15]
.Lpost_getpc29141:
	s_add_u32 s14, s14, (.LBB2_939-.Lpost_getpc29141)&4294967295
	s_addc_u32 s15, s15, (.LBB2_939-.Lpost_getpc29141)>>32
	s_setpc_b64 s[14:15]
.LBB2_29141:
	s_getpc_b64 s[14:15]
.Lpost_getpc18154:
	s_add_u32 s14, s14, (.LBB2_940-.Lpost_getpc18154)&4294967295
	s_addc_u32 s15, s15, (.LBB2_940-.Lpost_getpc18154)>>32
	s_setpc_b64 s[14:15]
.LBB2_15277:
	s_movk_i32 s4, 0x80
	v_cmp_eq_u16_sdwa s[12:13], v6, s4 src0_sel:BYTE_0 src1_sel:DWORD
	s_mov_b64 s[4:5], -1
                                        ; implicit-def: $sgpr10
	s_and_saveexec_b64 s[8:9], s[12:13]
; %bb.15278:
	s_mov_b32 s10, 0x7f800001
	s_xor_b64 s[4:5], exec, -1
; %bb.15279:
	s_or_b64 exec, exec, s[8:9]
	s_and_b64 s[4:5], s[4:5], exec
	s_or_saveexec_b64 s[6:7], s[6:7]
	v_mov_b32_e32 v12, s10
	s_xor_b64 exec, exec, s[6:7]
	s_cbranch_execnz .LBB2_15280
; %bb.51117:
	s_getpc_b64 s[14:15]
.Lpost_getpc29142:
	s_add_u32 s14, s14, (.LBB2_942-.Lpost_getpc29142)&4294967295
	s_addc_u32 s15, s15, (.LBB2_942-.Lpost_getpc29142)>>32
	s_setpc_b64 s[14:15]
.LBB2_15280:
	v_mov_b32_e32 v12, 0
	v_cmp_ne_u16_sdwa s[8:9], v6, v12 src0_sel:BYTE_0 src1_sel:DWORD
	s_andn2_b64 s[4:5], s[4:5], exec
	s_and_b64 s[8:9], s[8:9], exec
	s_or_b64 s[4:5], s[4:5], s[8:9]
	s_or_b64 exec, exec, s[6:7]
	s_and_saveexec_b64 s[6:7], s[4:5]
	s_cbranch_execz .LBB2_29143
; %bb.51119:
	s_getpc_b64 s[14:15]
.Lpost_getpc29143:
	s_add_u32 s14, s14, (.LBB2_943-.Lpost_getpc29143)&4294967295
	s_addc_u32 s15, s15, (.LBB2_943-.Lpost_getpc29143)>>32
	s_setpc_b64 s[14:15]
.LBB2_29143:
	s_getpc_b64 s[14:15]
.Lpost_getpc18155:
	s_add_u32 s14, s14, (.LBB2_944-.Lpost_getpc18155)&4294967295
	s_addc_u32 s15, s15, (.LBB2_944-.Lpost_getpc18155)>>32
	s_setpc_b64 s[14:15]
.LBB2_15281:
	s_movk_i32 s4, 0x80
	v_cmp_eq_u16_e32 vcc, s4, v6
	s_mov_b64 s[4:5], -1
                                        ; implicit-def: $sgpr10
	s_and_saveexec_b64 s[8:9], vcc
; %bb.15282:
	s_mov_b32 s10, 0x7f800001
	s_xor_b64 s[4:5], exec, -1
; %bb.15283:
	s_or_b64 exec, exec, s[8:9]
	s_and_b64 s[4:5], s[4:5], exec
                                        ; implicit-def: $vgpr6
	s_or_saveexec_b64 s[6:7], s[6:7]
	v_mov_b32_e32 v2, s10
	s_xor_b64 exec, exec, s[6:7]
	s_cbranch_execnz .LBB2_15284
; %bb.51121:
	s_getpc_b64 s[14:15]
.Lpost_getpc29144:
	s_add_u32 s14, s14, (.LBB2_946-.Lpost_getpc29144)&4294967295
	s_addc_u32 s15, s15, (.LBB2_946-.Lpost_getpc29144)>>32
	s_setpc_b64 s[14:15]
.LBB2_15284:
	v_cmp_ne_u16_e32 vcc, 0, v6
	s_andn2_b64 s[4:5], s[4:5], exec
	s_and_b64 s[8:9], vcc, exec
	v_mov_b32_e32 v2, 0
	s_or_b64 s[4:5], s[4:5], s[8:9]
	s_or_b64 exec, exec, s[6:7]
	s_and_saveexec_b64 s[6:7], s[4:5]
	s_cbranch_execz .LBB2_29145
; %bb.51123:
	s_getpc_b64 s[14:15]
.Lpost_getpc29145:
	s_add_u32 s14, s14, (.LBB2_947-.Lpost_getpc29145)&4294967295
	s_addc_u32 s15, s15, (.LBB2_947-.Lpost_getpc29145)>>32
	s_setpc_b64 s[14:15]
.LBB2_29145:
	s_getpc_b64 s[14:15]
.Lpost_getpc18156:
	s_add_u32 s14, s14, (.LBB2_948-.Lpost_getpc18156)&4294967295
	s_addc_u32 s15, s15, (.LBB2_948-.Lpost_getpc18156)>>32
	s_setpc_b64 s[14:15]
.LBB2_15285:
	s_movk_i32 s4, 0x80
	v_cmp_eq_u16_e32 vcc, s4, v6
	s_mov_b64 s[4:5], -1
                                        ; implicit-def: $sgpr10
	s_and_saveexec_b64 s[8:9], vcc
; %bb.15286:
	s_mov_b32 s10, 0x7f800001
	s_xor_b64 s[4:5], exec, -1
; %bb.15287:
	s_or_b64 exec, exec, s[8:9]
	s_and_b64 s[4:5], s[4:5], exec
                                        ; implicit-def: $vgpr6
	s_or_saveexec_b64 s[6:7], s[6:7]
	v_mov_b32_e32 v12, s10
	s_xor_b64 exec, exec, s[6:7]
	s_cbranch_execnz .LBB2_15288
; %bb.51125:
	s_getpc_b64 s[14:15]
.Lpost_getpc29146:
	s_add_u32 s14, s14, (.LBB2_950-.Lpost_getpc29146)&4294967295
	s_addc_u32 s15, s15, (.LBB2_950-.Lpost_getpc29146)>>32
	s_setpc_b64 s[14:15]
.LBB2_15288:
	v_cmp_ne_u16_e32 vcc, 0, v6
	s_andn2_b64 s[4:5], s[4:5], exec
	s_and_b64 s[8:9], vcc, exec
	v_mov_b32_e32 v12, 0
	s_or_b64 s[4:5], s[4:5], s[8:9]
	s_or_b64 exec, exec, s[6:7]
	s_and_saveexec_b64 s[6:7], s[4:5]
	s_cbranch_execz .LBB2_29147
; %bb.51127:
	s_getpc_b64 s[14:15]
.Lpost_getpc29147:
	s_add_u32 s14, s14, (.LBB2_951-.Lpost_getpc29147)&4294967295
	s_addc_u32 s15, s15, (.LBB2_951-.Lpost_getpc29147)>>32
	s_setpc_b64 s[14:15]
.LBB2_29147:
	s_getpc_b64 s[14:15]
.Lpost_getpc18157:
	s_add_u32 s14, s14, (.LBB2_952-.Lpost_getpc18157)&4294967295
	s_addc_u32 s15, s15, (.LBB2_952-.Lpost_getpc18157)>>32
	s_setpc_b64 s[14:15]
.LBB2_15289:
	s_movk_i32 s4, 0x80
	v_cmp_eq_u16_sdwa s[12:13], v7, s4 src0_sel:BYTE_3 src1_sel:DWORD
	s_mov_b64 s[4:5], -1
                                        ; implicit-def: $sgpr10
	s_and_saveexec_b64 s[8:9], s[12:13]
; %bb.15290:
	s_mov_b32 s10, 0x7f800001
	s_xor_b64 s[4:5], exec, -1
; %bb.15291:
	s_or_b64 exec, exec, s[8:9]
	s_and_b64 s[4:5], s[4:5], exec
	s_or_saveexec_b64 s[6:7], s[6:7]
	v_mov_b32_e32 v2, s10
	s_xor_b64 exec, exec, s[6:7]
	s_cbranch_execnz .LBB2_15292
; %bb.51129:
	s_getpc_b64 s[14:15]
.Lpost_getpc29148:
	s_add_u32 s14, s14, (.LBB2_954-.Lpost_getpc29148)&4294967295
	s_addc_u32 s15, s15, (.LBB2_954-.Lpost_getpc29148)>>32
	s_setpc_b64 s[14:15]
.LBB2_15292:
	v_mov_b32_e32 v2, 0
	v_cmp_ne_u16_sdwa s[8:9], v7, v2 src0_sel:BYTE_3 src1_sel:DWORD
	s_andn2_b64 s[4:5], s[4:5], exec
	s_and_b64 s[8:9], s[8:9], exec
	s_or_b64 s[4:5], s[4:5], s[8:9]
	s_or_b64 exec, exec, s[6:7]
	s_and_saveexec_b64 s[6:7], s[4:5]
	s_cbranch_execz .LBB2_29149
; %bb.51131:
	s_getpc_b64 s[14:15]
.Lpost_getpc29149:
	s_add_u32 s14, s14, (.LBB2_955-.Lpost_getpc29149)&4294967295
	s_addc_u32 s15, s15, (.LBB2_955-.Lpost_getpc29149)>>32
	s_setpc_b64 s[14:15]
.LBB2_29149:
	s_getpc_b64 s[14:15]
.Lpost_getpc18158:
	s_add_u32 s14, s14, (.LBB2_956-.Lpost_getpc18158)&4294967295
	s_addc_u32 s15, s15, (.LBB2_956-.Lpost_getpc18158)>>32
	s_setpc_b64 s[14:15]
.LBB2_15293:
	s_movk_i32 s4, 0x80
	v_cmp_eq_u16_sdwa s[12:13], v3, s4 src0_sel:BYTE_3 src1_sel:DWORD
	s_mov_b64 s[4:5], -1
                                        ; implicit-def: $sgpr10
	s_and_saveexec_b64 s[8:9], s[12:13]
; %bb.15294:
	s_mov_b32 s10, 0x7f800001
	s_xor_b64 s[4:5], exec, -1
; %bb.15295:
	s_or_b64 exec, exec, s[8:9]
	s_and_b64 s[4:5], s[4:5], exec
	s_or_saveexec_b64 s[6:7], s[6:7]
	v_mov_b32_e32 v6, s10
	s_xor_b64 exec, exec, s[6:7]
	s_cbranch_execnz .LBB2_15296
; %bb.51133:
	s_getpc_b64 s[14:15]
.Lpost_getpc29150:
	s_add_u32 s14, s14, (.LBB2_958-.Lpost_getpc29150)&4294967295
	s_addc_u32 s15, s15, (.LBB2_958-.Lpost_getpc29150)>>32
	s_setpc_b64 s[14:15]
.LBB2_15296:
	v_mov_b32_e32 v6, 0
	v_cmp_ne_u16_sdwa s[8:9], v3, v6 src0_sel:BYTE_3 src1_sel:DWORD
	s_andn2_b64 s[4:5], s[4:5], exec
	s_and_b64 s[8:9], s[8:9], exec
	s_or_b64 s[4:5], s[4:5], s[8:9]
	s_or_b64 exec, exec, s[6:7]
	s_and_saveexec_b64 s[6:7], s[4:5]
	s_cbranch_execz .LBB2_29151
; %bb.51135:
	s_getpc_b64 s[14:15]
.Lpost_getpc29151:
	s_add_u32 s14, s14, (.LBB2_959-.Lpost_getpc29151)&4294967295
	s_addc_u32 s15, s15, (.LBB2_959-.Lpost_getpc29151)>>32
	s_setpc_b64 s[14:15]
.LBB2_29151:
	s_getpc_b64 s[14:15]
.Lpost_getpc18159:
	s_add_u32 s14, s14, (.LBB2_960-.Lpost_getpc18159)&4294967295
	s_addc_u32 s15, s15, (.LBB2_960-.Lpost_getpc18159)>>32
	s_setpc_b64 s[14:15]
.LBB2_15297:
	s_movk_i32 s4, 0x80
	v_cmp_eq_u16_sdwa s[12:13], v8, s4 src0_sel:BYTE_0 src1_sel:DWORD
	s_mov_b64 s[4:5], -1
                                        ; implicit-def: $sgpr10
	s_and_saveexec_b64 s[8:9], s[12:13]
; %bb.15298:
	s_mov_b32 s10, 0x7f800001
	s_xor_b64 s[4:5], exec, -1
; %bb.15299:
	s_or_b64 exec, exec, s[8:9]
	s_and_b64 s[4:5], s[4:5], exec
	s_or_saveexec_b64 s[6:7], s[6:7]
	v_mov_b32_e32 v2, s10
	s_xor_b64 exec, exec, s[6:7]
	s_cbranch_execnz .LBB2_15300
; %bb.51137:
	s_getpc_b64 s[14:15]
.Lpost_getpc29152:
	s_add_u32 s14, s14, (.LBB2_962-.Lpost_getpc29152)&4294967295
	s_addc_u32 s15, s15, (.LBB2_962-.Lpost_getpc29152)>>32
	s_setpc_b64 s[14:15]
.LBB2_15300:
	v_mov_b32_e32 v2, 0
	v_cmp_ne_u16_sdwa s[8:9], v8, v2 src0_sel:BYTE_0 src1_sel:DWORD
	s_andn2_b64 s[4:5], s[4:5], exec
	s_and_b64 s[8:9], s[8:9], exec
	s_or_b64 s[4:5], s[4:5], s[8:9]
	s_or_b64 exec, exec, s[6:7]
	s_and_saveexec_b64 s[6:7], s[4:5]
	s_cbranch_execz .LBB2_29153
; %bb.51139:
	s_getpc_b64 s[14:15]
.Lpost_getpc29153:
	s_add_u32 s14, s14, (.LBB2_963-.Lpost_getpc29153)&4294967295
	s_addc_u32 s15, s15, (.LBB2_963-.Lpost_getpc29153)>>32
	s_setpc_b64 s[14:15]
.LBB2_29153:
	s_getpc_b64 s[14:15]
.Lpost_getpc18160:
	s_add_u32 s14, s14, (.LBB2_964-.Lpost_getpc18160)&4294967295
	s_addc_u32 s15, s15, (.LBB2_964-.Lpost_getpc18160)>>32
	s_setpc_b64 s[14:15]
.LBB2_15301:
	s_movk_i32 s4, 0x80
	v_cmp_eq_u16_sdwa s[12:13], v4, s4 src0_sel:BYTE_0 src1_sel:DWORD
	s_mov_b64 s[4:5], -1
                                        ; implicit-def: $sgpr10
	s_and_saveexec_b64 s[8:9], s[12:13]
; %bb.15302:
	s_mov_b32 s10, 0x7f800001
	s_xor_b64 s[4:5], exec, -1
; %bb.15303:
	s_or_b64 exec, exec, s[8:9]
	s_and_b64 s[4:5], s[4:5], exec
	s_or_saveexec_b64 s[6:7], s[6:7]
	v_mov_b32_e32 v3, s10
	s_xor_b64 exec, exec, s[6:7]
	s_cbranch_execnz .LBB2_15304
; %bb.51141:
	s_getpc_b64 s[14:15]
.Lpost_getpc29154:
	s_add_u32 s14, s14, (.LBB2_966-.Lpost_getpc29154)&4294967295
	s_addc_u32 s15, s15, (.LBB2_966-.Lpost_getpc29154)>>32
	s_setpc_b64 s[14:15]
.LBB2_15304:
	v_mov_b32_e32 v3, 0
	v_cmp_ne_u16_sdwa s[8:9], v4, v3 src0_sel:BYTE_0 src1_sel:DWORD
	s_andn2_b64 s[4:5], s[4:5], exec
	s_and_b64 s[8:9], s[8:9], exec
	s_or_b64 s[4:5], s[4:5], s[8:9]
	s_or_b64 exec, exec, s[6:7]
	s_and_saveexec_b64 s[6:7], s[4:5]
	s_cbranch_execz .LBB2_29155
; %bb.51143:
	s_getpc_b64 s[14:15]
.Lpost_getpc29155:
	s_add_u32 s14, s14, (.LBB2_967-.Lpost_getpc29155)&4294967295
	s_addc_u32 s15, s15, (.LBB2_967-.Lpost_getpc29155)>>32
	s_setpc_b64 s[14:15]
.LBB2_29155:
	s_getpc_b64 s[14:15]
.Lpost_getpc18161:
	s_add_u32 s14, s14, (.LBB2_968-.Lpost_getpc18161)&4294967295
	s_addc_u32 s15, s15, (.LBB2_968-.Lpost_getpc18161)>>32
	s_setpc_b64 s[14:15]
.LBB2_15305:
	s_movk_i32 s4, 0x80
	v_cmp_eq_u16_sdwa s[12:13], v3, s4 src0_sel:BYTE_0 src1_sel:DWORD
	s_mov_b64 s[4:5], -1
                                        ; implicit-def: $sgpr10
	s_and_saveexec_b64 s[8:9], s[12:13]
; %bb.15306:
	s_mov_b32 s10, 0x7f800001
	s_xor_b64 s[4:5], exec, -1
; %bb.15307:
	s_or_b64 exec, exec, s[8:9]
	s_and_b64 s[4:5], s[4:5], exec
	s_or_saveexec_b64 s[6:7], s[6:7]
	v_mov_b32_e32 v2, s10
	s_xor_b64 exec, exec, s[6:7]
	s_cbranch_execnz .LBB2_15308
; %bb.51145:
	s_getpc_b64 s[14:15]
.Lpost_getpc29156:
	s_add_u32 s14, s14, (.LBB2_970-.Lpost_getpc29156)&4294967295
	s_addc_u32 s15, s15, (.LBB2_970-.Lpost_getpc29156)>>32
	s_setpc_b64 s[14:15]
.LBB2_15308:
	v_mov_b32_e32 v2, 0
	v_cmp_ne_u16_sdwa s[8:9], v3, v2 src0_sel:BYTE_0 src1_sel:DWORD
	s_andn2_b64 s[4:5], s[4:5], exec
	s_and_b64 s[8:9], s[8:9], exec
	s_or_b64 s[4:5], s[4:5], s[8:9]
	s_or_b64 exec, exec, s[6:7]
	s_and_saveexec_b64 s[6:7], s[4:5]
	s_cbranch_execz .LBB2_29157
; %bb.51147:
	s_getpc_b64 s[14:15]
.Lpost_getpc29157:
	s_add_u32 s14, s14, (.LBB2_971-.Lpost_getpc29157)&4294967295
	s_addc_u32 s15, s15, (.LBB2_971-.Lpost_getpc29157)>>32
	s_setpc_b64 s[14:15]
.LBB2_29157:
	s_getpc_b64 s[14:15]
.Lpost_getpc18162:
	s_add_u32 s14, s14, (.LBB2_972-.Lpost_getpc18162)&4294967295
	s_addc_u32 s15, s15, (.LBB2_972-.Lpost_getpc18162)>>32
	s_setpc_b64 s[14:15]
.LBB2_15309:
	s_movk_i32 s4, 0x80
	v_cmp_eq_u16_sdwa s[12:13], v3, s4 src0_sel:BYTE_0 src1_sel:DWORD
	s_mov_b64 s[4:5], -1
                                        ; implicit-def: $sgpr10
	s_and_saveexec_b64 s[8:9], s[12:13]
; %bb.15310:
	s_mov_b32 s10, 0x7f800001
	s_xor_b64 s[4:5], exec, -1
; %bb.15311:
	s_or_b64 exec, exec, s[8:9]
	s_and_b64 s[4:5], s[4:5], exec
	s_or_saveexec_b64 s[6:7], s[6:7]
	v_mov_b32_e32 v6, s10
	s_xor_b64 exec, exec, s[6:7]
	s_cbranch_execnz .LBB2_15312
; %bb.51149:
	s_getpc_b64 s[14:15]
.Lpost_getpc29158:
	s_add_u32 s14, s14, (.LBB2_974-.Lpost_getpc29158)&4294967295
	s_addc_u32 s15, s15, (.LBB2_974-.Lpost_getpc29158)>>32
	s_setpc_b64 s[14:15]
.LBB2_15312:
	v_mov_b32_e32 v6, 0
	v_cmp_ne_u16_sdwa s[8:9], v3, v6 src0_sel:BYTE_0 src1_sel:DWORD
	s_andn2_b64 s[4:5], s[4:5], exec
	s_and_b64 s[8:9], s[8:9], exec
	s_or_b64 s[4:5], s[4:5], s[8:9]
	s_or_b64 exec, exec, s[6:7]
	s_and_saveexec_b64 s[6:7], s[4:5]
	s_cbranch_execz .LBB2_29159
; %bb.51151:
	s_getpc_b64 s[14:15]
.Lpost_getpc29159:
	s_add_u32 s14, s14, (.LBB2_975-.Lpost_getpc29159)&4294967295
	s_addc_u32 s15, s15, (.LBB2_975-.Lpost_getpc29159)>>32
	s_setpc_b64 s[14:15]
.LBB2_29159:
	s_getpc_b64 s[14:15]
.Lpost_getpc18163:
	s_add_u32 s14, s14, (.LBB2_976-.Lpost_getpc18163)&4294967295
	s_addc_u32 s15, s15, (.LBB2_976-.Lpost_getpc18163)>>32
	s_setpc_b64 s[14:15]
.LBB2_15313:
	s_movk_i32 s4, 0x80
	v_cmp_eq_u16_e32 vcc, s4, v3
	s_mov_b64 s[4:5], -1
                                        ; implicit-def: $sgpr10
	s_and_saveexec_b64 s[8:9], vcc
; %bb.15314:
	s_mov_b32 s10, 0x7f800001
	s_xor_b64 s[4:5], exec, -1
; %bb.15315:
	s_or_b64 exec, exec, s[8:9]
	s_and_b64 s[4:5], s[4:5], exec
                                        ; implicit-def: $vgpr3
	s_or_saveexec_b64 s[6:7], s[6:7]
	v_mov_b32_e32 v2, s10
	s_xor_b64 exec, exec, s[6:7]
	s_cbranch_execnz .LBB2_15316
; %bb.51153:
	s_getpc_b64 s[14:15]
.Lpost_getpc29160:
	s_add_u32 s14, s14, (.LBB2_978-.Lpost_getpc29160)&4294967295
	s_addc_u32 s15, s15, (.LBB2_978-.Lpost_getpc29160)>>32
	s_setpc_b64 s[14:15]
.LBB2_15316:
	v_cmp_ne_u16_e32 vcc, 0, v3
	s_andn2_b64 s[4:5], s[4:5], exec
	s_and_b64 s[8:9], vcc, exec
	v_mov_b32_e32 v2, 0
	s_or_b64 s[4:5], s[4:5], s[8:9]
	s_or_b64 exec, exec, s[6:7]
	s_and_saveexec_b64 s[6:7], s[4:5]
	s_cbranch_execz .LBB2_29161
; %bb.51155:
	s_getpc_b64 s[14:15]
.Lpost_getpc29161:
	s_add_u32 s14, s14, (.LBB2_979-.Lpost_getpc29161)&4294967295
	s_addc_u32 s15, s15, (.LBB2_979-.Lpost_getpc29161)>>32
	s_setpc_b64 s[14:15]
.LBB2_29161:
	s_getpc_b64 s[14:15]
.Lpost_getpc18164:
	s_add_u32 s14, s14, (.LBB2_980-.Lpost_getpc18164)&4294967295
	s_addc_u32 s15, s15, (.LBB2_980-.Lpost_getpc18164)>>32
	s_setpc_b64 s[14:15]
.LBB2_15317:
	s_movk_i32 s4, 0x80
	v_cmp_eq_u16_e32 vcc, s4, v3
	s_mov_b64 s[4:5], -1
                                        ; implicit-def: $sgpr10
	s_and_saveexec_b64 s[8:9], vcc
; %bb.15318:
	s_mov_b32 s10, 0x7f800001
	s_xor_b64 s[4:5], exec, -1
; %bb.15319:
	s_or_b64 exec, exec, s[8:9]
	s_and_b64 s[4:5], s[4:5], exec
                                        ; implicit-def: $vgpr3
	s_or_saveexec_b64 s[6:7], s[6:7]
	v_mov_b32_e32 v6, s10
	s_xor_b64 exec, exec, s[6:7]
	s_cbranch_execnz .LBB2_15320
; %bb.51157:
	s_getpc_b64 s[14:15]
.Lpost_getpc29162:
	s_add_u32 s14, s14, (.LBB2_982-.Lpost_getpc29162)&4294967295
	s_addc_u32 s15, s15, (.LBB2_982-.Lpost_getpc29162)>>32
	s_setpc_b64 s[14:15]
.LBB2_15320:
	v_cmp_ne_u16_e32 vcc, 0, v3
	s_andn2_b64 s[4:5], s[4:5], exec
	s_and_b64 s[8:9], vcc, exec
	v_mov_b32_e32 v6, 0
	s_or_b64 s[4:5], s[4:5], s[8:9]
	s_or_b64 exec, exec, s[6:7]
	s_and_saveexec_b64 s[6:7], s[4:5]
	s_cbranch_execz .LBB2_29163
; %bb.51159:
	s_getpc_b64 s[14:15]
.Lpost_getpc29163:
	s_add_u32 s14, s14, (.LBB2_983-.Lpost_getpc29163)&4294967295
	s_addc_u32 s15, s15, (.LBB2_983-.Lpost_getpc29163)>>32
	s_setpc_b64 s[14:15]
.LBB2_29163:
	s_getpc_b64 s[14:15]
.Lpost_getpc18165:
	s_add_u32 s14, s14, (.LBB2_984-.Lpost_getpc18165)&4294967295
	s_addc_u32 s15, s15, (.LBB2_984-.Lpost_getpc18165)>>32
	s_setpc_b64 s[14:15]
.LBB2_15321:
	s_movk_i32 s4, 0x80
	v_cmp_eq_u16_sdwa s[12:13], v8, s4 src0_sel:BYTE_3 src1_sel:DWORD
	s_mov_b64 s[4:5], -1
                                        ; implicit-def: $sgpr10
	s_and_saveexec_b64 s[8:9], s[12:13]
; %bb.15322:
	s_mov_b32 s10, 0x7f800001
	s_xor_b64 s[4:5], exec, -1
; %bb.15323:
	s_or_b64 exec, exec, s[8:9]
	s_and_b64 s[4:5], s[4:5], exec
	s_or_saveexec_b64 s[6:7], s[6:7]
	v_mov_b32_e32 v2, s10
	s_xor_b64 exec, exec, s[6:7]
	s_cbranch_execnz .LBB2_15324
; %bb.51161:
	s_getpc_b64 s[14:15]
.Lpost_getpc29164:
	s_add_u32 s14, s14, (.LBB2_986-.Lpost_getpc29164)&4294967295
	s_addc_u32 s15, s15, (.LBB2_986-.Lpost_getpc29164)>>32
	s_setpc_b64 s[14:15]
.LBB2_15324:
	v_mov_b32_e32 v2, 0
	v_cmp_ne_u16_sdwa s[8:9], v8, v2 src0_sel:BYTE_3 src1_sel:DWORD
	s_andn2_b64 s[4:5], s[4:5], exec
	s_and_b64 s[8:9], s[8:9], exec
	s_or_b64 s[4:5], s[4:5], s[8:9]
	s_or_b64 exec, exec, s[6:7]
	s_and_saveexec_b64 s[6:7], s[4:5]
	s_cbranch_execz .LBB2_29165
; %bb.51163:
	s_getpc_b64 s[14:15]
.Lpost_getpc29165:
	s_add_u32 s14, s14, (.LBB2_987-.Lpost_getpc29165)&4294967295
	s_addc_u32 s15, s15, (.LBB2_987-.Lpost_getpc29165)>>32
	s_setpc_b64 s[14:15]
.LBB2_29165:
	s_getpc_b64 s[14:15]
.Lpost_getpc18166:
	s_add_u32 s14, s14, (.LBB2_988-.Lpost_getpc18166)&4294967295
	s_addc_u32 s15, s15, (.LBB2_988-.Lpost_getpc18166)>>32
	s_setpc_b64 s[14:15]
.LBB2_15325:
	s_movk_i32 s4, 0x80
	v_cmp_eq_u16_sdwa s[12:13], v4, s4 src0_sel:BYTE_3 src1_sel:DWORD
	s_mov_b64 s[4:5], -1
                                        ; implicit-def: $sgpr10
	s_and_saveexec_b64 s[8:9], s[12:13]
; %bb.15326:
	s_mov_b32 s10, 0x7f800001
	s_xor_b64 s[4:5], exec, -1
; %bb.15327:
	s_or_b64 exec, exec, s[8:9]
	s_and_b64 s[4:5], s[4:5], exec
	s_or_saveexec_b64 s[6:7], s[6:7]
	v_mov_b32_e32 v3, s10
	s_xor_b64 exec, exec, s[6:7]
	s_cbranch_execnz .LBB2_15328
; %bb.51165:
	s_getpc_b64 s[14:15]
.Lpost_getpc29166:
	s_add_u32 s14, s14, (.LBB2_990-.Lpost_getpc29166)&4294967295
	s_addc_u32 s15, s15, (.LBB2_990-.Lpost_getpc29166)>>32
	s_setpc_b64 s[14:15]
.LBB2_15328:
	v_mov_b32_e32 v3, 0
	v_cmp_ne_u16_sdwa s[8:9], v4, v3 src0_sel:BYTE_3 src1_sel:DWORD
	s_andn2_b64 s[4:5], s[4:5], exec
	s_and_b64 s[8:9], s[8:9], exec
	s_or_b64 s[4:5], s[4:5], s[8:9]
	s_or_b64 exec, exec, s[6:7]
	s_and_saveexec_b64 s[6:7], s[4:5]
	s_cbranch_execz .LBB2_29167
; %bb.51167:
	s_getpc_b64 s[14:15]
.Lpost_getpc29167:
	s_add_u32 s14, s14, (.LBB2_991-.Lpost_getpc29167)&4294967295
	s_addc_u32 s15, s15, (.LBB2_991-.Lpost_getpc29167)>>32
	s_setpc_b64 s[14:15]
.LBB2_29167:
	s_getpc_b64 s[14:15]
.Lpost_getpc18167:
	s_add_u32 s14, s14, (.LBB2_992-.Lpost_getpc18167)&4294967295
	s_addc_u32 s15, s15, (.LBB2_992-.Lpost_getpc18167)>>32
	s_setpc_b64 s[14:15]
.LBB2_15329:
	s_movk_i32 s4, 0x80
	v_cmp_eq_u16_sdwa s[12:13], v9, s4 src0_sel:BYTE_0 src1_sel:DWORD
	s_mov_b64 s[4:5], -1
                                        ; implicit-def: $sgpr10
	s_and_saveexec_b64 s[8:9], s[12:13]
; %bb.15330:
	s_mov_b32 s10, 0x7f800001
	s_xor_b64 s[4:5], exec, -1
; %bb.15331:
	s_or_b64 exec, exec, s[8:9]
	s_and_b64 s[4:5], s[4:5], exec
	s_or_saveexec_b64 s[6:7], s[6:7]
	v_mov_b32_e32 v2, s10
	s_xor_b64 exec, exec, s[6:7]
	s_cbranch_execnz .LBB2_15332
; %bb.51169:
	s_getpc_b64 s[14:15]
.Lpost_getpc29168:
	s_add_u32 s14, s14, (.LBB2_994-.Lpost_getpc29168)&4294967295
	s_addc_u32 s15, s15, (.LBB2_994-.Lpost_getpc29168)>>32
	s_setpc_b64 s[14:15]
.LBB2_15332:
	v_mov_b32_e32 v2, 0
	v_cmp_ne_u16_sdwa s[8:9], v9, v2 src0_sel:BYTE_0 src1_sel:DWORD
	s_andn2_b64 s[4:5], s[4:5], exec
	s_and_b64 s[8:9], s[8:9], exec
	s_or_b64 s[4:5], s[4:5], s[8:9]
	s_or_b64 exec, exec, s[6:7]
	s_and_saveexec_b64 s[6:7], s[4:5]
	s_cbranch_execz .LBB2_29169
; %bb.51171:
	s_getpc_b64 s[14:15]
.Lpost_getpc29169:
	s_add_u32 s14, s14, (.LBB2_995-.Lpost_getpc29169)&4294967295
	s_addc_u32 s15, s15, (.LBB2_995-.Lpost_getpc29169)>>32
	s_setpc_b64 s[14:15]
.LBB2_29169:
	s_getpc_b64 s[14:15]
.Lpost_getpc18168:
	s_add_u32 s14, s14, (.LBB2_996-.Lpost_getpc18168)&4294967295
	s_addc_u32 s15, s15, (.LBB2_996-.Lpost_getpc18168)>>32
	s_setpc_b64 s[14:15]
.LBB2_15333:
	s_movk_i32 s4, 0x80
	v_cmp_eq_u16_sdwa s[12:13], v5, s4 src0_sel:BYTE_0 src1_sel:DWORD
	s_mov_b64 s[4:5], -1
                                        ; implicit-def: $sgpr10
	s_and_saveexec_b64 s[8:9], s[12:13]
; %bb.15334:
	s_mov_b32 s10, 0x7f800001
	s_xor_b64 s[4:5], exec, -1
; %bb.15335:
	s_or_b64 exec, exec, s[8:9]
	s_and_b64 s[4:5], s[4:5], exec
	s_or_saveexec_b64 s[6:7], s[6:7]
	v_mov_b32_e32 v3, s10
	s_xor_b64 exec, exec, s[6:7]
	s_cbranch_execnz .LBB2_15336
; %bb.51173:
	s_getpc_b64 s[14:15]
.Lpost_getpc29170:
	s_add_u32 s14, s14, (.LBB2_998-.Lpost_getpc29170)&4294967295
	s_addc_u32 s15, s15, (.LBB2_998-.Lpost_getpc29170)>>32
	s_setpc_b64 s[14:15]
.LBB2_15336:
	v_mov_b32_e32 v3, 0
	v_cmp_ne_u16_sdwa s[8:9], v5, v3 src0_sel:BYTE_0 src1_sel:DWORD
	s_andn2_b64 s[4:5], s[4:5], exec
	s_and_b64 s[8:9], s[8:9], exec
	s_or_b64 s[4:5], s[4:5], s[8:9]
	s_or_b64 exec, exec, s[6:7]
	s_and_saveexec_b64 s[6:7], s[4:5]
	s_cbranch_execz .LBB2_29171
; %bb.51175:
	s_getpc_b64 s[14:15]
.Lpost_getpc29171:
	s_add_u32 s14, s14, (.LBB2_999-.Lpost_getpc29171)&4294967295
	s_addc_u32 s15, s15, (.LBB2_999-.Lpost_getpc29171)>>32
	s_setpc_b64 s[14:15]
.LBB2_29171:
	s_getpc_b64 s[14:15]
.Lpost_getpc18169:
	s_add_u32 s14, s14, (.LBB2_1000-.Lpost_getpc18169)&4294967295
	s_addc_u32 s15, s15, (.LBB2_1000-.Lpost_getpc18169)>>32
	s_setpc_b64 s[14:15]
.LBB2_15337:
	s_movk_i32 s4, 0x80
	v_cmp_eq_u16_sdwa s[12:13], v3, s4 src0_sel:BYTE_0 src1_sel:DWORD
	s_mov_b64 s[4:5], -1
                                        ; implicit-def: $sgpr10
	s_and_saveexec_b64 s[8:9], s[12:13]
; %bb.15338:
	s_mov_b32 s10, 0x7f800001
	s_xor_b64 s[4:5], exec, -1
; %bb.15339:
	s_or_b64 exec, exec, s[8:9]
	s_and_b64 s[4:5], s[4:5], exec
	s_or_saveexec_b64 s[6:7], s[6:7]
	v_mov_b32_e32 v2, s10
	s_xor_b64 exec, exec, s[6:7]
	s_cbranch_execnz .LBB2_15340
; %bb.51177:
	s_getpc_b64 s[14:15]
.Lpost_getpc29172:
	s_add_u32 s14, s14, (.LBB2_1002-.Lpost_getpc29172)&4294967295
	s_addc_u32 s15, s15, (.LBB2_1002-.Lpost_getpc29172)>>32
	s_setpc_b64 s[14:15]
.LBB2_15340:
	v_mov_b32_e32 v2, 0
	v_cmp_ne_u16_sdwa s[8:9], v3, v2 src0_sel:BYTE_0 src1_sel:DWORD
	s_andn2_b64 s[4:5], s[4:5], exec
	s_and_b64 s[8:9], s[8:9], exec
	s_or_b64 s[4:5], s[4:5], s[8:9]
	s_or_b64 exec, exec, s[6:7]
	s_and_saveexec_b64 s[6:7], s[4:5]
	s_cbranch_execz .LBB2_29173
; %bb.51179:
	s_getpc_b64 s[14:15]
.Lpost_getpc29173:
	s_add_u32 s14, s14, (.LBB2_1003-.Lpost_getpc29173)&4294967295
	s_addc_u32 s15, s15, (.LBB2_1003-.Lpost_getpc29173)>>32
	s_setpc_b64 s[14:15]
.LBB2_29173:
	s_getpc_b64 s[14:15]
.Lpost_getpc18170:
	s_add_u32 s14, s14, (.LBB2_1004-.Lpost_getpc18170)&4294967295
	s_addc_u32 s15, s15, (.LBB2_1004-.Lpost_getpc18170)>>32
	s_setpc_b64 s[14:15]
.LBB2_15341:
	s_movk_i32 s4, 0x80
	v_cmp_eq_u16_sdwa s[12:13], v3, s4 src0_sel:BYTE_0 src1_sel:DWORD
	s_mov_b64 s[4:5], -1
                                        ; implicit-def: $sgpr10
	s_and_saveexec_b64 s[8:9], s[12:13]
; %bb.15342:
	s_mov_b32 s10, 0x7f800001
	s_xor_b64 s[4:5], exec, -1
; %bb.15343:
	s_or_b64 exec, exec, s[8:9]
	s_and_b64 s[4:5], s[4:5], exec
	s_or_saveexec_b64 s[6:7], s[6:7]
	v_mov_b32_e32 v4, s10
	s_xor_b64 exec, exec, s[6:7]
	s_cbranch_execnz .LBB2_15344
; %bb.51181:
	s_getpc_b64 s[14:15]
.Lpost_getpc29174:
	s_add_u32 s14, s14, (.LBB2_1006-.Lpost_getpc29174)&4294967295
	s_addc_u32 s15, s15, (.LBB2_1006-.Lpost_getpc29174)>>32
	s_setpc_b64 s[14:15]
.LBB2_15344:
	v_mov_b32_e32 v4, 0
	v_cmp_ne_u16_sdwa s[8:9], v3, v4 src0_sel:BYTE_0 src1_sel:DWORD
	s_andn2_b64 s[4:5], s[4:5], exec
	s_and_b64 s[8:9], s[8:9], exec
	s_or_b64 s[4:5], s[4:5], s[8:9]
	s_or_b64 exec, exec, s[6:7]
	s_and_saveexec_b64 s[6:7], s[4:5]
	s_cbranch_execz .LBB2_29175
; %bb.51183:
	s_getpc_b64 s[14:15]
.Lpost_getpc29175:
	s_add_u32 s14, s14, (.LBB2_1007-.Lpost_getpc29175)&4294967295
	s_addc_u32 s15, s15, (.LBB2_1007-.Lpost_getpc29175)>>32
	s_setpc_b64 s[14:15]
.LBB2_29175:
	s_getpc_b64 s[14:15]
.Lpost_getpc18171:
	s_add_u32 s14, s14, (.LBB2_1008-.Lpost_getpc18171)&4294967295
	s_addc_u32 s15, s15, (.LBB2_1008-.Lpost_getpc18171)>>32
	s_setpc_b64 s[14:15]
.LBB2_15345:
	s_movk_i32 s4, 0x80
	v_cmp_eq_u16_e32 vcc, s4, v3
	s_mov_b64 s[4:5], -1
                                        ; implicit-def: $sgpr10
	s_and_saveexec_b64 s[8:9], vcc
; %bb.15346:
	s_mov_b32 s10, 0x7f800001
	s_xor_b64 s[4:5], exec, -1
; %bb.15347:
	s_or_b64 exec, exec, s[8:9]
	s_and_b64 s[4:5], s[4:5], exec
                                        ; implicit-def: $vgpr3
	s_or_saveexec_b64 s[6:7], s[6:7]
	v_mov_b32_e32 v2, s10
	s_xor_b64 exec, exec, s[6:7]
	s_cbranch_execnz .LBB2_15348
; %bb.51185:
	s_getpc_b64 s[14:15]
.Lpost_getpc29176:
	s_add_u32 s14, s14, (.LBB2_1010-.Lpost_getpc29176)&4294967295
	s_addc_u32 s15, s15, (.LBB2_1010-.Lpost_getpc29176)>>32
	s_setpc_b64 s[14:15]
.LBB2_15348:
	v_cmp_ne_u16_e32 vcc, 0, v3
	s_andn2_b64 s[4:5], s[4:5], exec
	s_and_b64 s[8:9], vcc, exec
	v_mov_b32_e32 v2, 0
	s_or_b64 s[4:5], s[4:5], s[8:9]
	s_or_b64 exec, exec, s[6:7]
	s_and_saveexec_b64 s[6:7], s[4:5]
	s_cbranch_execz .LBB2_29177
; %bb.51187:
	s_getpc_b64 s[14:15]
.Lpost_getpc29177:
	s_add_u32 s14, s14, (.LBB2_1011-.Lpost_getpc29177)&4294967295
	s_addc_u32 s15, s15, (.LBB2_1011-.Lpost_getpc29177)>>32
	s_setpc_b64 s[14:15]
.LBB2_29177:
	s_getpc_b64 s[14:15]
.Lpost_getpc18172:
	s_add_u32 s14, s14, (.LBB2_1012-.Lpost_getpc18172)&4294967295
	s_addc_u32 s15, s15, (.LBB2_1012-.Lpost_getpc18172)>>32
	s_setpc_b64 s[14:15]
.LBB2_15349:
	s_movk_i32 s4, 0x80
	v_cmp_eq_u16_e32 vcc, s4, v3
	s_mov_b64 s[4:5], -1
                                        ; implicit-def: $sgpr10
	s_and_saveexec_b64 s[8:9], vcc
; %bb.15350:
	s_mov_b32 s10, 0x7f800001
	s_xor_b64 s[4:5], exec, -1
; %bb.15351:
	s_or_b64 exec, exec, s[8:9]
	s_and_b64 s[4:5], s[4:5], exec
                                        ; implicit-def: $vgpr3
	s_or_saveexec_b64 s[6:7], s[6:7]
	v_mov_b32_e32 v4, s10
	s_xor_b64 exec, exec, s[6:7]
	s_cbranch_execnz .LBB2_15352
; %bb.51189:
	s_getpc_b64 s[14:15]
.Lpost_getpc29178:
	s_add_u32 s14, s14, (.LBB2_1014-.Lpost_getpc29178)&4294967295
	s_addc_u32 s15, s15, (.LBB2_1014-.Lpost_getpc29178)>>32
	s_setpc_b64 s[14:15]
.LBB2_15352:
	v_cmp_ne_u16_e32 vcc, 0, v3
	s_andn2_b64 s[4:5], s[4:5], exec
	s_and_b64 s[8:9], vcc, exec
	v_mov_b32_e32 v4, 0
	s_or_b64 s[4:5], s[4:5], s[8:9]
	s_or_b64 exec, exec, s[6:7]
	s_and_saveexec_b64 s[6:7], s[4:5]
	s_cbranch_execz .LBB2_29179
; %bb.51191:
	s_getpc_b64 s[14:15]
.Lpost_getpc29179:
	s_add_u32 s14, s14, (.LBB2_1015-.Lpost_getpc29179)&4294967295
	s_addc_u32 s15, s15, (.LBB2_1015-.Lpost_getpc29179)>>32
	s_setpc_b64 s[14:15]
.LBB2_29179:
	s_getpc_b64 s[14:15]
.Lpost_getpc18173:
	s_add_u32 s14, s14, (.LBB2_1016-.Lpost_getpc18173)&4294967295
	s_addc_u32 s15, s15, (.LBB2_1016-.Lpost_getpc18173)>>32
	s_setpc_b64 s[14:15]
.LBB2_15353:
	s_movk_i32 s4, 0x80
	v_cmp_eq_u16_sdwa s[12:13], v9, s4 src0_sel:BYTE_3 src1_sel:DWORD
	s_mov_b64 s[4:5], -1
                                        ; implicit-def: $sgpr10
	s_and_saveexec_b64 s[8:9], s[12:13]
; %bb.15354:
	s_mov_b32 s10, 0x7f800001
	s_xor_b64 s[4:5], exec, -1
; %bb.15355:
	s_or_b64 exec, exec, s[8:9]
	s_and_b64 s[4:5], s[4:5], exec
	s_or_saveexec_b64 s[6:7], s[6:7]
	v_mov_b32_e32 v2, s10
	s_xor_b64 exec, exec, s[6:7]
	s_cbranch_execnz .LBB2_15356
; %bb.51193:
	s_getpc_b64 s[14:15]
.Lpost_getpc29180:
	s_add_u32 s14, s14, (.LBB2_1018-.Lpost_getpc29180)&4294967295
	s_addc_u32 s15, s15, (.LBB2_1018-.Lpost_getpc29180)>>32
	s_setpc_b64 s[14:15]
.LBB2_15356:
	v_mov_b32_e32 v2, 0
	v_cmp_ne_u16_sdwa s[8:9], v9, v2 src0_sel:BYTE_3 src1_sel:DWORD
	s_andn2_b64 s[4:5], s[4:5], exec
	s_and_b64 s[8:9], s[8:9], exec
	s_or_b64 s[4:5], s[4:5], s[8:9]
	s_or_b64 exec, exec, s[6:7]
	s_and_saveexec_b64 s[6:7], s[4:5]
	s_cbranch_execz .LBB2_29181
; %bb.51195:
	s_getpc_b64 s[14:15]
.Lpost_getpc29181:
	s_add_u32 s14, s14, (.LBB2_1019-.Lpost_getpc29181)&4294967295
	s_addc_u32 s15, s15, (.LBB2_1019-.Lpost_getpc29181)>>32
	s_setpc_b64 s[14:15]
.LBB2_29181:
	s_getpc_b64 s[14:15]
.Lpost_getpc18174:
	s_add_u32 s14, s14, (.LBB2_1020-.Lpost_getpc18174)&4294967295
	s_addc_u32 s15, s15, (.LBB2_1020-.Lpost_getpc18174)>>32
	s_setpc_b64 s[14:15]
.LBB2_15357:
	s_movk_i32 s4, 0x80
	v_cmp_eq_u16_sdwa s[12:13], v5, s4 src0_sel:BYTE_3 src1_sel:DWORD
	s_mov_b64 s[4:5], -1
                                        ; implicit-def: $sgpr10
	s_and_saveexec_b64 s[8:9], s[12:13]
; %bb.15358:
	s_mov_b32 s10, 0x7f800001
	s_xor_b64 s[4:5], exec, -1
; %bb.15359:
	s_or_b64 exec, exec, s[8:9]
	s_and_b64 s[4:5], s[4:5], exec
	s_or_saveexec_b64 s[6:7], s[6:7]
	v_mov_b32_e32 v3, s10
	s_xor_b64 exec, exec, s[6:7]
	s_cbranch_execnz .LBB2_15360
; %bb.51197:
	s_getpc_b64 s[14:15]
.Lpost_getpc29182:
	s_add_u32 s14, s14, (.LBB2_1022-.Lpost_getpc29182)&4294967295
	s_addc_u32 s15, s15, (.LBB2_1022-.Lpost_getpc29182)>>32
	s_setpc_b64 s[14:15]
.LBB2_15360:
	v_mov_b32_e32 v3, 0
	v_cmp_ne_u16_sdwa s[8:9], v5, v3 src0_sel:BYTE_3 src1_sel:DWORD
	s_andn2_b64 s[4:5], s[4:5], exec
	s_and_b64 s[8:9], s[8:9], exec
	s_or_b64 s[4:5], s[4:5], s[8:9]
	s_or_b64 exec, exec, s[6:7]
	s_and_saveexec_b64 s[6:7], s[4:5]
	s_cbranch_execz .LBB2_29183
; %bb.51199:
	s_getpc_b64 s[14:15]
.Lpost_getpc29183:
	s_add_u32 s14, s14, (.LBB2_1023-.Lpost_getpc29183)&4294967295
	s_addc_u32 s15, s15, (.LBB2_1023-.Lpost_getpc29183)>>32
	s_setpc_b64 s[14:15]
.LBB2_29183:
	s_getpc_b64 s[14:15]
.Lpost_getpc18175:
	s_add_u32 s14, s14, (.LBB2_1024-.Lpost_getpc18175)&4294967295
	s_addc_u32 s15, s15, (.LBB2_1024-.Lpost_getpc18175)>>32
	s_setpc_b64 s[14:15]
.LBB2_15361:
	s_movk_i32 s4, 0x80
	v_cmp_eq_u16_sdwa s[12:13], v6, s4 src0_sel:BYTE_0 src1_sel:DWORD
	s_mov_b64 s[4:5], -1
                                        ; implicit-def: $sgpr10
	s_and_saveexec_b64 s[8:9], s[12:13]
; %bb.15362:
	s_mov_b32 s10, 0x7f800001
	s_xor_b64 s[4:5], exec, -1
; %bb.15363:
	s_or_b64 exec, exec, s[8:9]
	s_and_b64 s[4:5], s[4:5], exec
	s_or_saveexec_b64 s[6:7], s[6:7]
	v_mov_b32_e32 v12, s10
	s_xor_b64 exec, exec, s[6:7]
	s_cbranch_execnz .LBB2_15364
; %bb.51201:
	s_getpc_b64 s[14:15]
.Lpost_getpc29184:
	s_add_u32 s14, s14, (.LBB2_1026-.Lpost_getpc29184)&4294967295
	s_addc_u32 s15, s15, (.LBB2_1026-.Lpost_getpc29184)>>32
	s_setpc_b64 s[14:15]
.LBB2_15364:
	v_mov_b32_e32 v12, 0
	v_cmp_ne_u16_sdwa s[8:9], v6, v12 src0_sel:BYTE_0 src1_sel:DWORD
	s_andn2_b64 s[4:5], s[4:5], exec
	s_and_b64 s[8:9], s[8:9], exec
	s_or_b64 s[4:5], s[4:5], s[8:9]
	s_or_b64 exec, exec, s[6:7]
	s_and_saveexec_b64 s[6:7], s[4:5]
	s_cbranch_execz .LBB2_29185
; %bb.51203:
	s_getpc_b64 s[14:15]
.Lpost_getpc29185:
	s_add_u32 s14, s14, (.LBB2_1027-.Lpost_getpc29185)&4294967295
	s_addc_u32 s15, s15, (.LBB2_1027-.Lpost_getpc29185)>>32
	s_setpc_b64 s[14:15]
.LBB2_29185:
	s_getpc_b64 s[14:15]
.Lpost_getpc18176:
	s_add_u32 s14, s14, (.LBB2_1028-.Lpost_getpc18176)&4294967295
	s_addc_u32 s15, s15, (.LBB2_1028-.Lpost_getpc18176)>>32
	s_setpc_b64 s[14:15]
.LBB2_15365:
	s_movk_i32 s4, 0x80
	v_cmp_eq_u16_sdwa s[12:13], v2, s4 src0_sel:BYTE_0 src1_sel:DWORD
	s_mov_b64 s[4:5], -1
                                        ; implicit-def: $sgpr10
	s_and_saveexec_b64 s[8:9], s[12:13]
; %bb.15366:
	s_mov_b32 s10, 0x7f800001
	s_xor_b64 s[4:5], exec, -1
; %bb.15367:
	s_or_b64 exec, exec, s[8:9]
	s_and_b64 s[4:5], s[4:5], exec
	s_or_saveexec_b64 s[6:7], s[6:7]
	v_mov_b32_e32 v13, s10
	s_xor_b64 exec, exec, s[6:7]
	s_cbranch_execnz .LBB2_15368
; %bb.51205:
	s_getpc_b64 s[14:15]
.Lpost_getpc29186:
	s_add_u32 s14, s14, (.LBB2_1030-.Lpost_getpc29186)&4294967295
	s_addc_u32 s15, s15, (.LBB2_1030-.Lpost_getpc29186)>>32
	s_setpc_b64 s[14:15]
.LBB2_15368:
	v_mov_b32_e32 v13, 0
	v_cmp_ne_u16_sdwa s[8:9], v2, v13 src0_sel:BYTE_0 src1_sel:DWORD
	s_andn2_b64 s[4:5], s[4:5], exec
	s_and_b64 s[8:9], s[8:9], exec
	s_or_b64 s[4:5], s[4:5], s[8:9]
	s_or_b64 exec, exec, s[6:7]
	s_and_saveexec_b64 s[6:7], s[4:5]
	s_cbranch_execz .LBB2_29187
; %bb.51207:
	s_getpc_b64 s[14:15]
.Lpost_getpc29187:
	s_add_u32 s14, s14, (.LBB2_1031-.Lpost_getpc29187)&4294967295
	s_addc_u32 s15, s15, (.LBB2_1031-.Lpost_getpc29187)>>32
	s_setpc_b64 s[14:15]
.LBB2_29187:
	s_getpc_b64 s[14:15]
.Lpost_getpc18177:
	s_add_u32 s14, s14, (.LBB2_1032-.Lpost_getpc18177)&4294967295
	s_addc_u32 s15, s15, (.LBB2_1032-.Lpost_getpc18177)>>32
	s_setpc_b64 s[14:15]
.LBB2_15369:
	s_movk_i32 s4, 0x80
	v_cmp_eq_u16_sdwa s[12:13], v13, s4 src0_sel:BYTE_0 src1_sel:DWORD
	s_mov_b64 s[4:5], -1
                                        ; implicit-def: $sgpr10
	s_and_saveexec_b64 s[8:9], s[12:13]
; %bb.15370:
	s_mov_b32 s10, 0x7f800001
	s_xor_b64 s[4:5], exec, -1
; %bb.15371:
	s_or_b64 exec, exec, s[8:9]
	s_and_b64 s[4:5], s[4:5], exec
	s_or_saveexec_b64 s[6:7], s[6:7]
	v_mov_b32_e32 v12, s10
	s_xor_b64 exec, exec, s[6:7]
	s_cbranch_execnz .LBB2_15372
; %bb.51209:
	s_getpc_b64 s[14:15]
.Lpost_getpc29188:
	s_add_u32 s14, s14, (.LBB2_1034-.Lpost_getpc29188)&4294967295
	s_addc_u32 s15, s15, (.LBB2_1034-.Lpost_getpc29188)>>32
	s_setpc_b64 s[14:15]
.LBB2_15372:
	v_mov_b32_e32 v12, 0
	v_cmp_ne_u16_sdwa s[8:9], v13, v12 src0_sel:BYTE_0 src1_sel:DWORD
	s_andn2_b64 s[4:5], s[4:5], exec
	s_and_b64 s[8:9], s[8:9], exec
	s_or_b64 s[4:5], s[4:5], s[8:9]
	s_or_b64 exec, exec, s[6:7]
	s_and_saveexec_b64 s[6:7], s[4:5]
	s_cbranch_execz .LBB2_29189
; %bb.51211:
	s_getpc_b64 s[14:15]
.Lpost_getpc29189:
	s_add_u32 s14, s14, (.LBB2_1035-.Lpost_getpc29189)&4294967295
	s_addc_u32 s15, s15, (.LBB2_1035-.Lpost_getpc29189)>>32
	s_setpc_b64 s[14:15]
.LBB2_29189:
	s_getpc_b64 s[14:15]
.Lpost_getpc18178:
	s_add_u32 s14, s14, (.LBB2_1036-.Lpost_getpc18178)&4294967295
	s_addc_u32 s15, s15, (.LBB2_1036-.Lpost_getpc18178)>>32
	s_setpc_b64 s[14:15]
.LBB2_15373:
	s_movk_i32 s4, 0x80
	v_cmp_eq_u16_sdwa s[12:13], v13, s4 src0_sel:BYTE_0 src1_sel:DWORD
	s_mov_b64 s[4:5], -1
                                        ; implicit-def: $sgpr10
	s_and_saveexec_b64 s[8:9], s[12:13]
; %bb.15374:
	s_mov_b32 s10, 0x7f800001
	s_xor_b64 s[4:5], exec, -1
; %bb.15375:
	s_or_b64 exec, exec, s[8:9]
	s_and_b64 s[4:5], s[4:5], exec
	s_or_saveexec_b64 s[6:7], s[6:7]
	v_mov_b32_e32 v14, s10
	s_xor_b64 exec, exec, s[6:7]
	s_cbranch_execnz .LBB2_15376
; %bb.51213:
	s_getpc_b64 s[14:15]
.Lpost_getpc29190:
	s_add_u32 s14, s14, (.LBB2_1038-.Lpost_getpc29190)&4294967295
	s_addc_u32 s15, s15, (.LBB2_1038-.Lpost_getpc29190)>>32
	s_setpc_b64 s[14:15]
.LBB2_15376:
	v_mov_b32_e32 v14, 0
	v_cmp_ne_u16_sdwa s[8:9], v13, v14 src0_sel:BYTE_0 src1_sel:DWORD
	s_andn2_b64 s[4:5], s[4:5], exec
	s_and_b64 s[8:9], s[8:9], exec
	s_or_b64 s[4:5], s[4:5], s[8:9]
	s_or_b64 exec, exec, s[6:7]
	s_and_saveexec_b64 s[6:7], s[4:5]
	s_cbranch_execz .LBB2_29191
; %bb.51215:
	s_getpc_b64 s[14:15]
.Lpost_getpc29191:
	s_add_u32 s14, s14, (.LBB2_1039-.Lpost_getpc29191)&4294967295
	s_addc_u32 s15, s15, (.LBB2_1039-.Lpost_getpc29191)>>32
	s_setpc_b64 s[14:15]
.LBB2_29191:
	s_getpc_b64 s[14:15]
.Lpost_getpc18179:
	s_add_u32 s14, s14, (.LBB2_1040-.Lpost_getpc18179)&4294967295
	s_addc_u32 s15, s15, (.LBB2_1040-.Lpost_getpc18179)>>32
	s_setpc_b64 s[14:15]
.LBB2_15377:
	s_movk_i32 s4, 0x80
	v_cmp_eq_u16_e32 vcc, s4, v13
	s_mov_b64 s[4:5], -1
                                        ; implicit-def: $sgpr10
	s_and_saveexec_b64 s[8:9], vcc
; %bb.15378:
	s_mov_b32 s10, 0x7f800001
	s_xor_b64 s[4:5], exec, -1
; %bb.15379:
	s_or_b64 exec, exec, s[8:9]
	s_and_b64 s[4:5], s[4:5], exec
                                        ; implicit-def: $vgpr13
	s_or_saveexec_b64 s[6:7], s[6:7]
	v_mov_b32_e32 v12, s10
	s_xor_b64 exec, exec, s[6:7]
	s_cbranch_execnz .LBB2_15380
; %bb.51217:
	s_getpc_b64 s[14:15]
.Lpost_getpc29192:
	s_add_u32 s14, s14, (.LBB2_1042-.Lpost_getpc29192)&4294967295
	s_addc_u32 s15, s15, (.LBB2_1042-.Lpost_getpc29192)>>32
	s_setpc_b64 s[14:15]
.LBB2_15380:
	v_cmp_ne_u16_e32 vcc, 0, v13
	s_andn2_b64 s[4:5], s[4:5], exec
	s_and_b64 s[8:9], vcc, exec
	v_mov_b32_e32 v12, 0
	s_or_b64 s[4:5], s[4:5], s[8:9]
	s_or_b64 exec, exec, s[6:7]
	s_and_saveexec_b64 s[6:7], s[4:5]
	s_cbranch_execz .LBB2_29193
; %bb.51219:
	s_getpc_b64 s[14:15]
.Lpost_getpc29193:
	s_add_u32 s14, s14, (.LBB2_1043-.Lpost_getpc29193)&4294967295
	s_addc_u32 s15, s15, (.LBB2_1043-.Lpost_getpc29193)>>32
	s_setpc_b64 s[14:15]
.LBB2_29193:
	s_getpc_b64 s[14:15]
.Lpost_getpc18180:
	s_add_u32 s14, s14, (.LBB2_1044-.Lpost_getpc18180)&4294967295
	s_addc_u32 s15, s15, (.LBB2_1044-.Lpost_getpc18180)>>32
	s_setpc_b64 s[14:15]
.LBB2_15381:
	s_movk_i32 s4, 0x80
	v_cmp_eq_u16_e32 vcc, s4, v13
	s_mov_b64 s[4:5], -1
                                        ; implicit-def: $sgpr10
	s_and_saveexec_b64 s[8:9], vcc
; %bb.15382:
	s_mov_b32 s10, 0x7f800001
	s_xor_b64 s[4:5], exec, -1
; %bb.15383:
	s_or_b64 exec, exec, s[8:9]
	s_and_b64 s[4:5], s[4:5], exec
                                        ; implicit-def: $vgpr13
	s_or_saveexec_b64 s[6:7], s[6:7]
	v_mov_b32_e32 v14, s10
	s_xor_b64 exec, exec, s[6:7]
	s_cbranch_execnz .LBB2_15384
; %bb.51221:
	s_getpc_b64 s[14:15]
.Lpost_getpc29194:
	s_add_u32 s14, s14, (.LBB2_1046-.Lpost_getpc29194)&4294967295
	s_addc_u32 s15, s15, (.LBB2_1046-.Lpost_getpc29194)>>32
	s_setpc_b64 s[14:15]
.LBB2_15384:
	v_cmp_ne_u16_e32 vcc, 0, v13
	s_andn2_b64 s[4:5], s[4:5], exec
	s_and_b64 s[8:9], vcc, exec
	v_mov_b32_e32 v14, 0
	s_or_b64 s[4:5], s[4:5], s[8:9]
	s_or_b64 exec, exec, s[6:7]
	s_and_saveexec_b64 s[6:7], s[4:5]
	s_cbranch_execz .LBB2_29195
; %bb.51223:
	s_getpc_b64 s[14:15]
.Lpost_getpc29195:
	s_add_u32 s14, s14, (.LBB2_1047-.Lpost_getpc29195)&4294967295
	s_addc_u32 s15, s15, (.LBB2_1047-.Lpost_getpc29195)>>32
	s_setpc_b64 s[14:15]
.LBB2_29195:
	s_getpc_b64 s[14:15]
.Lpost_getpc18181:
	s_add_u32 s14, s14, (.LBB2_1048-.Lpost_getpc18181)&4294967295
	s_addc_u32 s15, s15, (.LBB2_1048-.Lpost_getpc18181)>>32
	s_setpc_b64 s[14:15]
.LBB2_15385:
	s_movk_i32 s4, 0x80
	v_cmp_eq_u16_sdwa s[12:13], v6, s4 src0_sel:BYTE_3 src1_sel:DWORD
	s_mov_b64 s[4:5], -1
                                        ; implicit-def: $sgpr10
	s_and_saveexec_b64 s[8:9], s[12:13]
; %bb.15386:
	s_mov_b32 s10, 0x7f800001
	s_xor_b64 s[4:5], exec, -1
; %bb.15387:
	s_or_b64 exec, exec, s[8:9]
	s_and_b64 s[4:5], s[4:5], exec
	s_or_saveexec_b64 s[6:7], s[6:7]
	v_mov_b32_e32 v12, s10
	s_xor_b64 exec, exec, s[6:7]
	s_cbranch_execnz .LBB2_15388
; %bb.51225:
	s_getpc_b64 s[14:15]
.Lpost_getpc29196:
	s_add_u32 s14, s14, (.LBB2_1050-.Lpost_getpc29196)&4294967295
	s_addc_u32 s15, s15, (.LBB2_1050-.Lpost_getpc29196)>>32
	s_setpc_b64 s[14:15]
.LBB2_15388:
	v_mov_b32_e32 v12, 0
	v_cmp_ne_u16_sdwa s[8:9], v6, v12 src0_sel:BYTE_3 src1_sel:DWORD
	s_andn2_b64 s[4:5], s[4:5], exec
	s_and_b64 s[8:9], s[8:9], exec
	s_or_b64 s[4:5], s[4:5], s[8:9]
	s_or_b64 exec, exec, s[6:7]
	s_and_saveexec_b64 s[6:7], s[4:5]
	s_cbranch_execz .LBB2_29197
; %bb.51227:
	s_getpc_b64 s[14:15]
.Lpost_getpc29197:
	s_add_u32 s14, s14, (.LBB2_1051-.Lpost_getpc29197)&4294967295
	s_addc_u32 s15, s15, (.LBB2_1051-.Lpost_getpc29197)>>32
	s_setpc_b64 s[14:15]
.LBB2_29197:
	s_getpc_b64 s[14:15]
.Lpost_getpc18182:
	s_add_u32 s14, s14, (.LBB2_1052-.Lpost_getpc18182)&4294967295
	s_addc_u32 s15, s15, (.LBB2_1052-.Lpost_getpc18182)>>32
	s_setpc_b64 s[14:15]
.LBB2_15389:
	s_movk_i32 s4, 0x80
	v_cmp_eq_u16_sdwa s[12:13], v2, s4 src0_sel:BYTE_3 src1_sel:DWORD
	s_mov_b64 s[4:5], -1
                                        ; implicit-def: $sgpr10
	s_and_saveexec_b64 s[8:9], s[12:13]
; %bb.15390:
	s_mov_b32 s10, 0x7f800001
	s_xor_b64 s[4:5], exec, -1
; %bb.15391:
	s_or_b64 exec, exec, s[8:9]
	s_and_b64 s[4:5], s[4:5], exec
	s_or_saveexec_b64 s[6:7], s[6:7]
	v_mov_b32_e32 v6, s10
	s_xor_b64 exec, exec, s[6:7]
	s_cbranch_execnz .LBB2_15392
; %bb.51229:
	s_getpc_b64 s[14:15]
.Lpost_getpc29198:
	s_add_u32 s14, s14, (.LBB2_1054-.Lpost_getpc29198)&4294967295
	s_addc_u32 s15, s15, (.LBB2_1054-.Lpost_getpc29198)>>32
	s_setpc_b64 s[14:15]
.LBB2_15392:
	v_mov_b32_e32 v6, 0
	v_cmp_ne_u16_sdwa s[8:9], v2, v6 src0_sel:BYTE_3 src1_sel:DWORD
	s_andn2_b64 s[4:5], s[4:5], exec
	s_and_b64 s[8:9], s[8:9], exec
	s_or_b64 s[4:5], s[4:5], s[8:9]
	s_or_b64 exec, exec, s[6:7]
	s_and_saveexec_b64 s[6:7], s[4:5]
	s_cbranch_execz .LBB2_29199
; %bb.51231:
	s_getpc_b64 s[14:15]
.Lpost_getpc29199:
	s_add_u32 s14, s14, (.LBB2_1055-.Lpost_getpc29199)&4294967295
	s_addc_u32 s15, s15, (.LBB2_1055-.Lpost_getpc29199)>>32
	s_setpc_b64 s[14:15]
.LBB2_29199:
	s_getpc_b64 s[14:15]
.Lpost_getpc18183:
	s_add_u32 s14, s14, (.LBB2_1056-.Lpost_getpc18183)&4294967295
	s_addc_u32 s15, s15, (.LBB2_1056-.Lpost_getpc18183)>>32
	s_setpc_b64 s[14:15]
.LBB2_15393:
	s_movk_i32 s4, 0x80
	v_cmp_eq_u16_sdwa s[12:13], v7, s4 src0_sel:BYTE_0 src1_sel:DWORD
	s_mov_b64 s[4:5], -1
                                        ; implicit-def: $sgpr10
	s_and_saveexec_b64 s[8:9], s[12:13]
; %bb.15394:
	s_mov_b32 s10, 0x7f800001
	s_xor_b64 s[4:5], exec, -1
; %bb.15395:
	s_or_b64 exec, exec, s[8:9]
	s_and_b64 s[4:5], s[4:5], exec
	s_or_saveexec_b64 s[6:7], s[6:7]
	v_mov_b32_e32 v2, s10
	s_xor_b64 exec, exec, s[6:7]
	s_cbranch_execnz .LBB2_15396
; %bb.51233:
	s_getpc_b64 s[14:15]
.Lpost_getpc29200:
	s_add_u32 s14, s14, (.LBB2_1058-.Lpost_getpc29200)&4294967295
	s_addc_u32 s15, s15, (.LBB2_1058-.Lpost_getpc29200)>>32
	s_setpc_b64 s[14:15]
.LBB2_15396:
	v_mov_b32_e32 v2, 0
	v_cmp_ne_u16_sdwa s[8:9], v7, v2 src0_sel:BYTE_0 src1_sel:DWORD
	s_andn2_b64 s[4:5], s[4:5], exec
	s_and_b64 s[8:9], s[8:9], exec
	s_or_b64 s[4:5], s[4:5], s[8:9]
	s_or_b64 exec, exec, s[6:7]
	s_and_saveexec_b64 s[6:7], s[4:5]
	s_cbranch_execz .LBB2_29201
; %bb.51235:
	s_getpc_b64 s[14:15]
.Lpost_getpc29201:
	s_add_u32 s14, s14, (.LBB2_1059-.Lpost_getpc29201)&4294967295
	s_addc_u32 s15, s15, (.LBB2_1059-.Lpost_getpc29201)>>32
	s_setpc_b64 s[14:15]
.LBB2_29201:
	s_getpc_b64 s[14:15]
.Lpost_getpc18184:
	s_add_u32 s14, s14, (.LBB2_1060-.Lpost_getpc18184)&4294967295
	s_addc_u32 s15, s15, (.LBB2_1060-.Lpost_getpc18184)>>32
	s_setpc_b64 s[14:15]
.LBB2_15397:
	s_movk_i32 s4, 0x80
	v_cmp_eq_u16_sdwa s[12:13], v3, s4 src0_sel:BYTE_0 src1_sel:DWORD
	s_mov_b64 s[4:5], -1
                                        ; implicit-def: $sgpr10
	s_and_saveexec_b64 s[8:9], s[12:13]
; %bb.15398:
	s_mov_b32 s10, 0x7f800001
	s_xor_b64 s[4:5], exec, -1
; %bb.15399:
	s_or_b64 exec, exec, s[8:9]
	s_and_b64 s[4:5], s[4:5], exec
	s_or_saveexec_b64 s[6:7], s[6:7]
	v_mov_b32_e32 v6, s10
	s_xor_b64 exec, exec, s[6:7]
	s_cbranch_execnz .LBB2_15400
; %bb.51237:
	s_getpc_b64 s[14:15]
.Lpost_getpc29202:
	s_add_u32 s14, s14, (.LBB2_1062-.Lpost_getpc29202)&4294967295
	s_addc_u32 s15, s15, (.LBB2_1062-.Lpost_getpc29202)>>32
	s_setpc_b64 s[14:15]
.LBB2_15400:
	v_mov_b32_e32 v6, 0
	v_cmp_ne_u16_sdwa s[8:9], v3, v6 src0_sel:BYTE_0 src1_sel:DWORD
	s_andn2_b64 s[4:5], s[4:5], exec
	s_and_b64 s[8:9], s[8:9], exec
	s_or_b64 s[4:5], s[4:5], s[8:9]
	s_or_b64 exec, exec, s[6:7]
	s_and_saveexec_b64 s[6:7], s[4:5]
	s_cbranch_execz .LBB2_29203
; %bb.51239:
	s_getpc_b64 s[14:15]
.Lpost_getpc29203:
	s_add_u32 s14, s14, (.LBB2_1063-.Lpost_getpc29203)&4294967295
	s_addc_u32 s15, s15, (.LBB2_1063-.Lpost_getpc29203)>>32
	s_setpc_b64 s[14:15]
.LBB2_29203:
	s_getpc_b64 s[14:15]
.Lpost_getpc18185:
	s_add_u32 s14, s14, (.LBB2_1064-.Lpost_getpc18185)&4294967295
	s_addc_u32 s15, s15, (.LBB2_1064-.Lpost_getpc18185)>>32
	s_setpc_b64 s[14:15]
.LBB2_15401:
	s_movk_i32 s4, 0x80
	v_cmp_eq_u16_sdwa s[12:13], v6, s4 src0_sel:BYTE_0 src1_sel:DWORD
	s_mov_b64 s[4:5], -1
                                        ; implicit-def: $sgpr10
	s_and_saveexec_b64 s[8:9], s[12:13]
; %bb.15402:
	s_mov_b32 s10, 0x7f800001
	s_xor_b64 s[4:5], exec, -1
; %bb.15403:
	s_or_b64 exec, exec, s[8:9]
	s_and_b64 s[4:5], s[4:5], exec
	s_or_saveexec_b64 s[6:7], s[6:7]
	v_mov_b32_e32 v2, s10
	s_xor_b64 exec, exec, s[6:7]
	s_cbranch_execnz .LBB2_15404
; %bb.51241:
	s_getpc_b64 s[14:15]
.Lpost_getpc29204:
	s_add_u32 s14, s14, (.LBB2_1066-.Lpost_getpc29204)&4294967295
	s_addc_u32 s15, s15, (.LBB2_1066-.Lpost_getpc29204)>>32
	s_setpc_b64 s[14:15]
.LBB2_15404:
	v_mov_b32_e32 v2, 0
	v_cmp_ne_u16_sdwa s[8:9], v6, v2 src0_sel:BYTE_0 src1_sel:DWORD
	s_andn2_b64 s[4:5], s[4:5], exec
	s_and_b64 s[8:9], s[8:9], exec
	s_or_b64 s[4:5], s[4:5], s[8:9]
	s_or_b64 exec, exec, s[6:7]
	s_and_saveexec_b64 s[6:7], s[4:5]
	s_cbranch_execz .LBB2_29205
; %bb.51243:
	s_getpc_b64 s[14:15]
.Lpost_getpc29205:
	s_add_u32 s14, s14, (.LBB2_1067-.Lpost_getpc29205)&4294967295
	s_addc_u32 s15, s15, (.LBB2_1067-.Lpost_getpc29205)>>32
	s_setpc_b64 s[14:15]
.LBB2_29205:
	s_getpc_b64 s[14:15]
.Lpost_getpc18186:
	s_add_u32 s14, s14, (.LBB2_1068-.Lpost_getpc18186)&4294967295
	s_addc_u32 s15, s15, (.LBB2_1068-.Lpost_getpc18186)>>32
	s_setpc_b64 s[14:15]
.LBB2_15405:
	s_movk_i32 s4, 0x80
	v_cmp_eq_u16_sdwa s[12:13], v6, s4 src0_sel:BYTE_0 src1_sel:DWORD
	s_mov_b64 s[4:5], -1
                                        ; implicit-def: $sgpr10
	s_and_saveexec_b64 s[8:9], s[12:13]
; %bb.15406:
	s_mov_b32 s10, 0x7f800001
	s_xor_b64 s[4:5], exec, -1
; %bb.15407:
	s_or_b64 exec, exec, s[8:9]
	s_and_b64 s[4:5], s[4:5], exec
	s_or_saveexec_b64 s[6:7], s[6:7]
	v_mov_b32_e32 v12, s10
	s_xor_b64 exec, exec, s[6:7]
	s_cbranch_execnz .LBB2_15408
; %bb.51245:
	s_getpc_b64 s[14:15]
.Lpost_getpc29206:
	s_add_u32 s14, s14, (.LBB2_1070-.Lpost_getpc29206)&4294967295
	s_addc_u32 s15, s15, (.LBB2_1070-.Lpost_getpc29206)>>32
	s_setpc_b64 s[14:15]
.LBB2_15408:
	v_mov_b32_e32 v12, 0
	v_cmp_ne_u16_sdwa s[8:9], v6, v12 src0_sel:BYTE_0 src1_sel:DWORD
	s_andn2_b64 s[4:5], s[4:5], exec
	s_and_b64 s[8:9], s[8:9], exec
	s_or_b64 s[4:5], s[4:5], s[8:9]
	s_or_b64 exec, exec, s[6:7]
	s_and_saveexec_b64 s[6:7], s[4:5]
	s_cbranch_execz .LBB2_29207
; %bb.51247:
	s_getpc_b64 s[14:15]
.Lpost_getpc29207:
	s_add_u32 s14, s14, (.LBB2_1071-.Lpost_getpc29207)&4294967295
	s_addc_u32 s15, s15, (.LBB2_1071-.Lpost_getpc29207)>>32
	s_setpc_b64 s[14:15]
.LBB2_29207:
	s_getpc_b64 s[14:15]
.Lpost_getpc18187:
	s_add_u32 s14, s14, (.LBB2_1072-.Lpost_getpc18187)&4294967295
	s_addc_u32 s15, s15, (.LBB2_1072-.Lpost_getpc18187)>>32
	s_setpc_b64 s[14:15]
.LBB2_15409:
	s_movk_i32 s4, 0x80
	v_cmp_eq_u16_e32 vcc, s4, v6
	s_mov_b64 s[4:5], -1
                                        ; implicit-def: $sgpr10
	s_and_saveexec_b64 s[8:9], vcc
; %bb.15410:
	s_mov_b32 s10, 0x7f800001
	s_xor_b64 s[4:5], exec, -1
; %bb.15411:
	s_or_b64 exec, exec, s[8:9]
	s_and_b64 s[4:5], s[4:5], exec
                                        ; implicit-def: $vgpr6
	s_or_saveexec_b64 s[6:7], s[6:7]
	v_mov_b32_e32 v2, s10
	s_xor_b64 exec, exec, s[6:7]
	s_cbranch_execnz .LBB2_15412
; %bb.51249:
	s_getpc_b64 s[14:15]
.Lpost_getpc29208:
	s_add_u32 s14, s14, (.LBB2_1074-.Lpost_getpc29208)&4294967295
	s_addc_u32 s15, s15, (.LBB2_1074-.Lpost_getpc29208)>>32
	s_setpc_b64 s[14:15]
.LBB2_15412:
	v_cmp_ne_u16_e32 vcc, 0, v6
	s_andn2_b64 s[4:5], s[4:5], exec
	s_and_b64 s[8:9], vcc, exec
	v_mov_b32_e32 v2, 0
	s_or_b64 s[4:5], s[4:5], s[8:9]
	s_or_b64 exec, exec, s[6:7]
	s_and_saveexec_b64 s[6:7], s[4:5]
	s_cbranch_execz .LBB2_29209
; %bb.51251:
	s_getpc_b64 s[14:15]
.Lpost_getpc29209:
	s_add_u32 s14, s14, (.LBB2_1075-.Lpost_getpc29209)&4294967295
	s_addc_u32 s15, s15, (.LBB2_1075-.Lpost_getpc29209)>>32
	s_setpc_b64 s[14:15]
.LBB2_29209:
	s_getpc_b64 s[14:15]
.Lpost_getpc18188:
	s_add_u32 s14, s14, (.LBB2_1076-.Lpost_getpc18188)&4294967295
	s_addc_u32 s15, s15, (.LBB2_1076-.Lpost_getpc18188)>>32
	s_setpc_b64 s[14:15]
.LBB2_15413:
	s_movk_i32 s4, 0x80
	v_cmp_eq_u16_e32 vcc, s4, v6
	s_mov_b64 s[4:5], -1
                                        ; implicit-def: $sgpr10
	s_and_saveexec_b64 s[8:9], vcc
; %bb.15414:
	s_mov_b32 s10, 0x7f800001
	s_xor_b64 s[4:5], exec, -1
; %bb.15415:
	s_or_b64 exec, exec, s[8:9]
	s_and_b64 s[4:5], s[4:5], exec
                                        ; implicit-def: $vgpr6
	s_or_saveexec_b64 s[6:7], s[6:7]
	v_mov_b32_e32 v12, s10
	s_xor_b64 exec, exec, s[6:7]
	s_cbranch_execnz .LBB2_15416
; %bb.51253:
	s_getpc_b64 s[14:15]
.Lpost_getpc29210:
	s_add_u32 s14, s14, (.LBB2_1078-.Lpost_getpc29210)&4294967295
	s_addc_u32 s15, s15, (.LBB2_1078-.Lpost_getpc29210)>>32
	s_setpc_b64 s[14:15]
.LBB2_15416:
	v_cmp_ne_u16_e32 vcc, 0, v6
	s_andn2_b64 s[4:5], s[4:5], exec
	s_and_b64 s[8:9], vcc, exec
	v_mov_b32_e32 v12, 0
	s_or_b64 s[4:5], s[4:5], s[8:9]
	s_or_b64 exec, exec, s[6:7]
	s_and_saveexec_b64 s[6:7], s[4:5]
	s_cbranch_execz .LBB2_29211
; %bb.51255:
	s_getpc_b64 s[14:15]
.Lpost_getpc29211:
	s_add_u32 s14, s14, (.LBB2_1079-.Lpost_getpc29211)&4294967295
	s_addc_u32 s15, s15, (.LBB2_1079-.Lpost_getpc29211)>>32
	s_setpc_b64 s[14:15]
.LBB2_29211:
	s_getpc_b64 s[14:15]
.Lpost_getpc18189:
	s_add_u32 s14, s14, (.LBB2_1080-.Lpost_getpc18189)&4294967295
	s_addc_u32 s15, s15, (.LBB2_1080-.Lpost_getpc18189)>>32
	s_setpc_b64 s[14:15]
.LBB2_15417:
	s_movk_i32 s4, 0x80
	v_cmp_eq_u16_sdwa s[12:13], v7, s4 src0_sel:BYTE_3 src1_sel:DWORD
	s_mov_b64 s[4:5], -1
                                        ; implicit-def: $sgpr10
	s_and_saveexec_b64 s[8:9], s[12:13]
; %bb.15418:
	s_mov_b32 s10, 0x7f800001
	s_xor_b64 s[4:5], exec, -1
; %bb.15419:
	s_or_b64 exec, exec, s[8:9]
	s_and_b64 s[4:5], s[4:5], exec
	s_or_saveexec_b64 s[6:7], s[6:7]
	v_mov_b32_e32 v2, s10
	s_xor_b64 exec, exec, s[6:7]
	s_cbranch_execnz .LBB2_15420
; %bb.51257:
	s_getpc_b64 s[14:15]
.Lpost_getpc29212:
	s_add_u32 s14, s14, (.LBB2_1082-.Lpost_getpc29212)&4294967295
	s_addc_u32 s15, s15, (.LBB2_1082-.Lpost_getpc29212)>>32
	s_setpc_b64 s[14:15]
.LBB2_15420:
	v_mov_b32_e32 v2, 0
	v_cmp_ne_u16_sdwa s[8:9], v7, v2 src0_sel:BYTE_3 src1_sel:DWORD
	s_andn2_b64 s[4:5], s[4:5], exec
	s_and_b64 s[8:9], s[8:9], exec
	s_or_b64 s[4:5], s[4:5], s[8:9]
	s_or_b64 exec, exec, s[6:7]
	s_and_saveexec_b64 s[6:7], s[4:5]
	s_cbranch_execz .LBB2_29213
; %bb.51259:
	s_getpc_b64 s[14:15]
.Lpost_getpc29213:
	s_add_u32 s14, s14, (.LBB2_1083-.Lpost_getpc29213)&4294967295
	s_addc_u32 s15, s15, (.LBB2_1083-.Lpost_getpc29213)>>32
	s_setpc_b64 s[14:15]
.LBB2_29213:
	s_getpc_b64 s[14:15]
.Lpost_getpc18190:
	s_add_u32 s14, s14, (.LBB2_1084-.Lpost_getpc18190)&4294967295
	s_addc_u32 s15, s15, (.LBB2_1084-.Lpost_getpc18190)>>32
	s_setpc_b64 s[14:15]
.LBB2_15421:
	s_movk_i32 s4, 0x80
	v_cmp_eq_u16_sdwa s[12:13], v3, s4 src0_sel:BYTE_3 src1_sel:DWORD
	s_mov_b64 s[4:5], -1
                                        ; implicit-def: $sgpr10
	s_and_saveexec_b64 s[8:9], s[12:13]
; %bb.15422:
	s_mov_b32 s10, 0x7f800001
	s_xor_b64 s[4:5], exec, -1
; %bb.15423:
	s_or_b64 exec, exec, s[8:9]
	s_and_b64 s[4:5], s[4:5], exec
	s_or_saveexec_b64 s[6:7], s[6:7]
	v_mov_b32_e32 v6, s10
	s_xor_b64 exec, exec, s[6:7]
	s_cbranch_execnz .LBB2_15424
; %bb.51261:
	s_getpc_b64 s[14:15]
.Lpost_getpc29214:
	s_add_u32 s14, s14, (.LBB2_1086-.Lpost_getpc29214)&4294967295
	s_addc_u32 s15, s15, (.LBB2_1086-.Lpost_getpc29214)>>32
	s_setpc_b64 s[14:15]
.LBB2_15424:
	v_mov_b32_e32 v6, 0
	v_cmp_ne_u16_sdwa s[8:9], v3, v6 src0_sel:BYTE_3 src1_sel:DWORD
	s_andn2_b64 s[4:5], s[4:5], exec
	s_and_b64 s[8:9], s[8:9], exec
	s_or_b64 s[4:5], s[4:5], s[8:9]
	s_or_b64 exec, exec, s[6:7]
	s_and_saveexec_b64 s[6:7], s[4:5]
	s_cbranch_execz .LBB2_29215
; %bb.51263:
	s_getpc_b64 s[14:15]
.Lpost_getpc29215:
	s_add_u32 s14, s14, (.LBB2_1087-.Lpost_getpc29215)&4294967295
	s_addc_u32 s15, s15, (.LBB2_1087-.Lpost_getpc29215)>>32
	s_setpc_b64 s[14:15]
.LBB2_29215:
	s_getpc_b64 s[14:15]
.Lpost_getpc18191:
	s_add_u32 s14, s14, (.LBB2_1088-.Lpost_getpc18191)&4294967295
	s_addc_u32 s15, s15, (.LBB2_1088-.Lpost_getpc18191)>>32
	s_setpc_b64 s[14:15]
.LBB2_15425:
	s_movk_i32 s4, 0x80
	v_cmp_eq_u16_sdwa s[12:13], v8, s4 src0_sel:BYTE_0 src1_sel:DWORD
	s_mov_b64 s[4:5], -1
                                        ; implicit-def: $sgpr10
	s_and_saveexec_b64 s[8:9], s[12:13]
; %bb.15426:
	s_mov_b32 s10, 0x7f800001
	s_xor_b64 s[4:5], exec, -1
; %bb.15427:
	s_or_b64 exec, exec, s[8:9]
	s_and_b64 s[4:5], s[4:5], exec
	s_or_saveexec_b64 s[6:7], s[6:7]
	v_mov_b32_e32 v2, s10
	s_xor_b64 exec, exec, s[6:7]
	s_cbranch_execnz .LBB2_15428
; %bb.51265:
	s_getpc_b64 s[14:15]
.Lpost_getpc29216:
	s_add_u32 s14, s14, (.LBB2_1090-.Lpost_getpc29216)&4294967295
	s_addc_u32 s15, s15, (.LBB2_1090-.Lpost_getpc29216)>>32
	s_setpc_b64 s[14:15]
.LBB2_15428:
	v_mov_b32_e32 v2, 0
	v_cmp_ne_u16_sdwa s[8:9], v8, v2 src0_sel:BYTE_0 src1_sel:DWORD
	s_andn2_b64 s[4:5], s[4:5], exec
	s_and_b64 s[8:9], s[8:9], exec
	s_or_b64 s[4:5], s[4:5], s[8:9]
	s_or_b64 exec, exec, s[6:7]
	s_and_saveexec_b64 s[6:7], s[4:5]
	s_cbranch_execz .LBB2_29217
; %bb.51267:
	s_getpc_b64 s[14:15]
.Lpost_getpc29217:
	s_add_u32 s14, s14, (.LBB2_1091-.Lpost_getpc29217)&4294967295
	s_addc_u32 s15, s15, (.LBB2_1091-.Lpost_getpc29217)>>32
	s_setpc_b64 s[14:15]
.LBB2_29217:
	s_getpc_b64 s[14:15]
.Lpost_getpc18192:
	s_add_u32 s14, s14, (.LBB2_1092-.Lpost_getpc18192)&4294967295
	s_addc_u32 s15, s15, (.LBB2_1092-.Lpost_getpc18192)>>32
	s_setpc_b64 s[14:15]
.LBB2_15429:
	s_movk_i32 s4, 0x80
	v_cmp_eq_u16_sdwa s[12:13], v4, s4 src0_sel:BYTE_0 src1_sel:DWORD
	s_mov_b64 s[4:5], -1
                                        ; implicit-def: $sgpr10
	s_and_saveexec_b64 s[8:9], s[12:13]
; %bb.15430:
	s_mov_b32 s10, 0x7f800001
	s_xor_b64 s[4:5], exec, -1
; %bb.15431:
	s_or_b64 exec, exec, s[8:9]
	s_and_b64 s[4:5], s[4:5], exec
	s_or_saveexec_b64 s[6:7], s[6:7]
	v_mov_b32_e32 v3, s10
	s_xor_b64 exec, exec, s[6:7]
	s_cbranch_execnz .LBB2_15432
; %bb.51269:
	s_getpc_b64 s[14:15]
.Lpost_getpc29218:
	s_add_u32 s14, s14, (.LBB2_1094-.Lpost_getpc29218)&4294967295
	s_addc_u32 s15, s15, (.LBB2_1094-.Lpost_getpc29218)>>32
	s_setpc_b64 s[14:15]
.LBB2_15432:
	v_mov_b32_e32 v3, 0
	v_cmp_ne_u16_sdwa s[8:9], v4, v3 src0_sel:BYTE_0 src1_sel:DWORD
	s_andn2_b64 s[4:5], s[4:5], exec
	s_and_b64 s[8:9], s[8:9], exec
	s_or_b64 s[4:5], s[4:5], s[8:9]
	s_or_b64 exec, exec, s[6:7]
	s_and_saveexec_b64 s[6:7], s[4:5]
	s_cbranch_execz .LBB2_29219
; %bb.51271:
	s_getpc_b64 s[14:15]
.Lpost_getpc29219:
	s_add_u32 s14, s14, (.LBB2_1095-.Lpost_getpc29219)&4294967295
	s_addc_u32 s15, s15, (.LBB2_1095-.Lpost_getpc29219)>>32
	s_setpc_b64 s[14:15]
.LBB2_29219:
	s_getpc_b64 s[14:15]
.Lpost_getpc18193:
	s_add_u32 s14, s14, (.LBB2_1096-.Lpost_getpc18193)&4294967295
	s_addc_u32 s15, s15, (.LBB2_1096-.Lpost_getpc18193)>>32
	s_setpc_b64 s[14:15]
.LBB2_15433:
	s_movk_i32 s4, 0x80
	v_cmp_eq_u16_sdwa s[12:13], v3, s4 src0_sel:BYTE_0 src1_sel:DWORD
	s_mov_b64 s[4:5], -1
                                        ; implicit-def: $sgpr10
	s_and_saveexec_b64 s[8:9], s[12:13]
; %bb.15434:
	s_mov_b32 s10, 0x7f800001
	s_xor_b64 s[4:5], exec, -1
; %bb.15435:
	s_or_b64 exec, exec, s[8:9]
	s_and_b64 s[4:5], s[4:5], exec
	s_or_saveexec_b64 s[6:7], s[6:7]
	v_mov_b32_e32 v2, s10
	s_xor_b64 exec, exec, s[6:7]
	s_cbranch_execnz .LBB2_15436
; %bb.51273:
	s_getpc_b64 s[14:15]
.Lpost_getpc29220:
	s_add_u32 s14, s14, (.LBB2_1098-.Lpost_getpc29220)&4294967295
	s_addc_u32 s15, s15, (.LBB2_1098-.Lpost_getpc29220)>>32
	s_setpc_b64 s[14:15]
.LBB2_15436:
	v_mov_b32_e32 v2, 0
	v_cmp_ne_u16_sdwa s[8:9], v3, v2 src0_sel:BYTE_0 src1_sel:DWORD
	s_andn2_b64 s[4:5], s[4:5], exec
	s_and_b64 s[8:9], s[8:9], exec
	s_or_b64 s[4:5], s[4:5], s[8:9]
	s_or_b64 exec, exec, s[6:7]
	s_and_saveexec_b64 s[6:7], s[4:5]
	s_cbranch_execz .LBB2_29221
; %bb.51275:
	s_getpc_b64 s[14:15]
.Lpost_getpc29221:
	s_add_u32 s14, s14, (.LBB2_1099-.Lpost_getpc29221)&4294967295
	s_addc_u32 s15, s15, (.LBB2_1099-.Lpost_getpc29221)>>32
	s_setpc_b64 s[14:15]
.LBB2_29221:
	s_getpc_b64 s[14:15]
.Lpost_getpc18194:
	s_add_u32 s14, s14, (.LBB2_1100-.Lpost_getpc18194)&4294967295
	s_addc_u32 s15, s15, (.LBB2_1100-.Lpost_getpc18194)>>32
	s_setpc_b64 s[14:15]
.LBB2_15437:
	s_movk_i32 s4, 0x80
	v_cmp_eq_u16_sdwa s[12:13], v3, s4 src0_sel:BYTE_0 src1_sel:DWORD
	s_mov_b64 s[4:5], -1
                                        ; implicit-def: $sgpr10
	s_and_saveexec_b64 s[8:9], s[12:13]
; %bb.15438:
	s_mov_b32 s10, 0x7f800001
	s_xor_b64 s[4:5], exec, -1
; %bb.15439:
	s_or_b64 exec, exec, s[8:9]
	s_and_b64 s[4:5], s[4:5], exec
	s_or_saveexec_b64 s[6:7], s[6:7]
	v_mov_b32_e32 v6, s10
	s_xor_b64 exec, exec, s[6:7]
	s_cbranch_execnz .LBB2_15440
; %bb.51277:
	s_getpc_b64 s[14:15]
.Lpost_getpc29222:
	s_add_u32 s14, s14, (.LBB2_1102-.Lpost_getpc29222)&4294967295
	s_addc_u32 s15, s15, (.LBB2_1102-.Lpost_getpc29222)>>32
	s_setpc_b64 s[14:15]
.LBB2_15440:
	v_mov_b32_e32 v6, 0
	v_cmp_ne_u16_sdwa s[8:9], v3, v6 src0_sel:BYTE_0 src1_sel:DWORD
	s_andn2_b64 s[4:5], s[4:5], exec
	s_and_b64 s[8:9], s[8:9], exec
	s_or_b64 s[4:5], s[4:5], s[8:9]
	s_or_b64 exec, exec, s[6:7]
	s_and_saveexec_b64 s[6:7], s[4:5]
	s_cbranch_execz .LBB2_29223
; %bb.51279:
	s_getpc_b64 s[14:15]
.Lpost_getpc29223:
	s_add_u32 s14, s14, (.LBB2_1103-.Lpost_getpc29223)&4294967295
	s_addc_u32 s15, s15, (.LBB2_1103-.Lpost_getpc29223)>>32
	s_setpc_b64 s[14:15]
.LBB2_29223:
	s_getpc_b64 s[14:15]
.Lpost_getpc18195:
	s_add_u32 s14, s14, (.LBB2_1104-.Lpost_getpc18195)&4294967295
	s_addc_u32 s15, s15, (.LBB2_1104-.Lpost_getpc18195)>>32
	s_setpc_b64 s[14:15]
.LBB2_15441:
	s_movk_i32 s4, 0x80
	v_cmp_eq_u16_e32 vcc, s4, v3
	s_mov_b64 s[4:5], -1
                                        ; implicit-def: $sgpr10
	s_and_saveexec_b64 s[8:9], vcc
; %bb.15442:
	s_mov_b32 s10, 0x7f800001
	s_xor_b64 s[4:5], exec, -1
; %bb.15443:
	s_or_b64 exec, exec, s[8:9]
	s_and_b64 s[4:5], s[4:5], exec
                                        ; implicit-def: $vgpr3
	s_or_saveexec_b64 s[6:7], s[6:7]
	v_mov_b32_e32 v2, s10
	s_xor_b64 exec, exec, s[6:7]
	s_cbranch_execnz .LBB2_15444
; %bb.51281:
	s_getpc_b64 s[14:15]
.Lpost_getpc29224:
	s_add_u32 s14, s14, (.LBB2_1106-.Lpost_getpc29224)&4294967295
	s_addc_u32 s15, s15, (.LBB2_1106-.Lpost_getpc29224)>>32
	s_setpc_b64 s[14:15]
.LBB2_15444:
	v_cmp_ne_u16_e32 vcc, 0, v3
	s_andn2_b64 s[4:5], s[4:5], exec
	s_and_b64 s[8:9], vcc, exec
	v_mov_b32_e32 v2, 0
	s_or_b64 s[4:5], s[4:5], s[8:9]
	s_or_b64 exec, exec, s[6:7]
	s_and_saveexec_b64 s[6:7], s[4:5]
	s_cbranch_execz .LBB2_29225
; %bb.51283:
	s_getpc_b64 s[14:15]
.Lpost_getpc29225:
	s_add_u32 s14, s14, (.LBB2_1107-.Lpost_getpc29225)&4294967295
	s_addc_u32 s15, s15, (.LBB2_1107-.Lpost_getpc29225)>>32
	s_setpc_b64 s[14:15]
.LBB2_29225:
	s_getpc_b64 s[14:15]
.Lpost_getpc18196:
	s_add_u32 s14, s14, (.LBB2_1108-.Lpost_getpc18196)&4294967295
	s_addc_u32 s15, s15, (.LBB2_1108-.Lpost_getpc18196)>>32
	s_setpc_b64 s[14:15]
.LBB2_15445:
	s_movk_i32 s4, 0x80
	v_cmp_eq_u16_e32 vcc, s4, v3
	s_mov_b64 s[4:5], -1
                                        ; implicit-def: $sgpr10
	s_and_saveexec_b64 s[8:9], vcc
; %bb.15446:
	s_mov_b32 s10, 0x7f800001
	s_xor_b64 s[4:5], exec, -1
; %bb.15447:
	s_or_b64 exec, exec, s[8:9]
	s_and_b64 s[4:5], s[4:5], exec
                                        ; implicit-def: $vgpr3
	s_or_saveexec_b64 s[6:7], s[6:7]
	v_mov_b32_e32 v6, s10
	s_xor_b64 exec, exec, s[6:7]
	s_cbranch_execnz .LBB2_15448
; %bb.51285:
	s_getpc_b64 s[14:15]
.Lpost_getpc29226:
	s_add_u32 s14, s14, (.LBB2_1110-.Lpost_getpc29226)&4294967295
	s_addc_u32 s15, s15, (.LBB2_1110-.Lpost_getpc29226)>>32
	s_setpc_b64 s[14:15]
.LBB2_15448:
	v_cmp_ne_u16_e32 vcc, 0, v3
	s_andn2_b64 s[4:5], s[4:5], exec
	s_and_b64 s[8:9], vcc, exec
	v_mov_b32_e32 v6, 0
	s_or_b64 s[4:5], s[4:5], s[8:9]
	s_or_b64 exec, exec, s[6:7]
	s_and_saveexec_b64 s[6:7], s[4:5]
	s_cbranch_execz .LBB2_29227
; %bb.51287:
	s_getpc_b64 s[14:15]
.Lpost_getpc29227:
	s_add_u32 s14, s14, (.LBB2_1111-.Lpost_getpc29227)&4294967295
	s_addc_u32 s15, s15, (.LBB2_1111-.Lpost_getpc29227)>>32
	s_setpc_b64 s[14:15]
.LBB2_29227:
	s_getpc_b64 s[14:15]
.Lpost_getpc18197:
	s_add_u32 s14, s14, (.LBB2_1112-.Lpost_getpc18197)&4294967295
	s_addc_u32 s15, s15, (.LBB2_1112-.Lpost_getpc18197)>>32
	s_setpc_b64 s[14:15]
.LBB2_15449:
	s_movk_i32 s4, 0x80
	v_cmp_eq_u16_sdwa s[12:13], v8, s4 src0_sel:BYTE_3 src1_sel:DWORD
	s_mov_b64 s[4:5], -1
                                        ; implicit-def: $sgpr10
	s_and_saveexec_b64 s[8:9], s[12:13]
; %bb.15450:
	s_mov_b32 s10, 0x7f800001
	s_xor_b64 s[4:5], exec, -1
; %bb.15451:
	s_or_b64 exec, exec, s[8:9]
	s_and_b64 s[4:5], s[4:5], exec
	s_or_saveexec_b64 s[6:7], s[6:7]
	v_mov_b32_e32 v2, s10
	s_xor_b64 exec, exec, s[6:7]
	s_cbranch_execnz .LBB2_15452
; %bb.51289:
	s_getpc_b64 s[14:15]
.Lpost_getpc29228:
	s_add_u32 s14, s14, (.LBB2_1114-.Lpost_getpc29228)&4294967295
	s_addc_u32 s15, s15, (.LBB2_1114-.Lpost_getpc29228)>>32
	s_setpc_b64 s[14:15]
.LBB2_15452:
	v_mov_b32_e32 v2, 0
	v_cmp_ne_u16_sdwa s[8:9], v8, v2 src0_sel:BYTE_3 src1_sel:DWORD
	s_andn2_b64 s[4:5], s[4:5], exec
	s_and_b64 s[8:9], s[8:9], exec
	s_or_b64 s[4:5], s[4:5], s[8:9]
	s_or_b64 exec, exec, s[6:7]
	s_and_saveexec_b64 s[6:7], s[4:5]
	s_cbranch_execz .LBB2_29229
; %bb.51291:
	s_getpc_b64 s[14:15]
.Lpost_getpc29229:
	s_add_u32 s14, s14, (.LBB2_1115-.Lpost_getpc29229)&4294967295
	s_addc_u32 s15, s15, (.LBB2_1115-.Lpost_getpc29229)>>32
	s_setpc_b64 s[14:15]
.LBB2_29229:
	s_getpc_b64 s[14:15]
.Lpost_getpc18198:
	s_add_u32 s14, s14, (.LBB2_1116-.Lpost_getpc18198)&4294967295
	s_addc_u32 s15, s15, (.LBB2_1116-.Lpost_getpc18198)>>32
	s_setpc_b64 s[14:15]
.LBB2_15453:
	s_movk_i32 s4, 0x80
	v_cmp_eq_u16_sdwa s[12:13], v4, s4 src0_sel:BYTE_3 src1_sel:DWORD
	s_mov_b64 s[4:5], -1
                                        ; implicit-def: $sgpr10
	s_and_saveexec_b64 s[8:9], s[12:13]
; %bb.15454:
	s_mov_b32 s10, 0x7f800001
	s_xor_b64 s[4:5], exec, -1
; %bb.15455:
	s_or_b64 exec, exec, s[8:9]
	s_and_b64 s[4:5], s[4:5], exec
	s_or_saveexec_b64 s[6:7], s[6:7]
	v_mov_b32_e32 v3, s10
	s_xor_b64 exec, exec, s[6:7]
	s_cbranch_execnz .LBB2_15456
; %bb.51293:
	s_getpc_b64 s[14:15]
.Lpost_getpc29230:
	s_add_u32 s14, s14, (.LBB2_1118-.Lpost_getpc29230)&4294967295
	s_addc_u32 s15, s15, (.LBB2_1118-.Lpost_getpc29230)>>32
	s_setpc_b64 s[14:15]
.LBB2_15456:
	v_mov_b32_e32 v3, 0
	v_cmp_ne_u16_sdwa s[8:9], v4, v3 src0_sel:BYTE_3 src1_sel:DWORD
	s_andn2_b64 s[4:5], s[4:5], exec
	s_and_b64 s[8:9], s[8:9], exec
	s_or_b64 s[4:5], s[4:5], s[8:9]
	s_or_b64 exec, exec, s[6:7]
	s_and_saveexec_b64 s[6:7], s[4:5]
	s_cbranch_execz .LBB2_29231
; %bb.51295:
	s_getpc_b64 s[14:15]
.Lpost_getpc29231:
	s_add_u32 s14, s14, (.LBB2_1119-.Lpost_getpc29231)&4294967295
	s_addc_u32 s15, s15, (.LBB2_1119-.Lpost_getpc29231)>>32
	s_setpc_b64 s[14:15]
.LBB2_29231:
	s_getpc_b64 s[14:15]
.Lpost_getpc18199:
	s_add_u32 s14, s14, (.LBB2_1120-.Lpost_getpc18199)&4294967295
	s_addc_u32 s15, s15, (.LBB2_1120-.Lpost_getpc18199)>>32
	s_setpc_b64 s[14:15]
.LBB2_15457:
	s_movk_i32 s4, 0x80
	v_cmp_eq_u16_sdwa s[12:13], v9, s4 src0_sel:BYTE_0 src1_sel:DWORD
	s_mov_b64 s[4:5], -1
                                        ; implicit-def: $sgpr10
	s_and_saveexec_b64 s[8:9], s[12:13]
; %bb.15458:
	s_mov_b32 s10, 0x7f800001
	s_xor_b64 s[4:5], exec, -1
; %bb.15459:
	s_or_b64 exec, exec, s[8:9]
	s_and_b64 s[4:5], s[4:5], exec
	s_or_saveexec_b64 s[6:7], s[6:7]
	v_mov_b32_e32 v2, s10
	s_xor_b64 exec, exec, s[6:7]
	s_cbranch_execnz .LBB2_15460
; %bb.51297:
	s_getpc_b64 s[14:15]
.Lpost_getpc29232:
	s_add_u32 s14, s14, (.LBB2_1122-.Lpost_getpc29232)&4294967295
	s_addc_u32 s15, s15, (.LBB2_1122-.Lpost_getpc29232)>>32
	s_setpc_b64 s[14:15]
.LBB2_15460:
	v_mov_b32_e32 v2, 0
	v_cmp_ne_u16_sdwa s[8:9], v9, v2 src0_sel:BYTE_0 src1_sel:DWORD
	s_andn2_b64 s[4:5], s[4:5], exec
	s_and_b64 s[8:9], s[8:9], exec
	s_or_b64 s[4:5], s[4:5], s[8:9]
	s_or_b64 exec, exec, s[6:7]
	s_and_saveexec_b64 s[6:7], s[4:5]
	s_cbranch_execz .LBB2_29233
; %bb.51299:
	s_getpc_b64 s[14:15]
.Lpost_getpc29233:
	s_add_u32 s14, s14, (.LBB2_1123-.Lpost_getpc29233)&4294967295
	s_addc_u32 s15, s15, (.LBB2_1123-.Lpost_getpc29233)>>32
	s_setpc_b64 s[14:15]
.LBB2_29233:
	s_getpc_b64 s[14:15]
.Lpost_getpc18200:
	s_add_u32 s14, s14, (.LBB2_1124-.Lpost_getpc18200)&4294967295
	s_addc_u32 s15, s15, (.LBB2_1124-.Lpost_getpc18200)>>32
	s_setpc_b64 s[14:15]
.LBB2_15461:
	s_movk_i32 s4, 0x80
	v_cmp_eq_u16_sdwa s[12:13], v5, s4 src0_sel:BYTE_0 src1_sel:DWORD
	s_mov_b64 s[4:5], -1
                                        ; implicit-def: $sgpr10
	s_and_saveexec_b64 s[8:9], s[12:13]
; %bb.15462:
	s_mov_b32 s10, 0x7f800001
	s_xor_b64 s[4:5], exec, -1
; %bb.15463:
	s_or_b64 exec, exec, s[8:9]
	s_and_b64 s[4:5], s[4:5], exec
	s_or_saveexec_b64 s[6:7], s[6:7]
	v_mov_b32_e32 v3, s10
	s_xor_b64 exec, exec, s[6:7]
	s_cbranch_execnz .LBB2_15464
; %bb.51301:
	s_getpc_b64 s[14:15]
.Lpost_getpc29234:
	s_add_u32 s14, s14, (.LBB2_1126-.Lpost_getpc29234)&4294967295
	s_addc_u32 s15, s15, (.LBB2_1126-.Lpost_getpc29234)>>32
	s_setpc_b64 s[14:15]
.LBB2_15464:
	v_mov_b32_e32 v3, 0
	v_cmp_ne_u16_sdwa s[8:9], v5, v3 src0_sel:BYTE_0 src1_sel:DWORD
	s_andn2_b64 s[4:5], s[4:5], exec
	s_and_b64 s[8:9], s[8:9], exec
	s_or_b64 s[4:5], s[4:5], s[8:9]
	s_or_b64 exec, exec, s[6:7]
	s_and_saveexec_b64 s[6:7], s[4:5]
	s_cbranch_execz .LBB2_29235
; %bb.51303:
	s_getpc_b64 s[14:15]
.Lpost_getpc29235:
	s_add_u32 s14, s14, (.LBB2_1127-.Lpost_getpc29235)&4294967295
	s_addc_u32 s15, s15, (.LBB2_1127-.Lpost_getpc29235)>>32
	s_setpc_b64 s[14:15]
.LBB2_29235:
	s_getpc_b64 s[14:15]
.Lpost_getpc18201:
	s_add_u32 s14, s14, (.LBB2_1128-.Lpost_getpc18201)&4294967295
	s_addc_u32 s15, s15, (.LBB2_1128-.Lpost_getpc18201)>>32
	s_setpc_b64 s[14:15]
.LBB2_15465:
	s_movk_i32 s4, 0x80
	v_cmp_eq_u16_sdwa s[12:13], v3, s4 src0_sel:BYTE_0 src1_sel:DWORD
	s_mov_b64 s[4:5], -1
                                        ; implicit-def: $sgpr10
	s_and_saveexec_b64 s[8:9], s[12:13]
; %bb.15466:
	s_mov_b32 s10, 0x7f800001
	s_xor_b64 s[4:5], exec, -1
; %bb.15467:
	s_or_b64 exec, exec, s[8:9]
	s_and_b64 s[4:5], s[4:5], exec
	s_or_saveexec_b64 s[6:7], s[6:7]
	v_mov_b32_e32 v2, s10
	s_xor_b64 exec, exec, s[6:7]
	s_cbranch_execnz .LBB2_15468
; %bb.51305:
	s_getpc_b64 s[14:15]
.Lpost_getpc29236:
	s_add_u32 s14, s14, (.LBB2_1130-.Lpost_getpc29236)&4294967295
	s_addc_u32 s15, s15, (.LBB2_1130-.Lpost_getpc29236)>>32
	s_setpc_b64 s[14:15]
.LBB2_15468:
	v_mov_b32_e32 v2, 0
	v_cmp_ne_u16_sdwa s[8:9], v3, v2 src0_sel:BYTE_0 src1_sel:DWORD
	s_andn2_b64 s[4:5], s[4:5], exec
	s_and_b64 s[8:9], s[8:9], exec
	s_or_b64 s[4:5], s[4:5], s[8:9]
	s_or_b64 exec, exec, s[6:7]
	s_and_saveexec_b64 s[6:7], s[4:5]
	s_cbranch_execz .LBB2_29237
; %bb.51307:
	s_getpc_b64 s[14:15]
.Lpost_getpc29237:
	s_add_u32 s14, s14, (.LBB2_1131-.Lpost_getpc29237)&4294967295
	s_addc_u32 s15, s15, (.LBB2_1131-.Lpost_getpc29237)>>32
	s_setpc_b64 s[14:15]
.LBB2_29237:
	s_getpc_b64 s[14:15]
.Lpost_getpc18202:
	s_add_u32 s14, s14, (.LBB2_1132-.Lpost_getpc18202)&4294967295
	s_addc_u32 s15, s15, (.LBB2_1132-.Lpost_getpc18202)>>32
	s_setpc_b64 s[14:15]
.LBB2_15469:
	s_movk_i32 s4, 0x80
	v_cmp_eq_u16_sdwa s[12:13], v3, s4 src0_sel:BYTE_0 src1_sel:DWORD
	s_mov_b64 s[4:5], -1
                                        ; implicit-def: $sgpr10
	s_and_saveexec_b64 s[8:9], s[12:13]
; %bb.15470:
	s_mov_b32 s10, 0x7f800001
	s_xor_b64 s[4:5], exec, -1
; %bb.15471:
	s_or_b64 exec, exec, s[8:9]
	s_and_b64 s[4:5], s[4:5], exec
	s_or_saveexec_b64 s[6:7], s[6:7]
	v_mov_b32_e32 v4, s10
	s_xor_b64 exec, exec, s[6:7]
	s_cbranch_execnz .LBB2_15472
; %bb.51309:
	s_getpc_b64 s[14:15]
.Lpost_getpc29238:
	s_add_u32 s14, s14, (.LBB2_1134-.Lpost_getpc29238)&4294967295
	s_addc_u32 s15, s15, (.LBB2_1134-.Lpost_getpc29238)>>32
	s_setpc_b64 s[14:15]
.LBB2_15472:
	v_mov_b32_e32 v4, 0
	v_cmp_ne_u16_sdwa s[8:9], v3, v4 src0_sel:BYTE_0 src1_sel:DWORD
	s_andn2_b64 s[4:5], s[4:5], exec
	s_and_b64 s[8:9], s[8:9], exec
	s_or_b64 s[4:5], s[4:5], s[8:9]
	s_or_b64 exec, exec, s[6:7]
	s_and_saveexec_b64 s[6:7], s[4:5]
	s_cbranch_execz .LBB2_29239
; %bb.51311:
	s_getpc_b64 s[14:15]
.Lpost_getpc29239:
	s_add_u32 s14, s14, (.LBB2_1135-.Lpost_getpc29239)&4294967295
	s_addc_u32 s15, s15, (.LBB2_1135-.Lpost_getpc29239)>>32
	s_setpc_b64 s[14:15]
.LBB2_29239:
	s_getpc_b64 s[14:15]
.Lpost_getpc18203:
	s_add_u32 s14, s14, (.LBB2_1136-.Lpost_getpc18203)&4294967295
	s_addc_u32 s15, s15, (.LBB2_1136-.Lpost_getpc18203)>>32
	s_setpc_b64 s[14:15]
.LBB2_15473:
	s_movk_i32 s4, 0x80
	v_cmp_eq_u16_e32 vcc, s4, v3
	s_mov_b64 s[4:5], -1
                                        ; implicit-def: $sgpr10
	s_and_saveexec_b64 s[8:9], vcc
; %bb.15474:
	s_mov_b32 s10, 0x7f800001
	s_xor_b64 s[4:5], exec, -1
; %bb.15475:
	s_or_b64 exec, exec, s[8:9]
	s_and_b64 s[4:5], s[4:5], exec
                                        ; implicit-def: $vgpr3
	s_or_saveexec_b64 s[6:7], s[6:7]
	v_mov_b32_e32 v2, s10
	s_xor_b64 exec, exec, s[6:7]
	s_cbranch_execnz .LBB2_15476
; %bb.51313:
	s_getpc_b64 s[14:15]
.Lpost_getpc29240:
	s_add_u32 s14, s14, (.LBB2_1138-.Lpost_getpc29240)&4294967295
	s_addc_u32 s15, s15, (.LBB2_1138-.Lpost_getpc29240)>>32
	s_setpc_b64 s[14:15]
.LBB2_15476:
	v_cmp_ne_u16_e32 vcc, 0, v3
	s_andn2_b64 s[4:5], s[4:5], exec
	s_and_b64 s[8:9], vcc, exec
	v_mov_b32_e32 v2, 0
	s_or_b64 s[4:5], s[4:5], s[8:9]
	s_or_b64 exec, exec, s[6:7]
	s_and_saveexec_b64 s[6:7], s[4:5]
	s_cbranch_execz .LBB2_29241
; %bb.51315:
	s_getpc_b64 s[14:15]
.Lpost_getpc29241:
	s_add_u32 s14, s14, (.LBB2_1139-.Lpost_getpc29241)&4294967295
	s_addc_u32 s15, s15, (.LBB2_1139-.Lpost_getpc29241)>>32
	s_setpc_b64 s[14:15]
.LBB2_29241:
	s_getpc_b64 s[14:15]
.Lpost_getpc18204:
	s_add_u32 s14, s14, (.LBB2_1140-.Lpost_getpc18204)&4294967295
	s_addc_u32 s15, s15, (.LBB2_1140-.Lpost_getpc18204)>>32
	s_setpc_b64 s[14:15]
.LBB2_15477:
	s_movk_i32 s4, 0x80
	v_cmp_eq_u16_e32 vcc, s4, v3
	s_mov_b64 s[4:5], -1
                                        ; implicit-def: $sgpr10
	s_and_saveexec_b64 s[8:9], vcc
; %bb.15478:
	s_mov_b32 s10, 0x7f800001
	s_xor_b64 s[4:5], exec, -1
; %bb.15479:
	s_or_b64 exec, exec, s[8:9]
	s_and_b64 s[4:5], s[4:5], exec
                                        ; implicit-def: $vgpr3
	s_or_saveexec_b64 s[6:7], s[6:7]
	v_mov_b32_e32 v4, s10
	s_xor_b64 exec, exec, s[6:7]
	s_cbranch_execnz .LBB2_15480
; %bb.51317:
	s_getpc_b64 s[14:15]
.Lpost_getpc29242:
	s_add_u32 s14, s14, (.LBB2_1142-.Lpost_getpc29242)&4294967295
	s_addc_u32 s15, s15, (.LBB2_1142-.Lpost_getpc29242)>>32
	s_setpc_b64 s[14:15]
.LBB2_15480:
	v_cmp_ne_u16_e32 vcc, 0, v3
	s_andn2_b64 s[4:5], s[4:5], exec
	s_and_b64 s[8:9], vcc, exec
	v_mov_b32_e32 v4, 0
	s_or_b64 s[4:5], s[4:5], s[8:9]
	s_or_b64 exec, exec, s[6:7]
	s_and_saveexec_b64 s[6:7], s[4:5]
	s_cbranch_execz .LBB2_29243
; %bb.51319:
	s_getpc_b64 s[14:15]
.Lpost_getpc29243:
	s_add_u32 s14, s14, (.LBB2_1143-.Lpost_getpc29243)&4294967295
	s_addc_u32 s15, s15, (.LBB2_1143-.Lpost_getpc29243)>>32
	s_setpc_b64 s[14:15]
.LBB2_29243:
	s_getpc_b64 s[14:15]
.Lpost_getpc18205:
	s_add_u32 s14, s14, (.LBB2_1144-.Lpost_getpc18205)&4294967295
	s_addc_u32 s15, s15, (.LBB2_1144-.Lpost_getpc18205)>>32
	s_setpc_b64 s[14:15]
.LBB2_15481:
	s_movk_i32 s4, 0x80
	v_cmp_eq_u16_sdwa s[12:13], v9, s4 src0_sel:BYTE_3 src1_sel:DWORD
	s_mov_b64 s[4:5], -1
                                        ; implicit-def: $sgpr10
	s_and_saveexec_b64 s[8:9], s[12:13]
; %bb.15482:
	s_mov_b32 s10, 0x7f800001
	s_xor_b64 s[4:5], exec, -1
; %bb.15483:
	s_or_b64 exec, exec, s[8:9]
	s_and_b64 s[4:5], s[4:5], exec
	s_or_saveexec_b64 s[6:7], s[6:7]
	v_mov_b32_e32 v2, s10
	s_xor_b64 exec, exec, s[6:7]
	s_cbranch_execnz .LBB2_15484
; %bb.51321:
	s_getpc_b64 s[14:15]
.Lpost_getpc29244:
	s_add_u32 s14, s14, (.LBB2_1146-.Lpost_getpc29244)&4294967295
	s_addc_u32 s15, s15, (.LBB2_1146-.Lpost_getpc29244)>>32
	s_setpc_b64 s[14:15]
.LBB2_15484:
	v_mov_b32_e32 v2, 0
	v_cmp_ne_u16_sdwa s[8:9], v9, v2 src0_sel:BYTE_3 src1_sel:DWORD
	s_andn2_b64 s[4:5], s[4:5], exec
	s_and_b64 s[8:9], s[8:9], exec
	s_or_b64 s[4:5], s[4:5], s[8:9]
	s_or_b64 exec, exec, s[6:7]
	s_and_saveexec_b64 s[6:7], s[4:5]
	s_cbranch_execz .LBB2_29245
; %bb.51323:
	s_getpc_b64 s[14:15]
.Lpost_getpc29245:
	s_add_u32 s14, s14, (.LBB2_1147-.Lpost_getpc29245)&4294967295
	s_addc_u32 s15, s15, (.LBB2_1147-.Lpost_getpc29245)>>32
	s_setpc_b64 s[14:15]
.LBB2_29245:
	s_getpc_b64 s[14:15]
.Lpost_getpc18206:
	s_add_u32 s14, s14, (.LBB2_1148-.Lpost_getpc18206)&4294967295
	s_addc_u32 s15, s15, (.LBB2_1148-.Lpost_getpc18206)>>32
	s_setpc_b64 s[14:15]
.LBB2_15485:
	s_movk_i32 s4, 0x80
	v_cmp_eq_u16_sdwa s[12:13], v5, s4 src0_sel:BYTE_3 src1_sel:DWORD
	s_mov_b64 s[4:5], -1
                                        ; implicit-def: $sgpr10
	s_and_saveexec_b64 s[8:9], s[12:13]
; %bb.15486:
	s_mov_b32 s10, 0x7f800001
	s_xor_b64 s[4:5], exec, -1
; %bb.15487:
	s_or_b64 exec, exec, s[8:9]
	s_and_b64 s[4:5], s[4:5], exec
	s_or_saveexec_b64 s[6:7], s[6:7]
	v_mov_b32_e32 v3, s10
	s_xor_b64 exec, exec, s[6:7]
	s_cbranch_execnz .LBB2_15488
; %bb.51325:
	s_getpc_b64 s[14:15]
.Lpost_getpc29246:
	s_add_u32 s14, s14, (.LBB2_1150-.Lpost_getpc29246)&4294967295
	s_addc_u32 s15, s15, (.LBB2_1150-.Lpost_getpc29246)>>32
	s_setpc_b64 s[14:15]
.LBB2_15488:
	v_mov_b32_e32 v3, 0
	v_cmp_ne_u16_sdwa s[8:9], v5, v3 src0_sel:BYTE_3 src1_sel:DWORD
	s_andn2_b64 s[4:5], s[4:5], exec
	s_and_b64 s[8:9], s[8:9], exec
	s_or_b64 s[4:5], s[4:5], s[8:9]
	s_or_b64 exec, exec, s[6:7]
	s_and_saveexec_b64 s[6:7], s[4:5]
	s_cbranch_execz .LBB2_29247
; %bb.51327:
	s_getpc_b64 s[14:15]
.Lpost_getpc29247:
	s_add_u32 s14, s14, (.LBB2_1151-.Lpost_getpc29247)&4294967295
	s_addc_u32 s15, s15, (.LBB2_1151-.Lpost_getpc29247)>>32
	s_setpc_b64 s[14:15]
.LBB2_29247:
	s_getpc_b64 s[14:15]
.Lpost_getpc18207:
	s_add_u32 s14, s14, (.LBB2_1152-.Lpost_getpc18207)&4294967295
	s_addc_u32 s15, s15, (.LBB2_1152-.Lpost_getpc18207)>>32
	s_setpc_b64 s[14:15]
.LBB2_15489:
	s_movk_i32 s4, 0x80
	v_cmp_eq_u16_sdwa s[12:13], v6, s4 src0_sel:BYTE_0 src1_sel:DWORD
	s_mov_b64 s[4:5], -1
                                        ; implicit-def: $sgpr10
	s_and_saveexec_b64 s[8:9], s[12:13]
; %bb.15490:
	s_mov_b32 s10, 0x7f800001
	s_xor_b64 s[4:5], exec, -1
; %bb.15491:
	s_or_b64 exec, exec, s[8:9]
	s_and_b64 s[4:5], s[4:5], exec
	s_or_saveexec_b64 s[6:7], s[6:7]
	v_mov_b32_e32 v12, s10
	s_xor_b64 exec, exec, s[6:7]
	s_cbranch_execnz .LBB2_15492
; %bb.51329:
	s_getpc_b64 s[14:15]
.Lpost_getpc29248:
	s_add_u32 s14, s14, (.LBB2_1154-.Lpost_getpc29248)&4294967295
	s_addc_u32 s15, s15, (.LBB2_1154-.Lpost_getpc29248)>>32
	s_setpc_b64 s[14:15]
.LBB2_15492:
	v_mov_b32_e32 v12, 0
	v_cmp_ne_u16_sdwa s[8:9], v6, v12 src0_sel:BYTE_0 src1_sel:DWORD
	s_andn2_b64 s[4:5], s[4:5], exec
	s_and_b64 s[8:9], s[8:9], exec
	s_or_b64 s[4:5], s[4:5], s[8:9]
	s_or_b64 exec, exec, s[6:7]
	s_and_saveexec_b64 s[6:7], s[4:5]
	s_cbranch_execz .LBB2_29249
; %bb.51331:
	s_getpc_b64 s[14:15]
.Lpost_getpc29249:
	s_add_u32 s14, s14, (.LBB2_1155-.Lpost_getpc29249)&4294967295
	s_addc_u32 s15, s15, (.LBB2_1155-.Lpost_getpc29249)>>32
	s_setpc_b64 s[14:15]
.LBB2_29249:
	s_getpc_b64 s[14:15]
.Lpost_getpc18208:
	s_add_u32 s14, s14, (.LBB2_1156-.Lpost_getpc18208)&4294967295
	s_addc_u32 s15, s15, (.LBB2_1156-.Lpost_getpc18208)>>32
	s_setpc_b64 s[14:15]
.LBB2_15493:
	s_movk_i32 s4, 0x80
	v_cmp_eq_u16_sdwa s[12:13], v2, s4 src0_sel:BYTE_0 src1_sel:DWORD
	s_mov_b64 s[4:5], -1
                                        ; implicit-def: $sgpr10
	s_and_saveexec_b64 s[8:9], s[12:13]
; %bb.15494:
	s_mov_b32 s10, 0x7f800001
	s_xor_b64 s[4:5], exec, -1
; %bb.15495:
	s_or_b64 exec, exec, s[8:9]
	s_and_b64 s[4:5], s[4:5], exec
	s_or_saveexec_b64 s[6:7], s[6:7]
	v_mov_b32_e32 v13, s10
	s_xor_b64 exec, exec, s[6:7]
	s_cbranch_execnz .LBB2_15496
; %bb.51333:
	s_getpc_b64 s[14:15]
.Lpost_getpc29250:
	s_add_u32 s14, s14, (.LBB2_1158-.Lpost_getpc29250)&4294967295
	s_addc_u32 s15, s15, (.LBB2_1158-.Lpost_getpc29250)>>32
	s_setpc_b64 s[14:15]
.LBB2_15496:
	v_mov_b32_e32 v13, 0
	v_cmp_ne_u16_sdwa s[8:9], v2, v13 src0_sel:BYTE_0 src1_sel:DWORD
	s_andn2_b64 s[4:5], s[4:5], exec
	s_and_b64 s[8:9], s[8:9], exec
	s_or_b64 s[4:5], s[4:5], s[8:9]
	s_or_b64 exec, exec, s[6:7]
	s_and_saveexec_b64 s[6:7], s[4:5]
	s_cbranch_execz .LBB2_29251
; %bb.51335:
	s_getpc_b64 s[14:15]
.Lpost_getpc29251:
	s_add_u32 s14, s14, (.LBB2_1159-.Lpost_getpc29251)&4294967295
	s_addc_u32 s15, s15, (.LBB2_1159-.Lpost_getpc29251)>>32
	s_setpc_b64 s[14:15]
.LBB2_29251:
	s_getpc_b64 s[14:15]
.Lpost_getpc18209:
	s_add_u32 s14, s14, (.LBB2_1160-.Lpost_getpc18209)&4294967295
	s_addc_u32 s15, s15, (.LBB2_1160-.Lpost_getpc18209)>>32
	s_setpc_b64 s[14:15]
.LBB2_15497:
	s_movk_i32 s4, 0x80
	v_cmp_eq_u16_sdwa s[12:13], v13, s4 src0_sel:BYTE_0 src1_sel:DWORD
	s_mov_b64 s[4:5], -1
                                        ; implicit-def: $sgpr10
	s_and_saveexec_b64 s[8:9], s[12:13]
; %bb.15498:
	s_mov_b32 s10, 0x7f800001
	s_xor_b64 s[4:5], exec, -1
; %bb.15499:
	s_or_b64 exec, exec, s[8:9]
	s_and_b64 s[4:5], s[4:5], exec
	s_or_saveexec_b64 s[6:7], s[6:7]
	v_mov_b32_e32 v12, s10
	s_xor_b64 exec, exec, s[6:7]
	s_cbranch_execnz .LBB2_15500
; %bb.51337:
	s_getpc_b64 s[14:15]
.Lpost_getpc29252:
	s_add_u32 s14, s14, (.LBB2_1162-.Lpost_getpc29252)&4294967295
	s_addc_u32 s15, s15, (.LBB2_1162-.Lpost_getpc29252)>>32
	s_setpc_b64 s[14:15]
.LBB2_15500:
	v_mov_b32_e32 v12, 0
	v_cmp_ne_u16_sdwa s[8:9], v13, v12 src0_sel:BYTE_0 src1_sel:DWORD
	s_andn2_b64 s[4:5], s[4:5], exec
	s_and_b64 s[8:9], s[8:9], exec
	s_or_b64 s[4:5], s[4:5], s[8:9]
	s_or_b64 exec, exec, s[6:7]
	s_and_saveexec_b64 s[6:7], s[4:5]
	s_cbranch_execz .LBB2_29253
; %bb.51339:
	s_getpc_b64 s[14:15]
.Lpost_getpc29253:
	s_add_u32 s14, s14, (.LBB2_1163-.Lpost_getpc29253)&4294967295
	s_addc_u32 s15, s15, (.LBB2_1163-.Lpost_getpc29253)>>32
	s_setpc_b64 s[14:15]
.LBB2_29253:
	s_getpc_b64 s[14:15]
.Lpost_getpc18210:
	s_add_u32 s14, s14, (.LBB2_1164-.Lpost_getpc18210)&4294967295
	s_addc_u32 s15, s15, (.LBB2_1164-.Lpost_getpc18210)>>32
	s_setpc_b64 s[14:15]
.LBB2_15501:
	s_movk_i32 s4, 0x80
	v_cmp_eq_u16_sdwa s[12:13], v13, s4 src0_sel:BYTE_0 src1_sel:DWORD
	s_mov_b64 s[4:5], -1
                                        ; implicit-def: $sgpr10
	s_and_saveexec_b64 s[8:9], s[12:13]
; %bb.15502:
	s_mov_b32 s10, 0x7f800001
	s_xor_b64 s[4:5], exec, -1
; %bb.15503:
	s_or_b64 exec, exec, s[8:9]
	s_and_b64 s[4:5], s[4:5], exec
	s_or_saveexec_b64 s[6:7], s[6:7]
	v_mov_b32_e32 v14, s10
	s_xor_b64 exec, exec, s[6:7]
	s_cbranch_execnz .LBB2_15504
; %bb.51341:
	s_getpc_b64 s[14:15]
.Lpost_getpc29254:
	s_add_u32 s14, s14, (.LBB2_1166-.Lpost_getpc29254)&4294967295
	s_addc_u32 s15, s15, (.LBB2_1166-.Lpost_getpc29254)>>32
	s_setpc_b64 s[14:15]
.LBB2_15504:
	v_mov_b32_e32 v14, 0
	v_cmp_ne_u16_sdwa s[8:9], v13, v14 src0_sel:BYTE_0 src1_sel:DWORD
	s_andn2_b64 s[4:5], s[4:5], exec
	s_and_b64 s[8:9], s[8:9], exec
	s_or_b64 s[4:5], s[4:5], s[8:9]
	s_or_b64 exec, exec, s[6:7]
	s_and_saveexec_b64 s[6:7], s[4:5]
	s_cbranch_execz .LBB2_29255
; %bb.51343:
	s_getpc_b64 s[14:15]
.Lpost_getpc29255:
	s_add_u32 s14, s14, (.LBB2_1167-.Lpost_getpc29255)&4294967295
	s_addc_u32 s15, s15, (.LBB2_1167-.Lpost_getpc29255)>>32
	s_setpc_b64 s[14:15]
.LBB2_29255:
	s_getpc_b64 s[14:15]
.Lpost_getpc18211:
	s_add_u32 s14, s14, (.LBB2_1168-.Lpost_getpc18211)&4294967295
	s_addc_u32 s15, s15, (.LBB2_1168-.Lpost_getpc18211)>>32
	s_setpc_b64 s[14:15]
.LBB2_15505:
	s_movk_i32 s4, 0x80
	v_cmp_eq_u16_e32 vcc, s4, v13
	s_mov_b64 s[4:5], -1
                                        ; implicit-def: $sgpr10
	s_and_saveexec_b64 s[8:9], vcc
; %bb.15506:
	s_mov_b32 s10, 0x7f800001
	s_xor_b64 s[4:5], exec, -1
; %bb.15507:
	s_or_b64 exec, exec, s[8:9]
	s_and_b64 s[4:5], s[4:5], exec
                                        ; implicit-def: $vgpr13
	s_or_saveexec_b64 s[6:7], s[6:7]
	v_mov_b32_e32 v12, s10
	s_xor_b64 exec, exec, s[6:7]
	s_cbranch_execnz .LBB2_15508
; %bb.51345:
	s_getpc_b64 s[14:15]
.Lpost_getpc29256:
	s_add_u32 s14, s14, (.LBB2_1170-.Lpost_getpc29256)&4294967295
	s_addc_u32 s15, s15, (.LBB2_1170-.Lpost_getpc29256)>>32
	s_setpc_b64 s[14:15]
.LBB2_15508:
	v_cmp_ne_u16_e32 vcc, 0, v13
	s_andn2_b64 s[4:5], s[4:5], exec
	s_and_b64 s[8:9], vcc, exec
	v_mov_b32_e32 v12, 0
	s_or_b64 s[4:5], s[4:5], s[8:9]
	s_or_b64 exec, exec, s[6:7]
	s_and_saveexec_b64 s[6:7], s[4:5]
	s_cbranch_execz .LBB2_29257
; %bb.51347:
	s_getpc_b64 s[14:15]
.Lpost_getpc29257:
	s_add_u32 s14, s14, (.LBB2_1171-.Lpost_getpc29257)&4294967295
	s_addc_u32 s15, s15, (.LBB2_1171-.Lpost_getpc29257)>>32
	s_setpc_b64 s[14:15]
.LBB2_29257:
	s_getpc_b64 s[14:15]
.Lpost_getpc18212:
	s_add_u32 s14, s14, (.LBB2_1172-.Lpost_getpc18212)&4294967295
	s_addc_u32 s15, s15, (.LBB2_1172-.Lpost_getpc18212)>>32
	s_setpc_b64 s[14:15]
.LBB2_15509:
	s_movk_i32 s4, 0x80
	v_cmp_eq_u16_e32 vcc, s4, v13
	s_mov_b64 s[4:5], -1
                                        ; implicit-def: $sgpr10
	s_and_saveexec_b64 s[8:9], vcc
; %bb.15510:
	s_mov_b32 s10, 0x7f800001
	s_xor_b64 s[4:5], exec, -1
; %bb.15511:
	s_or_b64 exec, exec, s[8:9]
	s_and_b64 s[4:5], s[4:5], exec
                                        ; implicit-def: $vgpr13
	s_or_saveexec_b64 s[6:7], s[6:7]
	v_mov_b32_e32 v14, s10
	s_xor_b64 exec, exec, s[6:7]
	s_cbranch_execnz .LBB2_15512
; %bb.51349:
	s_getpc_b64 s[14:15]
.Lpost_getpc29258:
	s_add_u32 s14, s14, (.LBB2_1174-.Lpost_getpc29258)&4294967295
	s_addc_u32 s15, s15, (.LBB2_1174-.Lpost_getpc29258)>>32
	s_setpc_b64 s[14:15]
.LBB2_15512:
	v_cmp_ne_u16_e32 vcc, 0, v13
	s_andn2_b64 s[4:5], s[4:5], exec
	s_and_b64 s[8:9], vcc, exec
	v_mov_b32_e32 v14, 0
	s_or_b64 s[4:5], s[4:5], s[8:9]
	s_or_b64 exec, exec, s[6:7]
	s_and_saveexec_b64 s[6:7], s[4:5]
	s_cbranch_execz .LBB2_29259
; %bb.51351:
	s_getpc_b64 s[14:15]
.Lpost_getpc29259:
	s_add_u32 s14, s14, (.LBB2_1175-.Lpost_getpc29259)&4294967295
	s_addc_u32 s15, s15, (.LBB2_1175-.Lpost_getpc29259)>>32
	s_setpc_b64 s[14:15]
.LBB2_29259:
	s_getpc_b64 s[14:15]
.Lpost_getpc18213:
	s_add_u32 s14, s14, (.LBB2_1176-.Lpost_getpc18213)&4294967295
	s_addc_u32 s15, s15, (.LBB2_1176-.Lpost_getpc18213)>>32
	s_setpc_b64 s[14:15]
.LBB2_15513:
	s_movk_i32 s4, 0x80
	v_cmp_eq_u16_sdwa s[12:13], v6, s4 src0_sel:BYTE_3 src1_sel:DWORD
	s_mov_b64 s[4:5], -1
                                        ; implicit-def: $sgpr10
	s_and_saveexec_b64 s[8:9], s[12:13]
; %bb.15514:
	s_mov_b32 s10, 0x7f800001
	s_xor_b64 s[4:5], exec, -1
; %bb.15515:
	s_or_b64 exec, exec, s[8:9]
	s_and_b64 s[4:5], s[4:5], exec
	s_or_saveexec_b64 s[6:7], s[6:7]
	v_mov_b32_e32 v12, s10
	s_xor_b64 exec, exec, s[6:7]
	s_cbranch_execnz .LBB2_15516
; %bb.51353:
	s_getpc_b64 s[14:15]
.Lpost_getpc29260:
	s_add_u32 s14, s14, (.LBB2_1178-.Lpost_getpc29260)&4294967295
	s_addc_u32 s15, s15, (.LBB2_1178-.Lpost_getpc29260)>>32
	s_setpc_b64 s[14:15]
.LBB2_15516:
	v_mov_b32_e32 v12, 0
	v_cmp_ne_u16_sdwa s[8:9], v6, v12 src0_sel:BYTE_3 src1_sel:DWORD
	s_andn2_b64 s[4:5], s[4:5], exec
	s_and_b64 s[8:9], s[8:9], exec
	s_or_b64 s[4:5], s[4:5], s[8:9]
	s_or_b64 exec, exec, s[6:7]
	s_and_saveexec_b64 s[6:7], s[4:5]
	s_cbranch_execz .LBB2_29261
; %bb.51355:
	s_getpc_b64 s[14:15]
.Lpost_getpc29261:
	s_add_u32 s14, s14, (.LBB2_1179-.Lpost_getpc29261)&4294967295
	s_addc_u32 s15, s15, (.LBB2_1179-.Lpost_getpc29261)>>32
	s_setpc_b64 s[14:15]
.LBB2_29261:
	s_getpc_b64 s[14:15]
.Lpost_getpc18214:
	s_add_u32 s14, s14, (.LBB2_1180-.Lpost_getpc18214)&4294967295
	s_addc_u32 s15, s15, (.LBB2_1180-.Lpost_getpc18214)>>32
	s_setpc_b64 s[14:15]
.LBB2_15517:
	s_movk_i32 s4, 0x80
	v_cmp_eq_u16_sdwa s[12:13], v2, s4 src0_sel:BYTE_3 src1_sel:DWORD
	s_mov_b64 s[4:5], -1
                                        ; implicit-def: $sgpr10
	s_and_saveexec_b64 s[8:9], s[12:13]
; %bb.15518:
	s_mov_b32 s10, 0x7f800001
	s_xor_b64 s[4:5], exec, -1
; %bb.15519:
	s_or_b64 exec, exec, s[8:9]
	s_and_b64 s[4:5], s[4:5], exec
	s_or_saveexec_b64 s[6:7], s[6:7]
	v_mov_b32_e32 v6, s10
	s_xor_b64 exec, exec, s[6:7]
	s_cbranch_execnz .LBB2_15520
; %bb.51357:
	s_getpc_b64 s[14:15]
.Lpost_getpc29262:
	s_add_u32 s14, s14, (.LBB2_1182-.Lpost_getpc29262)&4294967295
	s_addc_u32 s15, s15, (.LBB2_1182-.Lpost_getpc29262)>>32
	s_setpc_b64 s[14:15]
.LBB2_15520:
	v_mov_b32_e32 v6, 0
	v_cmp_ne_u16_sdwa s[8:9], v2, v6 src0_sel:BYTE_3 src1_sel:DWORD
	s_andn2_b64 s[4:5], s[4:5], exec
	s_and_b64 s[8:9], s[8:9], exec
	s_or_b64 s[4:5], s[4:5], s[8:9]
	s_or_b64 exec, exec, s[6:7]
	s_and_saveexec_b64 s[6:7], s[4:5]
	s_cbranch_execz .LBB2_29263
; %bb.51359:
	s_getpc_b64 s[14:15]
.Lpost_getpc29263:
	s_add_u32 s14, s14, (.LBB2_1183-.Lpost_getpc29263)&4294967295
	s_addc_u32 s15, s15, (.LBB2_1183-.Lpost_getpc29263)>>32
	s_setpc_b64 s[14:15]
.LBB2_29263:
	s_getpc_b64 s[14:15]
.Lpost_getpc18215:
	s_add_u32 s14, s14, (.LBB2_1184-.Lpost_getpc18215)&4294967295
	s_addc_u32 s15, s15, (.LBB2_1184-.Lpost_getpc18215)>>32
	s_setpc_b64 s[14:15]
.LBB2_15521:
	s_movk_i32 s4, 0x80
	v_cmp_eq_u16_sdwa s[12:13], v7, s4 src0_sel:BYTE_0 src1_sel:DWORD
	s_mov_b64 s[4:5], -1
                                        ; implicit-def: $sgpr10
	s_and_saveexec_b64 s[8:9], s[12:13]
; %bb.15522:
	s_mov_b32 s10, 0x7f800001
	s_xor_b64 s[4:5], exec, -1
; %bb.15523:
	s_or_b64 exec, exec, s[8:9]
	s_and_b64 s[4:5], s[4:5], exec
	s_or_saveexec_b64 s[6:7], s[6:7]
	v_mov_b32_e32 v2, s10
	s_xor_b64 exec, exec, s[6:7]
	s_cbranch_execnz .LBB2_15524
; %bb.51361:
	s_getpc_b64 s[14:15]
.Lpost_getpc29264:
	s_add_u32 s14, s14, (.LBB2_1186-.Lpost_getpc29264)&4294967295
	s_addc_u32 s15, s15, (.LBB2_1186-.Lpost_getpc29264)>>32
	s_setpc_b64 s[14:15]
.LBB2_15524:
	v_mov_b32_e32 v2, 0
	v_cmp_ne_u16_sdwa s[8:9], v7, v2 src0_sel:BYTE_0 src1_sel:DWORD
	s_andn2_b64 s[4:5], s[4:5], exec
	s_and_b64 s[8:9], s[8:9], exec
	s_or_b64 s[4:5], s[4:5], s[8:9]
	s_or_b64 exec, exec, s[6:7]
	s_and_saveexec_b64 s[6:7], s[4:5]
	s_cbranch_execz .LBB2_29265
; %bb.51363:
	s_getpc_b64 s[14:15]
.Lpost_getpc29265:
	s_add_u32 s14, s14, (.LBB2_1187-.Lpost_getpc29265)&4294967295
	s_addc_u32 s15, s15, (.LBB2_1187-.Lpost_getpc29265)>>32
	s_setpc_b64 s[14:15]
.LBB2_29265:
	s_getpc_b64 s[14:15]
.Lpost_getpc18216:
	s_add_u32 s14, s14, (.LBB2_1188-.Lpost_getpc18216)&4294967295
	s_addc_u32 s15, s15, (.LBB2_1188-.Lpost_getpc18216)>>32
	s_setpc_b64 s[14:15]
.LBB2_15525:
	s_movk_i32 s4, 0x80
	v_cmp_eq_u16_sdwa s[12:13], v3, s4 src0_sel:BYTE_0 src1_sel:DWORD
	s_mov_b64 s[4:5], -1
                                        ; implicit-def: $sgpr10
	s_and_saveexec_b64 s[8:9], s[12:13]
; %bb.15526:
	s_mov_b32 s10, 0x7f800001
	s_xor_b64 s[4:5], exec, -1
; %bb.15527:
	s_or_b64 exec, exec, s[8:9]
	s_and_b64 s[4:5], s[4:5], exec
	s_or_saveexec_b64 s[6:7], s[6:7]
	v_mov_b32_e32 v6, s10
	s_xor_b64 exec, exec, s[6:7]
	s_cbranch_execnz .LBB2_15528
; %bb.51365:
	s_getpc_b64 s[14:15]
.Lpost_getpc29266:
	s_add_u32 s14, s14, (.LBB2_1190-.Lpost_getpc29266)&4294967295
	s_addc_u32 s15, s15, (.LBB2_1190-.Lpost_getpc29266)>>32
	s_setpc_b64 s[14:15]
.LBB2_15528:
	v_mov_b32_e32 v6, 0
	v_cmp_ne_u16_sdwa s[8:9], v3, v6 src0_sel:BYTE_0 src1_sel:DWORD
	s_andn2_b64 s[4:5], s[4:5], exec
	s_and_b64 s[8:9], s[8:9], exec
	s_or_b64 s[4:5], s[4:5], s[8:9]
	s_or_b64 exec, exec, s[6:7]
	s_and_saveexec_b64 s[6:7], s[4:5]
	s_cbranch_execz .LBB2_29267
; %bb.51367:
	s_getpc_b64 s[14:15]
.Lpost_getpc29267:
	s_add_u32 s14, s14, (.LBB2_1191-.Lpost_getpc29267)&4294967295
	s_addc_u32 s15, s15, (.LBB2_1191-.Lpost_getpc29267)>>32
	s_setpc_b64 s[14:15]
.LBB2_29267:
	s_getpc_b64 s[14:15]
.Lpost_getpc18217:
	s_add_u32 s14, s14, (.LBB2_1192-.Lpost_getpc18217)&4294967295
	s_addc_u32 s15, s15, (.LBB2_1192-.Lpost_getpc18217)>>32
	s_setpc_b64 s[14:15]
.LBB2_15529:
	s_movk_i32 s4, 0x80
	v_cmp_eq_u16_sdwa s[12:13], v6, s4 src0_sel:BYTE_0 src1_sel:DWORD
	s_mov_b64 s[4:5], -1
                                        ; implicit-def: $sgpr10
	s_and_saveexec_b64 s[8:9], s[12:13]
; %bb.15530:
	s_mov_b32 s10, 0x7f800001
	s_xor_b64 s[4:5], exec, -1
; %bb.15531:
	s_or_b64 exec, exec, s[8:9]
	s_and_b64 s[4:5], s[4:5], exec
	s_or_saveexec_b64 s[6:7], s[6:7]
	v_mov_b32_e32 v2, s10
	s_xor_b64 exec, exec, s[6:7]
	s_cbranch_execnz .LBB2_15532
; %bb.51369:
	s_getpc_b64 s[14:15]
.Lpost_getpc29268:
	s_add_u32 s14, s14, (.LBB2_1194-.Lpost_getpc29268)&4294967295
	s_addc_u32 s15, s15, (.LBB2_1194-.Lpost_getpc29268)>>32
	s_setpc_b64 s[14:15]
.LBB2_15532:
	v_mov_b32_e32 v2, 0
	v_cmp_ne_u16_sdwa s[8:9], v6, v2 src0_sel:BYTE_0 src1_sel:DWORD
	s_andn2_b64 s[4:5], s[4:5], exec
	s_and_b64 s[8:9], s[8:9], exec
	s_or_b64 s[4:5], s[4:5], s[8:9]
	s_or_b64 exec, exec, s[6:7]
	s_and_saveexec_b64 s[6:7], s[4:5]
	s_cbranch_execz .LBB2_29269
; %bb.51371:
	s_getpc_b64 s[14:15]
.Lpost_getpc29269:
	s_add_u32 s14, s14, (.LBB2_1195-.Lpost_getpc29269)&4294967295
	s_addc_u32 s15, s15, (.LBB2_1195-.Lpost_getpc29269)>>32
	s_setpc_b64 s[14:15]
.LBB2_29269:
	s_getpc_b64 s[14:15]
.Lpost_getpc18218:
	s_add_u32 s14, s14, (.LBB2_1196-.Lpost_getpc18218)&4294967295
	s_addc_u32 s15, s15, (.LBB2_1196-.Lpost_getpc18218)>>32
	s_setpc_b64 s[14:15]
.LBB2_15533:
	s_movk_i32 s4, 0x80
	v_cmp_eq_u16_sdwa s[12:13], v6, s4 src0_sel:BYTE_0 src1_sel:DWORD
	s_mov_b64 s[4:5], -1
                                        ; implicit-def: $sgpr10
	s_and_saveexec_b64 s[8:9], s[12:13]
; %bb.15534:
	s_mov_b32 s10, 0x7f800001
	s_xor_b64 s[4:5], exec, -1
; %bb.15535:
	s_or_b64 exec, exec, s[8:9]
	s_and_b64 s[4:5], s[4:5], exec
	s_or_saveexec_b64 s[6:7], s[6:7]
	v_mov_b32_e32 v12, s10
	s_xor_b64 exec, exec, s[6:7]
	s_cbranch_execnz .LBB2_15536
; %bb.51373:
	s_getpc_b64 s[14:15]
.Lpost_getpc29270:
	s_add_u32 s14, s14, (.LBB2_1198-.Lpost_getpc29270)&4294967295
	s_addc_u32 s15, s15, (.LBB2_1198-.Lpost_getpc29270)>>32
	s_setpc_b64 s[14:15]
.LBB2_15536:
	v_mov_b32_e32 v12, 0
	v_cmp_ne_u16_sdwa s[8:9], v6, v12 src0_sel:BYTE_0 src1_sel:DWORD
	s_andn2_b64 s[4:5], s[4:5], exec
	s_and_b64 s[8:9], s[8:9], exec
	s_or_b64 s[4:5], s[4:5], s[8:9]
	s_or_b64 exec, exec, s[6:7]
	s_and_saveexec_b64 s[6:7], s[4:5]
	s_cbranch_execz .LBB2_29271
; %bb.51375:
	s_getpc_b64 s[14:15]
.Lpost_getpc29271:
	s_add_u32 s14, s14, (.LBB2_1199-.Lpost_getpc29271)&4294967295
	s_addc_u32 s15, s15, (.LBB2_1199-.Lpost_getpc29271)>>32
	s_setpc_b64 s[14:15]
.LBB2_29271:
	s_getpc_b64 s[14:15]
.Lpost_getpc18219:
	s_add_u32 s14, s14, (.LBB2_1200-.Lpost_getpc18219)&4294967295
	s_addc_u32 s15, s15, (.LBB2_1200-.Lpost_getpc18219)>>32
	s_setpc_b64 s[14:15]
.LBB2_15537:
	s_movk_i32 s4, 0x80
	v_cmp_eq_u16_e32 vcc, s4, v6
	s_mov_b64 s[4:5], -1
                                        ; implicit-def: $sgpr10
	s_and_saveexec_b64 s[8:9], vcc
; %bb.15538:
	s_mov_b32 s10, 0x7f800001
	s_xor_b64 s[4:5], exec, -1
; %bb.15539:
	s_or_b64 exec, exec, s[8:9]
	s_and_b64 s[4:5], s[4:5], exec
                                        ; implicit-def: $vgpr6
	s_or_saveexec_b64 s[6:7], s[6:7]
	v_mov_b32_e32 v2, s10
	s_xor_b64 exec, exec, s[6:7]
	s_cbranch_execnz .LBB2_15540
; %bb.51377:
	s_getpc_b64 s[14:15]
.Lpost_getpc29272:
	s_add_u32 s14, s14, (.LBB2_1202-.Lpost_getpc29272)&4294967295
	s_addc_u32 s15, s15, (.LBB2_1202-.Lpost_getpc29272)>>32
	s_setpc_b64 s[14:15]
.LBB2_15540:
	v_cmp_ne_u16_e32 vcc, 0, v6
	s_andn2_b64 s[4:5], s[4:5], exec
	s_and_b64 s[8:9], vcc, exec
	v_mov_b32_e32 v2, 0
	s_or_b64 s[4:5], s[4:5], s[8:9]
	s_or_b64 exec, exec, s[6:7]
	s_and_saveexec_b64 s[6:7], s[4:5]
	s_cbranch_execz .LBB2_29273
; %bb.51379:
	s_getpc_b64 s[14:15]
.Lpost_getpc29273:
	s_add_u32 s14, s14, (.LBB2_1203-.Lpost_getpc29273)&4294967295
	s_addc_u32 s15, s15, (.LBB2_1203-.Lpost_getpc29273)>>32
	s_setpc_b64 s[14:15]
.LBB2_29273:
	s_getpc_b64 s[14:15]
.Lpost_getpc18220:
	s_add_u32 s14, s14, (.LBB2_1204-.Lpost_getpc18220)&4294967295
	s_addc_u32 s15, s15, (.LBB2_1204-.Lpost_getpc18220)>>32
	s_setpc_b64 s[14:15]
.LBB2_15541:
	s_movk_i32 s4, 0x80
	v_cmp_eq_u16_e32 vcc, s4, v6
	s_mov_b64 s[4:5], -1
                                        ; implicit-def: $sgpr10
	s_and_saveexec_b64 s[8:9], vcc
; %bb.15542:
	s_mov_b32 s10, 0x7f800001
	s_xor_b64 s[4:5], exec, -1
; %bb.15543:
	s_or_b64 exec, exec, s[8:9]
	s_and_b64 s[4:5], s[4:5], exec
                                        ; implicit-def: $vgpr6
	s_or_saveexec_b64 s[6:7], s[6:7]
	v_mov_b32_e32 v12, s10
	s_xor_b64 exec, exec, s[6:7]
	s_cbranch_execnz .LBB2_15544
; %bb.51381:
	s_getpc_b64 s[14:15]
.Lpost_getpc29274:
	s_add_u32 s14, s14, (.LBB2_1206-.Lpost_getpc29274)&4294967295
	s_addc_u32 s15, s15, (.LBB2_1206-.Lpost_getpc29274)>>32
	s_setpc_b64 s[14:15]
.LBB2_15544:
	v_cmp_ne_u16_e32 vcc, 0, v6
	s_andn2_b64 s[4:5], s[4:5], exec
	s_and_b64 s[8:9], vcc, exec
	v_mov_b32_e32 v12, 0
	s_or_b64 s[4:5], s[4:5], s[8:9]
	s_or_b64 exec, exec, s[6:7]
	s_and_saveexec_b64 s[6:7], s[4:5]
	s_cbranch_execz .LBB2_29275
; %bb.51383:
	s_getpc_b64 s[14:15]
.Lpost_getpc29275:
	s_add_u32 s14, s14, (.LBB2_1207-.Lpost_getpc29275)&4294967295
	s_addc_u32 s15, s15, (.LBB2_1207-.Lpost_getpc29275)>>32
	s_setpc_b64 s[14:15]
.LBB2_29275:
	s_getpc_b64 s[14:15]
.Lpost_getpc18221:
	s_add_u32 s14, s14, (.LBB2_1208-.Lpost_getpc18221)&4294967295
	s_addc_u32 s15, s15, (.LBB2_1208-.Lpost_getpc18221)>>32
	s_setpc_b64 s[14:15]
.LBB2_15545:
	s_movk_i32 s4, 0x80
	v_cmp_eq_u16_sdwa s[12:13], v7, s4 src0_sel:BYTE_3 src1_sel:DWORD
	s_mov_b64 s[4:5], -1
                                        ; implicit-def: $sgpr10
	s_and_saveexec_b64 s[8:9], s[12:13]
; %bb.15546:
	s_mov_b32 s10, 0x7f800001
	s_xor_b64 s[4:5], exec, -1
; %bb.15547:
	s_or_b64 exec, exec, s[8:9]
	s_and_b64 s[4:5], s[4:5], exec
	s_or_saveexec_b64 s[6:7], s[6:7]
	v_mov_b32_e32 v2, s10
	s_xor_b64 exec, exec, s[6:7]
	s_cbranch_execnz .LBB2_15548
; %bb.51385:
	s_getpc_b64 s[14:15]
.Lpost_getpc29276:
	s_add_u32 s14, s14, (.LBB2_1210-.Lpost_getpc29276)&4294967295
	s_addc_u32 s15, s15, (.LBB2_1210-.Lpost_getpc29276)>>32
	s_setpc_b64 s[14:15]
.LBB2_15548:
	v_mov_b32_e32 v2, 0
	v_cmp_ne_u16_sdwa s[8:9], v7, v2 src0_sel:BYTE_3 src1_sel:DWORD
	s_andn2_b64 s[4:5], s[4:5], exec
	s_and_b64 s[8:9], s[8:9], exec
	s_or_b64 s[4:5], s[4:5], s[8:9]
	s_or_b64 exec, exec, s[6:7]
	s_and_saveexec_b64 s[6:7], s[4:5]
	s_cbranch_execz .LBB2_29277
; %bb.51387:
	s_getpc_b64 s[14:15]
.Lpost_getpc29277:
	s_add_u32 s14, s14, (.LBB2_1211-.Lpost_getpc29277)&4294967295
	s_addc_u32 s15, s15, (.LBB2_1211-.Lpost_getpc29277)>>32
	s_setpc_b64 s[14:15]
.LBB2_29277:
	s_getpc_b64 s[14:15]
.Lpost_getpc18222:
	s_add_u32 s14, s14, (.LBB2_1212-.Lpost_getpc18222)&4294967295
	s_addc_u32 s15, s15, (.LBB2_1212-.Lpost_getpc18222)>>32
	s_setpc_b64 s[14:15]
.LBB2_15549:
	s_movk_i32 s4, 0x80
	v_cmp_eq_u16_sdwa s[12:13], v3, s4 src0_sel:BYTE_3 src1_sel:DWORD
	s_mov_b64 s[4:5], -1
                                        ; implicit-def: $sgpr10
	s_and_saveexec_b64 s[8:9], s[12:13]
; %bb.15550:
	s_mov_b32 s10, 0x7f800001
	s_xor_b64 s[4:5], exec, -1
; %bb.15551:
	s_or_b64 exec, exec, s[8:9]
	s_and_b64 s[4:5], s[4:5], exec
	s_or_saveexec_b64 s[6:7], s[6:7]
	v_mov_b32_e32 v6, s10
	s_xor_b64 exec, exec, s[6:7]
	s_cbranch_execnz .LBB2_15552
; %bb.51389:
	s_getpc_b64 s[14:15]
.Lpost_getpc29278:
	s_add_u32 s14, s14, (.LBB2_1214-.Lpost_getpc29278)&4294967295
	s_addc_u32 s15, s15, (.LBB2_1214-.Lpost_getpc29278)>>32
	s_setpc_b64 s[14:15]
.LBB2_15552:
	v_mov_b32_e32 v6, 0
	v_cmp_ne_u16_sdwa s[8:9], v3, v6 src0_sel:BYTE_3 src1_sel:DWORD
	s_andn2_b64 s[4:5], s[4:5], exec
	s_and_b64 s[8:9], s[8:9], exec
	s_or_b64 s[4:5], s[4:5], s[8:9]
	s_or_b64 exec, exec, s[6:7]
	s_and_saveexec_b64 s[6:7], s[4:5]
	s_cbranch_execz .LBB2_29279
; %bb.51391:
	s_getpc_b64 s[14:15]
.Lpost_getpc29279:
	s_add_u32 s14, s14, (.LBB2_1215-.Lpost_getpc29279)&4294967295
	s_addc_u32 s15, s15, (.LBB2_1215-.Lpost_getpc29279)>>32
	s_setpc_b64 s[14:15]
.LBB2_29279:
	s_getpc_b64 s[14:15]
.Lpost_getpc18223:
	s_add_u32 s14, s14, (.LBB2_1216-.Lpost_getpc18223)&4294967295
	s_addc_u32 s15, s15, (.LBB2_1216-.Lpost_getpc18223)>>32
	s_setpc_b64 s[14:15]
.LBB2_15553:
	s_movk_i32 s4, 0x80
	v_cmp_eq_u16_sdwa s[12:13], v8, s4 src0_sel:BYTE_0 src1_sel:DWORD
	s_mov_b64 s[4:5], -1
                                        ; implicit-def: $sgpr10
	s_and_saveexec_b64 s[8:9], s[12:13]
; %bb.15554:
	s_mov_b32 s10, 0x7f800001
	s_xor_b64 s[4:5], exec, -1
; %bb.15555:
	s_or_b64 exec, exec, s[8:9]
	s_and_b64 s[4:5], s[4:5], exec
	s_or_saveexec_b64 s[6:7], s[6:7]
	v_mov_b32_e32 v2, s10
	s_xor_b64 exec, exec, s[6:7]
	s_cbranch_execnz .LBB2_15556
; %bb.51393:
	s_getpc_b64 s[14:15]
.Lpost_getpc29280:
	s_add_u32 s14, s14, (.LBB2_1218-.Lpost_getpc29280)&4294967295
	s_addc_u32 s15, s15, (.LBB2_1218-.Lpost_getpc29280)>>32
	s_setpc_b64 s[14:15]
.LBB2_15556:
	v_mov_b32_e32 v2, 0
	v_cmp_ne_u16_sdwa s[8:9], v8, v2 src0_sel:BYTE_0 src1_sel:DWORD
	s_andn2_b64 s[4:5], s[4:5], exec
	s_and_b64 s[8:9], s[8:9], exec
	s_or_b64 s[4:5], s[4:5], s[8:9]
	s_or_b64 exec, exec, s[6:7]
	s_and_saveexec_b64 s[6:7], s[4:5]
	s_cbranch_execz .LBB2_29281
; %bb.51395:
	s_getpc_b64 s[14:15]
.Lpost_getpc29281:
	s_add_u32 s14, s14, (.LBB2_1219-.Lpost_getpc29281)&4294967295
	s_addc_u32 s15, s15, (.LBB2_1219-.Lpost_getpc29281)>>32
	s_setpc_b64 s[14:15]
.LBB2_29281:
	s_getpc_b64 s[14:15]
.Lpost_getpc18224:
	s_add_u32 s14, s14, (.LBB2_1220-.Lpost_getpc18224)&4294967295
	s_addc_u32 s15, s15, (.LBB2_1220-.Lpost_getpc18224)>>32
	s_setpc_b64 s[14:15]
.LBB2_15557:
	s_movk_i32 s4, 0x80
	v_cmp_eq_u16_sdwa s[12:13], v4, s4 src0_sel:BYTE_0 src1_sel:DWORD
	s_mov_b64 s[4:5], -1
                                        ; implicit-def: $sgpr10
	s_and_saveexec_b64 s[8:9], s[12:13]
; %bb.15558:
	s_mov_b32 s10, 0x7f800001
	s_xor_b64 s[4:5], exec, -1
; %bb.15559:
	s_or_b64 exec, exec, s[8:9]
	s_and_b64 s[4:5], s[4:5], exec
	s_or_saveexec_b64 s[6:7], s[6:7]
	v_mov_b32_e32 v3, s10
	s_xor_b64 exec, exec, s[6:7]
	s_cbranch_execnz .LBB2_15560
; %bb.51397:
	s_getpc_b64 s[14:15]
.Lpost_getpc29282:
	s_add_u32 s14, s14, (.LBB2_1222-.Lpost_getpc29282)&4294967295
	s_addc_u32 s15, s15, (.LBB2_1222-.Lpost_getpc29282)>>32
	s_setpc_b64 s[14:15]
.LBB2_15560:
	v_mov_b32_e32 v3, 0
	v_cmp_ne_u16_sdwa s[8:9], v4, v3 src0_sel:BYTE_0 src1_sel:DWORD
	s_andn2_b64 s[4:5], s[4:5], exec
	s_and_b64 s[8:9], s[8:9], exec
	s_or_b64 s[4:5], s[4:5], s[8:9]
	s_or_b64 exec, exec, s[6:7]
	s_and_saveexec_b64 s[6:7], s[4:5]
	s_cbranch_execz .LBB2_29283
; %bb.51399:
	s_getpc_b64 s[14:15]
.Lpost_getpc29283:
	s_add_u32 s14, s14, (.LBB2_1223-.Lpost_getpc29283)&4294967295
	s_addc_u32 s15, s15, (.LBB2_1223-.Lpost_getpc29283)>>32
	s_setpc_b64 s[14:15]
.LBB2_29283:
	s_getpc_b64 s[14:15]
.Lpost_getpc18225:
	s_add_u32 s14, s14, (.LBB2_1224-.Lpost_getpc18225)&4294967295
	s_addc_u32 s15, s15, (.LBB2_1224-.Lpost_getpc18225)>>32
	s_setpc_b64 s[14:15]
.LBB2_15561:
	s_movk_i32 s4, 0x80
	v_cmp_eq_u16_sdwa s[12:13], v3, s4 src0_sel:BYTE_0 src1_sel:DWORD
	s_mov_b64 s[4:5], -1
                                        ; implicit-def: $sgpr10
	s_and_saveexec_b64 s[8:9], s[12:13]
; %bb.15562:
	s_mov_b32 s10, 0x7f800001
	s_xor_b64 s[4:5], exec, -1
; %bb.15563:
	s_or_b64 exec, exec, s[8:9]
	s_and_b64 s[4:5], s[4:5], exec
	s_or_saveexec_b64 s[6:7], s[6:7]
	v_mov_b32_e32 v2, s10
	s_xor_b64 exec, exec, s[6:7]
	s_cbranch_execnz .LBB2_15564
; %bb.51401:
	s_getpc_b64 s[14:15]
.Lpost_getpc29284:
	s_add_u32 s14, s14, (.LBB2_1226-.Lpost_getpc29284)&4294967295
	s_addc_u32 s15, s15, (.LBB2_1226-.Lpost_getpc29284)>>32
	s_setpc_b64 s[14:15]
.LBB2_15564:
	v_mov_b32_e32 v2, 0
	v_cmp_ne_u16_sdwa s[8:9], v3, v2 src0_sel:BYTE_0 src1_sel:DWORD
	s_andn2_b64 s[4:5], s[4:5], exec
	s_and_b64 s[8:9], s[8:9], exec
	s_or_b64 s[4:5], s[4:5], s[8:9]
	s_or_b64 exec, exec, s[6:7]
	s_and_saveexec_b64 s[6:7], s[4:5]
	s_cbranch_execz .LBB2_29285
; %bb.51403:
	s_getpc_b64 s[14:15]
.Lpost_getpc29285:
	s_add_u32 s14, s14, (.LBB2_1227-.Lpost_getpc29285)&4294967295
	s_addc_u32 s15, s15, (.LBB2_1227-.Lpost_getpc29285)>>32
	s_setpc_b64 s[14:15]
.LBB2_29285:
	s_getpc_b64 s[14:15]
.Lpost_getpc18226:
	s_add_u32 s14, s14, (.LBB2_1228-.Lpost_getpc18226)&4294967295
	s_addc_u32 s15, s15, (.LBB2_1228-.Lpost_getpc18226)>>32
	s_setpc_b64 s[14:15]
.LBB2_15565:
	s_movk_i32 s4, 0x80
	v_cmp_eq_u16_sdwa s[12:13], v3, s4 src0_sel:BYTE_0 src1_sel:DWORD
	s_mov_b64 s[4:5], -1
                                        ; implicit-def: $sgpr10
	s_and_saveexec_b64 s[8:9], s[12:13]
; %bb.15566:
	s_mov_b32 s10, 0x7f800001
	s_xor_b64 s[4:5], exec, -1
; %bb.15567:
	s_or_b64 exec, exec, s[8:9]
	s_and_b64 s[4:5], s[4:5], exec
	s_or_saveexec_b64 s[6:7], s[6:7]
	v_mov_b32_e32 v6, s10
	s_xor_b64 exec, exec, s[6:7]
	s_cbranch_execnz .LBB2_15568
; %bb.51405:
	s_getpc_b64 s[14:15]
.Lpost_getpc29286:
	s_add_u32 s14, s14, (.LBB2_1230-.Lpost_getpc29286)&4294967295
	s_addc_u32 s15, s15, (.LBB2_1230-.Lpost_getpc29286)>>32
	s_setpc_b64 s[14:15]
.LBB2_15568:
	v_mov_b32_e32 v6, 0
	v_cmp_ne_u16_sdwa s[8:9], v3, v6 src0_sel:BYTE_0 src1_sel:DWORD
	s_andn2_b64 s[4:5], s[4:5], exec
	s_and_b64 s[8:9], s[8:9], exec
	s_or_b64 s[4:5], s[4:5], s[8:9]
	s_or_b64 exec, exec, s[6:7]
	s_and_saveexec_b64 s[6:7], s[4:5]
	s_cbranch_execz .LBB2_29287
; %bb.51407:
	s_getpc_b64 s[14:15]
.Lpost_getpc29287:
	s_add_u32 s14, s14, (.LBB2_1231-.Lpost_getpc29287)&4294967295
	s_addc_u32 s15, s15, (.LBB2_1231-.Lpost_getpc29287)>>32
	s_setpc_b64 s[14:15]
.LBB2_29287:
	s_getpc_b64 s[14:15]
.Lpost_getpc18227:
	s_add_u32 s14, s14, (.LBB2_1232-.Lpost_getpc18227)&4294967295
	s_addc_u32 s15, s15, (.LBB2_1232-.Lpost_getpc18227)>>32
	s_setpc_b64 s[14:15]
.LBB2_15569:
	s_movk_i32 s4, 0x80
	v_cmp_eq_u16_e32 vcc, s4, v3
	s_mov_b64 s[4:5], -1
                                        ; implicit-def: $sgpr10
	s_and_saveexec_b64 s[8:9], vcc
; %bb.15570:
	s_mov_b32 s10, 0x7f800001
	s_xor_b64 s[4:5], exec, -1
; %bb.15571:
	s_or_b64 exec, exec, s[8:9]
	s_and_b64 s[4:5], s[4:5], exec
                                        ; implicit-def: $vgpr3
	s_or_saveexec_b64 s[6:7], s[6:7]
	v_mov_b32_e32 v2, s10
	s_xor_b64 exec, exec, s[6:7]
	s_cbranch_execnz .LBB2_15572
; %bb.51409:
	s_getpc_b64 s[14:15]
.Lpost_getpc29288:
	s_add_u32 s14, s14, (.LBB2_1234-.Lpost_getpc29288)&4294967295
	s_addc_u32 s15, s15, (.LBB2_1234-.Lpost_getpc29288)>>32
	s_setpc_b64 s[14:15]
.LBB2_15572:
	v_cmp_ne_u16_e32 vcc, 0, v3
	s_andn2_b64 s[4:5], s[4:5], exec
	s_and_b64 s[8:9], vcc, exec
	v_mov_b32_e32 v2, 0
	s_or_b64 s[4:5], s[4:5], s[8:9]
	s_or_b64 exec, exec, s[6:7]
	s_and_saveexec_b64 s[6:7], s[4:5]
	s_cbranch_execz .LBB2_29289
; %bb.51411:
	s_getpc_b64 s[14:15]
.Lpost_getpc29289:
	s_add_u32 s14, s14, (.LBB2_1235-.Lpost_getpc29289)&4294967295
	s_addc_u32 s15, s15, (.LBB2_1235-.Lpost_getpc29289)>>32
	s_setpc_b64 s[14:15]
.LBB2_29289:
	s_getpc_b64 s[14:15]
.Lpost_getpc18228:
	s_add_u32 s14, s14, (.LBB2_1236-.Lpost_getpc18228)&4294967295
	s_addc_u32 s15, s15, (.LBB2_1236-.Lpost_getpc18228)>>32
	s_setpc_b64 s[14:15]
.LBB2_15573:
	s_movk_i32 s4, 0x80
	v_cmp_eq_u16_e32 vcc, s4, v3
	s_mov_b64 s[4:5], -1
                                        ; implicit-def: $sgpr10
	s_and_saveexec_b64 s[8:9], vcc
; %bb.15574:
	s_mov_b32 s10, 0x7f800001
	s_xor_b64 s[4:5], exec, -1
; %bb.15575:
	s_or_b64 exec, exec, s[8:9]
	s_and_b64 s[4:5], s[4:5], exec
                                        ; implicit-def: $vgpr3
	s_or_saveexec_b64 s[6:7], s[6:7]
	v_mov_b32_e32 v6, s10
	s_xor_b64 exec, exec, s[6:7]
	s_cbranch_execnz .LBB2_15576
; %bb.51413:
	s_getpc_b64 s[14:15]
.Lpost_getpc29290:
	s_add_u32 s14, s14, (.LBB2_1238-.Lpost_getpc29290)&4294967295
	s_addc_u32 s15, s15, (.LBB2_1238-.Lpost_getpc29290)>>32
	s_setpc_b64 s[14:15]
.LBB2_15576:
	v_cmp_ne_u16_e32 vcc, 0, v3
	s_andn2_b64 s[4:5], s[4:5], exec
	s_and_b64 s[8:9], vcc, exec
	v_mov_b32_e32 v6, 0
	s_or_b64 s[4:5], s[4:5], s[8:9]
	s_or_b64 exec, exec, s[6:7]
	s_and_saveexec_b64 s[6:7], s[4:5]
	s_cbranch_execz .LBB2_29291
; %bb.51415:
	s_getpc_b64 s[14:15]
.Lpost_getpc29291:
	s_add_u32 s14, s14, (.LBB2_1239-.Lpost_getpc29291)&4294967295
	s_addc_u32 s15, s15, (.LBB2_1239-.Lpost_getpc29291)>>32
	s_setpc_b64 s[14:15]
.LBB2_29291:
	s_getpc_b64 s[14:15]
.Lpost_getpc18229:
	s_add_u32 s14, s14, (.LBB2_1240-.Lpost_getpc18229)&4294967295
	s_addc_u32 s15, s15, (.LBB2_1240-.Lpost_getpc18229)>>32
	s_setpc_b64 s[14:15]
.LBB2_15577:
	s_movk_i32 s4, 0x80
	v_cmp_eq_u16_sdwa s[12:13], v8, s4 src0_sel:BYTE_3 src1_sel:DWORD
	s_mov_b64 s[4:5], -1
                                        ; implicit-def: $sgpr10
	s_and_saveexec_b64 s[8:9], s[12:13]
; %bb.15578:
	s_mov_b32 s10, 0x7f800001
	s_xor_b64 s[4:5], exec, -1
; %bb.15579:
	s_or_b64 exec, exec, s[8:9]
	s_and_b64 s[4:5], s[4:5], exec
	s_or_saveexec_b64 s[6:7], s[6:7]
	v_mov_b32_e32 v2, s10
	s_xor_b64 exec, exec, s[6:7]
	s_cbranch_execnz .LBB2_15580
; %bb.51417:
	s_getpc_b64 s[14:15]
.Lpost_getpc29292:
	s_add_u32 s14, s14, (.LBB2_1242-.Lpost_getpc29292)&4294967295
	s_addc_u32 s15, s15, (.LBB2_1242-.Lpost_getpc29292)>>32
	s_setpc_b64 s[14:15]
.LBB2_15580:
	v_mov_b32_e32 v2, 0
	v_cmp_ne_u16_sdwa s[8:9], v8, v2 src0_sel:BYTE_3 src1_sel:DWORD
	s_andn2_b64 s[4:5], s[4:5], exec
	s_and_b64 s[8:9], s[8:9], exec
	s_or_b64 s[4:5], s[4:5], s[8:9]
	s_or_b64 exec, exec, s[6:7]
	s_and_saveexec_b64 s[6:7], s[4:5]
	s_cbranch_execz .LBB2_29293
; %bb.51419:
	s_getpc_b64 s[14:15]
.Lpost_getpc29293:
	s_add_u32 s14, s14, (.LBB2_1243-.Lpost_getpc29293)&4294967295
	s_addc_u32 s15, s15, (.LBB2_1243-.Lpost_getpc29293)>>32
	s_setpc_b64 s[14:15]
.LBB2_29293:
	s_getpc_b64 s[14:15]
.Lpost_getpc18230:
	s_add_u32 s14, s14, (.LBB2_1244-.Lpost_getpc18230)&4294967295
	s_addc_u32 s15, s15, (.LBB2_1244-.Lpost_getpc18230)>>32
	s_setpc_b64 s[14:15]
.LBB2_15581:
	s_movk_i32 s4, 0x80
	v_cmp_eq_u16_sdwa s[12:13], v4, s4 src0_sel:BYTE_3 src1_sel:DWORD
	s_mov_b64 s[4:5], -1
                                        ; implicit-def: $sgpr10
	s_and_saveexec_b64 s[8:9], s[12:13]
; %bb.15582:
	s_mov_b32 s10, 0x7f800001
	s_xor_b64 s[4:5], exec, -1
; %bb.15583:
	s_or_b64 exec, exec, s[8:9]
	s_and_b64 s[4:5], s[4:5], exec
	s_or_saveexec_b64 s[6:7], s[6:7]
	v_mov_b32_e32 v3, s10
	s_xor_b64 exec, exec, s[6:7]
	s_cbranch_execnz .LBB2_15584
; %bb.51421:
	s_getpc_b64 s[14:15]
.Lpost_getpc29294:
	s_add_u32 s14, s14, (.LBB2_1246-.Lpost_getpc29294)&4294967295
	s_addc_u32 s15, s15, (.LBB2_1246-.Lpost_getpc29294)>>32
	s_setpc_b64 s[14:15]
.LBB2_15584:
	v_mov_b32_e32 v3, 0
	v_cmp_ne_u16_sdwa s[8:9], v4, v3 src0_sel:BYTE_3 src1_sel:DWORD
	s_andn2_b64 s[4:5], s[4:5], exec
	s_and_b64 s[8:9], s[8:9], exec
	s_or_b64 s[4:5], s[4:5], s[8:9]
	s_or_b64 exec, exec, s[6:7]
	s_and_saveexec_b64 s[6:7], s[4:5]
	s_cbranch_execz .LBB2_29295
; %bb.51423:
	s_getpc_b64 s[14:15]
.Lpost_getpc29295:
	s_add_u32 s14, s14, (.LBB2_1247-.Lpost_getpc29295)&4294967295
	s_addc_u32 s15, s15, (.LBB2_1247-.Lpost_getpc29295)>>32
	s_setpc_b64 s[14:15]
.LBB2_29295:
	s_getpc_b64 s[14:15]
.Lpost_getpc18231:
	s_add_u32 s14, s14, (.LBB2_1248-.Lpost_getpc18231)&4294967295
	s_addc_u32 s15, s15, (.LBB2_1248-.Lpost_getpc18231)>>32
	s_setpc_b64 s[14:15]
.LBB2_15585:
	s_movk_i32 s4, 0x80
	v_cmp_eq_u16_sdwa s[12:13], v9, s4 src0_sel:BYTE_0 src1_sel:DWORD
	s_mov_b64 s[4:5], -1
                                        ; implicit-def: $sgpr10
	s_and_saveexec_b64 s[8:9], s[12:13]
; %bb.15586:
	s_mov_b32 s10, 0x7f800001
	s_xor_b64 s[4:5], exec, -1
; %bb.15587:
	s_or_b64 exec, exec, s[8:9]
	s_and_b64 s[4:5], s[4:5], exec
	s_or_saveexec_b64 s[6:7], s[6:7]
	v_mov_b32_e32 v2, s10
	s_xor_b64 exec, exec, s[6:7]
	s_cbranch_execnz .LBB2_15588
; %bb.51425:
	s_getpc_b64 s[14:15]
.Lpost_getpc29296:
	s_add_u32 s14, s14, (.LBB2_1250-.Lpost_getpc29296)&4294967295
	s_addc_u32 s15, s15, (.LBB2_1250-.Lpost_getpc29296)>>32
	s_setpc_b64 s[14:15]
.LBB2_15588:
	v_mov_b32_e32 v2, 0
	v_cmp_ne_u16_sdwa s[8:9], v9, v2 src0_sel:BYTE_0 src1_sel:DWORD
	s_andn2_b64 s[4:5], s[4:5], exec
	s_and_b64 s[8:9], s[8:9], exec
	s_or_b64 s[4:5], s[4:5], s[8:9]
	s_or_b64 exec, exec, s[6:7]
	s_and_saveexec_b64 s[6:7], s[4:5]
	s_cbranch_execz .LBB2_29297
; %bb.51427:
	s_getpc_b64 s[14:15]
.Lpost_getpc29297:
	s_add_u32 s14, s14, (.LBB2_1251-.Lpost_getpc29297)&4294967295
	s_addc_u32 s15, s15, (.LBB2_1251-.Lpost_getpc29297)>>32
	s_setpc_b64 s[14:15]
.LBB2_29297:
	s_getpc_b64 s[14:15]
.Lpost_getpc18232:
	s_add_u32 s14, s14, (.LBB2_1252-.Lpost_getpc18232)&4294967295
	s_addc_u32 s15, s15, (.LBB2_1252-.Lpost_getpc18232)>>32
	s_setpc_b64 s[14:15]
.LBB2_15589:
	s_movk_i32 s4, 0x80
	v_cmp_eq_u16_sdwa s[12:13], v5, s4 src0_sel:BYTE_0 src1_sel:DWORD
	s_mov_b64 s[4:5], -1
                                        ; implicit-def: $sgpr10
	s_and_saveexec_b64 s[8:9], s[12:13]
; %bb.15590:
	s_mov_b32 s10, 0x7f800001
	s_xor_b64 s[4:5], exec, -1
; %bb.15591:
	s_or_b64 exec, exec, s[8:9]
	s_and_b64 s[4:5], s[4:5], exec
	s_or_saveexec_b64 s[6:7], s[6:7]
	v_mov_b32_e32 v3, s10
	s_xor_b64 exec, exec, s[6:7]
	s_cbranch_execnz .LBB2_15592
; %bb.51429:
	s_getpc_b64 s[14:15]
.Lpost_getpc29298:
	s_add_u32 s14, s14, (.LBB2_1254-.Lpost_getpc29298)&4294967295
	s_addc_u32 s15, s15, (.LBB2_1254-.Lpost_getpc29298)>>32
	s_setpc_b64 s[14:15]
.LBB2_15592:
	v_mov_b32_e32 v3, 0
	v_cmp_ne_u16_sdwa s[8:9], v5, v3 src0_sel:BYTE_0 src1_sel:DWORD
	s_andn2_b64 s[4:5], s[4:5], exec
	s_and_b64 s[8:9], s[8:9], exec
	s_or_b64 s[4:5], s[4:5], s[8:9]
	s_or_b64 exec, exec, s[6:7]
	s_and_saveexec_b64 s[6:7], s[4:5]
	s_cbranch_execz .LBB2_29299
; %bb.51431:
	s_getpc_b64 s[14:15]
.Lpost_getpc29299:
	s_add_u32 s14, s14, (.LBB2_1255-.Lpost_getpc29299)&4294967295
	s_addc_u32 s15, s15, (.LBB2_1255-.Lpost_getpc29299)>>32
	s_setpc_b64 s[14:15]
.LBB2_29299:
	s_getpc_b64 s[14:15]
.Lpost_getpc18233:
	s_add_u32 s14, s14, (.LBB2_1256-.Lpost_getpc18233)&4294967295
	s_addc_u32 s15, s15, (.LBB2_1256-.Lpost_getpc18233)>>32
	s_setpc_b64 s[14:15]
.LBB2_15593:
	s_movk_i32 s4, 0x80
	v_cmp_eq_u16_sdwa s[12:13], v3, s4 src0_sel:BYTE_0 src1_sel:DWORD
	s_mov_b64 s[4:5], -1
                                        ; implicit-def: $sgpr10
	s_and_saveexec_b64 s[8:9], s[12:13]
; %bb.15594:
	s_mov_b32 s10, 0x7f800001
	s_xor_b64 s[4:5], exec, -1
; %bb.15595:
	s_or_b64 exec, exec, s[8:9]
	s_and_b64 s[4:5], s[4:5], exec
	s_or_saveexec_b64 s[6:7], s[6:7]
	v_mov_b32_e32 v2, s10
	s_xor_b64 exec, exec, s[6:7]
	s_cbranch_execnz .LBB2_15596
; %bb.51433:
	s_getpc_b64 s[14:15]
.Lpost_getpc29300:
	s_add_u32 s14, s14, (.LBB2_1258-.Lpost_getpc29300)&4294967295
	s_addc_u32 s15, s15, (.LBB2_1258-.Lpost_getpc29300)>>32
	s_setpc_b64 s[14:15]
.LBB2_15596:
	v_mov_b32_e32 v2, 0
	v_cmp_ne_u16_sdwa s[8:9], v3, v2 src0_sel:BYTE_0 src1_sel:DWORD
	s_andn2_b64 s[4:5], s[4:5], exec
	s_and_b64 s[8:9], s[8:9], exec
	s_or_b64 s[4:5], s[4:5], s[8:9]
	s_or_b64 exec, exec, s[6:7]
	s_and_saveexec_b64 s[6:7], s[4:5]
	s_cbranch_execz .LBB2_29301
; %bb.51435:
	s_getpc_b64 s[14:15]
.Lpost_getpc29301:
	s_add_u32 s14, s14, (.LBB2_1259-.Lpost_getpc29301)&4294967295
	s_addc_u32 s15, s15, (.LBB2_1259-.Lpost_getpc29301)>>32
	s_setpc_b64 s[14:15]
.LBB2_29301:
	s_getpc_b64 s[14:15]
.Lpost_getpc18234:
	s_add_u32 s14, s14, (.LBB2_1260-.Lpost_getpc18234)&4294967295
	s_addc_u32 s15, s15, (.LBB2_1260-.Lpost_getpc18234)>>32
	s_setpc_b64 s[14:15]
.LBB2_15597:
	s_movk_i32 s4, 0x80
	v_cmp_eq_u16_sdwa s[12:13], v3, s4 src0_sel:BYTE_0 src1_sel:DWORD
	s_mov_b64 s[4:5], -1
                                        ; implicit-def: $sgpr10
	s_and_saveexec_b64 s[8:9], s[12:13]
; %bb.15598:
	s_mov_b32 s10, 0x7f800001
	s_xor_b64 s[4:5], exec, -1
; %bb.15599:
	s_or_b64 exec, exec, s[8:9]
	s_and_b64 s[4:5], s[4:5], exec
	s_or_saveexec_b64 s[6:7], s[6:7]
	v_mov_b32_e32 v4, s10
	s_xor_b64 exec, exec, s[6:7]
	s_cbranch_execnz .LBB2_15600
; %bb.51437:
	s_getpc_b64 s[14:15]
.Lpost_getpc29302:
	s_add_u32 s14, s14, (.LBB2_1262-.Lpost_getpc29302)&4294967295
	s_addc_u32 s15, s15, (.LBB2_1262-.Lpost_getpc29302)>>32
	s_setpc_b64 s[14:15]
.LBB2_15600:
	v_mov_b32_e32 v4, 0
	v_cmp_ne_u16_sdwa s[8:9], v3, v4 src0_sel:BYTE_0 src1_sel:DWORD
	s_andn2_b64 s[4:5], s[4:5], exec
	s_and_b64 s[8:9], s[8:9], exec
	s_or_b64 s[4:5], s[4:5], s[8:9]
	s_or_b64 exec, exec, s[6:7]
	s_and_saveexec_b64 s[6:7], s[4:5]
	s_cbranch_execz .LBB2_29303
; %bb.51439:
	s_getpc_b64 s[14:15]
.Lpost_getpc29303:
	s_add_u32 s14, s14, (.LBB2_1263-.Lpost_getpc29303)&4294967295
	s_addc_u32 s15, s15, (.LBB2_1263-.Lpost_getpc29303)>>32
	s_setpc_b64 s[14:15]
.LBB2_29303:
	s_getpc_b64 s[14:15]
.Lpost_getpc18235:
	s_add_u32 s14, s14, (.LBB2_1264-.Lpost_getpc18235)&4294967295
	s_addc_u32 s15, s15, (.LBB2_1264-.Lpost_getpc18235)>>32
	s_setpc_b64 s[14:15]
.LBB2_15601:
	s_movk_i32 s4, 0x80
	v_cmp_eq_u16_e32 vcc, s4, v3
	s_mov_b64 s[4:5], -1
                                        ; implicit-def: $sgpr10
	s_and_saveexec_b64 s[8:9], vcc
; %bb.15602:
	s_mov_b32 s10, 0x7f800001
	s_xor_b64 s[4:5], exec, -1
; %bb.15603:
	s_or_b64 exec, exec, s[8:9]
	s_and_b64 s[4:5], s[4:5], exec
                                        ; implicit-def: $vgpr3
	s_or_saveexec_b64 s[6:7], s[6:7]
	v_mov_b32_e32 v2, s10
	s_xor_b64 exec, exec, s[6:7]
	s_cbranch_execnz .LBB2_15604
; %bb.51441:
	s_getpc_b64 s[14:15]
.Lpost_getpc29304:
	s_add_u32 s14, s14, (.LBB2_1266-.Lpost_getpc29304)&4294967295
	s_addc_u32 s15, s15, (.LBB2_1266-.Lpost_getpc29304)>>32
	s_setpc_b64 s[14:15]
.LBB2_15604:
	v_cmp_ne_u16_e32 vcc, 0, v3
	s_andn2_b64 s[4:5], s[4:5], exec
	s_and_b64 s[8:9], vcc, exec
	v_mov_b32_e32 v2, 0
	s_or_b64 s[4:5], s[4:5], s[8:9]
	s_or_b64 exec, exec, s[6:7]
	s_and_saveexec_b64 s[6:7], s[4:5]
	s_cbranch_execz .LBB2_29305
; %bb.51443:
	s_getpc_b64 s[14:15]
.Lpost_getpc29305:
	s_add_u32 s14, s14, (.LBB2_1267-.Lpost_getpc29305)&4294967295
	s_addc_u32 s15, s15, (.LBB2_1267-.Lpost_getpc29305)>>32
	s_setpc_b64 s[14:15]
.LBB2_29305:
	s_getpc_b64 s[14:15]
.Lpost_getpc18236:
	s_add_u32 s14, s14, (.LBB2_1268-.Lpost_getpc18236)&4294967295
	s_addc_u32 s15, s15, (.LBB2_1268-.Lpost_getpc18236)>>32
	s_setpc_b64 s[14:15]
.LBB2_15605:
	s_movk_i32 s4, 0x80
	v_cmp_eq_u16_e32 vcc, s4, v3
	s_mov_b64 s[4:5], -1
                                        ; implicit-def: $sgpr10
	s_and_saveexec_b64 s[8:9], vcc
; %bb.15606:
	s_mov_b32 s10, 0x7f800001
	s_xor_b64 s[4:5], exec, -1
; %bb.15607:
	s_or_b64 exec, exec, s[8:9]
	s_and_b64 s[4:5], s[4:5], exec
                                        ; implicit-def: $vgpr3
	s_or_saveexec_b64 s[6:7], s[6:7]
	v_mov_b32_e32 v4, s10
	s_xor_b64 exec, exec, s[6:7]
	s_cbranch_execnz .LBB2_15608
; %bb.51445:
	s_getpc_b64 s[14:15]
.Lpost_getpc29306:
	s_add_u32 s14, s14, (.LBB2_1270-.Lpost_getpc29306)&4294967295
	s_addc_u32 s15, s15, (.LBB2_1270-.Lpost_getpc29306)>>32
	s_setpc_b64 s[14:15]
.LBB2_15608:
	v_cmp_ne_u16_e32 vcc, 0, v3
	s_andn2_b64 s[4:5], s[4:5], exec
	s_and_b64 s[8:9], vcc, exec
	v_mov_b32_e32 v4, 0
	s_or_b64 s[4:5], s[4:5], s[8:9]
	s_or_b64 exec, exec, s[6:7]
	s_and_saveexec_b64 s[6:7], s[4:5]
	s_cbranch_execz .LBB2_29307
; %bb.51447:
	s_getpc_b64 s[14:15]
.Lpost_getpc29307:
	s_add_u32 s14, s14, (.LBB2_1271-.Lpost_getpc29307)&4294967295
	s_addc_u32 s15, s15, (.LBB2_1271-.Lpost_getpc29307)>>32
	s_setpc_b64 s[14:15]
.LBB2_29307:
	s_getpc_b64 s[14:15]
.Lpost_getpc18237:
	s_add_u32 s14, s14, (.LBB2_1272-.Lpost_getpc18237)&4294967295
	s_addc_u32 s15, s15, (.LBB2_1272-.Lpost_getpc18237)>>32
	s_setpc_b64 s[14:15]
.LBB2_15609:
	s_movk_i32 s4, 0x80
	v_cmp_eq_u16_sdwa s[12:13], v9, s4 src0_sel:BYTE_3 src1_sel:DWORD
	s_mov_b64 s[4:5], -1
                                        ; implicit-def: $sgpr10
	s_and_saveexec_b64 s[8:9], s[12:13]
; %bb.15610:
	s_mov_b32 s10, 0x7f800001
	s_xor_b64 s[4:5], exec, -1
; %bb.15611:
	s_or_b64 exec, exec, s[8:9]
	s_and_b64 s[4:5], s[4:5], exec
	s_or_saveexec_b64 s[6:7], s[6:7]
	v_mov_b32_e32 v2, s10
	s_xor_b64 exec, exec, s[6:7]
	s_cbranch_execnz .LBB2_15612
; %bb.51449:
	s_getpc_b64 s[14:15]
.Lpost_getpc29308:
	s_add_u32 s14, s14, (.LBB2_1274-.Lpost_getpc29308)&4294967295
	s_addc_u32 s15, s15, (.LBB2_1274-.Lpost_getpc29308)>>32
	s_setpc_b64 s[14:15]
.LBB2_15612:
	v_mov_b32_e32 v2, 0
	v_cmp_ne_u16_sdwa s[8:9], v9, v2 src0_sel:BYTE_3 src1_sel:DWORD
	s_andn2_b64 s[4:5], s[4:5], exec
	s_and_b64 s[8:9], s[8:9], exec
	s_or_b64 s[4:5], s[4:5], s[8:9]
	s_or_b64 exec, exec, s[6:7]
	s_and_saveexec_b64 s[6:7], s[4:5]
	s_cbranch_execz .LBB2_29309
; %bb.51451:
	s_getpc_b64 s[14:15]
.Lpost_getpc29309:
	s_add_u32 s14, s14, (.LBB2_1275-.Lpost_getpc29309)&4294967295
	s_addc_u32 s15, s15, (.LBB2_1275-.Lpost_getpc29309)>>32
	s_setpc_b64 s[14:15]
.LBB2_29309:
	s_getpc_b64 s[14:15]
.Lpost_getpc18238:
	s_add_u32 s14, s14, (.LBB2_1276-.Lpost_getpc18238)&4294967295
	s_addc_u32 s15, s15, (.LBB2_1276-.Lpost_getpc18238)>>32
	s_setpc_b64 s[14:15]
.LBB2_15613:
	s_movk_i32 s4, 0x80
	v_cmp_eq_u16_sdwa s[12:13], v5, s4 src0_sel:BYTE_3 src1_sel:DWORD
	s_mov_b64 s[4:5], -1
                                        ; implicit-def: $sgpr10
	s_and_saveexec_b64 s[8:9], s[12:13]
; %bb.15614:
	s_mov_b32 s10, 0x7f800001
	s_xor_b64 s[4:5], exec, -1
; %bb.15615:
	s_or_b64 exec, exec, s[8:9]
	s_and_b64 s[4:5], s[4:5], exec
	s_or_saveexec_b64 s[6:7], s[6:7]
	v_mov_b32_e32 v3, s10
	s_xor_b64 exec, exec, s[6:7]
	s_cbranch_execnz .LBB2_15616
; %bb.51453:
	s_getpc_b64 s[14:15]
.Lpost_getpc29310:
	s_add_u32 s14, s14, (.LBB2_1278-.Lpost_getpc29310)&4294967295
	s_addc_u32 s15, s15, (.LBB2_1278-.Lpost_getpc29310)>>32
	s_setpc_b64 s[14:15]
.LBB2_15616:
	v_mov_b32_e32 v3, 0
	v_cmp_ne_u16_sdwa s[8:9], v5, v3 src0_sel:BYTE_3 src1_sel:DWORD
	s_andn2_b64 s[4:5], s[4:5], exec
	s_and_b64 s[8:9], s[8:9], exec
	s_or_b64 s[4:5], s[4:5], s[8:9]
	s_or_b64 exec, exec, s[6:7]
	s_and_saveexec_b64 s[6:7], s[4:5]
	s_cbranch_execz .LBB2_29311
; %bb.51455:
	s_getpc_b64 s[14:15]
.Lpost_getpc29311:
	s_add_u32 s14, s14, (.LBB2_1279-.Lpost_getpc29311)&4294967295
	s_addc_u32 s15, s15, (.LBB2_1279-.Lpost_getpc29311)>>32
	s_setpc_b64 s[14:15]
.LBB2_29311:
	s_getpc_b64 s[14:15]
.Lpost_getpc18239:
	s_add_u32 s14, s14, (.LBB2_1280-.Lpost_getpc18239)&4294967295
	s_addc_u32 s15, s15, (.LBB2_1280-.Lpost_getpc18239)>>32
	s_setpc_b64 s[14:15]
.LBB2_15617:
	s_movk_i32 s4, 0x80
	v_cmp_eq_u16_sdwa s[12:13], v6, s4 src0_sel:BYTE_0 src1_sel:DWORD
	s_mov_b64 s[4:5], -1
                                        ; implicit-def: $sgpr10
	s_and_saveexec_b64 s[8:9], s[12:13]
; %bb.15618:
	s_mov_b32 s10, 0x7f800001
	s_xor_b64 s[4:5], exec, -1
; %bb.15619:
	s_or_b64 exec, exec, s[8:9]
	s_and_b64 s[4:5], s[4:5], exec
	s_or_saveexec_b64 s[6:7], s[6:7]
	v_mov_b32_e32 v12, s10
	s_xor_b64 exec, exec, s[6:7]
	s_cbranch_execnz .LBB2_15620
; %bb.51457:
	s_getpc_b64 s[14:15]
.Lpost_getpc29312:
	s_add_u32 s14, s14, (.LBB2_1282-.Lpost_getpc29312)&4294967295
	s_addc_u32 s15, s15, (.LBB2_1282-.Lpost_getpc29312)>>32
	s_setpc_b64 s[14:15]
.LBB2_15620:
	v_mov_b32_e32 v12, 0
	v_cmp_ne_u16_sdwa s[8:9], v6, v12 src0_sel:BYTE_0 src1_sel:DWORD
	s_andn2_b64 s[4:5], s[4:5], exec
	s_and_b64 s[8:9], s[8:9], exec
	s_or_b64 s[4:5], s[4:5], s[8:9]
	s_or_b64 exec, exec, s[6:7]
	s_and_saveexec_b64 s[6:7], s[4:5]
	s_cbranch_execz .LBB2_29313
; %bb.51459:
	s_getpc_b64 s[14:15]
.Lpost_getpc29313:
	s_add_u32 s14, s14, (.LBB2_1283-.Lpost_getpc29313)&4294967295
	s_addc_u32 s15, s15, (.LBB2_1283-.Lpost_getpc29313)>>32
	s_setpc_b64 s[14:15]
.LBB2_29313:
	s_getpc_b64 s[14:15]
.Lpost_getpc18240:
	s_add_u32 s14, s14, (.LBB2_1284-.Lpost_getpc18240)&4294967295
	s_addc_u32 s15, s15, (.LBB2_1284-.Lpost_getpc18240)>>32
	s_setpc_b64 s[14:15]
.LBB2_15621:
	s_movk_i32 s4, 0x80
	v_cmp_eq_u16_sdwa s[12:13], v2, s4 src0_sel:BYTE_0 src1_sel:DWORD
	s_mov_b64 s[4:5], -1
                                        ; implicit-def: $sgpr10
	s_and_saveexec_b64 s[8:9], s[12:13]
; %bb.15622:
	s_mov_b32 s10, 0x7f800001
	s_xor_b64 s[4:5], exec, -1
; %bb.15623:
	s_or_b64 exec, exec, s[8:9]
	s_and_b64 s[4:5], s[4:5], exec
	s_or_saveexec_b64 s[6:7], s[6:7]
	v_mov_b32_e32 v13, s10
	s_xor_b64 exec, exec, s[6:7]
	s_cbranch_execnz .LBB2_15624
; %bb.51461:
	s_getpc_b64 s[14:15]
.Lpost_getpc29314:
	s_add_u32 s14, s14, (.LBB2_1286-.Lpost_getpc29314)&4294967295
	s_addc_u32 s15, s15, (.LBB2_1286-.Lpost_getpc29314)>>32
	s_setpc_b64 s[14:15]
.LBB2_15624:
	v_mov_b32_e32 v13, 0
	v_cmp_ne_u16_sdwa s[8:9], v2, v13 src0_sel:BYTE_0 src1_sel:DWORD
	s_andn2_b64 s[4:5], s[4:5], exec
	s_and_b64 s[8:9], s[8:9], exec
	s_or_b64 s[4:5], s[4:5], s[8:9]
	s_or_b64 exec, exec, s[6:7]
	s_and_saveexec_b64 s[6:7], s[4:5]
	s_cbranch_execz .LBB2_29315
; %bb.51463:
	s_getpc_b64 s[14:15]
.Lpost_getpc29315:
	s_add_u32 s14, s14, (.LBB2_1287-.Lpost_getpc29315)&4294967295
	s_addc_u32 s15, s15, (.LBB2_1287-.Lpost_getpc29315)>>32
	s_setpc_b64 s[14:15]
.LBB2_29315:
	s_getpc_b64 s[14:15]
.Lpost_getpc18241:
	s_add_u32 s14, s14, (.LBB2_1288-.Lpost_getpc18241)&4294967295
	s_addc_u32 s15, s15, (.LBB2_1288-.Lpost_getpc18241)>>32
	s_setpc_b64 s[14:15]
.LBB2_15625:
	s_movk_i32 s4, 0x80
	v_cmp_eq_u16_sdwa s[12:13], v13, s4 src0_sel:BYTE_0 src1_sel:DWORD
	s_mov_b64 s[4:5], -1
                                        ; implicit-def: $sgpr10
	s_and_saveexec_b64 s[8:9], s[12:13]
; %bb.15626:
	s_mov_b32 s10, 0x7f800001
	s_xor_b64 s[4:5], exec, -1
; %bb.15627:
	s_or_b64 exec, exec, s[8:9]
	s_and_b64 s[4:5], s[4:5], exec
	s_or_saveexec_b64 s[6:7], s[6:7]
	v_mov_b32_e32 v12, s10
	s_xor_b64 exec, exec, s[6:7]
	s_cbranch_execnz .LBB2_15628
; %bb.51465:
	s_getpc_b64 s[14:15]
.Lpost_getpc29316:
	s_add_u32 s14, s14, (.LBB2_1290-.Lpost_getpc29316)&4294967295
	s_addc_u32 s15, s15, (.LBB2_1290-.Lpost_getpc29316)>>32
	s_setpc_b64 s[14:15]
.LBB2_15628:
	v_mov_b32_e32 v12, 0
	v_cmp_ne_u16_sdwa s[8:9], v13, v12 src0_sel:BYTE_0 src1_sel:DWORD
	s_andn2_b64 s[4:5], s[4:5], exec
	s_and_b64 s[8:9], s[8:9], exec
	s_or_b64 s[4:5], s[4:5], s[8:9]
	s_or_b64 exec, exec, s[6:7]
	s_and_saveexec_b64 s[6:7], s[4:5]
	s_cbranch_execz .LBB2_29317
; %bb.51467:
	s_getpc_b64 s[14:15]
.Lpost_getpc29317:
	s_add_u32 s14, s14, (.LBB2_1291-.Lpost_getpc29317)&4294967295
	s_addc_u32 s15, s15, (.LBB2_1291-.Lpost_getpc29317)>>32
	s_setpc_b64 s[14:15]
.LBB2_29317:
	s_getpc_b64 s[14:15]
.Lpost_getpc18242:
	s_add_u32 s14, s14, (.LBB2_1292-.Lpost_getpc18242)&4294967295
	s_addc_u32 s15, s15, (.LBB2_1292-.Lpost_getpc18242)>>32
	s_setpc_b64 s[14:15]
.LBB2_15629:
	s_movk_i32 s4, 0x80
	v_cmp_eq_u16_sdwa s[12:13], v13, s4 src0_sel:BYTE_0 src1_sel:DWORD
	s_mov_b64 s[4:5], -1
                                        ; implicit-def: $sgpr10
	s_and_saveexec_b64 s[8:9], s[12:13]
; %bb.15630:
	s_mov_b32 s10, 0x7f800001
	s_xor_b64 s[4:5], exec, -1
; %bb.15631:
	s_or_b64 exec, exec, s[8:9]
	s_and_b64 s[4:5], s[4:5], exec
	s_or_saveexec_b64 s[6:7], s[6:7]
	v_mov_b32_e32 v14, s10
	s_xor_b64 exec, exec, s[6:7]
	s_cbranch_execnz .LBB2_15632
; %bb.51469:
	s_getpc_b64 s[14:15]
.Lpost_getpc29318:
	s_add_u32 s14, s14, (.LBB2_1294-.Lpost_getpc29318)&4294967295
	s_addc_u32 s15, s15, (.LBB2_1294-.Lpost_getpc29318)>>32
	s_setpc_b64 s[14:15]
.LBB2_15632:
	v_mov_b32_e32 v14, 0
	v_cmp_ne_u16_sdwa s[8:9], v13, v14 src0_sel:BYTE_0 src1_sel:DWORD
	s_andn2_b64 s[4:5], s[4:5], exec
	s_and_b64 s[8:9], s[8:9], exec
	s_or_b64 s[4:5], s[4:5], s[8:9]
	s_or_b64 exec, exec, s[6:7]
	s_and_saveexec_b64 s[6:7], s[4:5]
	s_cbranch_execz .LBB2_29319
; %bb.51471:
	s_getpc_b64 s[14:15]
.Lpost_getpc29319:
	s_add_u32 s14, s14, (.LBB2_1295-.Lpost_getpc29319)&4294967295
	s_addc_u32 s15, s15, (.LBB2_1295-.Lpost_getpc29319)>>32
	s_setpc_b64 s[14:15]
.LBB2_29319:
	s_getpc_b64 s[14:15]
.Lpost_getpc18243:
	s_add_u32 s14, s14, (.LBB2_1296-.Lpost_getpc18243)&4294967295
	s_addc_u32 s15, s15, (.LBB2_1296-.Lpost_getpc18243)>>32
	s_setpc_b64 s[14:15]
.LBB2_15633:
	s_movk_i32 s4, 0x80
	v_cmp_eq_u16_e32 vcc, s4, v13
	s_mov_b64 s[4:5], -1
                                        ; implicit-def: $sgpr10
	s_and_saveexec_b64 s[8:9], vcc
; %bb.15634:
	s_mov_b32 s10, 0x7f800001
	s_xor_b64 s[4:5], exec, -1
; %bb.15635:
	s_or_b64 exec, exec, s[8:9]
	s_and_b64 s[4:5], s[4:5], exec
                                        ; implicit-def: $vgpr13
	s_or_saveexec_b64 s[6:7], s[6:7]
	v_mov_b32_e32 v12, s10
	s_xor_b64 exec, exec, s[6:7]
	s_cbranch_execnz .LBB2_15636
; %bb.51473:
	s_getpc_b64 s[14:15]
.Lpost_getpc29320:
	s_add_u32 s14, s14, (.LBB2_1298-.Lpost_getpc29320)&4294967295
	s_addc_u32 s15, s15, (.LBB2_1298-.Lpost_getpc29320)>>32
	s_setpc_b64 s[14:15]
.LBB2_15636:
	v_cmp_ne_u16_e32 vcc, 0, v13
	s_andn2_b64 s[4:5], s[4:5], exec
	s_and_b64 s[8:9], vcc, exec
	v_mov_b32_e32 v12, 0
	s_or_b64 s[4:5], s[4:5], s[8:9]
	s_or_b64 exec, exec, s[6:7]
	s_and_saveexec_b64 s[6:7], s[4:5]
	s_cbranch_execz .LBB2_29321
; %bb.51475:
	s_getpc_b64 s[14:15]
.Lpost_getpc29321:
	s_add_u32 s14, s14, (.LBB2_1299-.Lpost_getpc29321)&4294967295
	s_addc_u32 s15, s15, (.LBB2_1299-.Lpost_getpc29321)>>32
	s_setpc_b64 s[14:15]
.LBB2_29321:
	s_getpc_b64 s[14:15]
.Lpost_getpc18244:
	s_add_u32 s14, s14, (.LBB2_1300-.Lpost_getpc18244)&4294967295
	s_addc_u32 s15, s15, (.LBB2_1300-.Lpost_getpc18244)>>32
	s_setpc_b64 s[14:15]
.LBB2_15637:
	s_movk_i32 s4, 0x80
	v_cmp_eq_u16_e32 vcc, s4, v13
	s_mov_b64 s[4:5], -1
                                        ; implicit-def: $sgpr10
	s_and_saveexec_b64 s[8:9], vcc
; %bb.15638:
	s_mov_b32 s10, 0x7f800001
	s_xor_b64 s[4:5], exec, -1
; %bb.15639:
	s_or_b64 exec, exec, s[8:9]
	s_and_b64 s[4:5], s[4:5], exec
                                        ; implicit-def: $vgpr13
	s_or_saveexec_b64 s[6:7], s[6:7]
	v_mov_b32_e32 v14, s10
	s_xor_b64 exec, exec, s[6:7]
	s_cbranch_execnz .LBB2_15640
; %bb.51477:
	s_getpc_b64 s[14:15]
.Lpost_getpc29322:
	s_add_u32 s14, s14, (.LBB2_1302-.Lpost_getpc29322)&4294967295
	s_addc_u32 s15, s15, (.LBB2_1302-.Lpost_getpc29322)>>32
	s_setpc_b64 s[14:15]
.LBB2_15640:
	v_cmp_ne_u16_e32 vcc, 0, v13
	s_andn2_b64 s[4:5], s[4:5], exec
	s_and_b64 s[8:9], vcc, exec
	v_mov_b32_e32 v14, 0
	s_or_b64 s[4:5], s[4:5], s[8:9]
	s_or_b64 exec, exec, s[6:7]
	s_and_saveexec_b64 s[6:7], s[4:5]
	s_cbranch_execz .LBB2_29323
; %bb.51479:
	s_getpc_b64 s[14:15]
.Lpost_getpc29323:
	s_add_u32 s14, s14, (.LBB2_1303-.Lpost_getpc29323)&4294967295
	s_addc_u32 s15, s15, (.LBB2_1303-.Lpost_getpc29323)>>32
	s_setpc_b64 s[14:15]
.LBB2_29323:
	s_getpc_b64 s[14:15]
.Lpost_getpc18245:
	s_add_u32 s14, s14, (.LBB2_1304-.Lpost_getpc18245)&4294967295
	s_addc_u32 s15, s15, (.LBB2_1304-.Lpost_getpc18245)>>32
	s_setpc_b64 s[14:15]
.LBB2_15641:
	s_movk_i32 s4, 0x80
	v_cmp_eq_u16_sdwa s[12:13], v6, s4 src0_sel:BYTE_3 src1_sel:DWORD
	s_mov_b64 s[4:5], -1
                                        ; implicit-def: $sgpr10
	s_and_saveexec_b64 s[8:9], s[12:13]
; %bb.15642:
	s_mov_b32 s10, 0x7f800001
	s_xor_b64 s[4:5], exec, -1
; %bb.15643:
	s_or_b64 exec, exec, s[8:9]
	s_and_b64 s[4:5], s[4:5], exec
	s_or_saveexec_b64 s[6:7], s[6:7]
	v_mov_b32_e32 v12, s10
	s_xor_b64 exec, exec, s[6:7]
	s_cbranch_execnz .LBB2_15644
; %bb.51481:
	s_getpc_b64 s[14:15]
.Lpost_getpc29324:
	s_add_u32 s14, s14, (.LBB2_1306-.Lpost_getpc29324)&4294967295
	s_addc_u32 s15, s15, (.LBB2_1306-.Lpost_getpc29324)>>32
	s_setpc_b64 s[14:15]
.LBB2_15644:
	v_mov_b32_e32 v12, 0
	v_cmp_ne_u16_sdwa s[8:9], v6, v12 src0_sel:BYTE_3 src1_sel:DWORD
	s_andn2_b64 s[4:5], s[4:5], exec
	s_and_b64 s[8:9], s[8:9], exec
	s_or_b64 s[4:5], s[4:5], s[8:9]
	s_or_b64 exec, exec, s[6:7]
	s_and_saveexec_b64 s[6:7], s[4:5]
	s_cbranch_execz .LBB2_29325
; %bb.51483:
	s_getpc_b64 s[14:15]
.Lpost_getpc29325:
	s_add_u32 s14, s14, (.LBB2_1307-.Lpost_getpc29325)&4294967295
	s_addc_u32 s15, s15, (.LBB2_1307-.Lpost_getpc29325)>>32
	s_setpc_b64 s[14:15]
.LBB2_29325:
	s_getpc_b64 s[14:15]
.Lpost_getpc18246:
	s_add_u32 s14, s14, (.LBB2_1308-.Lpost_getpc18246)&4294967295
	s_addc_u32 s15, s15, (.LBB2_1308-.Lpost_getpc18246)>>32
	s_setpc_b64 s[14:15]
.LBB2_15645:
	s_movk_i32 s4, 0x80
	v_cmp_eq_u16_sdwa s[12:13], v2, s4 src0_sel:BYTE_3 src1_sel:DWORD
	s_mov_b64 s[4:5], -1
                                        ; implicit-def: $sgpr10
	s_and_saveexec_b64 s[8:9], s[12:13]
; %bb.15646:
	s_mov_b32 s10, 0x7f800001
	s_xor_b64 s[4:5], exec, -1
; %bb.15647:
	s_or_b64 exec, exec, s[8:9]
	s_and_b64 s[4:5], s[4:5], exec
	s_or_saveexec_b64 s[6:7], s[6:7]
	v_mov_b32_e32 v6, s10
	s_xor_b64 exec, exec, s[6:7]
	s_cbranch_execnz .LBB2_15648
; %bb.51485:
	s_getpc_b64 s[14:15]
.Lpost_getpc29326:
	s_add_u32 s14, s14, (.LBB2_1310-.Lpost_getpc29326)&4294967295
	s_addc_u32 s15, s15, (.LBB2_1310-.Lpost_getpc29326)>>32
	s_setpc_b64 s[14:15]
.LBB2_15648:
	v_mov_b32_e32 v6, 0
	v_cmp_ne_u16_sdwa s[8:9], v2, v6 src0_sel:BYTE_3 src1_sel:DWORD
	s_andn2_b64 s[4:5], s[4:5], exec
	s_and_b64 s[8:9], s[8:9], exec
	s_or_b64 s[4:5], s[4:5], s[8:9]
	s_or_b64 exec, exec, s[6:7]
	s_and_saveexec_b64 s[6:7], s[4:5]
	s_cbranch_execz .LBB2_29327
; %bb.51487:
	s_getpc_b64 s[14:15]
.Lpost_getpc29327:
	s_add_u32 s14, s14, (.LBB2_1311-.Lpost_getpc29327)&4294967295
	s_addc_u32 s15, s15, (.LBB2_1311-.Lpost_getpc29327)>>32
	s_setpc_b64 s[14:15]
.LBB2_29327:
	s_getpc_b64 s[14:15]
.Lpost_getpc18247:
	s_add_u32 s14, s14, (.LBB2_1312-.Lpost_getpc18247)&4294967295
	s_addc_u32 s15, s15, (.LBB2_1312-.Lpost_getpc18247)>>32
	s_setpc_b64 s[14:15]
.LBB2_15649:
	s_movk_i32 s4, 0x80
	v_cmp_eq_u16_sdwa s[12:13], v7, s4 src0_sel:BYTE_0 src1_sel:DWORD
	s_mov_b64 s[4:5], -1
                                        ; implicit-def: $sgpr10
	s_and_saveexec_b64 s[8:9], s[12:13]
; %bb.15650:
	s_mov_b32 s10, 0x7f800001
	s_xor_b64 s[4:5], exec, -1
; %bb.15651:
	s_or_b64 exec, exec, s[8:9]
	s_and_b64 s[4:5], s[4:5], exec
	s_or_saveexec_b64 s[6:7], s[6:7]
	v_mov_b32_e32 v2, s10
	s_xor_b64 exec, exec, s[6:7]
	s_cbranch_execnz .LBB2_15652
; %bb.51489:
	s_getpc_b64 s[14:15]
.Lpost_getpc29328:
	s_add_u32 s14, s14, (.LBB2_1314-.Lpost_getpc29328)&4294967295
	s_addc_u32 s15, s15, (.LBB2_1314-.Lpost_getpc29328)>>32
	s_setpc_b64 s[14:15]
.LBB2_15652:
	v_mov_b32_e32 v2, 0
	v_cmp_ne_u16_sdwa s[8:9], v7, v2 src0_sel:BYTE_0 src1_sel:DWORD
	s_andn2_b64 s[4:5], s[4:5], exec
	s_and_b64 s[8:9], s[8:9], exec
	s_or_b64 s[4:5], s[4:5], s[8:9]
	s_or_b64 exec, exec, s[6:7]
	s_and_saveexec_b64 s[6:7], s[4:5]
	s_cbranch_execz .LBB2_29329
; %bb.51491:
	s_getpc_b64 s[14:15]
.Lpost_getpc29329:
	s_add_u32 s14, s14, (.LBB2_1315-.Lpost_getpc29329)&4294967295
	s_addc_u32 s15, s15, (.LBB2_1315-.Lpost_getpc29329)>>32
	s_setpc_b64 s[14:15]
.LBB2_29329:
	s_getpc_b64 s[14:15]
.Lpost_getpc18248:
	s_add_u32 s14, s14, (.LBB2_1316-.Lpost_getpc18248)&4294967295
	s_addc_u32 s15, s15, (.LBB2_1316-.Lpost_getpc18248)>>32
	s_setpc_b64 s[14:15]
.LBB2_15653:
	s_movk_i32 s4, 0x80
	v_cmp_eq_u16_sdwa s[12:13], v3, s4 src0_sel:BYTE_0 src1_sel:DWORD
	s_mov_b64 s[4:5], -1
                                        ; implicit-def: $sgpr10
	s_and_saveexec_b64 s[8:9], s[12:13]
; %bb.15654:
	s_mov_b32 s10, 0x7f800001
	s_xor_b64 s[4:5], exec, -1
; %bb.15655:
	s_or_b64 exec, exec, s[8:9]
	s_and_b64 s[4:5], s[4:5], exec
	s_or_saveexec_b64 s[6:7], s[6:7]
	v_mov_b32_e32 v6, s10
	s_xor_b64 exec, exec, s[6:7]
	s_cbranch_execnz .LBB2_15656
; %bb.51493:
	s_getpc_b64 s[14:15]
.Lpost_getpc29330:
	s_add_u32 s14, s14, (.LBB2_1318-.Lpost_getpc29330)&4294967295
	s_addc_u32 s15, s15, (.LBB2_1318-.Lpost_getpc29330)>>32
	s_setpc_b64 s[14:15]
.LBB2_15656:
	v_mov_b32_e32 v6, 0
	v_cmp_ne_u16_sdwa s[8:9], v3, v6 src0_sel:BYTE_0 src1_sel:DWORD
	s_andn2_b64 s[4:5], s[4:5], exec
	s_and_b64 s[8:9], s[8:9], exec
	s_or_b64 s[4:5], s[4:5], s[8:9]
	s_or_b64 exec, exec, s[6:7]
	s_and_saveexec_b64 s[6:7], s[4:5]
	s_cbranch_execz .LBB2_29331
; %bb.51495:
	s_getpc_b64 s[14:15]
.Lpost_getpc29331:
	s_add_u32 s14, s14, (.LBB2_1319-.Lpost_getpc29331)&4294967295
	s_addc_u32 s15, s15, (.LBB2_1319-.Lpost_getpc29331)>>32
	s_setpc_b64 s[14:15]
.LBB2_29331:
	s_getpc_b64 s[14:15]
.Lpost_getpc18249:
	s_add_u32 s14, s14, (.LBB2_1320-.Lpost_getpc18249)&4294967295
	s_addc_u32 s15, s15, (.LBB2_1320-.Lpost_getpc18249)>>32
	s_setpc_b64 s[14:15]
.LBB2_15657:
	s_movk_i32 s4, 0x80
	v_cmp_eq_u16_sdwa s[12:13], v6, s4 src0_sel:BYTE_0 src1_sel:DWORD
	s_mov_b64 s[4:5], -1
                                        ; implicit-def: $sgpr10
	s_and_saveexec_b64 s[8:9], s[12:13]
; %bb.15658:
	s_mov_b32 s10, 0x7f800001
	s_xor_b64 s[4:5], exec, -1
; %bb.15659:
	s_or_b64 exec, exec, s[8:9]
	s_and_b64 s[4:5], s[4:5], exec
	s_or_saveexec_b64 s[6:7], s[6:7]
	v_mov_b32_e32 v2, s10
	s_xor_b64 exec, exec, s[6:7]
	s_cbranch_execnz .LBB2_15660
; %bb.51497:
	s_getpc_b64 s[14:15]
.Lpost_getpc29332:
	s_add_u32 s14, s14, (.LBB2_1322-.Lpost_getpc29332)&4294967295
	s_addc_u32 s15, s15, (.LBB2_1322-.Lpost_getpc29332)>>32
	s_setpc_b64 s[14:15]
.LBB2_15660:
	v_mov_b32_e32 v2, 0
	v_cmp_ne_u16_sdwa s[8:9], v6, v2 src0_sel:BYTE_0 src1_sel:DWORD
	s_andn2_b64 s[4:5], s[4:5], exec
	s_and_b64 s[8:9], s[8:9], exec
	s_or_b64 s[4:5], s[4:5], s[8:9]
	s_or_b64 exec, exec, s[6:7]
	s_and_saveexec_b64 s[6:7], s[4:5]
	s_cbranch_execz .LBB2_29333
; %bb.51499:
	s_getpc_b64 s[14:15]
.Lpost_getpc29333:
	s_add_u32 s14, s14, (.LBB2_1323-.Lpost_getpc29333)&4294967295
	s_addc_u32 s15, s15, (.LBB2_1323-.Lpost_getpc29333)>>32
	s_setpc_b64 s[14:15]
.LBB2_29333:
	s_getpc_b64 s[14:15]
.Lpost_getpc18250:
	s_add_u32 s14, s14, (.LBB2_1324-.Lpost_getpc18250)&4294967295
	s_addc_u32 s15, s15, (.LBB2_1324-.Lpost_getpc18250)>>32
	s_setpc_b64 s[14:15]
.LBB2_15661:
	s_movk_i32 s4, 0x80
	v_cmp_eq_u16_sdwa s[12:13], v6, s4 src0_sel:BYTE_0 src1_sel:DWORD
	s_mov_b64 s[4:5], -1
                                        ; implicit-def: $sgpr10
	s_and_saveexec_b64 s[8:9], s[12:13]
; %bb.15662:
	s_mov_b32 s10, 0x7f800001
	s_xor_b64 s[4:5], exec, -1
; %bb.15663:
	s_or_b64 exec, exec, s[8:9]
	s_and_b64 s[4:5], s[4:5], exec
	s_or_saveexec_b64 s[6:7], s[6:7]
	v_mov_b32_e32 v12, s10
	s_xor_b64 exec, exec, s[6:7]
	s_cbranch_execnz .LBB2_15664
; %bb.51501:
	s_getpc_b64 s[14:15]
.Lpost_getpc29334:
	s_add_u32 s14, s14, (.LBB2_1326-.Lpost_getpc29334)&4294967295
	s_addc_u32 s15, s15, (.LBB2_1326-.Lpost_getpc29334)>>32
	s_setpc_b64 s[14:15]
.LBB2_15664:
	v_mov_b32_e32 v12, 0
	v_cmp_ne_u16_sdwa s[8:9], v6, v12 src0_sel:BYTE_0 src1_sel:DWORD
	s_andn2_b64 s[4:5], s[4:5], exec
	s_and_b64 s[8:9], s[8:9], exec
	s_or_b64 s[4:5], s[4:5], s[8:9]
	s_or_b64 exec, exec, s[6:7]
	s_and_saveexec_b64 s[6:7], s[4:5]
	s_cbranch_execz .LBB2_29335
; %bb.51503:
	s_getpc_b64 s[14:15]
.Lpost_getpc29335:
	s_add_u32 s14, s14, (.LBB2_1327-.Lpost_getpc29335)&4294967295
	s_addc_u32 s15, s15, (.LBB2_1327-.Lpost_getpc29335)>>32
	s_setpc_b64 s[14:15]
.LBB2_29335:
	s_getpc_b64 s[14:15]
.Lpost_getpc18251:
	s_add_u32 s14, s14, (.LBB2_1328-.Lpost_getpc18251)&4294967295
	s_addc_u32 s15, s15, (.LBB2_1328-.Lpost_getpc18251)>>32
	s_setpc_b64 s[14:15]
.LBB2_15665:
	s_movk_i32 s4, 0x80
	v_cmp_eq_u16_e32 vcc, s4, v6
	s_mov_b64 s[4:5], -1
                                        ; implicit-def: $sgpr10
	s_and_saveexec_b64 s[8:9], vcc
; %bb.15666:
	s_mov_b32 s10, 0x7f800001
	s_xor_b64 s[4:5], exec, -1
; %bb.15667:
	s_or_b64 exec, exec, s[8:9]
	s_and_b64 s[4:5], s[4:5], exec
                                        ; implicit-def: $vgpr6
	s_or_saveexec_b64 s[6:7], s[6:7]
	v_mov_b32_e32 v2, s10
	s_xor_b64 exec, exec, s[6:7]
	s_cbranch_execnz .LBB2_15668
; %bb.51505:
	s_getpc_b64 s[14:15]
.Lpost_getpc29336:
	s_add_u32 s14, s14, (.LBB2_1330-.Lpost_getpc29336)&4294967295
	s_addc_u32 s15, s15, (.LBB2_1330-.Lpost_getpc29336)>>32
	s_setpc_b64 s[14:15]
.LBB2_15668:
	v_cmp_ne_u16_e32 vcc, 0, v6
	s_andn2_b64 s[4:5], s[4:5], exec
	s_and_b64 s[8:9], vcc, exec
	v_mov_b32_e32 v2, 0
	s_or_b64 s[4:5], s[4:5], s[8:9]
	s_or_b64 exec, exec, s[6:7]
	s_and_saveexec_b64 s[6:7], s[4:5]
	s_cbranch_execz .LBB2_29337
; %bb.51507:
	s_getpc_b64 s[14:15]
.Lpost_getpc29337:
	s_add_u32 s14, s14, (.LBB2_1331-.Lpost_getpc29337)&4294967295
	s_addc_u32 s15, s15, (.LBB2_1331-.Lpost_getpc29337)>>32
	s_setpc_b64 s[14:15]
.LBB2_29337:
	s_getpc_b64 s[14:15]
.Lpost_getpc18252:
	s_add_u32 s14, s14, (.LBB2_1332-.Lpost_getpc18252)&4294967295
	s_addc_u32 s15, s15, (.LBB2_1332-.Lpost_getpc18252)>>32
	s_setpc_b64 s[14:15]
.LBB2_15669:
	s_movk_i32 s4, 0x80
	v_cmp_eq_u16_e32 vcc, s4, v6
	s_mov_b64 s[4:5], -1
                                        ; implicit-def: $sgpr10
	s_and_saveexec_b64 s[8:9], vcc
; %bb.15670:
	s_mov_b32 s10, 0x7f800001
	s_xor_b64 s[4:5], exec, -1
; %bb.15671:
	s_or_b64 exec, exec, s[8:9]
	s_and_b64 s[4:5], s[4:5], exec
                                        ; implicit-def: $vgpr6
	s_or_saveexec_b64 s[6:7], s[6:7]
	v_mov_b32_e32 v12, s10
	s_xor_b64 exec, exec, s[6:7]
	s_cbranch_execnz .LBB2_15672
; %bb.51509:
	s_getpc_b64 s[14:15]
.Lpost_getpc29338:
	s_add_u32 s14, s14, (.LBB2_1334-.Lpost_getpc29338)&4294967295
	s_addc_u32 s15, s15, (.LBB2_1334-.Lpost_getpc29338)>>32
	s_setpc_b64 s[14:15]
.LBB2_15672:
	v_cmp_ne_u16_e32 vcc, 0, v6
	s_andn2_b64 s[4:5], s[4:5], exec
	s_and_b64 s[8:9], vcc, exec
	v_mov_b32_e32 v12, 0
	s_or_b64 s[4:5], s[4:5], s[8:9]
	s_or_b64 exec, exec, s[6:7]
	s_and_saveexec_b64 s[6:7], s[4:5]
	s_cbranch_execz .LBB2_29339
; %bb.51511:
	s_getpc_b64 s[14:15]
.Lpost_getpc29339:
	s_add_u32 s14, s14, (.LBB2_1335-.Lpost_getpc29339)&4294967295
	s_addc_u32 s15, s15, (.LBB2_1335-.Lpost_getpc29339)>>32
	s_setpc_b64 s[14:15]
.LBB2_29339:
	s_getpc_b64 s[14:15]
.Lpost_getpc18253:
	s_add_u32 s14, s14, (.LBB2_1336-.Lpost_getpc18253)&4294967295
	s_addc_u32 s15, s15, (.LBB2_1336-.Lpost_getpc18253)>>32
	s_setpc_b64 s[14:15]
.LBB2_15673:
	s_movk_i32 s4, 0x80
	v_cmp_eq_u16_sdwa s[12:13], v7, s4 src0_sel:BYTE_3 src1_sel:DWORD
	s_mov_b64 s[4:5], -1
                                        ; implicit-def: $sgpr10
	s_and_saveexec_b64 s[8:9], s[12:13]
; %bb.15674:
	s_mov_b32 s10, 0x7f800001
	s_xor_b64 s[4:5], exec, -1
; %bb.15675:
	s_or_b64 exec, exec, s[8:9]
	s_and_b64 s[4:5], s[4:5], exec
	s_or_saveexec_b64 s[6:7], s[6:7]
	v_mov_b32_e32 v2, s10
	s_xor_b64 exec, exec, s[6:7]
	s_cbranch_execnz .LBB2_15676
; %bb.51513:
	s_getpc_b64 s[14:15]
.Lpost_getpc29340:
	s_add_u32 s14, s14, (.LBB2_1338-.Lpost_getpc29340)&4294967295
	s_addc_u32 s15, s15, (.LBB2_1338-.Lpost_getpc29340)>>32
	s_setpc_b64 s[14:15]
.LBB2_15676:
	v_mov_b32_e32 v2, 0
	v_cmp_ne_u16_sdwa s[8:9], v7, v2 src0_sel:BYTE_3 src1_sel:DWORD
	s_andn2_b64 s[4:5], s[4:5], exec
	s_and_b64 s[8:9], s[8:9], exec
	s_or_b64 s[4:5], s[4:5], s[8:9]
	s_or_b64 exec, exec, s[6:7]
	s_and_saveexec_b64 s[6:7], s[4:5]
	s_cbranch_execz .LBB2_29341
; %bb.51515:
	s_getpc_b64 s[14:15]
.Lpost_getpc29341:
	s_add_u32 s14, s14, (.LBB2_1339-.Lpost_getpc29341)&4294967295
	s_addc_u32 s15, s15, (.LBB2_1339-.Lpost_getpc29341)>>32
	s_setpc_b64 s[14:15]
.LBB2_29341:
	s_getpc_b64 s[14:15]
.Lpost_getpc18254:
	s_add_u32 s14, s14, (.LBB2_1340-.Lpost_getpc18254)&4294967295
	s_addc_u32 s15, s15, (.LBB2_1340-.Lpost_getpc18254)>>32
	s_setpc_b64 s[14:15]
.LBB2_15677:
	s_movk_i32 s4, 0x80
	v_cmp_eq_u16_sdwa s[12:13], v3, s4 src0_sel:BYTE_3 src1_sel:DWORD
	s_mov_b64 s[4:5], -1
                                        ; implicit-def: $sgpr10
	s_and_saveexec_b64 s[8:9], s[12:13]
; %bb.15678:
	s_mov_b32 s10, 0x7f800001
	s_xor_b64 s[4:5], exec, -1
; %bb.15679:
	s_or_b64 exec, exec, s[8:9]
	s_and_b64 s[4:5], s[4:5], exec
	s_or_saveexec_b64 s[6:7], s[6:7]
	v_mov_b32_e32 v6, s10
	s_xor_b64 exec, exec, s[6:7]
	s_cbranch_execnz .LBB2_15680
; %bb.51517:
	s_getpc_b64 s[14:15]
.Lpost_getpc29342:
	s_add_u32 s14, s14, (.LBB2_1342-.Lpost_getpc29342)&4294967295
	s_addc_u32 s15, s15, (.LBB2_1342-.Lpost_getpc29342)>>32
	s_setpc_b64 s[14:15]
.LBB2_15680:
	v_mov_b32_e32 v6, 0
	v_cmp_ne_u16_sdwa s[8:9], v3, v6 src0_sel:BYTE_3 src1_sel:DWORD
	s_andn2_b64 s[4:5], s[4:5], exec
	s_and_b64 s[8:9], s[8:9], exec
	s_or_b64 s[4:5], s[4:5], s[8:9]
	s_or_b64 exec, exec, s[6:7]
	s_and_saveexec_b64 s[6:7], s[4:5]
	s_cbranch_execz .LBB2_29343
; %bb.51519:
	s_getpc_b64 s[14:15]
.Lpost_getpc29343:
	s_add_u32 s14, s14, (.LBB2_1343-.Lpost_getpc29343)&4294967295
	s_addc_u32 s15, s15, (.LBB2_1343-.Lpost_getpc29343)>>32
	s_setpc_b64 s[14:15]
.LBB2_29343:
	s_getpc_b64 s[14:15]
.Lpost_getpc18255:
	s_add_u32 s14, s14, (.LBB2_1344-.Lpost_getpc18255)&4294967295
	s_addc_u32 s15, s15, (.LBB2_1344-.Lpost_getpc18255)>>32
	s_setpc_b64 s[14:15]
.LBB2_15681:
	s_movk_i32 s4, 0x80
	v_cmp_eq_u16_sdwa s[12:13], v8, s4 src0_sel:BYTE_0 src1_sel:DWORD
	s_mov_b64 s[4:5], -1
                                        ; implicit-def: $sgpr10
	s_and_saveexec_b64 s[8:9], s[12:13]
; %bb.15682:
	s_mov_b32 s10, 0x7f800001
	s_xor_b64 s[4:5], exec, -1
; %bb.15683:
	s_or_b64 exec, exec, s[8:9]
	s_and_b64 s[4:5], s[4:5], exec
	s_or_saveexec_b64 s[6:7], s[6:7]
	v_mov_b32_e32 v2, s10
	s_xor_b64 exec, exec, s[6:7]
	s_cbranch_execnz .LBB2_15684
; %bb.51521:
	s_getpc_b64 s[14:15]
.Lpost_getpc29344:
	s_add_u32 s14, s14, (.LBB2_1346-.Lpost_getpc29344)&4294967295
	s_addc_u32 s15, s15, (.LBB2_1346-.Lpost_getpc29344)>>32
	s_setpc_b64 s[14:15]
.LBB2_15684:
	v_mov_b32_e32 v2, 0
	v_cmp_ne_u16_sdwa s[8:9], v8, v2 src0_sel:BYTE_0 src1_sel:DWORD
	s_andn2_b64 s[4:5], s[4:5], exec
	s_and_b64 s[8:9], s[8:9], exec
	s_or_b64 s[4:5], s[4:5], s[8:9]
	s_or_b64 exec, exec, s[6:7]
	s_and_saveexec_b64 s[6:7], s[4:5]
	s_cbranch_execz .LBB2_29345
; %bb.51523:
	s_getpc_b64 s[14:15]
.Lpost_getpc29345:
	s_add_u32 s14, s14, (.LBB2_1347-.Lpost_getpc29345)&4294967295
	s_addc_u32 s15, s15, (.LBB2_1347-.Lpost_getpc29345)>>32
	s_setpc_b64 s[14:15]
.LBB2_29345:
	s_getpc_b64 s[14:15]
.Lpost_getpc18256:
	s_add_u32 s14, s14, (.LBB2_1348-.Lpost_getpc18256)&4294967295
	s_addc_u32 s15, s15, (.LBB2_1348-.Lpost_getpc18256)>>32
	s_setpc_b64 s[14:15]
.LBB2_15685:
	s_movk_i32 s4, 0x80
	v_cmp_eq_u16_sdwa s[12:13], v4, s4 src0_sel:BYTE_0 src1_sel:DWORD
	s_mov_b64 s[4:5], -1
                                        ; implicit-def: $sgpr10
	s_and_saveexec_b64 s[8:9], s[12:13]
; %bb.15686:
	s_mov_b32 s10, 0x7f800001
	s_xor_b64 s[4:5], exec, -1
; %bb.15687:
	s_or_b64 exec, exec, s[8:9]
	s_and_b64 s[4:5], s[4:5], exec
	s_or_saveexec_b64 s[6:7], s[6:7]
	v_mov_b32_e32 v3, s10
	s_xor_b64 exec, exec, s[6:7]
	s_cbranch_execnz .LBB2_15688
; %bb.51525:
	s_getpc_b64 s[14:15]
.Lpost_getpc29346:
	s_add_u32 s14, s14, (.LBB2_1350-.Lpost_getpc29346)&4294967295
	s_addc_u32 s15, s15, (.LBB2_1350-.Lpost_getpc29346)>>32
	s_setpc_b64 s[14:15]
.LBB2_15688:
	v_mov_b32_e32 v3, 0
	v_cmp_ne_u16_sdwa s[8:9], v4, v3 src0_sel:BYTE_0 src1_sel:DWORD
	s_andn2_b64 s[4:5], s[4:5], exec
	s_and_b64 s[8:9], s[8:9], exec
	s_or_b64 s[4:5], s[4:5], s[8:9]
	s_or_b64 exec, exec, s[6:7]
	s_and_saveexec_b64 s[6:7], s[4:5]
	s_cbranch_execz .LBB2_29347
; %bb.51527:
	s_getpc_b64 s[14:15]
.Lpost_getpc29347:
	s_add_u32 s14, s14, (.LBB2_1351-.Lpost_getpc29347)&4294967295
	s_addc_u32 s15, s15, (.LBB2_1351-.Lpost_getpc29347)>>32
	s_setpc_b64 s[14:15]
.LBB2_29347:
	s_getpc_b64 s[14:15]
.Lpost_getpc18257:
	s_add_u32 s14, s14, (.LBB2_1352-.Lpost_getpc18257)&4294967295
	s_addc_u32 s15, s15, (.LBB2_1352-.Lpost_getpc18257)>>32
	s_setpc_b64 s[14:15]
.LBB2_15689:
	s_movk_i32 s4, 0x80
	v_cmp_eq_u16_sdwa s[12:13], v3, s4 src0_sel:BYTE_0 src1_sel:DWORD
	s_mov_b64 s[4:5], -1
                                        ; implicit-def: $sgpr10
	s_and_saveexec_b64 s[8:9], s[12:13]
; %bb.15690:
	s_mov_b32 s10, 0x7f800001
	s_xor_b64 s[4:5], exec, -1
; %bb.15691:
	s_or_b64 exec, exec, s[8:9]
	s_and_b64 s[4:5], s[4:5], exec
	s_or_saveexec_b64 s[6:7], s[6:7]
	v_mov_b32_e32 v2, s10
	s_xor_b64 exec, exec, s[6:7]
	s_cbranch_execnz .LBB2_15692
; %bb.51529:
	s_getpc_b64 s[14:15]
.Lpost_getpc29348:
	s_add_u32 s14, s14, (.LBB2_1354-.Lpost_getpc29348)&4294967295
	s_addc_u32 s15, s15, (.LBB2_1354-.Lpost_getpc29348)>>32
	s_setpc_b64 s[14:15]
.LBB2_15692:
	v_mov_b32_e32 v2, 0
	v_cmp_ne_u16_sdwa s[8:9], v3, v2 src0_sel:BYTE_0 src1_sel:DWORD
	s_andn2_b64 s[4:5], s[4:5], exec
	s_and_b64 s[8:9], s[8:9], exec
	s_or_b64 s[4:5], s[4:5], s[8:9]
	s_or_b64 exec, exec, s[6:7]
	s_and_saveexec_b64 s[6:7], s[4:5]
	s_cbranch_execz .LBB2_29349
; %bb.51531:
	s_getpc_b64 s[14:15]
.Lpost_getpc29349:
	s_add_u32 s14, s14, (.LBB2_1355-.Lpost_getpc29349)&4294967295
	s_addc_u32 s15, s15, (.LBB2_1355-.Lpost_getpc29349)>>32
	s_setpc_b64 s[14:15]
.LBB2_29349:
	s_getpc_b64 s[14:15]
.Lpost_getpc18258:
	s_add_u32 s14, s14, (.LBB2_1356-.Lpost_getpc18258)&4294967295
	s_addc_u32 s15, s15, (.LBB2_1356-.Lpost_getpc18258)>>32
	s_setpc_b64 s[14:15]
.LBB2_15693:
	s_movk_i32 s4, 0x80
	v_cmp_eq_u16_sdwa s[12:13], v3, s4 src0_sel:BYTE_0 src1_sel:DWORD
	s_mov_b64 s[4:5], -1
                                        ; implicit-def: $sgpr10
	s_and_saveexec_b64 s[8:9], s[12:13]
; %bb.15694:
	s_mov_b32 s10, 0x7f800001
	s_xor_b64 s[4:5], exec, -1
; %bb.15695:
	s_or_b64 exec, exec, s[8:9]
	s_and_b64 s[4:5], s[4:5], exec
	s_or_saveexec_b64 s[6:7], s[6:7]
	v_mov_b32_e32 v6, s10
	s_xor_b64 exec, exec, s[6:7]
	s_cbranch_execnz .LBB2_15696
; %bb.51533:
	s_getpc_b64 s[14:15]
.Lpost_getpc29350:
	s_add_u32 s14, s14, (.LBB2_1358-.Lpost_getpc29350)&4294967295
	s_addc_u32 s15, s15, (.LBB2_1358-.Lpost_getpc29350)>>32
	s_setpc_b64 s[14:15]
.LBB2_15696:
	v_mov_b32_e32 v6, 0
	v_cmp_ne_u16_sdwa s[8:9], v3, v6 src0_sel:BYTE_0 src1_sel:DWORD
	s_andn2_b64 s[4:5], s[4:5], exec
	s_and_b64 s[8:9], s[8:9], exec
	s_or_b64 s[4:5], s[4:5], s[8:9]
	s_or_b64 exec, exec, s[6:7]
	s_and_saveexec_b64 s[6:7], s[4:5]
	s_cbranch_execz .LBB2_29351
; %bb.51535:
	s_getpc_b64 s[14:15]
.Lpost_getpc29351:
	s_add_u32 s14, s14, (.LBB2_1359-.Lpost_getpc29351)&4294967295
	s_addc_u32 s15, s15, (.LBB2_1359-.Lpost_getpc29351)>>32
	s_setpc_b64 s[14:15]
.LBB2_29351:
	s_getpc_b64 s[14:15]
.Lpost_getpc18259:
	s_add_u32 s14, s14, (.LBB2_1360-.Lpost_getpc18259)&4294967295
	s_addc_u32 s15, s15, (.LBB2_1360-.Lpost_getpc18259)>>32
	s_setpc_b64 s[14:15]
.LBB2_15697:
	s_movk_i32 s4, 0x80
	v_cmp_eq_u16_e32 vcc, s4, v3
	s_mov_b64 s[4:5], -1
                                        ; implicit-def: $sgpr10
	s_and_saveexec_b64 s[8:9], vcc
; %bb.15698:
	s_mov_b32 s10, 0x7f800001
	s_xor_b64 s[4:5], exec, -1
; %bb.15699:
	s_or_b64 exec, exec, s[8:9]
	s_and_b64 s[4:5], s[4:5], exec
                                        ; implicit-def: $vgpr3
	s_or_saveexec_b64 s[6:7], s[6:7]
	v_mov_b32_e32 v2, s10
	s_xor_b64 exec, exec, s[6:7]
	s_cbranch_execnz .LBB2_15700
; %bb.51537:
	s_getpc_b64 s[14:15]
.Lpost_getpc29352:
	s_add_u32 s14, s14, (.LBB2_1362-.Lpost_getpc29352)&4294967295
	s_addc_u32 s15, s15, (.LBB2_1362-.Lpost_getpc29352)>>32
	s_setpc_b64 s[14:15]
.LBB2_15700:
	v_cmp_ne_u16_e32 vcc, 0, v3
	s_andn2_b64 s[4:5], s[4:5], exec
	s_and_b64 s[8:9], vcc, exec
	v_mov_b32_e32 v2, 0
	s_or_b64 s[4:5], s[4:5], s[8:9]
	s_or_b64 exec, exec, s[6:7]
	s_and_saveexec_b64 s[6:7], s[4:5]
	s_cbranch_execz .LBB2_29353
; %bb.51539:
	s_getpc_b64 s[14:15]
.Lpost_getpc29353:
	s_add_u32 s14, s14, (.LBB2_1363-.Lpost_getpc29353)&4294967295
	s_addc_u32 s15, s15, (.LBB2_1363-.Lpost_getpc29353)>>32
	s_setpc_b64 s[14:15]
.LBB2_29353:
	s_getpc_b64 s[14:15]
.Lpost_getpc18260:
	s_add_u32 s14, s14, (.LBB2_1364-.Lpost_getpc18260)&4294967295
	s_addc_u32 s15, s15, (.LBB2_1364-.Lpost_getpc18260)>>32
	s_setpc_b64 s[14:15]
.LBB2_15701:
	s_movk_i32 s4, 0x80
	v_cmp_eq_u16_e32 vcc, s4, v3
	s_mov_b64 s[4:5], -1
                                        ; implicit-def: $sgpr10
	s_and_saveexec_b64 s[8:9], vcc
; %bb.15702:
	s_mov_b32 s10, 0x7f800001
	s_xor_b64 s[4:5], exec, -1
; %bb.15703:
	s_or_b64 exec, exec, s[8:9]
	s_and_b64 s[4:5], s[4:5], exec
                                        ; implicit-def: $vgpr3
	s_or_saveexec_b64 s[6:7], s[6:7]
	v_mov_b32_e32 v6, s10
	s_xor_b64 exec, exec, s[6:7]
	s_cbranch_execnz .LBB2_15704
; %bb.51541:
	s_getpc_b64 s[14:15]
.Lpost_getpc29354:
	s_add_u32 s14, s14, (.LBB2_1366-.Lpost_getpc29354)&4294967295
	s_addc_u32 s15, s15, (.LBB2_1366-.Lpost_getpc29354)>>32
	s_setpc_b64 s[14:15]
.LBB2_15704:
	v_cmp_ne_u16_e32 vcc, 0, v3
	s_andn2_b64 s[4:5], s[4:5], exec
	s_and_b64 s[8:9], vcc, exec
	v_mov_b32_e32 v6, 0
	s_or_b64 s[4:5], s[4:5], s[8:9]
	s_or_b64 exec, exec, s[6:7]
	s_and_saveexec_b64 s[6:7], s[4:5]
	s_cbranch_execz .LBB2_29355
; %bb.51543:
	s_getpc_b64 s[14:15]
.Lpost_getpc29355:
	s_add_u32 s14, s14, (.LBB2_1367-.Lpost_getpc29355)&4294967295
	s_addc_u32 s15, s15, (.LBB2_1367-.Lpost_getpc29355)>>32
	s_setpc_b64 s[14:15]
.LBB2_29355:
	s_getpc_b64 s[14:15]
.Lpost_getpc18261:
	s_add_u32 s14, s14, (.LBB2_1368-.Lpost_getpc18261)&4294967295
	s_addc_u32 s15, s15, (.LBB2_1368-.Lpost_getpc18261)>>32
	s_setpc_b64 s[14:15]
.LBB2_15705:
	s_movk_i32 s4, 0x80
	v_cmp_eq_u16_sdwa s[12:13], v8, s4 src0_sel:BYTE_3 src1_sel:DWORD
	s_mov_b64 s[4:5], -1
                                        ; implicit-def: $sgpr10
	s_and_saveexec_b64 s[8:9], s[12:13]
; %bb.15706:
	s_mov_b32 s10, 0x7f800001
	s_xor_b64 s[4:5], exec, -1
; %bb.15707:
	s_or_b64 exec, exec, s[8:9]
	s_and_b64 s[4:5], s[4:5], exec
	s_or_saveexec_b64 s[6:7], s[6:7]
	v_mov_b32_e32 v2, s10
	s_xor_b64 exec, exec, s[6:7]
	s_cbranch_execnz .LBB2_15708
; %bb.51545:
	s_getpc_b64 s[14:15]
.Lpost_getpc29356:
	s_add_u32 s14, s14, (.LBB2_1370-.Lpost_getpc29356)&4294967295
	s_addc_u32 s15, s15, (.LBB2_1370-.Lpost_getpc29356)>>32
	s_setpc_b64 s[14:15]
.LBB2_15708:
	v_mov_b32_e32 v2, 0
	v_cmp_ne_u16_sdwa s[8:9], v8, v2 src0_sel:BYTE_3 src1_sel:DWORD
	s_andn2_b64 s[4:5], s[4:5], exec
	s_and_b64 s[8:9], s[8:9], exec
	s_or_b64 s[4:5], s[4:5], s[8:9]
	s_or_b64 exec, exec, s[6:7]
	s_and_saveexec_b64 s[6:7], s[4:5]
	s_cbranch_execz .LBB2_29357
; %bb.51547:
	s_getpc_b64 s[14:15]
.Lpost_getpc29357:
	s_add_u32 s14, s14, (.LBB2_1371-.Lpost_getpc29357)&4294967295
	s_addc_u32 s15, s15, (.LBB2_1371-.Lpost_getpc29357)>>32
	s_setpc_b64 s[14:15]
.LBB2_29357:
	s_getpc_b64 s[14:15]
.Lpost_getpc18262:
	s_add_u32 s14, s14, (.LBB2_1372-.Lpost_getpc18262)&4294967295
	s_addc_u32 s15, s15, (.LBB2_1372-.Lpost_getpc18262)>>32
	s_setpc_b64 s[14:15]
.LBB2_15709:
	s_movk_i32 s4, 0x80
	v_cmp_eq_u16_sdwa s[12:13], v4, s4 src0_sel:BYTE_3 src1_sel:DWORD
	s_mov_b64 s[4:5], -1
                                        ; implicit-def: $sgpr10
	s_and_saveexec_b64 s[8:9], s[12:13]
; %bb.15710:
	s_mov_b32 s10, 0x7f800001
	s_xor_b64 s[4:5], exec, -1
; %bb.15711:
	s_or_b64 exec, exec, s[8:9]
	s_and_b64 s[4:5], s[4:5], exec
	s_or_saveexec_b64 s[6:7], s[6:7]
	v_mov_b32_e32 v3, s10
	s_xor_b64 exec, exec, s[6:7]
	s_cbranch_execnz .LBB2_15712
; %bb.51549:
	s_getpc_b64 s[14:15]
.Lpost_getpc29358:
	s_add_u32 s14, s14, (.LBB2_1374-.Lpost_getpc29358)&4294967295
	s_addc_u32 s15, s15, (.LBB2_1374-.Lpost_getpc29358)>>32
	s_setpc_b64 s[14:15]
.LBB2_15712:
	v_mov_b32_e32 v3, 0
	v_cmp_ne_u16_sdwa s[8:9], v4, v3 src0_sel:BYTE_3 src1_sel:DWORD
	s_andn2_b64 s[4:5], s[4:5], exec
	s_and_b64 s[8:9], s[8:9], exec
	s_or_b64 s[4:5], s[4:5], s[8:9]
	s_or_b64 exec, exec, s[6:7]
	s_and_saveexec_b64 s[6:7], s[4:5]
	s_cbranch_execz .LBB2_29359
; %bb.51551:
	s_getpc_b64 s[14:15]
.Lpost_getpc29359:
	s_add_u32 s14, s14, (.LBB2_1375-.Lpost_getpc29359)&4294967295
	s_addc_u32 s15, s15, (.LBB2_1375-.Lpost_getpc29359)>>32
	s_setpc_b64 s[14:15]
.LBB2_29359:
	s_getpc_b64 s[14:15]
.Lpost_getpc18263:
	s_add_u32 s14, s14, (.LBB2_1376-.Lpost_getpc18263)&4294967295
	s_addc_u32 s15, s15, (.LBB2_1376-.Lpost_getpc18263)>>32
	s_setpc_b64 s[14:15]
.LBB2_15713:
	s_movk_i32 s4, 0x80
	v_cmp_eq_u16_sdwa s[12:13], v9, s4 src0_sel:BYTE_0 src1_sel:DWORD
	s_mov_b64 s[4:5], -1
                                        ; implicit-def: $sgpr10
	s_and_saveexec_b64 s[8:9], s[12:13]
; %bb.15714:
	s_mov_b32 s10, 0x7f800001
	s_xor_b64 s[4:5], exec, -1
; %bb.15715:
	s_or_b64 exec, exec, s[8:9]
	s_and_b64 s[4:5], s[4:5], exec
	s_or_saveexec_b64 s[6:7], s[6:7]
	v_mov_b32_e32 v2, s10
	s_xor_b64 exec, exec, s[6:7]
	s_cbranch_execnz .LBB2_15716
; %bb.51553:
	s_getpc_b64 s[14:15]
.Lpost_getpc29360:
	s_add_u32 s14, s14, (.LBB2_1378-.Lpost_getpc29360)&4294967295
	s_addc_u32 s15, s15, (.LBB2_1378-.Lpost_getpc29360)>>32
	s_setpc_b64 s[14:15]
.LBB2_15716:
	v_mov_b32_e32 v2, 0
	v_cmp_ne_u16_sdwa s[8:9], v9, v2 src0_sel:BYTE_0 src1_sel:DWORD
	s_andn2_b64 s[4:5], s[4:5], exec
	s_and_b64 s[8:9], s[8:9], exec
	s_or_b64 s[4:5], s[4:5], s[8:9]
	s_or_b64 exec, exec, s[6:7]
	s_and_saveexec_b64 s[6:7], s[4:5]
	s_cbranch_execz .LBB2_29361
; %bb.51555:
	s_getpc_b64 s[14:15]
.Lpost_getpc29361:
	s_add_u32 s14, s14, (.LBB2_1379-.Lpost_getpc29361)&4294967295
	s_addc_u32 s15, s15, (.LBB2_1379-.Lpost_getpc29361)>>32
	s_setpc_b64 s[14:15]
.LBB2_29361:
	s_getpc_b64 s[14:15]
.Lpost_getpc18264:
	s_add_u32 s14, s14, (.LBB2_1380-.Lpost_getpc18264)&4294967295
	s_addc_u32 s15, s15, (.LBB2_1380-.Lpost_getpc18264)>>32
	s_setpc_b64 s[14:15]
.LBB2_15717:
	s_movk_i32 s4, 0x80
	v_cmp_eq_u16_sdwa s[12:13], v5, s4 src0_sel:BYTE_0 src1_sel:DWORD
	s_mov_b64 s[4:5], -1
                                        ; implicit-def: $sgpr10
	s_and_saveexec_b64 s[8:9], s[12:13]
; %bb.15718:
	s_mov_b32 s10, 0x7f800001
	s_xor_b64 s[4:5], exec, -1
; %bb.15719:
	s_or_b64 exec, exec, s[8:9]
	s_and_b64 s[4:5], s[4:5], exec
	s_or_saveexec_b64 s[6:7], s[6:7]
	v_mov_b32_e32 v3, s10
	s_xor_b64 exec, exec, s[6:7]
	s_cbranch_execnz .LBB2_15720
; %bb.51557:
	s_getpc_b64 s[14:15]
.Lpost_getpc29362:
	s_add_u32 s14, s14, (.LBB2_1382-.Lpost_getpc29362)&4294967295
	s_addc_u32 s15, s15, (.LBB2_1382-.Lpost_getpc29362)>>32
	s_setpc_b64 s[14:15]
.LBB2_15720:
	v_mov_b32_e32 v3, 0
	v_cmp_ne_u16_sdwa s[8:9], v5, v3 src0_sel:BYTE_0 src1_sel:DWORD
	s_andn2_b64 s[4:5], s[4:5], exec
	s_and_b64 s[8:9], s[8:9], exec
	s_or_b64 s[4:5], s[4:5], s[8:9]
	s_or_b64 exec, exec, s[6:7]
	s_and_saveexec_b64 s[6:7], s[4:5]
	s_cbranch_execz .LBB2_29363
; %bb.51559:
	s_getpc_b64 s[14:15]
.Lpost_getpc29363:
	s_add_u32 s14, s14, (.LBB2_1383-.Lpost_getpc29363)&4294967295
	s_addc_u32 s15, s15, (.LBB2_1383-.Lpost_getpc29363)>>32
	s_setpc_b64 s[14:15]
.LBB2_29363:
	s_getpc_b64 s[14:15]
.Lpost_getpc18265:
	s_add_u32 s14, s14, (.LBB2_1384-.Lpost_getpc18265)&4294967295
	s_addc_u32 s15, s15, (.LBB2_1384-.Lpost_getpc18265)>>32
	s_setpc_b64 s[14:15]
.LBB2_15721:
	s_movk_i32 s4, 0x80
	v_cmp_eq_u16_sdwa s[12:13], v3, s4 src0_sel:BYTE_0 src1_sel:DWORD
	s_mov_b64 s[4:5], -1
                                        ; implicit-def: $sgpr10
	s_and_saveexec_b64 s[8:9], s[12:13]
; %bb.15722:
	s_mov_b32 s10, 0x7f800001
	s_xor_b64 s[4:5], exec, -1
; %bb.15723:
	s_or_b64 exec, exec, s[8:9]
	s_and_b64 s[4:5], s[4:5], exec
	s_or_saveexec_b64 s[6:7], s[6:7]
	v_mov_b32_e32 v2, s10
	s_xor_b64 exec, exec, s[6:7]
	s_cbranch_execnz .LBB2_15724
; %bb.51561:
	s_getpc_b64 s[14:15]
.Lpost_getpc29364:
	s_add_u32 s14, s14, (.LBB2_1386-.Lpost_getpc29364)&4294967295
	s_addc_u32 s15, s15, (.LBB2_1386-.Lpost_getpc29364)>>32
	s_setpc_b64 s[14:15]
.LBB2_15724:
	v_mov_b32_e32 v2, 0
	v_cmp_ne_u16_sdwa s[8:9], v3, v2 src0_sel:BYTE_0 src1_sel:DWORD
	s_andn2_b64 s[4:5], s[4:5], exec
	s_and_b64 s[8:9], s[8:9], exec
	s_or_b64 s[4:5], s[4:5], s[8:9]
	s_or_b64 exec, exec, s[6:7]
	s_and_saveexec_b64 s[6:7], s[4:5]
	s_cbranch_execz .LBB2_29365
; %bb.51563:
	s_getpc_b64 s[14:15]
.Lpost_getpc29365:
	s_add_u32 s14, s14, (.LBB2_1387-.Lpost_getpc29365)&4294967295
	s_addc_u32 s15, s15, (.LBB2_1387-.Lpost_getpc29365)>>32
	s_setpc_b64 s[14:15]
.LBB2_29365:
	s_getpc_b64 s[14:15]
.Lpost_getpc18266:
	s_add_u32 s14, s14, (.LBB2_1388-.Lpost_getpc18266)&4294967295
	s_addc_u32 s15, s15, (.LBB2_1388-.Lpost_getpc18266)>>32
	s_setpc_b64 s[14:15]
.LBB2_15725:
	s_movk_i32 s4, 0x80
	v_cmp_eq_u16_sdwa s[12:13], v3, s4 src0_sel:BYTE_0 src1_sel:DWORD
	s_mov_b64 s[4:5], -1
                                        ; implicit-def: $sgpr10
	s_and_saveexec_b64 s[8:9], s[12:13]
; %bb.15726:
	s_mov_b32 s10, 0x7f800001
	s_xor_b64 s[4:5], exec, -1
; %bb.15727:
	s_or_b64 exec, exec, s[8:9]
	s_and_b64 s[4:5], s[4:5], exec
	s_or_saveexec_b64 s[6:7], s[6:7]
	v_mov_b32_e32 v4, s10
	s_xor_b64 exec, exec, s[6:7]
	s_cbranch_execnz .LBB2_15728
; %bb.51565:
	s_getpc_b64 s[14:15]
.Lpost_getpc29366:
	s_add_u32 s14, s14, (.LBB2_1390-.Lpost_getpc29366)&4294967295
	s_addc_u32 s15, s15, (.LBB2_1390-.Lpost_getpc29366)>>32
	s_setpc_b64 s[14:15]
.LBB2_15728:
	v_mov_b32_e32 v4, 0
	v_cmp_ne_u16_sdwa s[8:9], v3, v4 src0_sel:BYTE_0 src1_sel:DWORD
	s_andn2_b64 s[4:5], s[4:5], exec
	s_and_b64 s[8:9], s[8:9], exec
	s_or_b64 s[4:5], s[4:5], s[8:9]
	s_or_b64 exec, exec, s[6:7]
	s_and_saveexec_b64 s[6:7], s[4:5]
	s_cbranch_execz .LBB2_29367
; %bb.51567:
	s_getpc_b64 s[14:15]
.Lpost_getpc29367:
	s_add_u32 s14, s14, (.LBB2_1391-.Lpost_getpc29367)&4294967295
	s_addc_u32 s15, s15, (.LBB2_1391-.Lpost_getpc29367)>>32
	s_setpc_b64 s[14:15]
.LBB2_29367:
	s_getpc_b64 s[14:15]
.Lpost_getpc18267:
	s_add_u32 s14, s14, (.LBB2_1392-.Lpost_getpc18267)&4294967295
	s_addc_u32 s15, s15, (.LBB2_1392-.Lpost_getpc18267)>>32
	s_setpc_b64 s[14:15]
.LBB2_15729:
	s_movk_i32 s4, 0x80
	v_cmp_eq_u16_e32 vcc, s4, v3
	s_mov_b64 s[4:5], -1
                                        ; implicit-def: $sgpr10
	s_and_saveexec_b64 s[8:9], vcc
; %bb.15730:
	s_mov_b32 s10, 0x7f800001
	s_xor_b64 s[4:5], exec, -1
; %bb.15731:
	s_or_b64 exec, exec, s[8:9]
	s_and_b64 s[4:5], s[4:5], exec
                                        ; implicit-def: $vgpr3
	s_or_saveexec_b64 s[6:7], s[6:7]
	v_mov_b32_e32 v2, s10
	s_xor_b64 exec, exec, s[6:7]
	s_cbranch_execnz .LBB2_15732
; %bb.51569:
	s_getpc_b64 s[14:15]
.Lpost_getpc29368:
	s_add_u32 s14, s14, (.LBB2_1394-.Lpost_getpc29368)&4294967295
	s_addc_u32 s15, s15, (.LBB2_1394-.Lpost_getpc29368)>>32
	s_setpc_b64 s[14:15]
.LBB2_15732:
	v_cmp_ne_u16_e32 vcc, 0, v3
	s_andn2_b64 s[4:5], s[4:5], exec
	s_and_b64 s[8:9], vcc, exec
	v_mov_b32_e32 v2, 0
	s_or_b64 s[4:5], s[4:5], s[8:9]
	s_or_b64 exec, exec, s[6:7]
	s_and_saveexec_b64 s[6:7], s[4:5]
	s_cbranch_execz .LBB2_29369
; %bb.51571:
	s_getpc_b64 s[14:15]
.Lpost_getpc29369:
	s_add_u32 s14, s14, (.LBB2_1395-.Lpost_getpc29369)&4294967295
	s_addc_u32 s15, s15, (.LBB2_1395-.Lpost_getpc29369)>>32
	s_setpc_b64 s[14:15]
.LBB2_29369:
	s_getpc_b64 s[14:15]
.Lpost_getpc18268:
	s_add_u32 s14, s14, (.LBB2_1396-.Lpost_getpc18268)&4294967295
	s_addc_u32 s15, s15, (.LBB2_1396-.Lpost_getpc18268)>>32
	s_setpc_b64 s[14:15]
.LBB2_15733:
	s_movk_i32 s4, 0x80
	v_cmp_eq_u16_e32 vcc, s4, v3
	s_mov_b64 s[4:5], -1
                                        ; implicit-def: $sgpr10
	s_and_saveexec_b64 s[8:9], vcc
; %bb.15734:
	s_mov_b32 s10, 0x7f800001
	s_xor_b64 s[4:5], exec, -1
; %bb.15735:
	s_or_b64 exec, exec, s[8:9]
	s_and_b64 s[4:5], s[4:5], exec
                                        ; implicit-def: $vgpr3
	s_or_saveexec_b64 s[6:7], s[6:7]
	v_mov_b32_e32 v4, s10
	s_xor_b64 exec, exec, s[6:7]
	s_cbranch_execnz .LBB2_15736
; %bb.51573:
	s_getpc_b64 s[14:15]
.Lpost_getpc29370:
	s_add_u32 s14, s14, (.LBB2_1398-.Lpost_getpc29370)&4294967295
	s_addc_u32 s15, s15, (.LBB2_1398-.Lpost_getpc29370)>>32
	s_setpc_b64 s[14:15]
.LBB2_15736:
	v_cmp_ne_u16_e32 vcc, 0, v3
	s_andn2_b64 s[4:5], s[4:5], exec
	s_and_b64 s[8:9], vcc, exec
	v_mov_b32_e32 v4, 0
	s_or_b64 s[4:5], s[4:5], s[8:9]
	s_or_b64 exec, exec, s[6:7]
	s_and_saveexec_b64 s[6:7], s[4:5]
	s_cbranch_execz .LBB2_29371
; %bb.51575:
	s_getpc_b64 s[14:15]
.Lpost_getpc29371:
	s_add_u32 s14, s14, (.LBB2_1399-.Lpost_getpc29371)&4294967295
	s_addc_u32 s15, s15, (.LBB2_1399-.Lpost_getpc29371)>>32
	s_setpc_b64 s[14:15]
.LBB2_29371:
	s_getpc_b64 s[14:15]
.Lpost_getpc18269:
	s_add_u32 s14, s14, (.LBB2_1400-.Lpost_getpc18269)&4294967295
	s_addc_u32 s15, s15, (.LBB2_1400-.Lpost_getpc18269)>>32
	s_setpc_b64 s[14:15]
.LBB2_15737:
	s_movk_i32 s4, 0x80
	v_cmp_eq_u16_sdwa s[12:13], v9, s4 src0_sel:BYTE_3 src1_sel:DWORD
	s_mov_b64 s[4:5], -1
                                        ; implicit-def: $sgpr10
	s_and_saveexec_b64 s[8:9], s[12:13]
; %bb.15738:
	s_mov_b32 s10, 0x7f800001
	s_xor_b64 s[4:5], exec, -1
; %bb.15739:
	s_or_b64 exec, exec, s[8:9]
	s_and_b64 s[4:5], s[4:5], exec
	s_or_saveexec_b64 s[6:7], s[6:7]
	v_mov_b32_e32 v2, s10
	s_xor_b64 exec, exec, s[6:7]
	s_cbranch_execnz .LBB2_15740
; %bb.51577:
	s_getpc_b64 s[14:15]
.Lpost_getpc29372:
	s_add_u32 s14, s14, (.LBB2_1402-.Lpost_getpc29372)&4294967295
	s_addc_u32 s15, s15, (.LBB2_1402-.Lpost_getpc29372)>>32
	s_setpc_b64 s[14:15]
.LBB2_15740:
	v_mov_b32_e32 v2, 0
	v_cmp_ne_u16_sdwa s[8:9], v9, v2 src0_sel:BYTE_3 src1_sel:DWORD
	s_andn2_b64 s[4:5], s[4:5], exec
	s_and_b64 s[8:9], s[8:9], exec
	s_or_b64 s[4:5], s[4:5], s[8:9]
	s_or_b64 exec, exec, s[6:7]
	s_and_saveexec_b64 s[6:7], s[4:5]
	s_cbranch_execz .LBB2_29373
; %bb.51579:
	s_getpc_b64 s[14:15]
.Lpost_getpc29373:
	s_add_u32 s14, s14, (.LBB2_1403-.Lpost_getpc29373)&4294967295
	s_addc_u32 s15, s15, (.LBB2_1403-.Lpost_getpc29373)>>32
	s_setpc_b64 s[14:15]
.LBB2_29373:
	s_getpc_b64 s[14:15]
.Lpost_getpc18270:
	s_add_u32 s14, s14, (.LBB2_1404-.Lpost_getpc18270)&4294967295
	s_addc_u32 s15, s15, (.LBB2_1404-.Lpost_getpc18270)>>32
	s_setpc_b64 s[14:15]
.LBB2_15741:
	s_movk_i32 s4, 0x80
	v_cmp_eq_u16_sdwa s[12:13], v5, s4 src0_sel:BYTE_3 src1_sel:DWORD
	s_mov_b64 s[4:5], -1
                                        ; implicit-def: $sgpr10
	s_and_saveexec_b64 s[8:9], s[12:13]
; %bb.15742:
	s_mov_b32 s10, 0x7f800001
	s_xor_b64 s[4:5], exec, -1
; %bb.15743:
	s_or_b64 exec, exec, s[8:9]
	s_and_b64 s[4:5], s[4:5], exec
	s_or_saveexec_b64 s[6:7], s[6:7]
	v_mov_b32_e32 v3, s10
	s_xor_b64 exec, exec, s[6:7]
	s_cbranch_execnz .LBB2_15744
; %bb.51581:
	s_getpc_b64 s[14:15]
.Lpost_getpc29374:
	s_add_u32 s14, s14, (.LBB2_1406-.Lpost_getpc29374)&4294967295
	s_addc_u32 s15, s15, (.LBB2_1406-.Lpost_getpc29374)>>32
	s_setpc_b64 s[14:15]
.LBB2_15744:
	v_mov_b32_e32 v3, 0
	v_cmp_ne_u16_sdwa s[8:9], v5, v3 src0_sel:BYTE_3 src1_sel:DWORD
	s_andn2_b64 s[4:5], s[4:5], exec
	s_and_b64 s[8:9], s[8:9], exec
	s_or_b64 s[4:5], s[4:5], s[8:9]
	s_or_b64 exec, exec, s[6:7]
	s_and_saveexec_b64 s[6:7], s[4:5]
	s_cbranch_execz .LBB2_29375
; %bb.51583:
	s_getpc_b64 s[14:15]
.Lpost_getpc29375:
	s_add_u32 s14, s14, (.LBB2_1407-.Lpost_getpc29375)&4294967295
	s_addc_u32 s15, s15, (.LBB2_1407-.Lpost_getpc29375)>>32
	s_setpc_b64 s[14:15]
.LBB2_29375:
	s_getpc_b64 s[14:15]
.Lpost_getpc18271:
	s_add_u32 s14, s14, (.LBB2_1408-.Lpost_getpc18271)&4294967295
	s_addc_u32 s15, s15, (.LBB2_1408-.Lpost_getpc18271)>>32
	s_setpc_b64 s[14:15]
.LBB2_15745:
	s_movk_i32 s4, 0x80
	v_cmp_eq_u16_sdwa s[12:13], v6, s4 src0_sel:BYTE_0 src1_sel:DWORD
	s_mov_b64 s[4:5], -1
                                        ; implicit-def: $sgpr10
	s_and_saveexec_b64 s[8:9], s[12:13]
; %bb.15746:
	s_mov_b32 s10, 0x7f800001
	s_xor_b64 s[4:5], exec, -1
; %bb.15747:
	s_or_b64 exec, exec, s[8:9]
	s_and_b64 s[4:5], s[4:5], exec
	s_or_saveexec_b64 s[6:7], s[6:7]
	v_mov_b32_e32 v12, s10
	s_xor_b64 exec, exec, s[6:7]
	s_cbranch_execnz .LBB2_15748
; %bb.51585:
	s_getpc_b64 s[14:15]
.Lpost_getpc29376:
	s_add_u32 s14, s14, (.LBB2_1410-.Lpost_getpc29376)&4294967295
	s_addc_u32 s15, s15, (.LBB2_1410-.Lpost_getpc29376)>>32
	s_setpc_b64 s[14:15]
.LBB2_15748:
	v_mov_b32_e32 v12, 0
	v_cmp_ne_u16_sdwa s[8:9], v6, v12 src0_sel:BYTE_0 src1_sel:DWORD
	s_andn2_b64 s[4:5], s[4:5], exec
	s_and_b64 s[8:9], s[8:9], exec
	s_or_b64 s[4:5], s[4:5], s[8:9]
	s_or_b64 exec, exec, s[6:7]
	s_and_saveexec_b64 s[6:7], s[4:5]
	s_cbranch_execz .LBB2_29377
; %bb.51587:
	s_getpc_b64 s[14:15]
.Lpost_getpc29377:
	s_add_u32 s14, s14, (.LBB2_1411-.Lpost_getpc29377)&4294967295
	s_addc_u32 s15, s15, (.LBB2_1411-.Lpost_getpc29377)>>32
	s_setpc_b64 s[14:15]
.LBB2_29377:
	s_getpc_b64 s[14:15]
.Lpost_getpc18272:
	s_add_u32 s14, s14, (.LBB2_1412-.Lpost_getpc18272)&4294967295
	s_addc_u32 s15, s15, (.LBB2_1412-.Lpost_getpc18272)>>32
	s_setpc_b64 s[14:15]
.LBB2_15749:
	s_movk_i32 s4, 0x80
	v_cmp_eq_u16_sdwa s[12:13], v2, s4 src0_sel:BYTE_0 src1_sel:DWORD
	s_mov_b64 s[4:5], -1
                                        ; implicit-def: $sgpr10
	s_and_saveexec_b64 s[8:9], s[12:13]
; %bb.15750:
	s_mov_b32 s10, 0x7f800001
	s_xor_b64 s[4:5], exec, -1
; %bb.15751:
	s_or_b64 exec, exec, s[8:9]
	s_and_b64 s[4:5], s[4:5], exec
	s_or_saveexec_b64 s[6:7], s[6:7]
	v_mov_b32_e32 v13, s10
	s_xor_b64 exec, exec, s[6:7]
	s_cbranch_execnz .LBB2_15752
; %bb.51589:
	s_getpc_b64 s[14:15]
.Lpost_getpc29378:
	s_add_u32 s14, s14, (.LBB2_1414-.Lpost_getpc29378)&4294967295
	s_addc_u32 s15, s15, (.LBB2_1414-.Lpost_getpc29378)>>32
	s_setpc_b64 s[14:15]
.LBB2_15752:
	v_mov_b32_e32 v13, 0
	v_cmp_ne_u16_sdwa s[8:9], v2, v13 src0_sel:BYTE_0 src1_sel:DWORD
	s_andn2_b64 s[4:5], s[4:5], exec
	s_and_b64 s[8:9], s[8:9], exec
	s_or_b64 s[4:5], s[4:5], s[8:9]
	s_or_b64 exec, exec, s[6:7]
	s_and_saveexec_b64 s[6:7], s[4:5]
	s_cbranch_execz .LBB2_29379
; %bb.51591:
	s_getpc_b64 s[14:15]
.Lpost_getpc29379:
	s_add_u32 s14, s14, (.LBB2_1415-.Lpost_getpc29379)&4294967295
	s_addc_u32 s15, s15, (.LBB2_1415-.Lpost_getpc29379)>>32
	s_setpc_b64 s[14:15]
.LBB2_29379:
	s_getpc_b64 s[14:15]
.Lpost_getpc18273:
	s_add_u32 s14, s14, (.LBB2_1416-.Lpost_getpc18273)&4294967295
	s_addc_u32 s15, s15, (.LBB2_1416-.Lpost_getpc18273)>>32
	s_setpc_b64 s[14:15]
.LBB2_15753:
	s_movk_i32 s4, 0x80
	v_cmp_eq_u16_sdwa s[12:13], v13, s4 src0_sel:BYTE_0 src1_sel:DWORD
	s_mov_b64 s[4:5], -1
                                        ; implicit-def: $sgpr10
	s_and_saveexec_b64 s[8:9], s[12:13]
; %bb.15754:
	s_mov_b32 s10, 0x7f800001
	s_xor_b64 s[4:5], exec, -1
; %bb.15755:
	s_or_b64 exec, exec, s[8:9]
	s_and_b64 s[4:5], s[4:5], exec
	s_or_saveexec_b64 s[6:7], s[6:7]
	v_mov_b32_e32 v12, s10
	s_xor_b64 exec, exec, s[6:7]
	s_cbranch_execnz .LBB2_15756
; %bb.51593:
	s_getpc_b64 s[14:15]
.Lpost_getpc29380:
	s_add_u32 s14, s14, (.LBB2_1418-.Lpost_getpc29380)&4294967295
	s_addc_u32 s15, s15, (.LBB2_1418-.Lpost_getpc29380)>>32
	s_setpc_b64 s[14:15]
.LBB2_15756:
	v_mov_b32_e32 v12, 0
	v_cmp_ne_u16_sdwa s[8:9], v13, v12 src0_sel:BYTE_0 src1_sel:DWORD
	s_andn2_b64 s[4:5], s[4:5], exec
	s_and_b64 s[8:9], s[8:9], exec
	s_or_b64 s[4:5], s[4:5], s[8:9]
	s_or_b64 exec, exec, s[6:7]
	s_and_saveexec_b64 s[6:7], s[4:5]
	s_cbranch_execz .LBB2_29381
; %bb.51595:
	s_getpc_b64 s[14:15]
.Lpost_getpc29381:
	s_add_u32 s14, s14, (.LBB2_1419-.Lpost_getpc29381)&4294967295
	s_addc_u32 s15, s15, (.LBB2_1419-.Lpost_getpc29381)>>32
	s_setpc_b64 s[14:15]
.LBB2_29381:
	s_getpc_b64 s[14:15]
.Lpost_getpc18274:
	s_add_u32 s14, s14, (.LBB2_1420-.Lpost_getpc18274)&4294967295
	s_addc_u32 s15, s15, (.LBB2_1420-.Lpost_getpc18274)>>32
	s_setpc_b64 s[14:15]
.LBB2_15757:
	s_movk_i32 s4, 0x80
	v_cmp_eq_u16_sdwa s[12:13], v13, s4 src0_sel:BYTE_0 src1_sel:DWORD
	s_mov_b64 s[4:5], -1
                                        ; implicit-def: $sgpr10
	s_and_saveexec_b64 s[8:9], s[12:13]
; %bb.15758:
	s_mov_b32 s10, 0x7f800001
	s_xor_b64 s[4:5], exec, -1
; %bb.15759:
	s_or_b64 exec, exec, s[8:9]
	s_and_b64 s[4:5], s[4:5], exec
	s_or_saveexec_b64 s[6:7], s[6:7]
	v_mov_b32_e32 v14, s10
	s_xor_b64 exec, exec, s[6:7]
	s_cbranch_execnz .LBB2_15760
; %bb.51597:
	s_getpc_b64 s[14:15]
.Lpost_getpc29382:
	s_add_u32 s14, s14, (.LBB2_1422-.Lpost_getpc29382)&4294967295
	s_addc_u32 s15, s15, (.LBB2_1422-.Lpost_getpc29382)>>32
	s_setpc_b64 s[14:15]
.LBB2_15760:
	v_mov_b32_e32 v14, 0
	v_cmp_ne_u16_sdwa s[8:9], v13, v14 src0_sel:BYTE_0 src1_sel:DWORD
	s_andn2_b64 s[4:5], s[4:5], exec
	s_and_b64 s[8:9], s[8:9], exec
	s_or_b64 s[4:5], s[4:5], s[8:9]
	s_or_b64 exec, exec, s[6:7]
	s_and_saveexec_b64 s[6:7], s[4:5]
	s_cbranch_execz .LBB2_29383
; %bb.51599:
	s_getpc_b64 s[14:15]
.Lpost_getpc29383:
	s_add_u32 s14, s14, (.LBB2_1423-.Lpost_getpc29383)&4294967295
	s_addc_u32 s15, s15, (.LBB2_1423-.Lpost_getpc29383)>>32
	s_setpc_b64 s[14:15]
.LBB2_29383:
	s_getpc_b64 s[14:15]
.Lpost_getpc18275:
	s_add_u32 s14, s14, (.LBB2_1424-.Lpost_getpc18275)&4294967295
	s_addc_u32 s15, s15, (.LBB2_1424-.Lpost_getpc18275)>>32
	s_setpc_b64 s[14:15]
.LBB2_15761:
	s_movk_i32 s4, 0x80
	v_cmp_eq_u16_e32 vcc, s4, v13
	s_mov_b64 s[4:5], -1
                                        ; implicit-def: $sgpr10
	s_and_saveexec_b64 s[8:9], vcc
; %bb.15762:
	s_mov_b32 s10, 0x7f800001
	s_xor_b64 s[4:5], exec, -1
; %bb.15763:
	s_or_b64 exec, exec, s[8:9]
	s_and_b64 s[4:5], s[4:5], exec
                                        ; implicit-def: $vgpr13
	s_or_saveexec_b64 s[6:7], s[6:7]
	v_mov_b32_e32 v12, s10
	s_xor_b64 exec, exec, s[6:7]
	s_cbranch_execnz .LBB2_15764
; %bb.51601:
	s_getpc_b64 s[14:15]
.Lpost_getpc29384:
	s_add_u32 s14, s14, (.LBB2_1426-.Lpost_getpc29384)&4294967295
	s_addc_u32 s15, s15, (.LBB2_1426-.Lpost_getpc29384)>>32
	s_setpc_b64 s[14:15]
.LBB2_15764:
	v_cmp_ne_u16_e32 vcc, 0, v13
	s_andn2_b64 s[4:5], s[4:5], exec
	s_and_b64 s[8:9], vcc, exec
	v_mov_b32_e32 v12, 0
	s_or_b64 s[4:5], s[4:5], s[8:9]
	s_or_b64 exec, exec, s[6:7]
	s_and_saveexec_b64 s[6:7], s[4:5]
	s_cbranch_execz .LBB2_29385
; %bb.51603:
	s_getpc_b64 s[14:15]
.Lpost_getpc29385:
	s_add_u32 s14, s14, (.LBB2_1427-.Lpost_getpc29385)&4294967295
	s_addc_u32 s15, s15, (.LBB2_1427-.Lpost_getpc29385)>>32
	s_setpc_b64 s[14:15]
.LBB2_29385:
	s_getpc_b64 s[14:15]
.Lpost_getpc18276:
	s_add_u32 s14, s14, (.LBB2_1428-.Lpost_getpc18276)&4294967295
	s_addc_u32 s15, s15, (.LBB2_1428-.Lpost_getpc18276)>>32
	s_setpc_b64 s[14:15]
.LBB2_15765:
	s_movk_i32 s4, 0x80
	v_cmp_eq_u16_e32 vcc, s4, v13
	s_mov_b64 s[4:5], -1
                                        ; implicit-def: $sgpr10
	s_and_saveexec_b64 s[8:9], vcc
; %bb.15766:
	s_mov_b32 s10, 0x7f800001
	s_xor_b64 s[4:5], exec, -1
; %bb.15767:
	s_or_b64 exec, exec, s[8:9]
	s_and_b64 s[4:5], s[4:5], exec
                                        ; implicit-def: $vgpr13
	s_or_saveexec_b64 s[6:7], s[6:7]
	v_mov_b32_e32 v14, s10
	s_xor_b64 exec, exec, s[6:7]
	s_cbranch_execnz .LBB2_15768
; %bb.51605:
	s_getpc_b64 s[14:15]
.Lpost_getpc29386:
	s_add_u32 s14, s14, (.LBB2_1430-.Lpost_getpc29386)&4294967295
	s_addc_u32 s15, s15, (.LBB2_1430-.Lpost_getpc29386)>>32
	s_setpc_b64 s[14:15]
.LBB2_15768:
	v_cmp_ne_u16_e32 vcc, 0, v13
	s_andn2_b64 s[4:5], s[4:5], exec
	s_and_b64 s[8:9], vcc, exec
	v_mov_b32_e32 v14, 0
	s_or_b64 s[4:5], s[4:5], s[8:9]
	s_or_b64 exec, exec, s[6:7]
	s_and_saveexec_b64 s[6:7], s[4:5]
	s_cbranch_execz .LBB2_29387
; %bb.51607:
	s_getpc_b64 s[14:15]
.Lpost_getpc29387:
	s_add_u32 s14, s14, (.LBB2_1431-.Lpost_getpc29387)&4294967295
	s_addc_u32 s15, s15, (.LBB2_1431-.Lpost_getpc29387)>>32
	s_setpc_b64 s[14:15]
.LBB2_29387:
	s_getpc_b64 s[14:15]
.Lpost_getpc18277:
	s_add_u32 s14, s14, (.LBB2_1432-.Lpost_getpc18277)&4294967295
	s_addc_u32 s15, s15, (.LBB2_1432-.Lpost_getpc18277)>>32
	s_setpc_b64 s[14:15]
.LBB2_15769:
	s_movk_i32 s4, 0x80
	v_cmp_eq_u16_sdwa s[12:13], v6, s4 src0_sel:BYTE_3 src1_sel:DWORD
	s_mov_b64 s[4:5], -1
                                        ; implicit-def: $sgpr10
	s_and_saveexec_b64 s[8:9], s[12:13]
; %bb.15770:
	s_mov_b32 s10, 0x7f800001
	s_xor_b64 s[4:5], exec, -1
; %bb.15771:
	s_or_b64 exec, exec, s[8:9]
	s_and_b64 s[4:5], s[4:5], exec
	s_or_saveexec_b64 s[6:7], s[6:7]
	v_mov_b32_e32 v12, s10
	s_xor_b64 exec, exec, s[6:7]
	s_cbranch_execnz .LBB2_15772
; %bb.51609:
	s_getpc_b64 s[14:15]
.Lpost_getpc29388:
	s_add_u32 s14, s14, (.LBB2_1434-.Lpost_getpc29388)&4294967295
	s_addc_u32 s15, s15, (.LBB2_1434-.Lpost_getpc29388)>>32
	s_setpc_b64 s[14:15]
.LBB2_15772:
	v_mov_b32_e32 v12, 0
	v_cmp_ne_u16_sdwa s[8:9], v6, v12 src0_sel:BYTE_3 src1_sel:DWORD
	s_andn2_b64 s[4:5], s[4:5], exec
	s_and_b64 s[8:9], s[8:9], exec
	s_or_b64 s[4:5], s[4:5], s[8:9]
	s_or_b64 exec, exec, s[6:7]
	s_and_saveexec_b64 s[6:7], s[4:5]
	s_cbranch_execz .LBB2_29389
; %bb.51611:
	s_getpc_b64 s[14:15]
.Lpost_getpc29389:
	s_add_u32 s14, s14, (.LBB2_1435-.Lpost_getpc29389)&4294967295
	s_addc_u32 s15, s15, (.LBB2_1435-.Lpost_getpc29389)>>32
	s_setpc_b64 s[14:15]
.LBB2_29389:
	s_getpc_b64 s[14:15]
.Lpost_getpc18278:
	s_add_u32 s14, s14, (.LBB2_1436-.Lpost_getpc18278)&4294967295
	s_addc_u32 s15, s15, (.LBB2_1436-.Lpost_getpc18278)>>32
	s_setpc_b64 s[14:15]
.LBB2_15773:
	s_movk_i32 s4, 0x80
	v_cmp_eq_u16_sdwa s[12:13], v2, s4 src0_sel:BYTE_3 src1_sel:DWORD
	s_mov_b64 s[4:5], -1
                                        ; implicit-def: $sgpr10
	s_and_saveexec_b64 s[8:9], s[12:13]
; %bb.15774:
	s_mov_b32 s10, 0x7f800001
	s_xor_b64 s[4:5], exec, -1
; %bb.15775:
	s_or_b64 exec, exec, s[8:9]
	s_and_b64 s[4:5], s[4:5], exec
	s_or_saveexec_b64 s[6:7], s[6:7]
	v_mov_b32_e32 v6, s10
	s_xor_b64 exec, exec, s[6:7]
	s_cbranch_execnz .LBB2_15776
; %bb.51613:
	s_getpc_b64 s[14:15]
.Lpost_getpc29390:
	s_add_u32 s14, s14, (.LBB2_1438-.Lpost_getpc29390)&4294967295
	s_addc_u32 s15, s15, (.LBB2_1438-.Lpost_getpc29390)>>32
	s_setpc_b64 s[14:15]
.LBB2_15776:
	v_mov_b32_e32 v6, 0
	v_cmp_ne_u16_sdwa s[8:9], v2, v6 src0_sel:BYTE_3 src1_sel:DWORD
	s_andn2_b64 s[4:5], s[4:5], exec
	s_and_b64 s[8:9], s[8:9], exec
	s_or_b64 s[4:5], s[4:5], s[8:9]
	s_or_b64 exec, exec, s[6:7]
	s_and_saveexec_b64 s[6:7], s[4:5]
	s_cbranch_execz .LBB2_29391
; %bb.51615:
	s_getpc_b64 s[14:15]
.Lpost_getpc29391:
	s_add_u32 s14, s14, (.LBB2_1439-.Lpost_getpc29391)&4294967295
	s_addc_u32 s15, s15, (.LBB2_1439-.Lpost_getpc29391)>>32
	s_setpc_b64 s[14:15]
.LBB2_29391:
	s_getpc_b64 s[14:15]
.Lpost_getpc18279:
	s_add_u32 s14, s14, (.LBB2_1440-.Lpost_getpc18279)&4294967295
	s_addc_u32 s15, s15, (.LBB2_1440-.Lpost_getpc18279)>>32
	s_setpc_b64 s[14:15]
.LBB2_15777:
	s_movk_i32 s4, 0x80
	v_cmp_eq_u16_sdwa s[12:13], v7, s4 src0_sel:BYTE_0 src1_sel:DWORD
	s_mov_b64 s[4:5], -1
                                        ; implicit-def: $sgpr10
	s_and_saveexec_b64 s[8:9], s[12:13]
; %bb.15778:
	s_mov_b32 s10, 0x7f800001
	s_xor_b64 s[4:5], exec, -1
; %bb.15779:
	s_or_b64 exec, exec, s[8:9]
	s_and_b64 s[4:5], s[4:5], exec
	s_or_saveexec_b64 s[6:7], s[6:7]
	v_mov_b32_e32 v2, s10
	s_xor_b64 exec, exec, s[6:7]
	s_cbranch_execnz .LBB2_15780
; %bb.51617:
	s_getpc_b64 s[14:15]
.Lpost_getpc29392:
	s_add_u32 s14, s14, (.LBB2_1442-.Lpost_getpc29392)&4294967295
	s_addc_u32 s15, s15, (.LBB2_1442-.Lpost_getpc29392)>>32
	s_setpc_b64 s[14:15]
.LBB2_15780:
	v_mov_b32_e32 v2, 0
	v_cmp_ne_u16_sdwa s[8:9], v7, v2 src0_sel:BYTE_0 src1_sel:DWORD
	s_andn2_b64 s[4:5], s[4:5], exec
	s_and_b64 s[8:9], s[8:9], exec
	s_or_b64 s[4:5], s[4:5], s[8:9]
	s_or_b64 exec, exec, s[6:7]
	s_and_saveexec_b64 s[6:7], s[4:5]
	s_cbranch_execz .LBB2_29393
; %bb.51619:
	s_getpc_b64 s[14:15]
.Lpost_getpc29393:
	s_add_u32 s14, s14, (.LBB2_1443-.Lpost_getpc29393)&4294967295
	s_addc_u32 s15, s15, (.LBB2_1443-.Lpost_getpc29393)>>32
	s_setpc_b64 s[14:15]
.LBB2_29393:
	s_getpc_b64 s[14:15]
.Lpost_getpc18280:
	s_add_u32 s14, s14, (.LBB2_1444-.Lpost_getpc18280)&4294967295
	s_addc_u32 s15, s15, (.LBB2_1444-.Lpost_getpc18280)>>32
	s_setpc_b64 s[14:15]
.LBB2_15781:
	s_movk_i32 s4, 0x80
	v_cmp_eq_u16_sdwa s[12:13], v3, s4 src0_sel:BYTE_0 src1_sel:DWORD
	s_mov_b64 s[4:5], -1
                                        ; implicit-def: $sgpr10
	s_and_saveexec_b64 s[8:9], s[12:13]
; %bb.15782:
	s_mov_b32 s10, 0x7f800001
	s_xor_b64 s[4:5], exec, -1
; %bb.15783:
	s_or_b64 exec, exec, s[8:9]
	s_and_b64 s[4:5], s[4:5], exec
	s_or_saveexec_b64 s[6:7], s[6:7]
	v_mov_b32_e32 v6, s10
	s_xor_b64 exec, exec, s[6:7]
	s_cbranch_execnz .LBB2_15784
; %bb.51621:
	s_getpc_b64 s[14:15]
.Lpost_getpc29394:
	s_add_u32 s14, s14, (.LBB2_1446-.Lpost_getpc29394)&4294967295
	s_addc_u32 s15, s15, (.LBB2_1446-.Lpost_getpc29394)>>32
	s_setpc_b64 s[14:15]
.LBB2_15784:
	v_mov_b32_e32 v6, 0
	v_cmp_ne_u16_sdwa s[8:9], v3, v6 src0_sel:BYTE_0 src1_sel:DWORD
	s_andn2_b64 s[4:5], s[4:5], exec
	s_and_b64 s[8:9], s[8:9], exec
	s_or_b64 s[4:5], s[4:5], s[8:9]
	s_or_b64 exec, exec, s[6:7]
	s_and_saveexec_b64 s[6:7], s[4:5]
	s_cbranch_execz .LBB2_29395
; %bb.51623:
	s_getpc_b64 s[14:15]
.Lpost_getpc29395:
	s_add_u32 s14, s14, (.LBB2_1447-.Lpost_getpc29395)&4294967295
	s_addc_u32 s15, s15, (.LBB2_1447-.Lpost_getpc29395)>>32
	s_setpc_b64 s[14:15]
.LBB2_29395:
	s_getpc_b64 s[14:15]
.Lpost_getpc18281:
	s_add_u32 s14, s14, (.LBB2_1448-.Lpost_getpc18281)&4294967295
	s_addc_u32 s15, s15, (.LBB2_1448-.Lpost_getpc18281)>>32
	s_setpc_b64 s[14:15]
.LBB2_15785:
	s_movk_i32 s4, 0x80
	v_cmp_eq_u16_sdwa s[12:13], v6, s4 src0_sel:BYTE_0 src1_sel:DWORD
	s_mov_b64 s[4:5], -1
                                        ; implicit-def: $sgpr10
	s_and_saveexec_b64 s[8:9], s[12:13]
; %bb.15786:
	s_mov_b32 s10, 0x7f800001
	s_xor_b64 s[4:5], exec, -1
; %bb.15787:
	s_or_b64 exec, exec, s[8:9]
	s_and_b64 s[4:5], s[4:5], exec
	s_or_saveexec_b64 s[6:7], s[6:7]
	v_mov_b32_e32 v2, s10
	s_xor_b64 exec, exec, s[6:7]
	s_cbranch_execnz .LBB2_15788
; %bb.51625:
	s_getpc_b64 s[14:15]
.Lpost_getpc29396:
	s_add_u32 s14, s14, (.LBB2_1450-.Lpost_getpc29396)&4294967295
	s_addc_u32 s15, s15, (.LBB2_1450-.Lpost_getpc29396)>>32
	s_setpc_b64 s[14:15]
.LBB2_15788:
	v_mov_b32_e32 v2, 0
	v_cmp_ne_u16_sdwa s[8:9], v6, v2 src0_sel:BYTE_0 src1_sel:DWORD
	s_andn2_b64 s[4:5], s[4:5], exec
	s_and_b64 s[8:9], s[8:9], exec
	s_or_b64 s[4:5], s[4:5], s[8:9]
	s_or_b64 exec, exec, s[6:7]
	s_and_saveexec_b64 s[6:7], s[4:5]
	s_cbranch_execz .LBB2_29397
; %bb.51627:
	s_getpc_b64 s[14:15]
.Lpost_getpc29397:
	s_add_u32 s14, s14, (.LBB2_1451-.Lpost_getpc29397)&4294967295
	s_addc_u32 s15, s15, (.LBB2_1451-.Lpost_getpc29397)>>32
	s_setpc_b64 s[14:15]
.LBB2_29397:
	s_getpc_b64 s[14:15]
.Lpost_getpc18282:
	s_add_u32 s14, s14, (.LBB2_1452-.Lpost_getpc18282)&4294967295
	s_addc_u32 s15, s15, (.LBB2_1452-.Lpost_getpc18282)>>32
	s_setpc_b64 s[14:15]
.LBB2_15789:
	s_movk_i32 s4, 0x80
	v_cmp_eq_u16_sdwa s[12:13], v6, s4 src0_sel:BYTE_0 src1_sel:DWORD
	s_mov_b64 s[4:5], -1
                                        ; implicit-def: $sgpr10
	s_and_saveexec_b64 s[8:9], s[12:13]
; %bb.15790:
	s_mov_b32 s10, 0x7f800001
	s_xor_b64 s[4:5], exec, -1
; %bb.15791:
	s_or_b64 exec, exec, s[8:9]
	s_and_b64 s[4:5], s[4:5], exec
	s_or_saveexec_b64 s[6:7], s[6:7]
	v_mov_b32_e32 v12, s10
	s_xor_b64 exec, exec, s[6:7]
	s_cbranch_execnz .LBB2_15792
; %bb.51629:
	s_getpc_b64 s[14:15]
.Lpost_getpc29398:
	s_add_u32 s14, s14, (.LBB2_1454-.Lpost_getpc29398)&4294967295
	s_addc_u32 s15, s15, (.LBB2_1454-.Lpost_getpc29398)>>32
	s_setpc_b64 s[14:15]
.LBB2_15792:
	v_mov_b32_e32 v12, 0
	v_cmp_ne_u16_sdwa s[8:9], v6, v12 src0_sel:BYTE_0 src1_sel:DWORD
	s_andn2_b64 s[4:5], s[4:5], exec
	s_and_b64 s[8:9], s[8:9], exec
	s_or_b64 s[4:5], s[4:5], s[8:9]
	s_or_b64 exec, exec, s[6:7]
	s_and_saveexec_b64 s[6:7], s[4:5]
	s_cbranch_execz .LBB2_29399
; %bb.51631:
	s_getpc_b64 s[14:15]
.Lpost_getpc29399:
	s_add_u32 s14, s14, (.LBB2_1455-.Lpost_getpc29399)&4294967295
	s_addc_u32 s15, s15, (.LBB2_1455-.Lpost_getpc29399)>>32
	s_setpc_b64 s[14:15]
.LBB2_29399:
	s_getpc_b64 s[14:15]
.Lpost_getpc18283:
	s_add_u32 s14, s14, (.LBB2_1456-.Lpost_getpc18283)&4294967295
	s_addc_u32 s15, s15, (.LBB2_1456-.Lpost_getpc18283)>>32
	s_setpc_b64 s[14:15]
.LBB2_15793:
	s_movk_i32 s4, 0x80
	v_cmp_eq_u16_e32 vcc, s4, v6
	s_mov_b64 s[4:5], -1
                                        ; implicit-def: $sgpr10
	s_and_saveexec_b64 s[8:9], vcc
; %bb.15794:
	s_mov_b32 s10, 0x7f800001
	s_xor_b64 s[4:5], exec, -1
; %bb.15795:
	s_or_b64 exec, exec, s[8:9]
	s_and_b64 s[4:5], s[4:5], exec
                                        ; implicit-def: $vgpr6
	s_or_saveexec_b64 s[6:7], s[6:7]
	v_mov_b32_e32 v2, s10
	s_xor_b64 exec, exec, s[6:7]
	s_cbranch_execnz .LBB2_15796
; %bb.51633:
	s_getpc_b64 s[14:15]
.Lpost_getpc29400:
	s_add_u32 s14, s14, (.LBB2_1458-.Lpost_getpc29400)&4294967295
	s_addc_u32 s15, s15, (.LBB2_1458-.Lpost_getpc29400)>>32
	s_setpc_b64 s[14:15]
.LBB2_15796:
	v_cmp_ne_u16_e32 vcc, 0, v6
	s_andn2_b64 s[4:5], s[4:5], exec
	s_and_b64 s[8:9], vcc, exec
	v_mov_b32_e32 v2, 0
	s_or_b64 s[4:5], s[4:5], s[8:9]
	s_or_b64 exec, exec, s[6:7]
	s_and_saveexec_b64 s[6:7], s[4:5]
	s_cbranch_execz .LBB2_29401
; %bb.51635:
	s_getpc_b64 s[14:15]
.Lpost_getpc29401:
	s_add_u32 s14, s14, (.LBB2_1459-.Lpost_getpc29401)&4294967295
	s_addc_u32 s15, s15, (.LBB2_1459-.Lpost_getpc29401)>>32
	s_setpc_b64 s[14:15]
.LBB2_29401:
	s_getpc_b64 s[14:15]
.Lpost_getpc18284:
	s_add_u32 s14, s14, (.LBB2_1460-.Lpost_getpc18284)&4294967295
	s_addc_u32 s15, s15, (.LBB2_1460-.Lpost_getpc18284)>>32
	s_setpc_b64 s[14:15]
.LBB2_15797:
	s_movk_i32 s4, 0x80
	v_cmp_eq_u16_e32 vcc, s4, v6
	s_mov_b64 s[4:5], -1
                                        ; implicit-def: $sgpr10
	s_and_saveexec_b64 s[8:9], vcc
; %bb.15798:
	s_mov_b32 s10, 0x7f800001
	s_xor_b64 s[4:5], exec, -1
; %bb.15799:
	s_or_b64 exec, exec, s[8:9]
	s_and_b64 s[4:5], s[4:5], exec
                                        ; implicit-def: $vgpr6
	s_or_saveexec_b64 s[6:7], s[6:7]
	v_mov_b32_e32 v12, s10
	s_xor_b64 exec, exec, s[6:7]
	s_cbranch_execnz .LBB2_15800
; %bb.51637:
	s_getpc_b64 s[14:15]
.Lpost_getpc29402:
	s_add_u32 s14, s14, (.LBB2_1462-.Lpost_getpc29402)&4294967295
	s_addc_u32 s15, s15, (.LBB2_1462-.Lpost_getpc29402)>>32
	s_setpc_b64 s[14:15]
.LBB2_15800:
	v_cmp_ne_u16_e32 vcc, 0, v6
	s_andn2_b64 s[4:5], s[4:5], exec
	s_and_b64 s[8:9], vcc, exec
	v_mov_b32_e32 v12, 0
	s_or_b64 s[4:5], s[4:5], s[8:9]
	s_or_b64 exec, exec, s[6:7]
	s_and_saveexec_b64 s[6:7], s[4:5]
	s_cbranch_execz .LBB2_29403
; %bb.51639:
	s_getpc_b64 s[14:15]
.Lpost_getpc29403:
	s_add_u32 s14, s14, (.LBB2_1463-.Lpost_getpc29403)&4294967295
	s_addc_u32 s15, s15, (.LBB2_1463-.Lpost_getpc29403)>>32
	s_setpc_b64 s[14:15]
.LBB2_29403:
	s_getpc_b64 s[14:15]
.Lpost_getpc18285:
	s_add_u32 s14, s14, (.LBB2_1464-.Lpost_getpc18285)&4294967295
	s_addc_u32 s15, s15, (.LBB2_1464-.Lpost_getpc18285)>>32
	s_setpc_b64 s[14:15]
.LBB2_15801:
	s_movk_i32 s4, 0x80
	v_cmp_eq_u16_sdwa s[12:13], v7, s4 src0_sel:BYTE_3 src1_sel:DWORD
	s_mov_b64 s[4:5], -1
                                        ; implicit-def: $sgpr10
	s_and_saveexec_b64 s[8:9], s[12:13]
; %bb.15802:
	s_mov_b32 s10, 0x7f800001
	s_xor_b64 s[4:5], exec, -1
; %bb.15803:
	s_or_b64 exec, exec, s[8:9]
	s_and_b64 s[4:5], s[4:5], exec
	s_or_saveexec_b64 s[6:7], s[6:7]
	v_mov_b32_e32 v2, s10
	s_xor_b64 exec, exec, s[6:7]
	s_cbranch_execnz .LBB2_15804
; %bb.51641:
	s_getpc_b64 s[14:15]
.Lpost_getpc29404:
	s_add_u32 s14, s14, (.LBB2_1466-.Lpost_getpc29404)&4294967295
	s_addc_u32 s15, s15, (.LBB2_1466-.Lpost_getpc29404)>>32
	s_setpc_b64 s[14:15]
.LBB2_15804:
	v_mov_b32_e32 v2, 0
	v_cmp_ne_u16_sdwa s[8:9], v7, v2 src0_sel:BYTE_3 src1_sel:DWORD
	s_andn2_b64 s[4:5], s[4:5], exec
	s_and_b64 s[8:9], s[8:9], exec
	s_or_b64 s[4:5], s[4:5], s[8:9]
	s_or_b64 exec, exec, s[6:7]
	s_and_saveexec_b64 s[6:7], s[4:5]
	s_cbranch_execz .LBB2_29405
; %bb.51643:
	s_getpc_b64 s[14:15]
.Lpost_getpc29405:
	s_add_u32 s14, s14, (.LBB2_1467-.Lpost_getpc29405)&4294967295
	s_addc_u32 s15, s15, (.LBB2_1467-.Lpost_getpc29405)>>32
	s_setpc_b64 s[14:15]
.LBB2_29405:
	s_getpc_b64 s[14:15]
.Lpost_getpc18286:
	s_add_u32 s14, s14, (.LBB2_1468-.Lpost_getpc18286)&4294967295
	s_addc_u32 s15, s15, (.LBB2_1468-.Lpost_getpc18286)>>32
	s_setpc_b64 s[14:15]
.LBB2_15805:
	s_movk_i32 s4, 0x80
	v_cmp_eq_u16_sdwa s[12:13], v3, s4 src0_sel:BYTE_3 src1_sel:DWORD
	s_mov_b64 s[4:5], -1
                                        ; implicit-def: $sgpr10
	s_and_saveexec_b64 s[8:9], s[12:13]
; %bb.15806:
	s_mov_b32 s10, 0x7f800001
	s_xor_b64 s[4:5], exec, -1
; %bb.15807:
	s_or_b64 exec, exec, s[8:9]
	s_and_b64 s[4:5], s[4:5], exec
	s_or_saveexec_b64 s[6:7], s[6:7]
	v_mov_b32_e32 v6, s10
	s_xor_b64 exec, exec, s[6:7]
	s_cbranch_execnz .LBB2_15808
; %bb.51645:
	s_getpc_b64 s[14:15]
.Lpost_getpc29406:
	s_add_u32 s14, s14, (.LBB2_1470-.Lpost_getpc29406)&4294967295
	s_addc_u32 s15, s15, (.LBB2_1470-.Lpost_getpc29406)>>32
	s_setpc_b64 s[14:15]
.LBB2_15808:
	v_mov_b32_e32 v6, 0
	v_cmp_ne_u16_sdwa s[8:9], v3, v6 src0_sel:BYTE_3 src1_sel:DWORD
	s_andn2_b64 s[4:5], s[4:5], exec
	s_and_b64 s[8:9], s[8:9], exec
	s_or_b64 s[4:5], s[4:5], s[8:9]
	s_or_b64 exec, exec, s[6:7]
	s_and_saveexec_b64 s[6:7], s[4:5]
	s_cbranch_execz .LBB2_29407
; %bb.51647:
	s_getpc_b64 s[14:15]
.Lpost_getpc29407:
	s_add_u32 s14, s14, (.LBB2_1471-.Lpost_getpc29407)&4294967295
	s_addc_u32 s15, s15, (.LBB2_1471-.Lpost_getpc29407)>>32
	s_setpc_b64 s[14:15]
.LBB2_29407:
	s_getpc_b64 s[14:15]
.Lpost_getpc18287:
	s_add_u32 s14, s14, (.LBB2_1472-.Lpost_getpc18287)&4294967295
	s_addc_u32 s15, s15, (.LBB2_1472-.Lpost_getpc18287)>>32
	s_setpc_b64 s[14:15]
.LBB2_15809:
	s_movk_i32 s4, 0x80
	v_cmp_eq_u16_sdwa s[12:13], v8, s4 src0_sel:BYTE_0 src1_sel:DWORD
	s_mov_b64 s[4:5], -1
                                        ; implicit-def: $sgpr10
	s_and_saveexec_b64 s[8:9], s[12:13]
; %bb.15810:
	s_mov_b32 s10, 0x7f800001
	s_xor_b64 s[4:5], exec, -1
; %bb.15811:
	s_or_b64 exec, exec, s[8:9]
	s_and_b64 s[4:5], s[4:5], exec
	s_or_saveexec_b64 s[6:7], s[6:7]
	v_mov_b32_e32 v2, s10
	s_xor_b64 exec, exec, s[6:7]
	s_cbranch_execnz .LBB2_15812
; %bb.51649:
	s_getpc_b64 s[14:15]
.Lpost_getpc29408:
	s_add_u32 s14, s14, (.LBB2_1474-.Lpost_getpc29408)&4294967295
	s_addc_u32 s15, s15, (.LBB2_1474-.Lpost_getpc29408)>>32
	s_setpc_b64 s[14:15]
.LBB2_15812:
	v_mov_b32_e32 v2, 0
	v_cmp_ne_u16_sdwa s[8:9], v8, v2 src0_sel:BYTE_0 src1_sel:DWORD
	s_andn2_b64 s[4:5], s[4:5], exec
	s_and_b64 s[8:9], s[8:9], exec
	s_or_b64 s[4:5], s[4:5], s[8:9]
	s_or_b64 exec, exec, s[6:7]
	s_and_saveexec_b64 s[6:7], s[4:5]
	s_cbranch_execz .LBB2_29409
; %bb.51651:
	s_getpc_b64 s[14:15]
.Lpost_getpc29409:
	s_add_u32 s14, s14, (.LBB2_1475-.Lpost_getpc29409)&4294967295
	s_addc_u32 s15, s15, (.LBB2_1475-.Lpost_getpc29409)>>32
	s_setpc_b64 s[14:15]
.LBB2_29409:
	s_getpc_b64 s[14:15]
.Lpost_getpc18288:
	s_add_u32 s14, s14, (.LBB2_1476-.Lpost_getpc18288)&4294967295
	s_addc_u32 s15, s15, (.LBB2_1476-.Lpost_getpc18288)>>32
	s_setpc_b64 s[14:15]
.LBB2_15813:
	s_movk_i32 s4, 0x80
	v_cmp_eq_u16_sdwa s[12:13], v4, s4 src0_sel:BYTE_0 src1_sel:DWORD
	s_mov_b64 s[4:5], -1
                                        ; implicit-def: $sgpr10
	s_and_saveexec_b64 s[8:9], s[12:13]
; %bb.15814:
	s_mov_b32 s10, 0x7f800001
	s_xor_b64 s[4:5], exec, -1
; %bb.15815:
	s_or_b64 exec, exec, s[8:9]
	s_and_b64 s[4:5], s[4:5], exec
	s_or_saveexec_b64 s[6:7], s[6:7]
	v_mov_b32_e32 v3, s10
	s_xor_b64 exec, exec, s[6:7]
	s_cbranch_execnz .LBB2_15816
; %bb.51653:
	s_getpc_b64 s[14:15]
.Lpost_getpc29410:
	s_add_u32 s14, s14, (.LBB2_1478-.Lpost_getpc29410)&4294967295
	s_addc_u32 s15, s15, (.LBB2_1478-.Lpost_getpc29410)>>32
	s_setpc_b64 s[14:15]
.LBB2_15816:
	v_mov_b32_e32 v3, 0
	v_cmp_ne_u16_sdwa s[8:9], v4, v3 src0_sel:BYTE_0 src1_sel:DWORD
	s_andn2_b64 s[4:5], s[4:5], exec
	s_and_b64 s[8:9], s[8:9], exec
	s_or_b64 s[4:5], s[4:5], s[8:9]
	s_or_b64 exec, exec, s[6:7]
	s_and_saveexec_b64 s[6:7], s[4:5]
	s_cbranch_execz .LBB2_29411
; %bb.51655:
	s_getpc_b64 s[14:15]
.Lpost_getpc29411:
	s_add_u32 s14, s14, (.LBB2_1479-.Lpost_getpc29411)&4294967295
	s_addc_u32 s15, s15, (.LBB2_1479-.Lpost_getpc29411)>>32
	s_setpc_b64 s[14:15]
.LBB2_29411:
	s_getpc_b64 s[14:15]
.Lpost_getpc18289:
	s_add_u32 s14, s14, (.LBB2_1480-.Lpost_getpc18289)&4294967295
	s_addc_u32 s15, s15, (.LBB2_1480-.Lpost_getpc18289)>>32
	s_setpc_b64 s[14:15]
.LBB2_15817:
	s_movk_i32 s4, 0x80
	v_cmp_eq_u16_sdwa s[12:13], v3, s4 src0_sel:BYTE_0 src1_sel:DWORD
	s_mov_b64 s[4:5], -1
                                        ; implicit-def: $sgpr10
	s_and_saveexec_b64 s[8:9], s[12:13]
; %bb.15818:
	s_mov_b32 s10, 0x7f800001
	s_xor_b64 s[4:5], exec, -1
; %bb.15819:
	s_or_b64 exec, exec, s[8:9]
	s_and_b64 s[4:5], s[4:5], exec
	s_or_saveexec_b64 s[6:7], s[6:7]
	v_mov_b32_e32 v2, s10
	s_xor_b64 exec, exec, s[6:7]
	s_cbranch_execnz .LBB2_15820
; %bb.51657:
	s_getpc_b64 s[14:15]
.Lpost_getpc29412:
	s_add_u32 s14, s14, (.LBB2_1482-.Lpost_getpc29412)&4294967295
	s_addc_u32 s15, s15, (.LBB2_1482-.Lpost_getpc29412)>>32
	s_setpc_b64 s[14:15]
.LBB2_15820:
	v_mov_b32_e32 v2, 0
	v_cmp_ne_u16_sdwa s[8:9], v3, v2 src0_sel:BYTE_0 src1_sel:DWORD
	s_andn2_b64 s[4:5], s[4:5], exec
	s_and_b64 s[8:9], s[8:9], exec
	s_or_b64 s[4:5], s[4:5], s[8:9]
	s_or_b64 exec, exec, s[6:7]
	s_and_saveexec_b64 s[6:7], s[4:5]
	s_cbranch_execz .LBB2_29413
; %bb.51659:
	s_getpc_b64 s[14:15]
.Lpost_getpc29413:
	s_add_u32 s14, s14, (.LBB2_1483-.Lpost_getpc29413)&4294967295
	s_addc_u32 s15, s15, (.LBB2_1483-.Lpost_getpc29413)>>32
	s_setpc_b64 s[14:15]
.LBB2_29413:
	s_getpc_b64 s[14:15]
.Lpost_getpc18290:
	s_add_u32 s14, s14, (.LBB2_1484-.Lpost_getpc18290)&4294967295
	s_addc_u32 s15, s15, (.LBB2_1484-.Lpost_getpc18290)>>32
	s_setpc_b64 s[14:15]
.LBB2_15821:
	s_movk_i32 s4, 0x80
	v_cmp_eq_u16_sdwa s[12:13], v3, s4 src0_sel:BYTE_0 src1_sel:DWORD
	s_mov_b64 s[4:5], -1
                                        ; implicit-def: $sgpr10
	s_and_saveexec_b64 s[8:9], s[12:13]
; %bb.15822:
	s_mov_b32 s10, 0x7f800001
	s_xor_b64 s[4:5], exec, -1
; %bb.15823:
	s_or_b64 exec, exec, s[8:9]
	s_and_b64 s[4:5], s[4:5], exec
	s_or_saveexec_b64 s[6:7], s[6:7]
	v_mov_b32_e32 v6, s10
	s_xor_b64 exec, exec, s[6:7]
	s_cbranch_execnz .LBB2_15824
; %bb.51661:
	s_getpc_b64 s[14:15]
.Lpost_getpc29414:
	s_add_u32 s14, s14, (.LBB2_1486-.Lpost_getpc29414)&4294967295
	s_addc_u32 s15, s15, (.LBB2_1486-.Lpost_getpc29414)>>32
	s_setpc_b64 s[14:15]
.LBB2_15824:
	v_mov_b32_e32 v6, 0
	v_cmp_ne_u16_sdwa s[8:9], v3, v6 src0_sel:BYTE_0 src1_sel:DWORD
	s_andn2_b64 s[4:5], s[4:5], exec
	s_and_b64 s[8:9], s[8:9], exec
	s_or_b64 s[4:5], s[4:5], s[8:9]
	s_or_b64 exec, exec, s[6:7]
	s_and_saveexec_b64 s[6:7], s[4:5]
	s_cbranch_execz .LBB2_29415
; %bb.51663:
	s_getpc_b64 s[14:15]
.Lpost_getpc29415:
	s_add_u32 s14, s14, (.LBB2_1487-.Lpost_getpc29415)&4294967295
	s_addc_u32 s15, s15, (.LBB2_1487-.Lpost_getpc29415)>>32
	s_setpc_b64 s[14:15]
.LBB2_29415:
	s_getpc_b64 s[14:15]
.Lpost_getpc18291:
	s_add_u32 s14, s14, (.LBB2_1488-.Lpost_getpc18291)&4294967295
	s_addc_u32 s15, s15, (.LBB2_1488-.Lpost_getpc18291)>>32
	s_setpc_b64 s[14:15]
.LBB2_15825:
	s_movk_i32 s4, 0x80
	v_cmp_eq_u16_e32 vcc, s4, v3
	s_mov_b64 s[4:5], -1
                                        ; implicit-def: $sgpr10
	s_and_saveexec_b64 s[8:9], vcc
; %bb.15826:
	s_mov_b32 s10, 0x7f800001
	s_xor_b64 s[4:5], exec, -1
; %bb.15827:
	s_or_b64 exec, exec, s[8:9]
	s_and_b64 s[4:5], s[4:5], exec
                                        ; implicit-def: $vgpr3
	s_or_saveexec_b64 s[6:7], s[6:7]
	v_mov_b32_e32 v2, s10
	s_xor_b64 exec, exec, s[6:7]
	s_cbranch_execnz .LBB2_15828
; %bb.51665:
	s_getpc_b64 s[14:15]
.Lpost_getpc29416:
	s_add_u32 s14, s14, (.LBB2_1490-.Lpost_getpc29416)&4294967295
	s_addc_u32 s15, s15, (.LBB2_1490-.Lpost_getpc29416)>>32
	s_setpc_b64 s[14:15]
.LBB2_15828:
	v_cmp_ne_u16_e32 vcc, 0, v3
	s_andn2_b64 s[4:5], s[4:5], exec
	s_and_b64 s[8:9], vcc, exec
	v_mov_b32_e32 v2, 0
	s_or_b64 s[4:5], s[4:5], s[8:9]
	s_or_b64 exec, exec, s[6:7]
	s_and_saveexec_b64 s[6:7], s[4:5]
	s_cbranch_execz .LBB2_29417
; %bb.51667:
	s_getpc_b64 s[14:15]
.Lpost_getpc29417:
	s_add_u32 s14, s14, (.LBB2_1491-.Lpost_getpc29417)&4294967295
	s_addc_u32 s15, s15, (.LBB2_1491-.Lpost_getpc29417)>>32
	s_setpc_b64 s[14:15]
.LBB2_29417:
	s_getpc_b64 s[14:15]
.Lpost_getpc18292:
	s_add_u32 s14, s14, (.LBB2_1492-.Lpost_getpc18292)&4294967295
	s_addc_u32 s15, s15, (.LBB2_1492-.Lpost_getpc18292)>>32
	s_setpc_b64 s[14:15]
.LBB2_15829:
	s_movk_i32 s4, 0x80
	v_cmp_eq_u16_e32 vcc, s4, v3
	s_mov_b64 s[4:5], -1
                                        ; implicit-def: $sgpr10
	s_and_saveexec_b64 s[8:9], vcc
; %bb.15830:
	s_mov_b32 s10, 0x7f800001
	s_xor_b64 s[4:5], exec, -1
; %bb.15831:
	s_or_b64 exec, exec, s[8:9]
	s_and_b64 s[4:5], s[4:5], exec
                                        ; implicit-def: $vgpr3
	s_or_saveexec_b64 s[6:7], s[6:7]
	v_mov_b32_e32 v6, s10
	s_xor_b64 exec, exec, s[6:7]
	s_cbranch_execnz .LBB2_15832
; %bb.51669:
	s_getpc_b64 s[14:15]
.Lpost_getpc29418:
	s_add_u32 s14, s14, (.LBB2_1494-.Lpost_getpc29418)&4294967295
	s_addc_u32 s15, s15, (.LBB2_1494-.Lpost_getpc29418)>>32
	s_setpc_b64 s[14:15]
.LBB2_15832:
	v_cmp_ne_u16_e32 vcc, 0, v3
	s_andn2_b64 s[4:5], s[4:5], exec
	s_and_b64 s[8:9], vcc, exec
	v_mov_b32_e32 v6, 0
	s_or_b64 s[4:5], s[4:5], s[8:9]
	s_or_b64 exec, exec, s[6:7]
	s_and_saveexec_b64 s[6:7], s[4:5]
	s_cbranch_execz .LBB2_29419
; %bb.51671:
	s_getpc_b64 s[14:15]
.Lpost_getpc29419:
	s_add_u32 s14, s14, (.LBB2_1495-.Lpost_getpc29419)&4294967295
	s_addc_u32 s15, s15, (.LBB2_1495-.Lpost_getpc29419)>>32
	s_setpc_b64 s[14:15]
.LBB2_29419:
	s_getpc_b64 s[14:15]
.Lpost_getpc18293:
	s_add_u32 s14, s14, (.LBB2_1496-.Lpost_getpc18293)&4294967295
	s_addc_u32 s15, s15, (.LBB2_1496-.Lpost_getpc18293)>>32
	s_setpc_b64 s[14:15]
.LBB2_15833:
	s_movk_i32 s4, 0x80
	v_cmp_eq_u16_sdwa s[12:13], v8, s4 src0_sel:BYTE_3 src1_sel:DWORD
	s_mov_b64 s[4:5], -1
                                        ; implicit-def: $sgpr10
	s_and_saveexec_b64 s[8:9], s[12:13]
; %bb.15834:
	s_mov_b32 s10, 0x7f800001
	s_xor_b64 s[4:5], exec, -1
; %bb.15835:
	s_or_b64 exec, exec, s[8:9]
	s_and_b64 s[4:5], s[4:5], exec
	s_or_saveexec_b64 s[6:7], s[6:7]
	v_mov_b32_e32 v2, s10
	s_xor_b64 exec, exec, s[6:7]
	s_cbranch_execnz .LBB2_15836
; %bb.51673:
	s_getpc_b64 s[14:15]
.Lpost_getpc29420:
	s_add_u32 s14, s14, (.LBB2_1498-.Lpost_getpc29420)&4294967295
	s_addc_u32 s15, s15, (.LBB2_1498-.Lpost_getpc29420)>>32
	s_setpc_b64 s[14:15]
.LBB2_15836:
	v_mov_b32_e32 v2, 0
	v_cmp_ne_u16_sdwa s[8:9], v8, v2 src0_sel:BYTE_3 src1_sel:DWORD
	s_andn2_b64 s[4:5], s[4:5], exec
	s_and_b64 s[8:9], s[8:9], exec
	s_or_b64 s[4:5], s[4:5], s[8:9]
	s_or_b64 exec, exec, s[6:7]
	s_and_saveexec_b64 s[6:7], s[4:5]
	s_cbranch_execz .LBB2_29421
; %bb.51675:
	s_getpc_b64 s[14:15]
.Lpost_getpc29421:
	s_add_u32 s14, s14, (.LBB2_1499-.Lpost_getpc29421)&4294967295
	s_addc_u32 s15, s15, (.LBB2_1499-.Lpost_getpc29421)>>32
	s_setpc_b64 s[14:15]
.LBB2_29421:
	s_getpc_b64 s[14:15]
.Lpost_getpc18294:
	s_add_u32 s14, s14, (.LBB2_1500-.Lpost_getpc18294)&4294967295
	s_addc_u32 s15, s15, (.LBB2_1500-.Lpost_getpc18294)>>32
	s_setpc_b64 s[14:15]
.LBB2_15837:
	s_movk_i32 s4, 0x80
	v_cmp_eq_u16_sdwa s[12:13], v4, s4 src0_sel:BYTE_3 src1_sel:DWORD
	s_mov_b64 s[4:5], -1
                                        ; implicit-def: $sgpr10
	s_and_saveexec_b64 s[8:9], s[12:13]
; %bb.15838:
	s_mov_b32 s10, 0x7f800001
	s_xor_b64 s[4:5], exec, -1
; %bb.15839:
	s_or_b64 exec, exec, s[8:9]
	s_and_b64 s[4:5], s[4:5], exec
	s_or_saveexec_b64 s[6:7], s[6:7]
	v_mov_b32_e32 v3, s10
	s_xor_b64 exec, exec, s[6:7]
	s_cbranch_execnz .LBB2_15840
; %bb.51677:
	s_getpc_b64 s[14:15]
.Lpost_getpc29422:
	s_add_u32 s14, s14, (.LBB2_1502-.Lpost_getpc29422)&4294967295
	s_addc_u32 s15, s15, (.LBB2_1502-.Lpost_getpc29422)>>32
	s_setpc_b64 s[14:15]
.LBB2_15840:
	v_mov_b32_e32 v3, 0
	v_cmp_ne_u16_sdwa s[8:9], v4, v3 src0_sel:BYTE_3 src1_sel:DWORD
	s_andn2_b64 s[4:5], s[4:5], exec
	s_and_b64 s[8:9], s[8:9], exec
	s_or_b64 s[4:5], s[4:5], s[8:9]
	s_or_b64 exec, exec, s[6:7]
	s_and_saveexec_b64 s[6:7], s[4:5]
	s_cbranch_execz .LBB2_29423
; %bb.51679:
	s_getpc_b64 s[14:15]
.Lpost_getpc29423:
	s_add_u32 s14, s14, (.LBB2_1503-.Lpost_getpc29423)&4294967295
	s_addc_u32 s15, s15, (.LBB2_1503-.Lpost_getpc29423)>>32
	s_setpc_b64 s[14:15]
.LBB2_29423:
	s_getpc_b64 s[14:15]
.Lpost_getpc18295:
	s_add_u32 s14, s14, (.LBB2_1504-.Lpost_getpc18295)&4294967295
	s_addc_u32 s15, s15, (.LBB2_1504-.Lpost_getpc18295)>>32
	s_setpc_b64 s[14:15]
.LBB2_15841:
	s_movk_i32 s4, 0x80
	v_cmp_eq_u16_sdwa s[12:13], v9, s4 src0_sel:BYTE_0 src1_sel:DWORD
	s_mov_b64 s[4:5], -1
                                        ; implicit-def: $sgpr10
	s_and_saveexec_b64 s[8:9], s[12:13]
; %bb.15842:
	s_mov_b32 s10, 0x7f800001
	s_xor_b64 s[4:5], exec, -1
; %bb.15843:
	s_or_b64 exec, exec, s[8:9]
	s_and_b64 s[4:5], s[4:5], exec
	s_or_saveexec_b64 s[6:7], s[6:7]
	v_mov_b32_e32 v2, s10
	s_xor_b64 exec, exec, s[6:7]
	s_cbranch_execnz .LBB2_15844
; %bb.51681:
	s_getpc_b64 s[14:15]
.Lpost_getpc29424:
	s_add_u32 s14, s14, (.LBB2_1506-.Lpost_getpc29424)&4294967295
	s_addc_u32 s15, s15, (.LBB2_1506-.Lpost_getpc29424)>>32
	s_setpc_b64 s[14:15]
.LBB2_15844:
	v_mov_b32_e32 v2, 0
	v_cmp_ne_u16_sdwa s[8:9], v9, v2 src0_sel:BYTE_0 src1_sel:DWORD
	s_andn2_b64 s[4:5], s[4:5], exec
	s_and_b64 s[8:9], s[8:9], exec
	s_or_b64 s[4:5], s[4:5], s[8:9]
	s_or_b64 exec, exec, s[6:7]
	s_and_saveexec_b64 s[6:7], s[4:5]
	s_cbranch_execz .LBB2_29425
; %bb.51683:
	s_getpc_b64 s[14:15]
.Lpost_getpc29425:
	s_add_u32 s14, s14, (.LBB2_1507-.Lpost_getpc29425)&4294967295
	s_addc_u32 s15, s15, (.LBB2_1507-.Lpost_getpc29425)>>32
	s_setpc_b64 s[14:15]
.LBB2_29425:
	s_getpc_b64 s[14:15]
.Lpost_getpc18296:
	s_add_u32 s14, s14, (.LBB2_1508-.Lpost_getpc18296)&4294967295
	s_addc_u32 s15, s15, (.LBB2_1508-.Lpost_getpc18296)>>32
	s_setpc_b64 s[14:15]
.LBB2_15845:
	s_movk_i32 s4, 0x80
	v_cmp_eq_u16_sdwa s[12:13], v5, s4 src0_sel:BYTE_0 src1_sel:DWORD
	s_mov_b64 s[4:5], -1
                                        ; implicit-def: $sgpr10
	s_and_saveexec_b64 s[8:9], s[12:13]
; %bb.15846:
	s_mov_b32 s10, 0x7f800001
	s_xor_b64 s[4:5], exec, -1
; %bb.15847:
	s_or_b64 exec, exec, s[8:9]
	s_and_b64 s[4:5], s[4:5], exec
	s_or_saveexec_b64 s[6:7], s[6:7]
	v_mov_b32_e32 v3, s10
	s_xor_b64 exec, exec, s[6:7]
	s_cbranch_execnz .LBB2_15848
; %bb.51685:
	s_getpc_b64 s[14:15]
.Lpost_getpc29426:
	s_add_u32 s14, s14, (.LBB2_1510-.Lpost_getpc29426)&4294967295
	s_addc_u32 s15, s15, (.LBB2_1510-.Lpost_getpc29426)>>32
	s_setpc_b64 s[14:15]
.LBB2_15848:
	v_mov_b32_e32 v3, 0
	v_cmp_ne_u16_sdwa s[8:9], v5, v3 src0_sel:BYTE_0 src1_sel:DWORD
	s_andn2_b64 s[4:5], s[4:5], exec
	s_and_b64 s[8:9], s[8:9], exec
	s_or_b64 s[4:5], s[4:5], s[8:9]
	s_or_b64 exec, exec, s[6:7]
	s_and_saveexec_b64 s[6:7], s[4:5]
	s_cbranch_execz .LBB2_29427
; %bb.51687:
	s_getpc_b64 s[14:15]
.Lpost_getpc29427:
	s_add_u32 s14, s14, (.LBB2_1511-.Lpost_getpc29427)&4294967295
	s_addc_u32 s15, s15, (.LBB2_1511-.Lpost_getpc29427)>>32
	s_setpc_b64 s[14:15]
.LBB2_29427:
	s_getpc_b64 s[14:15]
.Lpost_getpc18297:
	s_add_u32 s14, s14, (.LBB2_1512-.Lpost_getpc18297)&4294967295
	s_addc_u32 s15, s15, (.LBB2_1512-.Lpost_getpc18297)>>32
	s_setpc_b64 s[14:15]
.LBB2_15849:
	s_movk_i32 s4, 0x80
	v_cmp_eq_u16_sdwa s[12:13], v3, s4 src0_sel:BYTE_0 src1_sel:DWORD
	s_mov_b64 s[4:5], -1
                                        ; implicit-def: $sgpr10
	s_and_saveexec_b64 s[8:9], s[12:13]
; %bb.15850:
	s_mov_b32 s10, 0x7f800001
	s_xor_b64 s[4:5], exec, -1
; %bb.15851:
	s_or_b64 exec, exec, s[8:9]
	s_and_b64 s[4:5], s[4:5], exec
	s_or_saveexec_b64 s[6:7], s[6:7]
	v_mov_b32_e32 v2, s10
	s_xor_b64 exec, exec, s[6:7]
	s_cbranch_execnz .LBB2_15852
; %bb.51689:
	s_getpc_b64 s[14:15]
.Lpost_getpc29428:
	s_add_u32 s14, s14, (.LBB2_1514-.Lpost_getpc29428)&4294967295
	s_addc_u32 s15, s15, (.LBB2_1514-.Lpost_getpc29428)>>32
	s_setpc_b64 s[14:15]
.LBB2_15852:
	v_mov_b32_e32 v2, 0
	v_cmp_ne_u16_sdwa s[8:9], v3, v2 src0_sel:BYTE_0 src1_sel:DWORD
	s_andn2_b64 s[4:5], s[4:5], exec
	s_and_b64 s[8:9], s[8:9], exec
	s_or_b64 s[4:5], s[4:5], s[8:9]
	s_or_b64 exec, exec, s[6:7]
	s_and_saveexec_b64 s[6:7], s[4:5]
	s_cbranch_execz .LBB2_29429
; %bb.51691:
	s_getpc_b64 s[14:15]
.Lpost_getpc29429:
	s_add_u32 s14, s14, (.LBB2_1515-.Lpost_getpc29429)&4294967295
	s_addc_u32 s15, s15, (.LBB2_1515-.Lpost_getpc29429)>>32
	s_setpc_b64 s[14:15]
.LBB2_29429:
	s_getpc_b64 s[14:15]
.Lpost_getpc18298:
	s_add_u32 s14, s14, (.LBB2_1516-.Lpost_getpc18298)&4294967295
	s_addc_u32 s15, s15, (.LBB2_1516-.Lpost_getpc18298)>>32
	s_setpc_b64 s[14:15]
.LBB2_15853:
	s_movk_i32 s4, 0x80
	v_cmp_eq_u16_sdwa s[12:13], v3, s4 src0_sel:BYTE_0 src1_sel:DWORD
	s_mov_b64 s[4:5], -1
                                        ; implicit-def: $sgpr10
	s_and_saveexec_b64 s[8:9], s[12:13]
; %bb.15854:
	s_mov_b32 s10, 0x7f800001
	s_xor_b64 s[4:5], exec, -1
; %bb.15855:
	s_or_b64 exec, exec, s[8:9]
	s_and_b64 s[4:5], s[4:5], exec
	s_or_saveexec_b64 s[6:7], s[6:7]
	v_mov_b32_e32 v4, s10
	s_xor_b64 exec, exec, s[6:7]
	s_cbranch_execnz .LBB2_15856
; %bb.51693:
	s_getpc_b64 s[14:15]
.Lpost_getpc29430:
	s_add_u32 s14, s14, (.LBB2_1518-.Lpost_getpc29430)&4294967295
	s_addc_u32 s15, s15, (.LBB2_1518-.Lpost_getpc29430)>>32
	s_setpc_b64 s[14:15]
.LBB2_15856:
	v_mov_b32_e32 v4, 0
	v_cmp_ne_u16_sdwa s[8:9], v3, v4 src0_sel:BYTE_0 src1_sel:DWORD
	s_andn2_b64 s[4:5], s[4:5], exec
	s_and_b64 s[8:9], s[8:9], exec
	s_or_b64 s[4:5], s[4:5], s[8:9]
	s_or_b64 exec, exec, s[6:7]
	s_and_saveexec_b64 s[6:7], s[4:5]
	s_cbranch_execz .LBB2_29431
; %bb.51695:
	s_getpc_b64 s[14:15]
.Lpost_getpc29431:
	s_add_u32 s14, s14, (.LBB2_1519-.Lpost_getpc29431)&4294967295
	s_addc_u32 s15, s15, (.LBB2_1519-.Lpost_getpc29431)>>32
	s_setpc_b64 s[14:15]
.LBB2_29431:
	s_getpc_b64 s[14:15]
.Lpost_getpc18299:
	s_add_u32 s14, s14, (.LBB2_1520-.Lpost_getpc18299)&4294967295
	s_addc_u32 s15, s15, (.LBB2_1520-.Lpost_getpc18299)>>32
	s_setpc_b64 s[14:15]
.LBB2_15857:
	s_movk_i32 s4, 0x80
	v_cmp_eq_u16_e32 vcc, s4, v3
	s_mov_b64 s[4:5], -1
                                        ; implicit-def: $sgpr10
	s_and_saveexec_b64 s[8:9], vcc
; %bb.15858:
	s_mov_b32 s10, 0x7f800001
	s_xor_b64 s[4:5], exec, -1
; %bb.15859:
	s_or_b64 exec, exec, s[8:9]
	s_and_b64 s[4:5], s[4:5], exec
                                        ; implicit-def: $vgpr3
	s_or_saveexec_b64 s[6:7], s[6:7]
	v_mov_b32_e32 v2, s10
	s_xor_b64 exec, exec, s[6:7]
	s_cbranch_execnz .LBB2_15860
; %bb.51697:
	s_getpc_b64 s[14:15]
.Lpost_getpc29432:
	s_add_u32 s14, s14, (.LBB2_1522-.Lpost_getpc29432)&4294967295
	s_addc_u32 s15, s15, (.LBB2_1522-.Lpost_getpc29432)>>32
	s_setpc_b64 s[14:15]
.LBB2_15860:
	v_cmp_ne_u16_e32 vcc, 0, v3
	s_andn2_b64 s[4:5], s[4:5], exec
	s_and_b64 s[8:9], vcc, exec
	v_mov_b32_e32 v2, 0
	s_or_b64 s[4:5], s[4:5], s[8:9]
	s_or_b64 exec, exec, s[6:7]
	s_and_saveexec_b64 s[6:7], s[4:5]
	s_cbranch_execz .LBB2_29433
; %bb.51699:
	s_getpc_b64 s[14:15]
.Lpost_getpc29433:
	s_add_u32 s14, s14, (.LBB2_1523-.Lpost_getpc29433)&4294967295
	s_addc_u32 s15, s15, (.LBB2_1523-.Lpost_getpc29433)>>32
	s_setpc_b64 s[14:15]
.LBB2_29433:
	s_getpc_b64 s[14:15]
.Lpost_getpc18300:
	s_add_u32 s14, s14, (.LBB2_1524-.Lpost_getpc18300)&4294967295
	s_addc_u32 s15, s15, (.LBB2_1524-.Lpost_getpc18300)>>32
	s_setpc_b64 s[14:15]
.LBB2_15861:
	s_movk_i32 s4, 0x80
	v_cmp_eq_u16_e32 vcc, s4, v3
	s_mov_b64 s[4:5], -1
                                        ; implicit-def: $sgpr10
	s_and_saveexec_b64 s[8:9], vcc
; %bb.15862:
	s_mov_b32 s10, 0x7f800001
	s_xor_b64 s[4:5], exec, -1
; %bb.15863:
	s_or_b64 exec, exec, s[8:9]
	s_and_b64 s[4:5], s[4:5], exec
                                        ; implicit-def: $vgpr3
	s_or_saveexec_b64 s[6:7], s[6:7]
	v_mov_b32_e32 v4, s10
	s_xor_b64 exec, exec, s[6:7]
	s_cbranch_execnz .LBB2_15864
; %bb.51701:
	s_getpc_b64 s[14:15]
.Lpost_getpc29434:
	s_add_u32 s14, s14, (.LBB2_1526-.Lpost_getpc29434)&4294967295
	s_addc_u32 s15, s15, (.LBB2_1526-.Lpost_getpc29434)>>32
	s_setpc_b64 s[14:15]
.LBB2_15864:
	v_cmp_ne_u16_e32 vcc, 0, v3
	s_andn2_b64 s[4:5], s[4:5], exec
	s_and_b64 s[8:9], vcc, exec
	v_mov_b32_e32 v4, 0
	s_or_b64 s[4:5], s[4:5], s[8:9]
	s_or_b64 exec, exec, s[6:7]
	s_and_saveexec_b64 s[6:7], s[4:5]
	s_cbranch_execz .LBB2_29435
; %bb.51703:
	s_getpc_b64 s[14:15]
.Lpost_getpc29435:
	s_add_u32 s14, s14, (.LBB2_1527-.Lpost_getpc29435)&4294967295
	s_addc_u32 s15, s15, (.LBB2_1527-.Lpost_getpc29435)>>32
	s_setpc_b64 s[14:15]
.LBB2_29435:
	s_getpc_b64 s[14:15]
.Lpost_getpc18301:
	s_add_u32 s14, s14, (.LBB2_1528-.Lpost_getpc18301)&4294967295
	s_addc_u32 s15, s15, (.LBB2_1528-.Lpost_getpc18301)>>32
	s_setpc_b64 s[14:15]
.LBB2_15865:
	s_movk_i32 s4, 0x80
	v_cmp_eq_u16_sdwa s[12:13], v9, s4 src0_sel:BYTE_3 src1_sel:DWORD
	s_mov_b64 s[4:5], -1
                                        ; implicit-def: $sgpr10
	s_and_saveexec_b64 s[8:9], s[12:13]
; %bb.15866:
	s_mov_b32 s10, 0x7f800001
	s_xor_b64 s[4:5], exec, -1
; %bb.15867:
	s_or_b64 exec, exec, s[8:9]
	s_and_b64 s[4:5], s[4:5], exec
	s_or_saveexec_b64 s[6:7], s[6:7]
	v_mov_b32_e32 v2, s10
	s_xor_b64 exec, exec, s[6:7]
	s_cbranch_execnz .LBB2_15868
; %bb.51705:
	s_getpc_b64 s[14:15]
.Lpost_getpc29436:
	s_add_u32 s14, s14, (.LBB2_1530-.Lpost_getpc29436)&4294967295
	s_addc_u32 s15, s15, (.LBB2_1530-.Lpost_getpc29436)>>32
	s_setpc_b64 s[14:15]
.LBB2_15868:
	v_mov_b32_e32 v2, 0
	v_cmp_ne_u16_sdwa s[8:9], v9, v2 src0_sel:BYTE_3 src1_sel:DWORD
	s_andn2_b64 s[4:5], s[4:5], exec
	s_and_b64 s[8:9], s[8:9], exec
	s_or_b64 s[4:5], s[4:5], s[8:9]
	s_or_b64 exec, exec, s[6:7]
	s_and_saveexec_b64 s[6:7], s[4:5]
	s_cbranch_execz .LBB2_29437
; %bb.51707:
	s_getpc_b64 s[14:15]
.Lpost_getpc29437:
	s_add_u32 s14, s14, (.LBB2_1531-.Lpost_getpc29437)&4294967295
	s_addc_u32 s15, s15, (.LBB2_1531-.Lpost_getpc29437)>>32
	s_setpc_b64 s[14:15]
.LBB2_29437:
	s_getpc_b64 s[14:15]
.Lpost_getpc18302:
	s_add_u32 s14, s14, (.LBB2_1532-.Lpost_getpc18302)&4294967295
	s_addc_u32 s15, s15, (.LBB2_1532-.Lpost_getpc18302)>>32
	s_setpc_b64 s[14:15]
.LBB2_15869:
	s_movk_i32 s4, 0x80
	v_cmp_eq_u16_sdwa s[12:13], v5, s4 src0_sel:BYTE_3 src1_sel:DWORD
	s_mov_b64 s[4:5], -1
                                        ; implicit-def: $sgpr10
	s_and_saveexec_b64 s[8:9], s[12:13]
; %bb.15870:
	s_mov_b32 s10, 0x7f800001
	s_xor_b64 s[4:5], exec, -1
; %bb.15871:
	s_or_b64 exec, exec, s[8:9]
	s_and_b64 s[4:5], s[4:5], exec
	s_or_saveexec_b64 s[6:7], s[6:7]
	v_mov_b32_e32 v3, s10
	s_xor_b64 exec, exec, s[6:7]
	s_cbranch_execnz .LBB2_15872
; %bb.51709:
	s_getpc_b64 s[14:15]
.Lpost_getpc29438:
	s_add_u32 s14, s14, (.LBB2_1534-.Lpost_getpc29438)&4294967295
	s_addc_u32 s15, s15, (.LBB2_1534-.Lpost_getpc29438)>>32
	s_setpc_b64 s[14:15]
.LBB2_15872:
	v_mov_b32_e32 v3, 0
	v_cmp_ne_u16_sdwa s[8:9], v5, v3 src0_sel:BYTE_3 src1_sel:DWORD
	s_andn2_b64 s[4:5], s[4:5], exec
	s_and_b64 s[8:9], s[8:9], exec
	s_or_b64 s[4:5], s[4:5], s[8:9]
	s_or_b64 exec, exec, s[6:7]
	s_and_saveexec_b64 s[6:7], s[4:5]
	s_cbranch_execz .LBB2_29439
; %bb.51711:
	s_getpc_b64 s[14:15]
.Lpost_getpc29439:
	s_add_u32 s14, s14, (.LBB2_1535-.Lpost_getpc29439)&4294967295
	s_addc_u32 s15, s15, (.LBB2_1535-.Lpost_getpc29439)>>32
	s_setpc_b64 s[14:15]
.LBB2_29439:
	s_getpc_b64 s[14:15]
.Lpost_getpc18303:
	s_add_u32 s14, s14, (.LBB2_1536-.Lpost_getpc18303)&4294967295
	s_addc_u32 s15, s15, (.LBB2_1536-.Lpost_getpc18303)>>32
	s_setpc_b64 s[14:15]
.LBB2_15873:
	s_movk_i32 s4, 0x80
	v_cmp_eq_u16_sdwa s[12:13], v6, s4 src0_sel:BYTE_0 src1_sel:DWORD
	s_mov_b64 s[4:5], -1
                                        ; implicit-def: $sgpr10
	s_and_saveexec_b64 s[8:9], s[12:13]
; %bb.15874:
	s_mov_b32 s10, 0x7f800001
	s_xor_b64 s[4:5], exec, -1
; %bb.15875:
	s_or_b64 exec, exec, s[8:9]
	s_and_b64 s[4:5], s[4:5], exec
	s_or_saveexec_b64 s[6:7], s[6:7]
	v_mov_b32_e32 v12, s10
	s_xor_b64 exec, exec, s[6:7]
	s_cbranch_execnz .LBB2_15876
; %bb.51713:
	s_getpc_b64 s[14:15]
.Lpost_getpc29440:
	s_add_u32 s14, s14, (.LBB2_1538-.Lpost_getpc29440)&4294967295
	s_addc_u32 s15, s15, (.LBB2_1538-.Lpost_getpc29440)>>32
	s_setpc_b64 s[14:15]
.LBB2_15876:
	v_mov_b32_e32 v12, 0
	v_cmp_ne_u16_sdwa s[8:9], v6, v12 src0_sel:BYTE_0 src1_sel:DWORD
	s_andn2_b64 s[4:5], s[4:5], exec
	s_and_b64 s[8:9], s[8:9], exec
	s_or_b64 s[4:5], s[4:5], s[8:9]
	s_or_b64 exec, exec, s[6:7]
	s_and_saveexec_b64 s[6:7], s[4:5]
	s_cbranch_execz .LBB2_29441
; %bb.51715:
	s_getpc_b64 s[14:15]
.Lpost_getpc29441:
	s_add_u32 s14, s14, (.LBB2_1539-.Lpost_getpc29441)&4294967295
	s_addc_u32 s15, s15, (.LBB2_1539-.Lpost_getpc29441)>>32
	s_setpc_b64 s[14:15]
.LBB2_29441:
	s_getpc_b64 s[14:15]
.Lpost_getpc18304:
	s_add_u32 s14, s14, (.LBB2_1540-.Lpost_getpc18304)&4294967295
	s_addc_u32 s15, s15, (.LBB2_1540-.Lpost_getpc18304)>>32
	s_setpc_b64 s[14:15]
.LBB2_15877:
	s_movk_i32 s4, 0x80
	v_cmp_eq_u16_sdwa s[12:13], v2, s4 src0_sel:BYTE_0 src1_sel:DWORD
	s_mov_b64 s[4:5], -1
                                        ; implicit-def: $sgpr10
	s_and_saveexec_b64 s[8:9], s[12:13]
; %bb.15878:
	s_mov_b32 s10, 0x7f800001
	s_xor_b64 s[4:5], exec, -1
; %bb.15879:
	s_or_b64 exec, exec, s[8:9]
	s_and_b64 s[4:5], s[4:5], exec
	s_or_saveexec_b64 s[6:7], s[6:7]
	v_mov_b32_e32 v13, s10
	s_xor_b64 exec, exec, s[6:7]
	s_cbranch_execnz .LBB2_15880
; %bb.51717:
	s_getpc_b64 s[14:15]
.Lpost_getpc29442:
	s_add_u32 s14, s14, (.LBB2_1542-.Lpost_getpc29442)&4294967295
	s_addc_u32 s15, s15, (.LBB2_1542-.Lpost_getpc29442)>>32
	s_setpc_b64 s[14:15]
.LBB2_15880:
	v_mov_b32_e32 v13, 0
	v_cmp_ne_u16_sdwa s[8:9], v2, v13 src0_sel:BYTE_0 src1_sel:DWORD
	s_andn2_b64 s[4:5], s[4:5], exec
	s_and_b64 s[8:9], s[8:9], exec
	s_or_b64 s[4:5], s[4:5], s[8:9]
	s_or_b64 exec, exec, s[6:7]
	s_and_saveexec_b64 s[6:7], s[4:5]
	s_cbranch_execz .LBB2_29443
; %bb.51719:
	s_getpc_b64 s[14:15]
.Lpost_getpc29443:
	s_add_u32 s14, s14, (.LBB2_1543-.Lpost_getpc29443)&4294967295
	s_addc_u32 s15, s15, (.LBB2_1543-.Lpost_getpc29443)>>32
	s_setpc_b64 s[14:15]
.LBB2_29443:
	s_getpc_b64 s[14:15]
.Lpost_getpc18305:
	s_add_u32 s14, s14, (.LBB2_1544-.Lpost_getpc18305)&4294967295
	s_addc_u32 s15, s15, (.LBB2_1544-.Lpost_getpc18305)>>32
	s_setpc_b64 s[14:15]
.LBB2_15881:
	s_movk_i32 s4, 0x80
	v_cmp_eq_u16_sdwa s[12:13], v13, s4 src0_sel:BYTE_0 src1_sel:DWORD
	s_mov_b64 s[4:5], -1
                                        ; implicit-def: $sgpr10
	s_and_saveexec_b64 s[8:9], s[12:13]
; %bb.15882:
	s_mov_b32 s10, 0x7f800001
	s_xor_b64 s[4:5], exec, -1
; %bb.15883:
	s_or_b64 exec, exec, s[8:9]
	s_and_b64 s[4:5], s[4:5], exec
	s_or_saveexec_b64 s[6:7], s[6:7]
	v_mov_b32_e32 v12, s10
	s_xor_b64 exec, exec, s[6:7]
	s_cbranch_execnz .LBB2_15884
; %bb.51721:
	s_getpc_b64 s[14:15]
.Lpost_getpc29444:
	s_add_u32 s14, s14, (.LBB2_1546-.Lpost_getpc29444)&4294967295
	s_addc_u32 s15, s15, (.LBB2_1546-.Lpost_getpc29444)>>32
	s_setpc_b64 s[14:15]
.LBB2_15884:
	v_mov_b32_e32 v12, 0
	v_cmp_ne_u16_sdwa s[8:9], v13, v12 src0_sel:BYTE_0 src1_sel:DWORD
	s_andn2_b64 s[4:5], s[4:5], exec
	s_and_b64 s[8:9], s[8:9], exec
	s_or_b64 s[4:5], s[4:5], s[8:9]
	s_or_b64 exec, exec, s[6:7]
	s_and_saveexec_b64 s[6:7], s[4:5]
	s_cbranch_execz .LBB2_29445
; %bb.51723:
	s_getpc_b64 s[14:15]
.Lpost_getpc29445:
	s_add_u32 s14, s14, (.LBB2_1547-.Lpost_getpc29445)&4294967295
	s_addc_u32 s15, s15, (.LBB2_1547-.Lpost_getpc29445)>>32
	s_setpc_b64 s[14:15]
.LBB2_29445:
	s_getpc_b64 s[14:15]
.Lpost_getpc18306:
	s_add_u32 s14, s14, (.LBB2_1548-.Lpost_getpc18306)&4294967295
	s_addc_u32 s15, s15, (.LBB2_1548-.Lpost_getpc18306)>>32
	s_setpc_b64 s[14:15]
.LBB2_15885:
	s_movk_i32 s4, 0x80
	v_cmp_eq_u16_sdwa s[12:13], v13, s4 src0_sel:BYTE_0 src1_sel:DWORD
	s_mov_b64 s[4:5], -1
                                        ; implicit-def: $sgpr10
	s_and_saveexec_b64 s[8:9], s[12:13]
; %bb.15886:
	s_mov_b32 s10, 0x7f800001
	s_xor_b64 s[4:5], exec, -1
; %bb.15887:
	s_or_b64 exec, exec, s[8:9]
	s_and_b64 s[4:5], s[4:5], exec
	s_or_saveexec_b64 s[6:7], s[6:7]
	v_mov_b32_e32 v14, s10
	s_xor_b64 exec, exec, s[6:7]
	s_cbranch_execnz .LBB2_15888
; %bb.51725:
	s_getpc_b64 s[14:15]
.Lpost_getpc29446:
	s_add_u32 s14, s14, (.LBB2_1550-.Lpost_getpc29446)&4294967295
	s_addc_u32 s15, s15, (.LBB2_1550-.Lpost_getpc29446)>>32
	s_setpc_b64 s[14:15]
.LBB2_15888:
	v_mov_b32_e32 v14, 0
	v_cmp_ne_u16_sdwa s[8:9], v13, v14 src0_sel:BYTE_0 src1_sel:DWORD
	s_andn2_b64 s[4:5], s[4:5], exec
	s_and_b64 s[8:9], s[8:9], exec
	s_or_b64 s[4:5], s[4:5], s[8:9]
	s_or_b64 exec, exec, s[6:7]
	s_and_saveexec_b64 s[6:7], s[4:5]
	s_cbranch_execz .LBB2_29447
; %bb.51727:
	s_getpc_b64 s[14:15]
.Lpost_getpc29447:
	s_add_u32 s14, s14, (.LBB2_1551-.Lpost_getpc29447)&4294967295
	s_addc_u32 s15, s15, (.LBB2_1551-.Lpost_getpc29447)>>32
	s_setpc_b64 s[14:15]
.LBB2_29447:
	s_getpc_b64 s[14:15]
.Lpost_getpc18307:
	s_add_u32 s14, s14, (.LBB2_1552-.Lpost_getpc18307)&4294967295
	s_addc_u32 s15, s15, (.LBB2_1552-.Lpost_getpc18307)>>32
	s_setpc_b64 s[14:15]
.LBB2_15889:
	s_movk_i32 s4, 0x80
	v_cmp_eq_u16_e32 vcc, s4, v13
	s_mov_b64 s[4:5], -1
                                        ; implicit-def: $sgpr10
	s_and_saveexec_b64 s[8:9], vcc
; %bb.15890:
	s_mov_b32 s10, 0x7f800001
	s_xor_b64 s[4:5], exec, -1
; %bb.15891:
	s_or_b64 exec, exec, s[8:9]
	s_and_b64 s[4:5], s[4:5], exec
                                        ; implicit-def: $vgpr13
	s_or_saveexec_b64 s[6:7], s[6:7]
	v_mov_b32_e32 v12, s10
	s_xor_b64 exec, exec, s[6:7]
	s_cbranch_execnz .LBB2_15892
; %bb.51729:
	s_getpc_b64 s[14:15]
.Lpost_getpc29448:
	s_add_u32 s14, s14, (.LBB2_1554-.Lpost_getpc29448)&4294967295
	s_addc_u32 s15, s15, (.LBB2_1554-.Lpost_getpc29448)>>32
	s_setpc_b64 s[14:15]
.LBB2_15892:
	v_cmp_ne_u16_e32 vcc, 0, v13
	s_andn2_b64 s[4:5], s[4:5], exec
	s_and_b64 s[8:9], vcc, exec
	v_mov_b32_e32 v12, 0
	s_or_b64 s[4:5], s[4:5], s[8:9]
	s_or_b64 exec, exec, s[6:7]
	s_and_saveexec_b64 s[6:7], s[4:5]
	s_cbranch_execz .LBB2_29449
; %bb.51731:
	s_getpc_b64 s[14:15]
.Lpost_getpc29449:
	s_add_u32 s14, s14, (.LBB2_1555-.Lpost_getpc29449)&4294967295
	s_addc_u32 s15, s15, (.LBB2_1555-.Lpost_getpc29449)>>32
	s_setpc_b64 s[14:15]
.LBB2_29449:
	s_getpc_b64 s[14:15]
.Lpost_getpc18308:
	s_add_u32 s14, s14, (.LBB2_1556-.Lpost_getpc18308)&4294967295
	s_addc_u32 s15, s15, (.LBB2_1556-.Lpost_getpc18308)>>32
	s_setpc_b64 s[14:15]
.LBB2_15893:
	s_movk_i32 s4, 0x80
	v_cmp_eq_u16_e32 vcc, s4, v13
	s_mov_b64 s[4:5], -1
                                        ; implicit-def: $sgpr10
	s_and_saveexec_b64 s[8:9], vcc
; %bb.15894:
	s_mov_b32 s10, 0x7f800001
	s_xor_b64 s[4:5], exec, -1
; %bb.15895:
	s_or_b64 exec, exec, s[8:9]
	s_and_b64 s[4:5], s[4:5], exec
                                        ; implicit-def: $vgpr13
	s_or_saveexec_b64 s[6:7], s[6:7]
	v_mov_b32_e32 v14, s10
	s_xor_b64 exec, exec, s[6:7]
	s_cbranch_execnz .LBB2_15896
; %bb.51733:
	s_getpc_b64 s[14:15]
.Lpost_getpc29450:
	s_add_u32 s14, s14, (.LBB2_1558-.Lpost_getpc29450)&4294967295
	s_addc_u32 s15, s15, (.LBB2_1558-.Lpost_getpc29450)>>32
	s_setpc_b64 s[14:15]
.LBB2_15896:
	v_cmp_ne_u16_e32 vcc, 0, v13
	s_andn2_b64 s[4:5], s[4:5], exec
	s_and_b64 s[8:9], vcc, exec
	v_mov_b32_e32 v14, 0
	s_or_b64 s[4:5], s[4:5], s[8:9]
	s_or_b64 exec, exec, s[6:7]
	s_and_saveexec_b64 s[6:7], s[4:5]
	s_cbranch_execz .LBB2_29451
; %bb.51735:
	s_getpc_b64 s[14:15]
.Lpost_getpc29451:
	s_add_u32 s14, s14, (.LBB2_1559-.Lpost_getpc29451)&4294967295
	s_addc_u32 s15, s15, (.LBB2_1559-.Lpost_getpc29451)>>32
	s_setpc_b64 s[14:15]
.LBB2_29451:
	s_getpc_b64 s[14:15]
.Lpost_getpc18309:
	s_add_u32 s14, s14, (.LBB2_1560-.Lpost_getpc18309)&4294967295
	s_addc_u32 s15, s15, (.LBB2_1560-.Lpost_getpc18309)>>32
	s_setpc_b64 s[14:15]
.LBB2_15897:
	s_movk_i32 s4, 0x80
	v_cmp_eq_u16_sdwa s[12:13], v6, s4 src0_sel:BYTE_3 src1_sel:DWORD
	s_mov_b64 s[4:5], -1
                                        ; implicit-def: $sgpr10
	s_and_saveexec_b64 s[8:9], s[12:13]
; %bb.15898:
	s_mov_b32 s10, 0x7f800001
	s_xor_b64 s[4:5], exec, -1
; %bb.15899:
	s_or_b64 exec, exec, s[8:9]
	s_and_b64 s[4:5], s[4:5], exec
	s_or_saveexec_b64 s[6:7], s[6:7]
	v_mov_b32_e32 v12, s10
	s_xor_b64 exec, exec, s[6:7]
	s_cbranch_execnz .LBB2_15900
; %bb.51737:
	s_getpc_b64 s[14:15]
.Lpost_getpc29452:
	s_add_u32 s14, s14, (.LBB2_1562-.Lpost_getpc29452)&4294967295
	s_addc_u32 s15, s15, (.LBB2_1562-.Lpost_getpc29452)>>32
	s_setpc_b64 s[14:15]
.LBB2_15900:
	v_mov_b32_e32 v12, 0
	v_cmp_ne_u16_sdwa s[8:9], v6, v12 src0_sel:BYTE_3 src1_sel:DWORD
	s_andn2_b64 s[4:5], s[4:5], exec
	s_and_b64 s[8:9], s[8:9], exec
	s_or_b64 s[4:5], s[4:5], s[8:9]
	s_or_b64 exec, exec, s[6:7]
	s_and_saveexec_b64 s[6:7], s[4:5]
	s_cbranch_execz .LBB2_29453
; %bb.51739:
	s_getpc_b64 s[14:15]
.Lpost_getpc29453:
	s_add_u32 s14, s14, (.LBB2_1563-.Lpost_getpc29453)&4294967295
	s_addc_u32 s15, s15, (.LBB2_1563-.Lpost_getpc29453)>>32
	s_setpc_b64 s[14:15]
.LBB2_29453:
	s_getpc_b64 s[14:15]
.Lpost_getpc18310:
	s_add_u32 s14, s14, (.LBB2_1564-.Lpost_getpc18310)&4294967295
	s_addc_u32 s15, s15, (.LBB2_1564-.Lpost_getpc18310)>>32
	s_setpc_b64 s[14:15]
.LBB2_15901:
	s_movk_i32 s4, 0x80
	v_cmp_eq_u16_sdwa s[12:13], v2, s4 src0_sel:BYTE_3 src1_sel:DWORD
	s_mov_b64 s[4:5], -1
                                        ; implicit-def: $sgpr10
	s_and_saveexec_b64 s[8:9], s[12:13]
; %bb.15902:
	s_mov_b32 s10, 0x7f800001
	s_xor_b64 s[4:5], exec, -1
; %bb.15903:
	s_or_b64 exec, exec, s[8:9]
	s_and_b64 s[4:5], s[4:5], exec
	s_or_saveexec_b64 s[6:7], s[6:7]
	v_mov_b32_e32 v6, s10
	s_xor_b64 exec, exec, s[6:7]
	s_cbranch_execnz .LBB2_15904
; %bb.51741:
	s_getpc_b64 s[14:15]
.Lpost_getpc29454:
	s_add_u32 s14, s14, (.LBB2_1566-.Lpost_getpc29454)&4294967295
	s_addc_u32 s15, s15, (.LBB2_1566-.Lpost_getpc29454)>>32
	s_setpc_b64 s[14:15]
.LBB2_15904:
	v_mov_b32_e32 v6, 0
	v_cmp_ne_u16_sdwa s[8:9], v2, v6 src0_sel:BYTE_3 src1_sel:DWORD
	s_andn2_b64 s[4:5], s[4:5], exec
	s_and_b64 s[8:9], s[8:9], exec
	s_or_b64 s[4:5], s[4:5], s[8:9]
	s_or_b64 exec, exec, s[6:7]
	s_and_saveexec_b64 s[6:7], s[4:5]
	s_cbranch_execz .LBB2_29455
; %bb.51743:
	s_getpc_b64 s[14:15]
.Lpost_getpc29455:
	s_add_u32 s14, s14, (.LBB2_1567-.Lpost_getpc29455)&4294967295
	s_addc_u32 s15, s15, (.LBB2_1567-.Lpost_getpc29455)>>32
	s_setpc_b64 s[14:15]
.LBB2_29455:
	s_getpc_b64 s[14:15]
.Lpost_getpc18311:
	s_add_u32 s14, s14, (.LBB2_1568-.Lpost_getpc18311)&4294967295
	s_addc_u32 s15, s15, (.LBB2_1568-.Lpost_getpc18311)>>32
	s_setpc_b64 s[14:15]
.LBB2_15905:
	s_movk_i32 s4, 0x80
	v_cmp_eq_u16_sdwa s[12:13], v7, s4 src0_sel:BYTE_0 src1_sel:DWORD
	s_mov_b64 s[4:5], -1
                                        ; implicit-def: $sgpr10
	s_and_saveexec_b64 s[8:9], s[12:13]
; %bb.15906:
	s_mov_b32 s10, 0x7f800001
	s_xor_b64 s[4:5], exec, -1
; %bb.15907:
	s_or_b64 exec, exec, s[8:9]
	s_and_b64 s[4:5], s[4:5], exec
	s_or_saveexec_b64 s[6:7], s[6:7]
	v_mov_b32_e32 v2, s10
	s_xor_b64 exec, exec, s[6:7]
	s_cbranch_execnz .LBB2_15908
; %bb.51745:
	s_getpc_b64 s[14:15]
.Lpost_getpc29456:
	s_add_u32 s14, s14, (.LBB2_1570-.Lpost_getpc29456)&4294967295
	s_addc_u32 s15, s15, (.LBB2_1570-.Lpost_getpc29456)>>32
	s_setpc_b64 s[14:15]
.LBB2_15908:
	v_mov_b32_e32 v2, 0
	v_cmp_ne_u16_sdwa s[8:9], v7, v2 src0_sel:BYTE_0 src1_sel:DWORD
	s_andn2_b64 s[4:5], s[4:5], exec
	s_and_b64 s[8:9], s[8:9], exec
	s_or_b64 s[4:5], s[4:5], s[8:9]
	s_or_b64 exec, exec, s[6:7]
	s_and_saveexec_b64 s[6:7], s[4:5]
	s_cbranch_execz .LBB2_29457
; %bb.51747:
	s_getpc_b64 s[14:15]
.Lpost_getpc29457:
	s_add_u32 s14, s14, (.LBB2_1571-.Lpost_getpc29457)&4294967295
	s_addc_u32 s15, s15, (.LBB2_1571-.Lpost_getpc29457)>>32
	s_setpc_b64 s[14:15]
.LBB2_29457:
	s_getpc_b64 s[14:15]
.Lpost_getpc18312:
	s_add_u32 s14, s14, (.LBB2_1572-.Lpost_getpc18312)&4294967295
	s_addc_u32 s15, s15, (.LBB2_1572-.Lpost_getpc18312)>>32
	s_setpc_b64 s[14:15]
.LBB2_15909:
	s_movk_i32 s4, 0x80
	v_cmp_eq_u16_sdwa s[12:13], v3, s4 src0_sel:BYTE_0 src1_sel:DWORD
	s_mov_b64 s[4:5], -1
                                        ; implicit-def: $sgpr10
	s_and_saveexec_b64 s[8:9], s[12:13]
; %bb.15910:
	s_mov_b32 s10, 0x7f800001
	s_xor_b64 s[4:5], exec, -1
; %bb.15911:
	s_or_b64 exec, exec, s[8:9]
	s_and_b64 s[4:5], s[4:5], exec
	s_or_saveexec_b64 s[6:7], s[6:7]
	v_mov_b32_e32 v6, s10
	s_xor_b64 exec, exec, s[6:7]
	s_cbranch_execnz .LBB2_15912
; %bb.51749:
	s_getpc_b64 s[14:15]
.Lpost_getpc29458:
	s_add_u32 s14, s14, (.LBB2_1574-.Lpost_getpc29458)&4294967295
	s_addc_u32 s15, s15, (.LBB2_1574-.Lpost_getpc29458)>>32
	s_setpc_b64 s[14:15]
.LBB2_15912:
	v_mov_b32_e32 v6, 0
	v_cmp_ne_u16_sdwa s[8:9], v3, v6 src0_sel:BYTE_0 src1_sel:DWORD
	s_andn2_b64 s[4:5], s[4:5], exec
	s_and_b64 s[8:9], s[8:9], exec
	s_or_b64 s[4:5], s[4:5], s[8:9]
	s_or_b64 exec, exec, s[6:7]
	s_and_saveexec_b64 s[6:7], s[4:5]
	s_cbranch_execz .LBB2_29459
; %bb.51751:
	s_getpc_b64 s[14:15]
.Lpost_getpc29459:
	s_add_u32 s14, s14, (.LBB2_1575-.Lpost_getpc29459)&4294967295
	s_addc_u32 s15, s15, (.LBB2_1575-.Lpost_getpc29459)>>32
	s_setpc_b64 s[14:15]
.LBB2_29459:
	s_getpc_b64 s[14:15]
.Lpost_getpc18313:
	s_add_u32 s14, s14, (.LBB2_1576-.Lpost_getpc18313)&4294967295
	s_addc_u32 s15, s15, (.LBB2_1576-.Lpost_getpc18313)>>32
	s_setpc_b64 s[14:15]
.LBB2_15913:
	s_movk_i32 s4, 0x80
	v_cmp_eq_u16_sdwa s[12:13], v6, s4 src0_sel:BYTE_0 src1_sel:DWORD
	s_mov_b64 s[4:5], -1
                                        ; implicit-def: $sgpr10
	s_and_saveexec_b64 s[8:9], s[12:13]
; %bb.15914:
	s_mov_b32 s10, 0x7f800001
	s_xor_b64 s[4:5], exec, -1
; %bb.15915:
	s_or_b64 exec, exec, s[8:9]
	s_and_b64 s[4:5], s[4:5], exec
	s_or_saveexec_b64 s[6:7], s[6:7]
	v_mov_b32_e32 v2, s10
	s_xor_b64 exec, exec, s[6:7]
	s_cbranch_execnz .LBB2_15916
; %bb.51753:
	s_getpc_b64 s[14:15]
.Lpost_getpc29460:
	s_add_u32 s14, s14, (.LBB2_1578-.Lpost_getpc29460)&4294967295
	s_addc_u32 s15, s15, (.LBB2_1578-.Lpost_getpc29460)>>32
	s_setpc_b64 s[14:15]
.LBB2_15916:
	v_mov_b32_e32 v2, 0
	v_cmp_ne_u16_sdwa s[8:9], v6, v2 src0_sel:BYTE_0 src1_sel:DWORD
	s_andn2_b64 s[4:5], s[4:5], exec
	s_and_b64 s[8:9], s[8:9], exec
	s_or_b64 s[4:5], s[4:5], s[8:9]
	s_or_b64 exec, exec, s[6:7]
	s_and_saveexec_b64 s[6:7], s[4:5]
	s_cbranch_execz .LBB2_29461
; %bb.51755:
	s_getpc_b64 s[14:15]
.Lpost_getpc29461:
	s_add_u32 s14, s14, (.LBB2_1579-.Lpost_getpc29461)&4294967295
	s_addc_u32 s15, s15, (.LBB2_1579-.Lpost_getpc29461)>>32
	s_setpc_b64 s[14:15]
.LBB2_29461:
	s_getpc_b64 s[14:15]
.Lpost_getpc18314:
	s_add_u32 s14, s14, (.LBB2_1580-.Lpost_getpc18314)&4294967295
	s_addc_u32 s15, s15, (.LBB2_1580-.Lpost_getpc18314)>>32
	s_setpc_b64 s[14:15]
.LBB2_15917:
	s_movk_i32 s4, 0x80
	v_cmp_eq_u16_sdwa s[12:13], v6, s4 src0_sel:BYTE_0 src1_sel:DWORD
	s_mov_b64 s[4:5], -1
                                        ; implicit-def: $sgpr10
	s_and_saveexec_b64 s[8:9], s[12:13]
; %bb.15918:
	s_mov_b32 s10, 0x7f800001
	s_xor_b64 s[4:5], exec, -1
; %bb.15919:
	s_or_b64 exec, exec, s[8:9]
	s_and_b64 s[4:5], s[4:5], exec
	s_or_saveexec_b64 s[6:7], s[6:7]
	v_mov_b32_e32 v12, s10
	s_xor_b64 exec, exec, s[6:7]
	s_cbranch_execnz .LBB2_15920
; %bb.51757:
	s_getpc_b64 s[14:15]
.Lpost_getpc29462:
	s_add_u32 s14, s14, (.LBB2_1582-.Lpost_getpc29462)&4294967295
	s_addc_u32 s15, s15, (.LBB2_1582-.Lpost_getpc29462)>>32
	s_setpc_b64 s[14:15]
.LBB2_15920:
	v_mov_b32_e32 v12, 0
	v_cmp_ne_u16_sdwa s[8:9], v6, v12 src0_sel:BYTE_0 src1_sel:DWORD
	s_andn2_b64 s[4:5], s[4:5], exec
	s_and_b64 s[8:9], s[8:9], exec
	s_or_b64 s[4:5], s[4:5], s[8:9]
	s_or_b64 exec, exec, s[6:7]
	s_and_saveexec_b64 s[6:7], s[4:5]
	s_cbranch_execz .LBB2_29463
; %bb.51759:
	s_getpc_b64 s[14:15]
.Lpost_getpc29463:
	s_add_u32 s14, s14, (.LBB2_1583-.Lpost_getpc29463)&4294967295
	s_addc_u32 s15, s15, (.LBB2_1583-.Lpost_getpc29463)>>32
	s_setpc_b64 s[14:15]
.LBB2_29463:
	s_getpc_b64 s[14:15]
.Lpost_getpc18315:
	s_add_u32 s14, s14, (.LBB2_1584-.Lpost_getpc18315)&4294967295
	s_addc_u32 s15, s15, (.LBB2_1584-.Lpost_getpc18315)>>32
	s_setpc_b64 s[14:15]
.LBB2_15921:
	s_movk_i32 s4, 0x80
	v_cmp_eq_u16_e32 vcc, s4, v6
	s_mov_b64 s[4:5], -1
                                        ; implicit-def: $sgpr10
	s_and_saveexec_b64 s[8:9], vcc
; %bb.15922:
	s_mov_b32 s10, 0x7f800001
	s_xor_b64 s[4:5], exec, -1
; %bb.15923:
	s_or_b64 exec, exec, s[8:9]
	s_and_b64 s[4:5], s[4:5], exec
                                        ; implicit-def: $vgpr6
	s_or_saveexec_b64 s[6:7], s[6:7]
	v_mov_b32_e32 v2, s10
	s_xor_b64 exec, exec, s[6:7]
	s_cbranch_execnz .LBB2_15924
; %bb.51761:
	s_getpc_b64 s[14:15]
.Lpost_getpc29464:
	s_add_u32 s14, s14, (.LBB2_1586-.Lpost_getpc29464)&4294967295
	s_addc_u32 s15, s15, (.LBB2_1586-.Lpost_getpc29464)>>32
	s_setpc_b64 s[14:15]
.LBB2_15924:
	v_cmp_ne_u16_e32 vcc, 0, v6
	s_andn2_b64 s[4:5], s[4:5], exec
	s_and_b64 s[8:9], vcc, exec
	v_mov_b32_e32 v2, 0
	s_or_b64 s[4:5], s[4:5], s[8:9]
	s_or_b64 exec, exec, s[6:7]
	s_and_saveexec_b64 s[6:7], s[4:5]
	s_cbranch_execz .LBB2_29465
; %bb.51763:
	s_getpc_b64 s[14:15]
.Lpost_getpc29465:
	s_add_u32 s14, s14, (.LBB2_1587-.Lpost_getpc29465)&4294967295
	s_addc_u32 s15, s15, (.LBB2_1587-.Lpost_getpc29465)>>32
	s_setpc_b64 s[14:15]
.LBB2_29465:
	s_getpc_b64 s[14:15]
.Lpost_getpc18316:
	s_add_u32 s14, s14, (.LBB2_1588-.Lpost_getpc18316)&4294967295
	s_addc_u32 s15, s15, (.LBB2_1588-.Lpost_getpc18316)>>32
	s_setpc_b64 s[14:15]
.LBB2_15925:
	s_movk_i32 s4, 0x80
	v_cmp_eq_u16_e32 vcc, s4, v6
	s_mov_b64 s[4:5], -1
                                        ; implicit-def: $sgpr10
	s_and_saveexec_b64 s[8:9], vcc
; %bb.15926:
	s_mov_b32 s10, 0x7f800001
	s_xor_b64 s[4:5], exec, -1
; %bb.15927:
	s_or_b64 exec, exec, s[8:9]
	s_and_b64 s[4:5], s[4:5], exec
                                        ; implicit-def: $vgpr6
	s_or_saveexec_b64 s[6:7], s[6:7]
	v_mov_b32_e32 v12, s10
	s_xor_b64 exec, exec, s[6:7]
	s_cbranch_execnz .LBB2_15928
; %bb.51765:
	s_getpc_b64 s[14:15]
.Lpost_getpc29466:
	s_add_u32 s14, s14, (.LBB2_1590-.Lpost_getpc29466)&4294967295
	s_addc_u32 s15, s15, (.LBB2_1590-.Lpost_getpc29466)>>32
	s_setpc_b64 s[14:15]
.LBB2_15928:
	v_cmp_ne_u16_e32 vcc, 0, v6
	s_andn2_b64 s[4:5], s[4:5], exec
	s_and_b64 s[8:9], vcc, exec
	v_mov_b32_e32 v12, 0
	s_or_b64 s[4:5], s[4:5], s[8:9]
	s_or_b64 exec, exec, s[6:7]
	s_and_saveexec_b64 s[6:7], s[4:5]
	s_cbranch_execz .LBB2_29467
; %bb.51767:
	s_getpc_b64 s[14:15]
.Lpost_getpc29467:
	s_add_u32 s14, s14, (.LBB2_1591-.Lpost_getpc29467)&4294967295
	s_addc_u32 s15, s15, (.LBB2_1591-.Lpost_getpc29467)>>32
	s_setpc_b64 s[14:15]
.LBB2_29467:
	s_getpc_b64 s[14:15]
.Lpost_getpc18317:
	s_add_u32 s14, s14, (.LBB2_1592-.Lpost_getpc18317)&4294967295
	s_addc_u32 s15, s15, (.LBB2_1592-.Lpost_getpc18317)>>32
	s_setpc_b64 s[14:15]
.LBB2_15929:
	s_movk_i32 s4, 0x80
	v_cmp_eq_u16_sdwa s[12:13], v7, s4 src0_sel:BYTE_3 src1_sel:DWORD
	s_mov_b64 s[4:5], -1
                                        ; implicit-def: $sgpr10
	s_and_saveexec_b64 s[8:9], s[12:13]
; %bb.15930:
	s_mov_b32 s10, 0x7f800001
	s_xor_b64 s[4:5], exec, -1
; %bb.15931:
	s_or_b64 exec, exec, s[8:9]
	s_and_b64 s[4:5], s[4:5], exec
	s_or_saveexec_b64 s[6:7], s[6:7]
	v_mov_b32_e32 v2, s10
	s_xor_b64 exec, exec, s[6:7]
	s_cbranch_execnz .LBB2_15932
; %bb.51769:
	s_getpc_b64 s[14:15]
.Lpost_getpc29468:
	s_add_u32 s14, s14, (.LBB2_1594-.Lpost_getpc29468)&4294967295
	s_addc_u32 s15, s15, (.LBB2_1594-.Lpost_getpc29468)>>32
	s_setpc_b64 s[14:15]
.LBB2_15932:
	v_mov_b32_e32 v2, 0
	v_cmp_ne_u16_sdwa s[8:9], v7, v2 src0_sel:BYTE_3 src1_sel:DWORD
	s_andn2_b64 s[4:5], s[4:5], exec
	s_and_b64 s[8:9], s[8:9], exec
	s_or_b64 s[4:5], s[4:5], s[8:9]
	s_or_b64 exec, exec, s[6:7]
	s_and_saveexec_b64 s[6:7], s[4:5]
	s_cbranch_execz .LBB2_29469
; %bb.51771:
	s_getpc_b64 s[14:15]
.Lpost_getpc29469:
	s_add_u32 s14, s14, (.LBB2_1595-.Lpost_getpc29469)&4294967295
	s_addc_u32 s15, s15, (.LBB2_1595-.Lpost_getpc29469)>>32
	s_setpc_b64 s[14:15]
.LBB2_29469:
	s_getpc_b64 s[14:15]
.Lpost_getpc18318:
	s_add_u32 s14, s14, (.LBB2_1596-.Lpost_getpc18318)&4294967295
	s_addc_u32 s15, s15, (.LBB2_1596-.Lpost_getpc18318)>>32
	s_setpc_b64 s[14:15]
.LBB2_15933:
	s_movk_i32 s4, 0x80
	v_cmp_eq_u16_sdwa s[12:13], v3, s4 src0_sel:BYTE_3 src1_sel:DWORD
	s_mov_b64 s[4:5], -1
                                        ; implicit-def: $sgpr10
	s_and_saveexec_b64 s[8:9], s[12:13]
; %bb.15934:
	s_mov_b32 s10, 0x7f800001
	s_xor_b64 s[4:5], exec, -1
; %bb.15935:
	s_or_b64 exec, exec, s[8:9]
	s_and_b64 s[4:5], s[4:5], exec
	s_or_saveexec_b64 s[6:7], s[6:7]
	v_mov_b32_e32 v6, s10
	s_xor_b64 exec, exec, s[6:7]
	s_cbranch_execnz .LBB2_15936
; %bb.51773:
	s_getpc_b64 s[14:15]
.Lpost_getpc29470:
	s_add_u32 s14, s14, (.LBB2_1598-.Lpost_getpc29470)&4294967295
	s_addc_u32 s15, s15, (.LBB2_1598-.Lpost_getpc29470)>>32
	s_setpc_b64 s[14:15]
.LBB2_15936:
	v_mov_b32_e32 v6, 0
	v_cmp_ne_u16_sdwa s[8:9], v3, v6 src0_sel:BYTE_3 src1_sel:DWORD
	s_andn2_b64 s[4:5], s[4:5], exec
	s_and_b64 s[8:9], s[8:9], exec
	s_or_b64 s[4:5], s[4:5], s[8:9]
	s_or_b64 exec, exec, s[6:7]
	s_and_saveexec_b64 s[6:7], s[4:5]
	s_cbranch_execz .LBB2_29471
; %bb.51775:
	s_getpc_b64 s[14:15]
.Lpost_getpc29471:
	s_add_u32 s14, s14, (.LBB2_1599-.Lpost_getpc29471)&4294967295
	s_addc_u32 s15, s15, (.LBB2_1599-.Lpost_getpc29471)>>32
	s_setpc_b64 s[14:15]
.LBB2_29471:
	s_getpc_b64 s[14:15]
.Lpost_getpc18319:
	s_add_u32 s14, s14, (.LBB2_1600-.Lpost_getpc18319)&4294967295
	s_addc_u32 s15, s15, (.LBB2_1600-.Lpost_getpc18319)>>32
	s_setpc_b64 s[14:15]
.LBB2_15937:
	s_movk_i32 s4, 0x80
	v_cmp_eq_u16_sdwa s[12:13], v8, s4 src0_sel:BYTE_0 src1_sel:DWORD
	s_mov_b64 s[4:5], -1
                                        ; implicit-def: $sgpr10
	s_and_saveexec_b64 s[8:9], s[12:13]
; %bb.15938:
	s_mov_b32 s10, 0x7f800001
	s_xor_b64 s[4:5], exec, -1
; %bb.15939:
	s_or_b64 exec, exec, s[8:9]
	s_and_b64 s[4:5], s[4:5], exec
	s_or_saveexec_b64 s[6:7], s[6:7]
	v_mov_b32_e32 v2, s10
	s_xor_b64 exec, exec, s[6:7]
	s_cbranch_execnz .LBB2_15940
; %bb.51777:
	s_getpc_b64 s[14:15]
.Lpost_getpc29472:
	s_add_u32 s14, s14, (.LBB2_1602-.Lpost_getpc29472)&4294967295
	s_addc_u32 s15, s15, (.LBB2_1602-.Lpost_getpc29472)>>32
	s_setpc_b64 s[14:15]
.LBB2_15940:
	v_mov_b32_e32 v2, 0
	v_cmp_ne_u16_sdwa s[8:9], v8, v2 src0_sel:BYTE_0 src1_sel:DWORD
	s_andn2_b64 s[4:5], s[4:5], exec
	s_and_b64 s[8:9], s[8:9], exec
	s_or_b64 s[4:5], s[4:5], s[8:9]
	s_or_b64 exec, exec, s[6:7]
	s_and_saveexec_b64 s[6:7], s[4:5]
	s_cbranch_execz .LBB2_29473
; %bb.51779:
	s_getpc_b64 s[14:15]
.Lpost_getpc29473:
	s_add_u32 s14, s14, (.LBB2_1603-.Lpost_getpc29473)&4294967295
	s_addc_u32 s15, s15, (.LBB2_1603-.Lpost_getpc29473)>>32
	s_setpc_b64 s[14:15]
.LBB2_29473:
	s_getpc_b64 s[14:15]
.Lpost_getpc18320:
	s_add_u32 s14, s14, (.LBB2_1604-.Lpost_getpc18320)&4294967295
	s_addc_u32 s15, s15, (.LBB2_1604-.Lpost_getpc18320)>>32
	s_setpc_b64 s[14:15]
.LBB2_15941:
	s_movk_i32 s4, 0x80
	v_cmp_eq_u16_sdwa s[12:13], v4, s4 src0_sel:BYTE_0 src1_sel:DWORD
	s_mov_b64 s[4:5], -1
                                        ; implicit-def: $sgpr10
	s_and_saveexec_b64 s[8:9], s[12:13]
; %bb.15942:
	s_mov_b32 s10, 0x7f800001
	s_xor_b64 s[4:5], exec, -1
; %bb.15943:
	s_or_b64 exec, exec, s[8:9]
	s_and_b64 s[4:5], s[4:5], exec
	s_or_saveexec_b64 s[6:7], s[6:7]
	v_mov_b32_e32 v3, s10
	s_xor_b64 exec, exec, s[6:7]
	s_cbranch_execnz .LBB2_15944
; %bb.51781:
	s_getpc_b64 s[14:15]
.Lpost_getpc29474:
	s_add_u32 s14, s14, (.LBB2_1606-.Lpost_getpc29474)&4294967295
	s_addc_u32 s15, s15, (.LBB2_1606-.Lpost_getpc29474)>>32
	s_setpc_b64 s[14:15]
.LBB2_15944:
	v_mov_b32_e32 v3, 0
	v_cmp_ne_u16_sdwa s[8:9], v4, v3 src0_sel:BYTE_0 src1_sel:DWORD
	s_andn2_b64 s[4:5], s[4:5], exec
	s_and_b64 s[8:9], s[8:9], exec
	s_or_b64 s[4:5], s[4:5], s[8:9]
	s_or_b64 exec, exec, s[6:7]
	s_and_saveexec_b64 s[6:7], s[4:5]
	s_cbranch_execz .LBB2_29475
; %bb.51783:
	s_getpc_b64 s[14:15]
.Lpost_getpc29475:
	s_add_u32 s14, s14, (.LBB2_1607-.Lpost_getpc29475)&4294967295
	s_addc_u32 s15, s15, (.LBB2_1607-.Lpost_getpc29475)>>32
	s_setpc_b64 s[14:15]
.LBB2_29475:
	s_getpc_b64 s[14:15]
.Lpost_getpc18321:
	s_add_u32 s14, s14, (.LBB2_1608-.Lpost_getpc18321)&4294967295
	s_addc_u32 s15, s15, (.LBB2_1608-.Lpost_getpc18321)>>32
	s_setpc_b64 s[14:15]
.LBB2_15945:
	s_movk_i32 s4, 0x80
	v_cmp_eq_u16_sdwa s[12:13], v3, s4 src0_sel:BYTE_0 src1_sel:DWORD
	s_mov_b64 s[4:5], -1
                                        ; implicit-def: $sgpr10
	s_and_saveexec_b64 s[8:9], s[12:13]
; %bb.15946:
	s_mov_b32 s10, 0x7f800001
	s_xor_b64 s[4:5], exec, -1
; %bb.15947:
	s_or_b64 exec, exec, s[8:9]
	s_and_b64 s[4:5], s[4:5], exec
	s_or_saveexec_b64 s[6:7], s[6:7]
	v_mov_b32_e32 v2, s10
	s_xor_b64 exec, exec, s[6:7]
	s_cbranch_execnz .LBB2_15948
; %bb.51785:
	s_getpc_b64 s[14:15]
.Lpost_getpc29476:
	s_add_u32 s14, s14, (.LBB2_1610-.Lpost_getpc29476)&4294967295
	s_addc_u32 s15, s15, (.LBB2_1610-.Lpost_getpc29476)>>32
	s_setpc_b64 s[14:15]
.LBB2_15948:
	v_mov_b32_e32 v2, 0
	v_cmp_ne_u16_sdwa s[8:9], v3, v2 src0_sel:BYTE_0 src1_sel:DWORD
	s_andn2_b64 s[4:5], s[4:5], exec
	s_and_b64 s[8:9], s[8:9], exec
	s_or_b64 s[4:5], s[4:5], s[8:9]
	s_or_b64 exec, exec, s[6:7]
	s_and_saveexec_b64 s[6:7], s[4:5]
	s_cbranch_execz .LBB2_29477
; %bb.51787:
	s_getpc_b64 s[14:15]
.Lpost_getpc29477:
	s_add_u32 s14, s14, (.LBB2_1611-.Lpost_getpc29477)&4294967295
	s_addc_u32 s15, s15, (.LBB2_1611-.Lpost_getpc29477)>>32
	s_setpc_b64 s[14:15]
.LBB2_29477:
	s_getpc_b64 s[14:15]
.Lpost_getpc18322:
	s_add_u32 s14, s14, (.LBB2_1612-.Lpost_getpc18322)&4294967295
	s_addc_u32 s15, s15, (.LBB2_1612-.Lpost_getpc18322)>>32
	s_setpc_b64 s[14:15]
.LBB2_15949:
	s_movk_i32 s4, 0x80
	v_cmp_eq_u16_sdwa s[12:13], v3, s4 src0_sel:BYTE_0 src1_sel:DWORD
	s_mov_b64 s[4:5], -1
                                        ; implicit-def: $sgpr10
	s_and_saveexec_b64 s[8:9], s[12:13]
; %bb.15950:
	s_mov_b32 s10, 0x7f800001
	s_xor_b64 s[4:5], exec, -1
; %bb.15951:
	s_or_b64 exec, exec, s[8:9]
	s_and_b64 s[4:5], s[4:5], exec
	s_or_saveexec_b64 s[6:7], s[6:7]
	v_mov_b32_e32 v6, s10
	s_xor_b64 exec, exec, s[6:7]
	s_cbranch_execnz .LBB2_15952
; %bb.51789:
	s_getpc_b64 s[14:15]
.Lpost_getpc29478:
	s_add_u32 s14, s14, (.LBB2_1614-.Lpost_getpc29478)&4294967295
	s_addc_u32 s15, s15, (.LBB2_1614-.Lpost_getpc29478)>>32
	s_setpc_b64 s[14:15]
.LBB2_15952:
	v_mov_b32_e32 v6, 0
	v_cmp_ne_u16_sdwa s[8:9], v3, v6 src0_sel:BYTE_0 src1_sel:DWORD
	s_andn2_b64 s[4:5], s[4:5], exec
	s_and_b64 s[8:9], s[8:9], exec
	s_or_b64 s[4:5], s[4:5], s[8:9]
	s_or_b64 exec, exec, s[6:7]
	s_and_saveexec_b64 s[6:7], s[4:5]
	s_cbranch_execz .LBB2_29479
; %bb.51791:
	s_getpc_b64 s[14:15]
.Lpost_getpc29479:
	s_add_u32 s14, s14, (.LBB2_1615-.Lpost_getpc29479)&4294967295
	s_addc_u32 s15, s15, (.LBB2_1615-.Lpost_getpc29479)>>32
	s_setpc_b64 s[14:15]
.LBB2_29479:
	s_getpc_b64 s[14:15]
.Lpost_getpc18323:
	s_add_u32 s14, s14, (.LBB2_1616-.Lpost_getpc18323)&4294967295
	s_addc_u32 s15, s15, (.LBB2_1616-.Lpost_getpc18323)>>32
	s_setpc_b64 s[14:15]
.LBB2_15953:
	s_movk_i32 s4, 0x80
	v_cmp_eq_u16_e32 vcc, s4, v3
	s_mov_b64 s[4:5], -1
                                        ; implicit-def: $sgpr10
	s_and_saveexec_b64 s[8:9], vcc
; %bb.15954:
	s_mov_b32 s10, 0x7f800001
	s_xor_b64 s[4:5], exec, -1
; %bb.15955:
	s_or_b64 exec, exec, s[8:9]
	s_and_b64 s[4:5], s[4:5], exec
                                        ; implicit-def: $vgpr3
	s_or_saveexec_b64 s[6:7], s[6:7]
	v_mov_b32_e32 v2, s10
	s_xor_b64 exec, exec, s[6:7]
	s_cbranch_execnz .LBB2_15956
; %bb.51793:
	s_getpc_b64 s[14:15]
.Lpost_getpc29480:
	s_add_u32 s14, s14, (.LBB2_1618-.Lpost_getpc29480)&4294967295
	s_addc_u32 s15, s15, (.LBB2_1618-.Lpost_getpc29480)>>32
	s_setpc_b64 s[14:15]
.LBB2_15956:
	v_cmp_ne_u16_e32 vcc, 0, v3
	s_andn2_b64 s[4:5], s[4:5], exec
	s_and_b64 s[8:9], vcc, exec
	v_mov_b32_e32 v2, 0
	s_or_b64 s[4:5], s[4:5], s[8:9]
	s_or_b64 exec, exec, s[6:7]
	s_and_saveexec_b64 s[6:7], s[4:5]
	s_cbranch_execz .LBB2_29481
; %bb.51795:
	s_getpc_b64 s[14:15]
.Lpost_getpc29481:
	s_add_u32 s14, s14, (.LBB2_1619-.Lpost_getpc29481)&4294967295
	s_addc_u32 s15, s15, (.LBB2_1619-.Lpost_getpc29481)>>32
	s_setpc_b64 s[14:15]
.LBB2_29481:
	s_getpc_b64 s[14:15]
.Lpost_getpc18324:
	s_add_u32 s14, s14, (.LBB2_1620-.Lpost_getpc18324)&4294967295
	s_addc_u32 s15, s15, (.LBB2_1620-.Lpost_getpc18324)>>32
	s_setpc_b64 s[14:15]
.LBB2_15957:
	s_movk_i32 s4, 0x80
	v_cmp_eq_u16_e32 vcc, s4, v3
	s_mov_b64 s[4:5], -1
                                        ; implicit-def: $sgpr10
	s_and_saveexec_b64 s[8:9], vcc
; %bb.15958:
	s_mov_b32 s10, 0x7f800001
	s_xor_b64 s[4:5], exec, -1
; %bb.15959:
	s_or_b64 exec, exec, s[8:9]
	s_and_b64 s[4:5], s[4:5], exec
                                        ; implicit-def: $vgpr3
	s_or_saveexec_b64 s[6:7], s[6:7]
	v_mov_b32_e32 v6, s10
	s_xor_b64 exec, exec, s[6:7]
	s_cbranch_execnz .LBB2_15960
; %bb.51797:
	s_getpc_b64 s[14:15]
.Lpost_getpc29482:
	s_add_u32 s14, s14, (.LBB2_1622-.Lpost_getpc29482)&4294967295
	s_addc_u32 s15, s15, (.LBB2_1622-.Lpost_getpc29482)>>32
	s_setpc_b64 s[14:15]
.LBB2_15960:
	v_cmp_ne_u16_e32 vcc, 0, v3
	s_andn2_b64 s[4:5], s[4:5], exec
	s_and_b64 s[8:9], vcc, exec
	v_mov_b32_e32 v6, 0
	s_or_b64 s[4:5], s[4:5], s[8:9]
	s_or_b64 exec, exec, s[6:7]
	s_and_saveexec_b64 s[6:7], s[4:5]
	s_cbranch_execz .LBB2_29483
; %bb.51799:
	s_getpc_b64 s[14:15]
.Lpost_getpc29483:
	s_add_u32 s14, s14, (.LBB2_1623-.Lpost_getpc29483)&4294967295
	s_addc_u32 s15, s15, (.LBB2_1623-.Lpost_getpc29483)>>32
	s_setpc_b64 s[14:15]
.LBB2_29483:
	s_getpc_b64 s[14:15]
.Lpost_getpc18325:
	s_add_u32 s14, s14, (.LBB2_1624-.Lpost_getpc18325)&4294967295
	s_addc_u32 s15, s15, (.LBB2_1624-.Lpost_getpc18325)>>32
	s_setpc_b64 s[14:15]
.LBB2_15961:
	s_movk_i32 s4, 0x80
	v_cmp_eq_u16_sdwa s[12:13], v8, s4 src0_sel:BYTE_3 src1_sel:DWORD
	s_mov_b64 s[4:5], -1
                                        ; implicit-def: $sgpr10
	s_and_saveexec_b64 s[8:9], s[12:13]
; %bb.15962:
	s_mov_b32 s10, 0x7f800001
	s_xor_b64 s[4:5], exec, -1
; %bb.15963:
	s_or_b64 exec, exec, s[8:9]
	s_and_b64 s[4:5], s[4:5], exec
	s_or_saveexec_b64 s[6:7], s[6:7]
	v_mov_b32_e32 v2, s10
	s_xor_b64 exec, exec, s[6:7]
	s_cbranch_execnz .LBB2_15964
; %bb.51801:
	s_getpc_b64 s[14:15]
.Lpost_getpc29484:
	s_add_u32 s14, s14, (.LBB2_1626-.Lpost_getpc29484)&4294967295
	s_addc_u32 s15, s15, (.LBB2_1626-.Lpost_getpc29484)>>32
	s_setpc_b64 s[14:15]
.LBB2_15964:
	v_mov_b32_e32 v2, 0
	v_cmp_ne_u16_sdwa s[8:9], v8, v2 src0_sel:BYTE_3 src1_sel:DWORD
	s_andn2_b64 s[4:5], s[4:5], exec
	s_and_b64 s[8:9], s[8:9], exec
	s_or_b64 s[4:5], s[4:5], s[8:9]
	s_or_b64 exec, exec, s[6:7]
	s_and_saveexec_b64 s[6:7], s[4:5]
	s_cbranch_execz .LBB2_29485
; %bb.51803:
	s_getpc_b64 s[14:15]
.Lpost_getpc29485:
	s_add_u32 s14, s14, (.LBB2_1627-.Lpost_getpc29485)&4294967295
	s_addc_u32 s15, s15, (.LBB2_1627-.Lpost_getpc29485)>>32
	s_setpc_b64 s[14:15]
.LBB2_29485:
	s_getpc_b64 s[14:15]
.Lpost_getpc18326:
	s_add_u32 s14, s14, (.LBB2_1628-.Lpost_getpc18326)&4294967295
	s_addc_u32 s15, s15, (.LBB2_1628-.Lpost_getpc18326)>>32
	s_setpc_b64 s[14:15]
.LBB2_15965:
	s_movk_i32 s4, 0x80
	v_cmp_eq_u16_sdwa s[12:13], v4, s4 src0_sel:BYTE_3 src1_sel:DWORD
	s_mov_b64 s[4:5], -1
                                        ; implicit-def: $sgpr10
	s_and_saveexec_b64 s[8:9], s[12:13]
; %bb.15966:
	s_mov_b32 s10, 0x7f800001
	s_xor_b64 s[4:5], exec, -1
; %bb.15967:
	s_or_b64 exec, exec, s[8:9]
	s_and_b64 s[4:5], s[4:5], exec
	s_or_saveexec_b64 s[6:7], s[6:7]
	v_mov_b32_e32 v3, s10
	s_xor_b64 exec, exec, s[6:7]
	s_cbranch_execnz .LBB2_15968
; %bb.51805:
	s_getpc_b64 s[14:15]
.Lpost_getpc29486:
	s_add_u32 s14, s14, (.LBB2_1630-.Lpost_getpc29486)&4294967295
	s_addc_u32 s15, s15, (.LBB2_1630-.Lpost_getpc29486)>>32
	s_setpc_b64 s[14:15]
.LBB2_15968:
	v_mov_b32_e32 v3, 0
	v_cmp_ne_u16_sdwa s[8:9], v4, v3 src0_sel:BYTE_3 src1_sel:DWORD
	s_andn2_b64 s[4:5], s[4:5], exec
	s_and_b64 s[8:9], s[8:9], exec
	s_or_b64 s[4:5], s[4:5], s[8:9]
	s_or_b64 exec, exec, s[6:7]
	s_and_saveexec_b64 s[6:7], s[4:5]
	s_cbranch_execz .LBB2_29487
; %bb.51807:
	s_getpc_b64 s[14:15]
.Lpost_getpc29487:
	s_add_u32 s14, s14, (.LBB2_1631-.Lpost_getpc29487)&4294967295
	s_addc_u32 s15, s15, (.LBB2_1631-.Lpost_getpc29487)>>32
	s_setpc_b64 s[14:15]
.LBB2_29487:
	s_getpc_b64 s[14:15]
.Lpost_getpc18327:
	s_add_u32 s14, s14, (.LBB2_1632-.Lpost_getpc18327)&4294967295
	s_addc_u32 s15, s15, (.LBB2_1632-.Lpost_getpc18327)>>32
	s_setpc_b64 s[14:15]
.LBB2_15969:
	s_movk_i32 s4, 0x80
	v_cmp_eq_u16_sdwa s[12:13], v9, s4 src0_sel:BYTE_0 src1_sel:DWORD
	s_mov_b64 s[4:5], -1
                                        ; implicit-def: $sgpr10
	s_and_saveexec_b64 s[8:9], s[12:13]
; %bb.15970:
	s_mov_b32 s10, 0x7f800001
	s_xor_b64 s[4:5], exec, -1
; %bb.15971:
	s_or_b64 exec, exec, s[8:9]
	s_and_b64 s[4:5], s[4:5], exec
	s_or_saveexec_b64 s[6:7], s[6:7]
	v_mov_b32_e32 v2, s10
	s_xor_b64 exec, exec, s[6:7]
	s_cbranch_execnz .LBB2_15972
; %bb.51809:
	s_getpc_b64 s[14:15]
.Lpost_getpc29488:
	s_add_u32 s14, s14, (.LBB2_1634-.Lpost_getpc29488)&4294967295
	s_addc_u32 s15, s15, (.LBB2_1634-.Lpost_getpc29488)>>32
	s_setpc_b64 s[14:15]
.LBB2_15972:
	v_mov_b32_e32 v2, 0
	v_cmp_ne_u16_sdwa s[8:9], v9, v2 src0_sel:BYTE_0 src1_sel:DWORD
	s_andn2_b64 s[4:5], s[4:5], exec
	s_and_b64 s[8:9], s[8:9], exec
	s_or_b64 s[4:5], s[4:5], s[8:9]
	s_or_b64 exec, exec, s[6:7]
	s_and_saveexec_b64 s[6:7], s[4:5]
	s_cbranch_execz .LBB2_29489
; %bb.51811:
	s_getpc_b64 s[14:15]
.Lpost_getpc29489:
	s_add_u32 s14, s14, (.LBB2_1635-.Lpost_getpc29489)&4294967295
	s_addc_u32 s15, s15, (.LBB2_1635-.Lpost_getpc29489)>>32
	s_setpc_b64 s[14:15]
.LBB2_29489:
	s_getpc_b64 s[14:15]
.Lpost_getpc18328:
	s_add_u32 s14, s14, (.LBB2_1636-.Lpost_getpc18328)&4294967295
	s_addc_u32 s15, s15, (.LBB2_1636-.Lpost_getpc18328)>>32
	s_setpc_b64 s[14:15]
.LBB2_15973:
	s_movk_i32 s4, 0x80
	v_cmp_eq_u16_sdwa s[12:13], v5, s4 src0_sel:BYTE_0 src1_sel:DWORD
	s_mov_b64 s[4:5], -1
                                        ; implicit-def: $sgpr10
	s_and_saveexec_b64 s[8:9], s[12:13]
; %bb.15974:
	s_mov_b32 s10, 0x7f800001
	s_xor_b64 s[4:5], exec, -1
; %bb.15975:
	s_or_b64 exec, exec, s[8:9]
	s_and_b64 s[4:5], s[4:5], exec
	s_or_saveexec_b64 s[6:7], s[6:7]
	v_mov_b32_e32 v3, s10
	s_xor_b64 exec, exec, s[6:7]
	s_cbranch_execnz .LBB2_15976
; %bb.51813:
	s_getpc_b64 s[14:15]
.Lpost_getpc29490:
	s_add_u32 s14, s14, (.LBB2_1638-.Lpost_getpc29490)&4294967295
	s_addc_u32 s15, s15, (.LBB2_1638-.Lpost_getpc29490)>>32
	s_setpc_b64 s[14:15]
.LBB2_15976:
	v_mov_b32_e32 v3, 0
	v_cmp_ne_u16_sdwa s[8:9], v5, v3 src0_sel:BYTE_0 src1_sel:DWORD
	s_andn2_b64 s[4:5], s[4:5], exec
	s_and_b64 s[8:9], s[8:9], exec
	s_or_b64 s[4:5], s[4:5], s[8:9]
	s_or_b64 exec, exec, s[6:7]
	s_and_saveexec_b64 s[6:7], s[4:5]
	s_cbranch_execz .LBB2_29491
; %bb.51815:
	s_getpc_b64 s[14:15]
.Lpost_getpc29491:
	s_add_u32 s14, s14, (.LBB2_1639-.Lpost_getpc29491)&4294967295
	s_addc_u32 s15, s15, (.LBB2_1639-.Lpost_getpc29491)>>32
	s_setpc_b64 s[14:15]
.LBB2_29491:
	s_getpc_b64 s[14:15]
.Lpost_getpc18329:
	s_add_u32 s14, s14, (.LBB2_1640-.Lpost_getpc18329)&4294967295
	s_addc_u32 s15, s15, (.LBB2_1640-.Lpost_getpc18329)>>32
	s_setpc_b64 s[14:15]
.LBB2_15977:
	s_movk_i32 s4, 0x80
	v_cmp_eq_u16_sdwa s[12:13], v3, s4 src0_sel:BYTE_0 src1_sel:DWORD
	s_mov_b64 s[4:5], -1
                                        ; implicit-def: $sgpr10
	s_and_saveexec_b64 s[8:9], s[12:13]
; %bb.15978:
	s_mov_b32 s10, 0x7f800001
	s_xor_b64 s[4:5], exec, -1
; %bb.15979:
	s_or_b64 exec, exec, s[8:9]
	s_and_b64 s[4:5], s[4:5], exec
	s_or_saveexec_b64 s[6:7], s[6:7]
	v_mov_b32_e32 v2, s10
	s_xor_b64 exec, exec, s[6:7]
	s_cbranch_execnz .LBB2_15980
; %bb.51817:
	s_getpc_b64 s[14:15]
.Lpost_getpc29492:
	s_add_u32 s14, s14, (.LBB2_1642-.Lpost_getpc29492)&4294967295
	s_addc_u32 s15, s15, (.LBB2_1642-.Lpost_getpc29492)>>32
	s_setpc_b64 s[14:15]
.LBB2_15980:
	v_mov_b32_e32 v2, 0
	v_cmp_ne_u16_sdwa s[8:9], v3, v2 src0_sel:BYTE_0 src1_sel:DWORD
	s_andn2_b64 s[4:5], s[4:5], exec
	s_and_b64 s[8:9], s[8:9], exec
	s_or_b64 s[4:5], s[4:5], s[8:9]
	s_or_b64 exec, exec, s[6:7]
	s_and_saveexec_b64 s[6:7], s[4:5]
	s_cbranch_execz .LBB2_29493
; %bb.51819:
	s_getpc_b64 s[14:15]
.Lpost_getpc29493:
	s_add_u32 s14, s14, (.LBB2_1643-.Lpost_getpc29493)&4294967295
	s_addc_u32 s15, s15, (.LBB2_1643-.Lpost_getpc29493)>>32
	s_setpc_b64 s[14:15]
.LBB2_29493:
	s_getpc_b64 s[14:15]
.Lpost_getpc18330:
	s_add_u32 s14, s14, (.LBB2_1644-.Lpost_getpc18330)&4294967295
	s_addc_u32 s15, s15, (.LBB2_1644-.Lpost_getpc18330)>>32
	s_setpc_b64 s[14:15]
.LBB2_15981:
	s_movk_i32 s4, 0x80
	v_cmp_eq_u16_sdwa s[12:13], v3, s4 src0_sel:BYTE_0 src1_sel:DWORD
	s_mov_b64 s[4:5], -1
                                        ; implicit-def: $sgpr10
	s_and_saveexec_b64 s[8:9], s[12:13]
; %bb.15982:
	s_mov_b32 s10, 0x7f800001
	s_xor_b64 s[4:5], exec, -1
; %bb.15983:
	s_or_b64 exec, exec, s[8:9]
	s_and_b64 s[4:5], s[4:5], exec
	s_or_saveexec_b64 s[6:7], s[6:7]
	v_mov_b32_e32 v4, s10
	s_xor_b64 exec, exec, s[6:7]
	s_cbranch_execnz .LBB2_15984
; %bb.51821:
	s_getpc_b64 s[14:15]
.Lpost_getpc29494:
	s_add_u32 s14, s14, (.LBB2_1646-.Lpost_getpc29494)&4294967295
	s_addc_u32 s15, s15, (.LBB2_1646-.Lpost_getpc29494)>>32
	s_setpc_b64 s[14:15]
.LBB2_15984:
	v_mov_b32_e32 v4, 0
	v_cmp_ne_u16_sdwa s[8:9], v3, v4 src0_sel:BYTE_0 src1_sel:DWORD
	s_andn2_b64 s[4:5], s[4:5], exec
	s_and_b64 s[8:9], s[8:9], exec
	s_or_b64 s[4:5], s[4:5], s[8:9]
	s_or_b64 exec, exec, s[6:7]
	s_and_saveexec_b64 s[6:7], s[4:5]
	s_cbranch_execz .LBB2_29495
; %bb.51823:
	s_getpc_b64 s[14:15]
.Lpost_getpc29495:
	s_add_u32 s14, s14, (.LBB2_1647-.Lpost_getpc29495)&4294967295
	s_addc_u32 s15, s15, (.LBB2_1647-.Lpost_getpc29495)>>32
	s_setpc_b64 s[14:15]
.LBB2_29495:
	s_getpc_b64 s[14:15]
.Lpost_getpc18331:
	s_add_u32 s14, s14, (.LBB2_1648-.Lpost_getpc18331)&4294967295
	s_addc_u32 s15, s15, (.LBB2_1648-.Lpost_getpc18331)>>32
	s_setpc_b64 s[14:15]
.LBB2_15985:
	s_movk_i32 s4, 0x80
	v_cmp_eq_u16_e32 vcc, s4, v3
	s_mov_b64 s[4:5], -1
                                        ; implicit-def: $sgpr10
	s_and_saveexec_b64 s[8:9], vcc
; %bb.15986:
	s_mov_b32 s10, 0x7f800001
	s_xor_b64 s[4:5], exec, -1
; %bb.15987:
	s_or_b64 exec, exec, s[8:9]
	s_and_b64 s[4:5], s[4:5], exec
                                        ; implicit-def: $vgpr3
	s_or_saveexec_b64 s[6:7], s[6:7]
	v_mov_b32_e32 v2, s10
	s_xor_b64 exec, exec, s[6:7]
	s_cbranch_execnz .LBB2_15988
; %bb.51825:
	s_getpc_b64 s[14:15]
.Lpost_getpc29496:
	s_add_u32 s14, s14, (.LBB2_1650-.Lpost_getpc29496)&4294967295
	s_addc_u32 s15, s15, (.LBB2_1650-.Lpost_getpc29496)>>32
	s_setpc_b64 s[14:15]
.LBB2_15988:
	v_cmp_ne_u16_e32 vcc, 0, v3
	s_andn2_b64 s[4:5], s[4:5], exec
	s_and_b64 s[8:9], vcc, exec
	v_mov_b32_e32 v2, 0
	s_or_b64 s[4:5], s[4:5], s[8:9]
	s_or_b64 exec, exec, s[6:7]
	s_and_saveexec_b64 s[6:7], s[4:5]
	s_cbranch_execz .LBB2_29497
; %bb.51827:
	s_getpc_b64 s[14:15]
.Lpost_getpc29497:
	s_add_u32 s14, s14, (.LBB2_1651-.Lpost_getpc29497)&4294967295
	s_addc_u32 s15, s15, (.LBB2_1651-.Lpost_getpc29497)>>32
	s_setpc_b64 s[14:15]
.LBB2_29497:
	s_getpc_b64 s[14:15]
.Lpost_getpc18332:
	s_add_u32 s14, s14, (.LBB2_1652-.Lpost_getpc18332)&4294967295
	s_addc_u32 s15, s15, (.LBB2_1652-.Lpost_getpc18332)>>32
	s_setpc_b64 s[14:15]
.LBB2_15989:
	s_movk_i32 s4, 0x80
	v_cmp_eq_u16_e32 vcc, s4, v3
	s_mov_b64 s[4:5], -1
                                        ; implicit-def: $sgpr10
	s_and_saveexec_b64 s[8:9], vcc
; %bb.15990:
	s_mov_b32 s10, 0x7f800001
	s_xor_b64 s[4:5], exec, -1
; %bb.15991:
	s_or_b64 exec, exec, s[8:9]
	s_and_b64 s[4:5], s[4:5], exec
                                        ; implicit-def: $vgpr3
	s_or_saveexec_b64 s[6:7], s[6:7]
	v_mov_b32_e32 v4, s10
	s_xor_b64 exec, exec, s[6:7]
	s_cbranch_execnz .LBB2_15992
; %bb.51829:
	s_getpc_b64 s[14:15]
.Lpost_getpc29498:
	s_add_u32 s14, s14, (.LBB2_1654-.Lpost_getpc29498)&4294967295
	s_addc_u32 s15, s15, (.LBB2_1654-.Lpost_getpc29498)>>32
	s_setpc_b64 s[14:15]
.LBB2_15992:
	v_cmp_ne_u16_e32 vcc, 0, v3
	s_andn2_b64 s[4:5], s[4:5], exec
	s_and_b64 s[8:9], vcc, exec
	v_mov_b32_e32 v4, 0
	s_or_b64 s[4:5], s[4:5], s[8:9]
	s_or_b64 exec, exec, s[6:7]
	s_and_saveexec_b64 s[6:7], s[4:5]
	s_cbranch_execz .LBB2_29499
; %bb.51831:
	s_getpc_b64 s[14:15]
.Lpost_getpc29499:
	s_add_u32 s14, s14, (.LBB2_1655-.Lpost_getpc29499)&4294967295
	s_addc_u32 s15, s15, (.LBB2_1655-.Lpost_getpc29499)>>32
	s_setpc_b64 s[14:15]
.LBB2_29499:
	s_getpc_b64 s[14:15]
.Lpost_getpc18333:
	s_add_u32 s14, s14, (.LBB2_1656-.Lpost_getpc18333)&4294967295
	s_addc_u32 s15, s15, (.LBB2_1656-.Lpost_getpc18333)>>32
	s_setpc_b64 s[14:15]
.LBB2_15993:
	s_movk_i32 s4, 0x80
	v_cmp_eq_u16_sdwa s[12:13], v9, s4 src0_sel:BYTE_3 src1_sel:DWORD
	s_mov_b64 s[4:5], -1
                                        ; implicit-def: $sgpr10
	s_and_saveexec_b64 s[8:9], s[12:13]
; %bb.15994:
	s_mov_b32 s10, 0x7f800001
	s_xor_b64 s[4:5], exec, -1
; %bb.15995:
	s_or_b64 exec, exec, s[8:9]
	s_and_b64 s[4:5], s[4:5], exec
	s_or_saveexec_b64 s[6:7], s[6:7]
	v_mov_b32_e32 v2, s10
	s_xor_b64 exec, exec, s[6:7]
	s_cbranch_execnz .LBB2_15996
; %bb.51833:
	s_getpc_b64 s[14:15]
.Lpost_getpc29500:
	s_add_u32 s14, s14, (.LBB2_1658-.Lpost_getpc29500)&4294967295
	s_addc_u32 s15, s15, (.LBB2_1658-.Lpost_getpc29500)>>32
	s_setpc_b64 s[14:15]
.LBB2_15996:
	v_mov_b32_e32 v2, 0
	v_cmp_ne_u16_sdwa s[8:9], v9, v2 src0_sel:BYTE_3 src1_sel:DWORD
	s_andn2_b64 s[4:5], s[4:5], exec
	s_and_b64 s[8:9], s[8:9], exec
	s_or_b64 s[4:5], s[4:5], s[8:9]
	s_or_b64 exec, exec, s[6:7]
	s_and_saveexec_b64 s[6:7], s[4:5]
	s_cbranch_execz .LBB2_29501
; %bb.51835:
	s_getpc_b64 s[14:15]
.Lpost_getpc29501:
	s_add_u32 s14, s14, (.LBB2_1659-.Lpost_getpc29501)&4294967295
	s_addc_u32 s15, s15, (.LBB2_1659-.Lpost_getpc29501)>>32
	s_setpc_b64 s[14:15]
.LBB2_29501:
	s_getpc_b64 s[14:15]
.Lpost_getpc18334:
	s_add_u32 s14, s14, (.LBB2_1660-.Lpost_getpc18334)&4294967295
	s_addc_u32 s15, s15, (.LBB2_1660-.Lpost_getpc18334)>>32
	s_setpc_b64 s[14:15]
.LBB2_15997:
	s_movk_i32 s4, 0x80
	v_cmp_eq_u16_sdwa s[12:13], v5, s4 src0_sel:BYTE_3 src1_sel:DWORD
	s_mov_b64 s[4:5], -1
                                        ; implicit-def: $sgpr10
	s_and_saveexec_b64 s[8:9], s[12:13]
; %bb.15998:
	s_mov_b32 s10, 0x7f800001
	s_xor_b64 s[4:5], exec, -1
; %bb.15999:
	s_or_b64 exec, exec, s[8:9]
	s_and_b64 s[4:5], s[4:5], exec
	s_or_saveexec_b64 s[6:7], s[6:7]
	v_mov_b32_e32 v3, s10
	s_xor_b64 exec, exec, s[6:7]
	s_cbranch_execnz .LBB2_16000
; %bb.51837:
	s_getpc_b64 s[14:15]
.Lpost_getpc29502:
	s_add_u32 s14, s14, (.LBB2_1662-.Lpost_getpc29502)&4294967295
	s_addc_u32 s15, s15, (.LBB2_1662-.Lpost_getpc29502)>>32
	s_setpc_b64 s[14:15]
.LBB2_16000:
	v_mov_b32_e32 v3, 0
	v_cmp_ne_u16_sdwa s[8:9], v5, v3 src0_sel:BYTE_3 src1_sel:DWORD
	s_andn2_b64 s[4:5], s[4:5], exec
	s_and_b64 s[8:9], s[8:9], exec
	s_or_b64 s[4:5], s[4:5], s[8:9]
	s_or_b64 exec, exec, s[6:7]
	s_and_saveexec_b64 s[6:7], s[4:5]
	s_cbranch_execz .LBB2_29503
; %bb.51839:
	s_getpc_b64 s[14:15]
.Lpost_getpc29503:
	s_add_u32 s14, s14, (.LBB2_1663-.Lpost_getpc29503)&4294967295
	s_addc_u32 s15, s15, (.LBB2_1663-.Lpost_getpc29503)>>32
	s_setpc_b64 s[14:15]
.LBB2_29503:
	s_getpc_b64 s[14:15]
.Lpost_getpc18335:
	s_add_u32 s14, s14, (.LBB2_1664-.Lpost_getpc18335)&4294967295
	s_addc_u32 s15, s15, (.LBB2_1664-.Lpost_getpc18335)>>32
	s_setpc_b64 s[14:15]
.LBB2_16001:
	s_movk_i32 s4, 0x80
	v_cmp_eq_u16_sdwa s[12:13], v6, s4 src0_sel:BYTE_0 src1_sel:DWORD
	s_mov_b64 s[4:5], -1
                                        ; implicit-def: $sgpr10
	s_and_saveexec_b64 s[8:9], s[12:13]
; %bb.16002:
	s_mov_b32 s10, 0x7f800001
	s_xor_b64 s[4:5], exec, -1
; %bb.16003:
	s_or_b64 exec, exec, s[8:9]
	s_and_b64 s[4:5], s[4:5], exec
	s_or_saveexec_b64 s[6:7], s[6:7]
	v_mov_b32_e32 v12, s10
	s_xor_b64 exec, exec, s[6:7]
	s_cbranch_execnz .LBB2_16004
; %bb.51841:
	s_getpc_b64 s[14:15]
.Lpost_getpc29504:
	s_add_u32 s14, s14, (.LBB2_1666-.Lpost_getpc29504)&4294967295
	s_addc_u32 s15, s15, (.LBB2_1666-.Lpost_getpc29504)>>32
	s_setpc_b64 s[14:15]
.LBB2_16004:
	v_mov_b32_e32 v12, 0
	v_cmp_ne_u16_sdwa s[8:9], v6, v12 src0_sel:BYTE_0 src1_sel:DWORD
	s_andn2_b64 s[4:5], s[4:5], exec
	s_and_b64 s[8:9], s[8:9], exec
	s_or_b64 s[4:5], s[4:5], s[8:9]
	s_or_b64 exec, exec, s[6:7]
	s_and_saveexec_b64 s[6:7], s[4:5]
	s_cbranch_execz .LBB2_29505
; %bb.51843:
	s_getpc_b64 s[14:15]
.Lpost_getpc29505:
	s_add_u32 s14, s14, (.LBB2_1667-.Lpost_getpc29505)&4294967295
	s_addc_u32 s15, s15, (.LBB2_1667-.Lpost_getpc29505)>>32
	s_setpc_b64 s[14:15]
.LBB2_29505:
	s_getpc_b64 s[14:15]
.Lpost_getpc18336:
	s_add_u32 s14, s14, (.LBB2_1668-.Lpost_getpc18336)&4294967295
	s_addc_u32 s15, s15, (.LBB2_1668-.Lpost_getpc18336)>>32
	s_setpc_b64 s[14:15]
.LBB2_16005:
	s_movk_i32 s4, 0x80
	v_cmp_eq_u16_sdwa s[12:13], v2, s4 src0_sel:BYTE_0 src1_sel:DWORD
	s_mov_b64 s[4:5], -1
                                        ; implicit-def: $sgpr10
	s_and_saveexec_b64 s[8:9], s[12:13]
; %bb.16006:
	s_mov_b32 s10, 0x7f800001
	s_xor_b64 s[4:5], exec, -1
; %bb.16007:
	s_or_b64 exec, exec, s[8:9]
	s_and_b64 s[4:5], s[4:5], exec
	s_or_saveexec_b64 s[6:7], s[6:7]
	v_mov_b32_e32 v13, s10
	s_xor_b64 exec, exec, s[6:7]
	s_cbranch_execnz .LBB2_16008
; %bb.51845:
	s_getpc_b64 s[14:15]
.Lpost_getpc29506:
	s_add_u32 s14, s14, (.LBB2_1670-.Lpost_getpc29506)&4294967295
	s_addc_u32 s15, s15, (.LBB2_1670-.Lpost_getpc29506)>>32
	s_setpc_b64 s[14:15]
.LBB2_16008:
	v_mov_b32_e32 v13, 0
	v_cmp_ne_u16_sdwa s[8:9], v2, v13 src0_sel:BYTE_0 src1_sel:DWORD
	s_andn2_b64 s[4:5], s[4:5], exec
	s_and_b64 s[8:9], s[8:9], exec
	s_or_b64 s[4:5], s[4:5], s[8:9]
	s_or_b64 exec, exec, s[6:7]
	s_and_saveexec_b64 s[6:7], s[4:5]
	s_cbranch_execz .LBB2_29507
; %bb.51847:
	s_getpc_b64 s[14:15]
.Lpost_getpc29507:
	s_add_u32 s14, s14, (.LBB2_1671-.Lpost_getpc29507)&4294967295
	s_addc_u32 s15, s15, (.LBB2_1671-.Lpost_getpc29507)>>32
	s_setpc_b64 s[14:15]
.LBB2_29507:
	s_getpc_b64 s[14:15]
.Lpost_getpc18337:
	s_add_u32 s14, s14, (.LBB2_1672-.Lpost_getpc18337)&4294967295
	s_addc_u32 s15, s15, (.LBB2_1672-.Lpost_getpc18337)>>32
	s_setpc_b64 s[14:15]
.LBB2_16009:
	s_movk_i32 s4, 0x80
	v_cmp_eq_u16_sdwa s[12:13], v13, s4 src0_sel:BYTE_0 src1_sel:DWORD
	s_mov_b64 s[4:5], -1
                                        ; implicit-def: $sgpr10
	s_and_saveexec_b64 s[8:9], s[12:13]
; %bb.16010:
	s_mov_b32 s10, 0x7f800001
	s_xor_b64 s[4:5], exec, -1
; %bb.16011:
	s_or_b64 exec, exec, s[8:9]
	s_and_b64 s[4:5], s[4:5], exec
	s_or_saveexec_b64 s[6:7], s[6:7]
	v_mov_b32_e32 v12, s10
	s_xor_b64 exec, exec, s[6:7]
	s_cbranch_execnz .LBB2_16012
; %bb.51849:
	s_getpc_b64 s[14:15]
.Lpost_getpc29508:
	s_add_u32 s14, s14, (.LBB2_1674-.Lpost_getpc29508)&4294967295
	s_addc_u32 s15, s15, (.LBB2_1674-.Lpost_getpc29508)>>32
	s_setpc_b64 s[14:15]
.LBB2_16012:
	v_mov_b32_e32 v12, 0
	v_cmp_ne_u16_sdwa s[8:9], v13, v12 src0_sel:BYTE_0 src1_sel:DWORD
	s_andn2_b64 s[4:5], s[4:5], exec
	s_and_b64 s[8:9], s[8:9], exec
	s_or_b64 s[4:5], s[4:5], s[8:9]
	s_or_b64 exec, exec, s[6:7]
	s_and_saveexec_b64 s[6:7], s[4:5]
	s_cbranch_execz .LBB2_29509
; %bb.51851:
	s_getpc_b64 s[14:15]
.Lpost_getpc29509:
	s_add_u32 s14, s14, (.LBB2_1675-.Lpost_getpc29509)&4294967295
	s_addc_u32 s15, s15, (.LBB2_1675-.Lpost_getpc29509)>>32
	s_setpc_b64 s[14:15]
.LBB2_29509:
	s_getpc_b64 s[14:15]
.Lpost_getpc18338:
	s_add_u32 s14, s14, (.LBB2_1676-.Lpost_getpc18338)&4294967295
	s_addc_u32 s15, s15, (.LBB2_1676-.Lpost_getpc18338)>>32
	s_setpc_b64 s[14:15]
.LBB2_16013:
	s_movk_i32 s4, 0x80
	v_cmp_eq_u16_sdwa s[12:13], v13, s4 src0_sel:BYTE_0 src1_sel:DWORD
	s_mov_b64 s[4:5], -1
                                        ; implicit-def: $sgpr10
	s_and_saveexec_b64 s[8:9], s[12:13]
; %bb.16014:
	s_mov_b32 s10, 0x7f800001
	s_xor_b64 s[4:5], exec, -1
; %bb.16015:
	s_or_b64 exec, exec, s[8:9]
	s_and_b64 s[4:5], s[4:5], exec
	s_or_saveexec_b64 s[6:7], s[6:7]
	v_mov_b32_e32 v14, s10
	s_xor_b64 exec, exec, s[6:7]
	s_cbranch_execnz .LBB2_16016
; %bb.51853:
	s_getpc_b64 s[14:15]
.Lpost_getpc29510:
	s_add_u32 s14, s14, (.LBB2_1678-.Lpost_getpc29510)&4294967295
	s_addc_u32 s15, s15, (.LBB2_1678-.Lpost_getpc29510)>>32
	s_setpc_b64 s[14:15]
.LBB2_16016:
	v_mov_b32_e32 v14, 0
	v_cmp_ne_u16_sdwa s[8:9], v13, v14 src0_sel:BYTE_0 src1_sel:DWORD
	s_andn2_b64 s[4:5], s[4:5], exec
	s_and_b64 s[8:9], s[8:9], exec
	s_or_b64 s[4:5], s[4:5], s[8:9]
	s_or_b64 exec, exec, s[6:7]
	s_and_saveexec_b64 s[6:7], s[4:5]
	s_cbranch_execz .LBB2_29511
; %bb.51855:
	s_getpc_b64 s[14:15]
.Lpost_getpc29511:
	s_add_u32 s14, s14, (.LBB2_1679-.Lpost_getpc29511)&4294967295
	s_addc_u32 s15, s15, (.LBB2_1679-.Lpost_getpc29511)>>32
	s_setpc_b64 s[14:15]
.LBB2_29511:
	s_getpc_b64 s[14:15]
.Lpost_getpc18339:
	s_add_u32 s14, s14, (.LBB2_1680-.Lpost_getpc18339)&4294967295
	s_addc_u32 s15, s15, (.LBB2_1680-.Lpost_getpc18339)>>32
	s_setpc_b64 s[14:15]
.LBB2_16017:
	s_movk_i32 s4, 0x80
	v_cmp_eq_u16_e32 vcc, s4, v13
	s_mov_b64 s[4:5], -1
                                        ; implicit-def: $sgpr10
	s_and_saveexec_b64 s[8:9], vcc
; %bb.16018:
	s_mov_b32 s10, 0x7f800001
	s_xor_b64 s[4:5], exec, -1
; %bb.16019:
	s_or_b64 exec, exec, s[8:9]
	s_and_b64 s[4:5], s[4:5], exec
                                        ; implicit-def: $vgpr13
	s_or_saveexec_b64 s[6:7], s[6:7]
	v_mov_b32_e32 v12, s10
	s_xor_b64 exec, exec, s[6:7]
	s_cbranch_execnz .LBB2_16020
; %bb.51857:
	s_getpc_b64 s[14:15]
.Lpost_getpc29512:
	s_add_u32 s14, s14, (.LBB2_1682-.Lpost_getpc29512)&4294967295
	s_addc_u32 s15, s15, (.LBB2_1682-.Lpost_getpc29512)>>32
	s_setpc_b64 s[14:15]
.LBB2_16020:
	v_cmp_ne_u16_e32 vcc, 0, v13
	s_andn2_b64 s[4:5], s[4:5], exec
	s_and_b64 s[8:9], vcc, exec
	v_mov_b32_e32 v12, 0
	s_or_b64 s[4:5], s[4:5], s[8:9]
	s_or_b64 exec, exec, s[6:7]
	s_and_saveexec_b64 s[6:7], s[4:5]
	s_cbranch_execz .LBB2_29513
; %bb.51859:
	s_getpc_b64 s[14:15]
.Lpost_getpc29513:
	s_add_u32 s14, s14, (.LBB2_1683-.Lpost_getpc29513)&4294967295
	s_addc_u32 s15, s15, (.LBB2_1683-.Lpost_getpc29513)>>32
	s_setpc_b64 s[14:15]
.LBB2_29513:
	s_getpc_b64 s[14:15]
.Lpost_getpc18340:
	s_add_u32 s14, s14, (.LBB2_1684-.Lpost_getpc18340)&4294967295
	s_addc_u32 s15, s15, (.LBB2_1684-.Lpost_getpc18340)>>32
	s_setpc_b64 s[14:15]
.LBB2_16021:
	s_movk_i32 s4, 0x80
	v_cmp_eq_u16_e32 vcc, s4, v13
	s_mov_b64 s[4:5], -1
                                        ; implicit-def: $sgpr10
	s_and_saveexec_b64 s[8:9], vcc
; %bb.16022:
	s_mov_b32 s10, 0x7f800001
	s_xor_b64 s[4:5], exec, -1
; %bb.16023:
	s_or_b64 exec, exec, s[8:9]
	s_and_b64 s[4:5], s[4:5], exec
                                        ; implicit-def: $vgpr13
	s_or_saveexec_b64 s[6:7], s[6:7]
	v_mov_b32_e32 v14, s10
	s_xor_b64 exec, exec, s[6:7]
	s_cbranch_execnz .LBB2_16024
; %bb.51861:
	s_getpc_b64 s[14:15]
.Lpost_getpc29514:
	s_add_u32 s14, s14, (.LBB2_1686-.Lpost_getpc29514)&4294967295
	s_addc_u32 s15, s15, (.LBB2_1686-.Lpost_getpc29514)>>32
	s_setpc_b64 s[14:15]
.LBB2_16024:
	v_cmp_ne_u16_e32 vcc, 0, v13
	s_andn2_b64 s[4:5], s[4:5], exec
	s_and_b64 s[8:9], vcc, exec
	v_mov_b32_e32 v14, 0
	s_or_b64 s[4:5], s[4:5], s[8:9]
	s_or_b64 exec, exec, s[6:7]
	s_and_saveexec_b64 s[6:7], s[4:5]
	s_cbranch_execz .LBB2_29515
; %bb.51863:
	s_getpc_b64 s[14:15]
.Lpost_getpc29515:
	s_add_u32 s14, s14, (.LBB2_1687-.Lpost_getpc29515)&4294967295
	s_addc_u32 s15, s15, (.LBB2_1687-.Lpost_getpc29515)>>32
	s_setpc_b64 s[14:15]
.LBB2_29515:
	s_getpc_b64 s[14:15]
.Lpost_getpc18341:
	s_add_u32 s14, s14, (.LBB2_1688-.Lpost_getpc18341)&4294967295
	s_addc_u32 s15, s15, (.LBB2_1688-.Lpost_getpc18341)>>32
	s_setpc_b64 s[14:15]
.LBB2_16025:
	s_movk_i32 s4, 0x80
	v_cmp_eq_u16_sdwa s[12:13], v6, s4 src0_sel:BYTE_3 src1_sel:DWORD
	s_mov_b64 s[4:5], -1
                                        ; implicit-def: $sgpr10
	s_and_saveexec_b64 s[8:9], s[12:13]
; %bb.16026:
	s_mov_b32 s10, 0x7f800001
	s_xor_b64 s[4:5], exec, -1
; %bb.16027:
	s_or_b64 exec, exec, s[8:9]
	s_and_b64 s[4:5], s[4:5], exec
	s_or_saveexec_b64 s[6:7], s[6:7]
	v_mov_b32_e32 v12, s10
	s_xor_b64 exec, exec, s[6:7]
	s_cbranch_execnz .LBB2_16028
; %bb.51865:
	s_getpc_b64 s[14:15]
.Lpost_getpc29516:
	s_add_u32 s14, s14, (.LBB2_1690-.Lpost_getpc29516)&4294967295
	s_addc_u32 s15, s15, (.LBB2_1690-.Lpost_getpc29516)>>32
	s_setpc_b64 s[14:15]
.LBB2_16028:
	v_mov_b32_e32 v12, 0
	v_cmp_ne_u16_sdwa s[8:9], v6, v12 src0_sel:BYTE_3 src1_sel:DWORD
	s_andn2_b64 s[4:5], s[4:5], exec
	s_and_b64 s[8:9], s[8:9], exec
	s_or_b64 s[4:5], s[4:5], s[8:9]
	s_or_b64 exec, exec, s[6:7]
	s_and_saveexec_b64 s[6:7], s[4:5]
	s_cbranch_execz .LBB2_29517
; %bb.51867:
	s_getpc_b64 s[14:15]
.Lpost_getpc29517:
	s_add_u32 s14, s14, (.LBB2_1691-.Lpost_getpc29517)&4294967295
	s_addc_u32 s15, s15, (.LBB2_1691-.Lpost_getpc29517)>>32
	s_setpc_b64 s[14:15]
.LBB2_29517:
	s_getpc_b64 s[14:15]
.Lpost_getpc18342:
	s_add_u32 s14, s14, (.LBB2_1692-.Lpost_getpc18342)&4294967295
	s_addc_u32 s15, s15, (.LBB2_1692-.Lpost_getpc18342)>>32
	s_setpc_b64 s[14:15]
.LBB2_16029:
	s_movk_i32 s4, 0x80
	v_cmp_eq_u16_sdwa s[12:13], v2, s4 src0_sel:BYTE_3 src1_sel:DWORD
	s_mov_b64 s[4:5], -1
                                        ; implicit-def: $sgpr10
	s_and_saveexec_b64 s[8:9], s[12:13]
; %bb.16030:
	s_mov_b32 s10, 0x7f800001
	s_xor_b64 s[4:5], exec, -1
; %bb.16031:
	s_or_b64 exec, exec, s[8:9]
	s_and_b64 s[4:5], s[4:5], exec
	s_or_saveexec_b64 s[6:7], s[6:7]
	v_mov_b32_e32 v6, s10
	s_xor_b64 exec, exec, s[6:7]
	s_cbranch_execnz .LBB2_16032
; %bb.51869:
	s_getpc_b64 s[14:15]
.Lpost_getpc29518:
	s_add_u32 s14, s14, (.LBB2_1694-.Lpost_getpc29518)&4294967295
	s_addc_u32 s15, s15, (.LBB2_1694-.Lpost_getpc29518)>>32
	s_setpc_b64 s[14:15]
.LBB2_16032:
	v_mov_b32_e32 v6, 0
	v_cmp_ne_u16_sdwa s[8:9], v2, v6 src0_sel:BYTE_3 src1_sel:DWORD
	s_andn2_b64 s[4:5], s[4:5], exec
	s_and_b64 s[8:9], s[8:9], exec
	s_or_b64 s[4:5], s[4:5], s[8:9]
	s_or_b64 exec, exec, s[6:7]
	s_and_saveexec_b64 s[6:7], s[4:5]
	s_cbranch_execz .LBB2_29519
; %bb.51871:
	s_getpc_b64 s[14:15]
.Lpost_getpc29519:
	s_add_u32 s14, s14, (.LBB2_1695-.Lpost_getpc29519)&4294967295
	s_addc_u32 s15, s15, (.LBB2_1695-.Lpost_getpc29519)>>32
	s_setpc_b64 s[14:15]
.LBB2_29519:
	s_getpc_b64 s[14:15]
.Lpost_getpc18343:
	s_add_u32 s14, s14, (.LBB2_1696-.Lpost_getpc18343)&4294967295
	s_addc_u32 s15, s15, (.LBB2_1696-.Lpost_getpc18343)>>32
	s_setpc_b64 s[14:15]
.LBB2_16033:
	s_movk_i32 s4, 0x80
	v_cmp_eq_u16_sdwa s[12:13], v7, s4 src0_sel:BYTE_0 src1_sel:DWORD
	s_mov_b64 s[4:5], -1
                                        ; implicit-def: $sgpr10
	s_and_saveexec_b64 s[8:9], s[12:13]
; %bb.16034:
	s_mov_b32 s10, 0x7f800001
	s_xor_b64 s[4:5], exec, -1
; %bb.16035:
	s_or_b64 exec, exec, s[8:9]
	s_and_b64 s[4:5], s[4:5], exec
	s_or_saveexec_b64 s[6:7], s[6:7]
	v_mov_b32_e32 v2, s10
	s_xor_b64 exec, exec, s[6:7]
	s_cbranch_execnz .LBB2_16036
; %bb.51873:
	s_getpc_b64 s[14:15]
.Lpost_getpc29520:
	s_add_u32 s14, s14, (.LBB2_1698-.Lpost_getpc29520)&4294967295
	s_addc_u32 s15, s15, (.LBB2_1698-.Lpost_getpc29520)>>32
	s_setpc_b64 s[14:15]
.LBB2_16036:
	v_mov_b32_e32 v2, 0
	v_cmp_ne_u16_sdwa s[8:9], v7, v2 src0_sel:BYTE_0 src1_sel:DWORD
	s_andn2_b64 s[4:5], s[4:5], exec
	s_and_b64 s[8:9], s[8:9], exec
	s_or_b64 s[4:5], s[4:5], s[8:9]
	s_or_b64 exec, exec, s[6:7]
	s_and_saveexec_b64 s[6:7], s[4:5]
	s_cbranch_execz .LBB2_29521
; %bb.51875:
	s_getpc_b64 s[14:15]
.Lpost_getpc29521:
	s_add_u32 s14, s14, (.LBB2_1699-.Lpost_getpc29521)&4294967295
	s_addc_u32 s15, s15, (.LBB2_1699-.Lpost_getpc29521)>>32
	s_setpc_b64 s[14:15]
.LBB2_29521:
	s_getpc_b64 s[14:15]
.Lpost_getpc18344:
	s_add_u32 s14, s14, (.LBB2_1700-.Lpost_getpc18344)&4294967295
	s_addc_u32 s15, s15, (.LBB2_1700-.Lpost_getpc18344)>>32
	s_setpc_b64 s[14:15]
.LBB2_16037:
	s_movk_i32 s4, 0x80
	v_cmp_eq_u16_sdwa s[12:13], v3, s4 src0_sel:BYTE_0 src1_sel:DWORD
	s_mov_b64 s[4:5], -1
                                        ; implicit-def: $sgpr10
	s_and_saveexec_b64 s[8:9], s[12:13]
; %bb.16038:
	s_mov_b32 s10, 0x7f800001
	s_xor_b64 s[4:5], exec, -1
; %bb.16039:
	s_or_b64 exec, exec, s[8:9]
	s_and_b64 s[4:5], s[4:5], exec
	s_or_saveexec_b64 s[6:7], s[6:7]
	v_mov_b32_e32 v6, s10
	s_xor_b64 exec, exec, s[6:7]
	s_cbranch_execnz .LBB2_16040
; %bb.51877:
	s_getpc_b64 s[14:15]
.Lpost_getpc29522:
	s_add_u32 s14, s14, (.LBB2_1702-.Lpost_getpc29522)&4294967295
	s_addc_u32 s15, s15, (.LBB2_1702-.Lpost_getpc29522)>>32
	s_setpc_b64 s[14:15]
.LBB2_16040:
	v_mov_b32_e32 v6, 0
	v_cmp_ne_u16_sdwa s[8:9], v3, v6 src0_sel:BYTE_0 src1_sel:DWORD
	s_andn2_b64 s[4:5], s[4:5], exec
	s_and_b64 s[8:9], s[8:9], exec
	s_or_b64 s[4:5], s[4:5], s[8:9]
	s_or_b64 exec, exec, s[6:7]
	s_and_saveexec_b64 s[6:7], s[4:5]
	s_cbranch_execz .LBB2_29523
; %bb.51879:
	s_getpc_b64 s[14:15]
.Lpost_getpc29523:
	s_add_u32 s14, s14, (.LBB2_1703-.Lpost_getpc29523)&4294967295
	s_addc_u32 s15, s15, (.LBB2_1703-.Lpost_getpc29523)>>32
	s_setpc_b64 s[14:15]
.LBB2_29523:
	s_getpc_b64 s[14:15]
.Lpost_getpc18345:
	s_add_u32 s14, s14, (.LBB2_1704-.Lpost_getpc18345)&4294967295
	s_addc_u32 s15, s15, (.LBB2_1704-.Lpost_getpc18345)>>32
	s_setpc_b64 s[14:15]
.LBB2_16041:
	s_movk_i32 s4, 0x80
	v_cmp_eq_u16_sdwa s[12:13], v6, s4 src0_sel:BYTE_0 src1_sel:DWORD
	s_mov_b64 s[4:5], -1
                                        ; implicit-def: $sgpr10
	s_and_saveexec_b64 s[8:9], s[12:13]
; %bb.16042:
	s_mov_b32 s10, 0x7f800001
	s_xor_b64 s[4:5], exec, -1
; %bb.16043:
	s_or_b64 exec, exec, s[8:9]
	s_and_b64 s[4:5], s[4:5], exec
	s_or_saveexec_b64 s[6:7], s[6:7]
	v_mov_b32_e32 v2, s10
	s_xor_b64 exec, exec, s[6:7]
	s_cbranch_execnz .LBB2_16044
; %bb.51881:
	s_getpc_b64 s[14:15]
.Lpost_getpc29524:
	s_add_u32 s14, s14, (.LBB2_1706-.Lpost_getpc29524)&4294967295
	s_addc_u32 s15, s15, (.LBB2_1706-.Lpost_getpc29524)>>32
	s_setpc_b64 s[14:15]
.LBB2_16044:
	v_mov_b32_e32 v2, 0
	v_cmp_ne_u16_sdwa s[8:9], v6, v2 src0_sel:BYTE_0 src1_sel:DWORD
	s_andn2_b64 s[4:5], s[4:5], exec
	s_and_b64 s[8:9], s[8:9], exec
	s_or_b64 s[4:5], s[4:5], s[8:9]
	s_or_b64 exec, exec, s[6:7]
	s_and_saveexec_b64 s[6:7], s[4:5]
	s_cbranch_execz .LBB2_29525
; %bb.51883:
	s_getpc_b64 s[14:15]
.Lpost_getpc29525:
	s_add_u32 s14, s14, (.LBB2_1707-.Lpost_getpc29525)&4294967295
	s_addc_u32 s15, s15, (.LBB2_1707-.Lpost_getpc29525)>>32
	s_setpc_b64 s[14:15]
.LBB2_29525:
	s_getpc_b64 s[14:15]
.Lpost_getpc18346:
	s_add_u32 s14, s14, (.LBB2_1708-.Lpost_getpc18346)&4294967295
	s_addc_u32 s15, s15, (.LBB2_1708-.Lpost_getpc18346)>>32
	s_setpc_b64 s[14:15]
.LBB2_16045:
	s_movk_i32 s4, 0x80
	v_cmp_eq_u16_sdwa s[12:13], v6, s4 src0_sel:BYTE_0 src1_sel:DWORD
	s_mov_b64 s[4:5], -1
                                        ; implicit-def: $sgpr10
	s_and_saveexec_b64 s[8:9], s[12:13]
; %bb.16046:
	s_mov_b32 s10, 0x7f800001
	s_xor_b64 s[4:5], exec, -1
; %bb.16047:
	s_or_b64 exec, exec, s[8:9]
	s_and_b64 s[4:5], s[4:5], exec
	s_or_saveexec_b64 s[6:7], s[6:7]
	v_mov_b32_e32 v12, s10
	s_xor_b64 exec, exec, s[6:7]
	s_cbranch_execnz .LBB2_16048
; %bb.51885:
	s_getpc_b64 s[14:15]
.Lpost_getpc29526:
	s_add_u32 s14, s14, (.LBB2_1710-.Lpost_getpc29526)&4294967295
	s_addc_u32 s15, s15, (.LBB2_1710-.Lpost_getpc29526)>>32
	s_setpc_b64 s[14:15]
.LBB2_16048:
	v_mov_b32_e32 v12, 0
	v_cmp_ne_u16_sdwa s[8:9], v6, v12 src0_sel:BYTE_0 src1_sel:DWORD
	s_andn2_b64 s[4:5], s[4:5], exec
	s_and_b64 s[8:9], s[8:9], exec
	s_or_b64 s[4:5], s[4:5], s[8:9]
	s_or_b64 exec, exec, s[6:7]
	s_and_saveexec_b64 s[6:7], s[4:5]
	s_cbranch_execz .LBB2_29527
; %bb.51887:
	s_getpc_b64 s[14:15]
.Lpost_getpc29527:
	s_add_u32 s14, s14, (.LBB2_1711-.Lpost_getpc29527)&4294967295
	s_addc_u32 s15, s15, (.LBB2_1711-.Lpost_getpc29527)>>32
	s_setpc_b64 s[14:15]
.LBB2_29527:
	s_getpc_b64 s[14:15]
.Lpost_getpc18347:
	s_add_u32 s14, s14, (.LBB2_1712-.Lpost_getpc18347)&4294967295
	s_addc_u32 s15, s15, (.LBB2_1712-.Lpost_getpc18347)>>32
	s_setpc_b64 s[14:15]
.LBB2_16049:
	s_movk_i32 s4, 0x80
	v_cmp_eq_u16_e32 vcc, s4, v6
	s_mov_b64 s[4:5], -1
                                        ; implicit-def: $sgpr10
	s_and_saveexec_b64 s[8:9], vcc
; %bb.16050:
	s_mov_b32 s10, 0x7f800001
	s_xor_b64 s[4:5], exec, -1
; %bb.16051:
	s_or_b64 exec, exec, s[8:9]
	s_and_b64 s[4:5], s[4:5], exec
                                        ; implicit-def: $vgpr6
	s_or_saveexec_b64 s[6:7], s[6:7]
	v_mov_b32_e32 v2, s10
	s_xor_b64 exec, exec, s[6:7]
	s_cbranch_execnz .LBB2_16052
; %bb.51889:
	s_getpc_b64 s[14:15]
.Lpost_getpc29528:
	s_add_u32 s14, s14, (.LBB2_1714-.Lpost_getpc29528)&4294967295
	s_addc_u32 s15, s15, (.LBB2_1714-.Lpost_getpc29528)>>32
	s_setpc_b64 s[14:15]
.LBB2_16052:
	v_cmp_ne_u16_e32 vcc, 0, v6
	s_andn2_b64 s[4:5], s[4:5], exec
	s_and_b64 s[8:9], vcc, exec
	v_mov_b32_e32 v2, 0
	s_or_b64 s[4:5], s[4:5], s[8:9]
	s_or_b64 exec, exec, s[6:7]
	s_and_saveexec_b64 s[6:7], s[4:5]
	s_cbranch_execz .LBB2_29529
; %bb.51891:
	s_getpc_b64 s[14:15]
.Lpost_getpc29529:
	s_add_u32 s14, s14, (.LBB2_1715-.Lpost_getpc29529)&4294967295
	s_addc_u32 s15, s15, (.LBB2_1715-.Lpost_getpc29529)>>32
	s_setpc_b64 s[14:15]
.LBB2_29529:
	s_getpc_b64 s[14:15]
.Lpost_getpc18348:
	s_add_u32 s14, s14, (.LBB2_1716-.Lpost_getpc18348)&4294967295
	s_addc_u32 s15, s15, (.LBB2_1716-.Lpost_getpc18348)>>32
	s_setpc_b64 s[14:15]
.LBB2_16053:
	s_movk_i32 s4, 0x80
	v_cmp_eq_u16_e32 vcc, s4, v6
	s_mov_b64 s[4:5], -1
                                        ; implicit-def: $sgpr10
	s_and_saveexec_b64 s[8:9], vcc
; %bb.16054:
	s_mov_b32 s10, 0x7f800001
	s_xor_b64 s[4:5], exec, -1
; %bb.16055:
	s_or_b64 exec, exec, s[8:9]
	s_and_b64 s[4:5], s[4:5], exec
                                        ; implicit-def: $vgpr6
	s_or_saveexec_b64 s[6:7], s[6:7]
	v_mov_b32_e32 v12, s10
	s_xor_b64 exec, exec, s[6:7]
	s_cbranch_execnz .LBB2_16056
; %bb.51893:
	s_getpc_b64 s[14:15]
.Lpost_getpc29530:
	s_add_u32 s14, s14, (.LBB2_1718-.Lpost_getpc29530)&4294967295
	s_addc_u32 s15, s15, (.LBB2_1718-.Lpost_getpc29530)>>32
	s_setpc_b64 s[14:15]
.LBB2_16056:
	v_cmp_ne_u16_e32 vcc, 0, v6
	s_andn2_b64 s[4:5], s[4:5], exec
	s_and_b64 s[8:9], vcc, exec
	v_mov_b32_e32 v12, 0
	s_or_b64 s[4:5], s[4:5], s[8:9]
	s_or_b64 exec, exec, s[6:7]
	s_and_saveexec_b64 s[6:7], s[4:5]
	s_cbranch_execz .LBB2_29531
; %bb.51895:
	s_getpc_b64 s[14:15]
.Lpost_getpc29531:
	s_add_u32 s14, s14, (.LBB2_1719-.Lpost_getpc29531)&4294967295
	s_addc_u32 s15, s15, (.LBB2_1719-.Lpost_getpc29531)>>32
	s_setpc_b64 s[14:15]
.LBB2_29531:
	s_getpc_b64 s[14:15]
.Lpost_getpc18349:
	s_add_u32 s14, s14, (.LBB2_1720-.Lpost_getpc18349)&4294967295
	s_addc_u32 s15, s15, (.LBB2_1720-.Lpost_getpc18349)>>32
	s_setpc_b64 s[14:15]
.LBB2_16057:
	s_movk_i32 s4, 0x80
	v_cmp_eq_u16_sdwa s[12:13], v7, s4 src0_sel:BYTE_3 src1_sel:DWORD
	s_mov_b64 s[4:5], -1
                                        ; implicit-def: $sgpr10
	s_and_saveexec_b64 s[8:9], s[12:13]
; %bb.16058:
	s_mov_b32 s10, 0x7f800001
	s_xor_b64 s[4:5], exec, -1
; %bb.16059:
	s_or_b64 exec, exec, s[8:9]
	s_and_b64 s[4:5], s[4:5], exec
	s_or_saveexec_b64 s[6:7], s[6:7]
	v_mov_b32_e32 v2, s10
	s_xor_b64 exec, exec, s[6:7]
	s_cbranch_execnz .LBB2_16060
; %bb.51897:
	s_getpc_b64 s[14:15]
.Lpost_getpc29532:
	s_add_u32 s14, s14, (.LBB2_1722-.Lpost_getpc29532)&4294967295
	s_addc_u32 s15, s15, (.LBB2_1722-.Lpost_getpc29532)>>32
	s_setpc_b64 s[14:15]
.LBB2_16060:
	v_mov_b32_e32 v2, 0
	v_cmp_ne_u16_sdwa s[8:9], v7, v2 src0_sel:BYTE_3 src1_sel:DWORD
	s_andn2_b64 s[4:5], s[4:5], exec
	s_and_b64 s[8:9], s[8:9], exec
	s_or_b64 s[4:5], s[4:5], s[8:9]
	s_or_b64 exec, exec, s[6:7]
	s_and_saveexec_b64 s[6:7], s[4:5]
	s_cbranch_execz .LBB2_29533
; %bb.51899:
	s_getpc_b64 s[14:15]
.Lpost_getpc29533:
	s_add_u32 s14, s14, (.LBB2_1723-.Lpost_getpc29533)&4294967295
	s_addc_u32 s15, s15, (.LBB2_1723-.Lpost_getpc29533)>>32
	s_setpc_b64 s[14:15]
.LBB2_29533:
	s_getpc_b64 s[14:15]
.Lpost_getpc18350:
	s_add_u32 s14, s14, (.LBB2_1724-.Lpost_getpc18350)&4294967295
	s_addc_u32 s15, s15, (.LBB2_1724-.Lpost_getpc18350)>>32
	s_setpc_b64 s[14:15]
.LBB2_16061:
	s_movk_i32 s4, 0x80
	v_cmp_eq_u16_sdwa s[12:13], v3, s4 src0_sel:BYTE_3 src1_sel:DWORD
	s_mov_b64 s[4:5], -1
                                        ; implicit-def: $sgpr10
	s_and_saveexec_b64 s[8:9], s[12:13]
; %bb.16062:
	s_mov_b32 s10, 0x7f800001
	s_xor_b64 s[4:5], exec, -1
; %bb.16063:
	s_or_b64 exec, exec, s[8:9]
	s_and_b64 s[4:5], s[4:5], exec
	s_or_saveexec_b64 s[6:7], s[6:7]
	v_mov_b32_e32 v6, s10
	s_xor_b64 exec, exec, s[6:7]
	s_cbranch_execnz .LBB2_16064
; %bb.51901:
	s_getpc_b64 s[14:15]
.Lpost_getpc29534:
	s_add_u32 s14, s14, (.LBB2_1726-.Lpost_getpc29534)&4294967295
	s_addc_u32 s15, s15, (.LBB2_1726-.Lpost_getpc29534)>>32
	s_setpc_b64 s[14:15]
.LBB2_16064:
	v_mov_b32_e32 v6, 0
	v_cmp_ne_u16_sdwa s[8:9], v3, v6 src0_sel:BYTE_3 src1_sel:DWORD
	s_andn2_b64 s[4:5], s[4:5], exec
	s_and_b64 s[8:9], s[8:9], exec
	s_or_b64 s[4:5], s[4:5], s[8:9]
	s_or_b64 exec, exec, s[6:7]
	s_and_saveexec_b64 s[6:7], s[4:5]
	s_cbranch_execz .LBB2_29535
; %bb.51903:
	s_getpc_b64 s[14:15]
.Lpost_getpc29535:
	s_add_u32 s14, s14, (.LBB2_1727-.Lpost_getpc29535)&4294967295
	s_addc_u32 s15, s15, (.LBB2_1727-.Lpost_getpc29535)>>32
	s_setpc_b64 s[14:15]
.LBB2_29535:
	s_getpc_b64 s[14:15]
.Lpost_getpc18351:
	s_add_u32 s14, s14, (.LBB2_1728-.Lpost_getpc18351)&4294967295
	s_addc_u32 s15, s15, (.LBB2_1728-.Lpost_getpc18351)>>32
	s_setpc_b64 s[14:15]
.LBB2_16065:
	s_movk_i32 s4, 0x80
	v_cmp_eq_u16_sdwa s[12:13], v8, s4 src0_sel:BYTE_0 src1_sel:DWORD
	s_mov_b64 s[4:5], -1
                                        ; implicit-def: $sgpr10
	s_and_saveexec_b64 s[8:9], s[12:13]
; %bb.16066:
	s_mov_b32 s10, 0x7f800001
	s_xor_b64 s[4:5], exec, -1
; %bb.16067:
	s_or_b64 exec, exec, s[8:9]
	s_and_b64 s[4:5], s[4:5], exec
	s_or_saveexec_b64 s[6:7], s[6:7]
	v_mov_b32_e32 v2, s10
	s_xor_b64 exec, exec, s[6:7]
	s_cbranch_execnz .LBB2_16068
; %bb.51905:
	s_getpc_b64 s[14:15]
.Lpost_getpc29536:
	s_add_u32 s14, s14, (.LBB2_1730-.Lpost_getpc29536)&4294967295
	s_addc_u32 s15, s15, (.LBB2_1730-.Lpost_getpc29536)>>32
	s_setpc_b64 s[14:15]
.LBB2_16068:
	v_mov_b32_e32 v2, 0
	v_cmp_ne_u16_sdwa s[8:9], v8, v2 src0_sel:BYTE_0 src1_sel:DWORD
	s_andn2_b64 s[4:5], s[4:5], exec
	s_and_b64 s[8:9], s[8:9], exec
	s_or_b64 s[4:5], s[4:5], s[8:9]
	s_or_b64 exec, exec, s[6:7]
	s_and_saveexec_b64 s[6:7], s[4:5]
	s_cbranch_execz .LBB2_29537
; %bb.51907:
	s_getpc_b64 s[14:15]
.Lpost_getpc29537:
	s_add_u32 s14, s14, (.LBB2_1731-.Lpost_getpc29537)&4294967295
	s_addc_u32 s15, s15, (.LBB2_1731-.Lpost_getpc29537)>>32
	s_setpc_b64 s[14:15]
.LBB2_29537:
	s_getpc_b64 s[14:15]
.Lpost_getpc18352:
	s_add_u32 s14, s14, (.LBB2_1732-.Lpost_getpc18352)&4294967295
	s_addc_u32 s15, s15, (.LBB2_1732-.Lpost_getpc18352)>>32
	s_setpc_b64 s[14:15]
.LBB2_16069:
	s_movk_i32 s4, 0x80
	v_cmp_eq_u16_sdwa s[12:13], v4, s4 src0_sel:BYTE_0 src1_sel:DWORD
	s_mov_b64 s[4:5], -1
                                        ; implicit-def: $sgpr10
	s_and_saveexec_b64 s[8:9], s[12:13]
; %bb.16070:
	s_mov_b32 s10, 0x7f800001
	s_xor_b64 s[4:5], exec, -1
; %bb.16071:
	s_or_b64 exec, exec, s[8:9]
	s_and_b64 s[4:5], s[4:5], exec
	s_or_saveexec_b64 s[6:7], s[6:7]
	v_mov_b32_e32 v3, s10
	s_xor_b64 exec, exec, s[6:7]
	s_cbranch_execnz .LBB2_16072
; %bb.51909:
	s_getpc_b64 s[14:15]
.Lpost_getpc29538:
	s_add_u32 s14, s14, (.LBB2_1734-.Lpost_getpc29538)&4294967295
	s_addc_u32 s15, s15, (.LBB2_1734-.Lpost_getpc29538)>>32
	s_setpc_b64 s[14:15]
.LBB2_16072:
	v_mov_b32_e32 v3, 0
	v_cmp_ne_u16_sdwa s[8:9], v4, v3 src0_sel:BYTE_0 src1_sel:DWORD
	s_andn2_b64 s[4:5], s[4:5], exec
	s_and_b64 s[8:9], s[8:9], exec
	s_or_b64 s[4:5], s[4:5], s[8:9]
	s_or_b64 exec, exec, s[6:7]
	s_and_saveexec_b64 s[6:7], s[4:5]
	s_cbranch_execz .LBB2_29539
; %bb.51911:
	s_getpc_b64 s[14:15]
.Lpost_getpc29539:
	s_add_u32 s14, s14, (.LBB2_1735-.Lpost_getpc29539)&4294967295
	s_addc_u32 s15, s15, (.LBB2_1735-.Lpost_getpc29539)>>32
	s_setpc_b64 s[14:15]
.LBB2_29539:
	s_getpc_b64 s[14:15]
.Lpost_getpc18353:
	s_add_u32 s14, s14, (.LBB2_1736-.Lpost_getpc18353)&4294967295
	s_addc_u32 s15, s15, (.LBB2_1736-.Lpost_getpc18353)>>32
	s_setpc_b64 s[14:15]
.LBB2_16073:
	s_movk_i32 s4, 0x80
	v_cmp_eq_u16_sdwa s[12:13], v3, s4 src0_sel:BYTE_0 src1_sel:DWORD
	s_mov_b64 s[4:5], -1
                                        ; implicit-def: $sgpr10
	s_and_saveexec_b64 s[8:9], s[12:13]
; %bb.16074:
	s_mov_b32 s10, 0x7f800001
	s_xor_b64 s[4:5], exec, -1
; %bb.16075:
	s_or_b64 exec, exec, s[8:9]
	s_and_b64 s[4:5], s[4:5], exec
	s_or_saveexec_b64 s[6:7], s[6:7]
	v_mov_b32_e32 v2, s10
	s_xor_b64 exec, exec, s[6:7]
	s_cbranch_execnz .LBB2_16076
; %bb.51913:
	s_getpc_b64 s[14:15]
.Lpost_getpc29540:
	s_add_u32 s14, s14, (.LBB2_1738-.Lpost_getpc29540)&4294967295
	s_addc_u32 s15, s15, (.LBB2_1738-.Lpost_getpc29540)>>32
	s_setpc_b64 s[14:15]
.LBB2_16076:
	v_mov_b32_e32 v2, 0
	v_cmp_ne_u16_sdwa s[8:9], v3, v2 src0_sel:BYTE_0 src1_sel:DWORD
	s_andn2_b64 s[4:5], s[4:5], exec
	s_and_b64 s[8:9], s[8:9], exec
	s_or_b64 s[4:5], s[4:5], s[8:9]
	s_or_b64 exec, exec, s[6:7]
	s_and_saveexec_b64 s[6:7], s[4:5]
	s_cbranch_execz .LBB2_29541
; %bb.51915:
	s_getpc_b64 s[14:15]
.Lpost_getpc29541:
	s_add_u32 s14, s14, (.LBB2_1739-.Lpost_getpc29541)&4294967295
	s_addc_u32 s15, s15, (.LBB2_1739-.Lpost_getpc29541)>>32
	s_setpc_b64 s[14:15]
.LBB2_29541:
	s_getpc_b64 s[14:15]
.Lpost_getpc18354:
	s_add_u32 s14, s14, (.LBB2_1740-.Lpost_getpc18354)&4294967295
	s_addc_u32 s15, s15, (.LBB2_1740-.Lpost_getpc18354)>>32
	s_setpc_b64 s[14:15]
.LBB2_16077:
	s_movk_i32 s4, 0x80
	v_cmp_eq_u16_sdwa s[12:13], v3, s4 src0_sel:BYTE_0 src1_sel:DWORD
	s_mov_b64 s[4:5], -1
                                        ; implicit-def: $sgpr10
	s_and_saveexec_b64 s[8:9], s[12:13]
; %bb.16078:
	s_mov_b32 s10, 0x7f800001
	s_xor_b64 s[4:5], exec, -1
; %bb.16079:
	s_or_b64 exec, exec, s[8:9]
	s_and_b64 s[4:5], s[4:5], exec
	s_or_saveexec_b64 s[6:7], s[6:7]
	v_mov_b32_e32 v6, s10
	s_xor_b64 exec, exec, s[6:7]
	s_cbranch_execnz .LBB2_16080
; %bb.51917:
	s_getpc_b64 s[14:15]
.Lpost_getpc29542:
	s_add_u32 s14, s14, (.LBB2_1742-.Lpost_getpc29542)&4294967295
	s_addc_u32 s15, s15, (.LBB2_1742-.Lpost_getpc29542)>>32
	s_setpc_b64 s[14:15]
.LBB2_16080:
	v_mov_b32_e32 v6, 0
	v_cmp_ne_u16_sdwa s[8:9], v3, v6 src0_sel:BYTE_0 src1_sel:DWORD
	s_andn2_b64 s[4:5], s[4:5], exec
	s_and_b64 s[8:9], s[8:9], exec
	s_or_b64 s[4:5], s[4:5], s[8:9]
	s_or_b64 exec, exec, s[6:7]
	s_and_saveexec_b64 s[6:7], s[4:5]
	s_cbranch_execz .LBB2_29543
; %bb.51919:
	s_getpc_b64 s[14:15]
.Lpost_getpc29543:
	s_add_u32 s14, s14, (.LBB2_1743-.Lpost_getpc29543)&4294967295
	s_addc_u32 s15, s15, (.LBB2_1743-.Lpost_getpc29543)>>32
	s_setpc_b64 s[14:15]
.LBB2_29543:
	s_getpc_b64 s[14:15]
.Lpost_getpc18355:
	s_add_u32 s14, s14, (.LBB2_1744-.Lpost_getpc18355)&4294967295
	s_addc_u32 s15, s15, (.LBB2_1744-.Lpost_getpc18355)>>32
	s_setpc_b64 s[14:15]
.LBB2_16081:
	s_movk_i32 s4, 0x80
	v_cmp_eq_u16_e32 vcc, s4, v3
	s_mov_b64 s[4:5], -1
                                        ; implicit-def: $sgpr10
	s_and_saveexec_b64 s[8:9], vcc
; %bb.16082:
	s_mov_b32 s10, 0x7f800001
	s_xor_b64 s[4:5], exec, -1
; %bb.16083:
	s_or_b64 exec, exec, s[8:9]
	s_and_b64 s[4:5], s[4:5], exec
                                        ; implicit-def: $vgpr3
	s_or_saveexec_b64 s[6:7], s[6:7]
	v_mov_b32_e32 v2, s10
	s_xor_b64 exec, exec, s[6:7]
	s_cbranch_execnz .LBB2_16084
; %bb.51921:
	s_getpc_b64 s[14:15]
.Lpost_getpc29544:
	s_add_u32 s14, s14, (.LBB2_1746-.Lpost_getpc29544)&4294967295
	s_addc_u32 s15, s15, (.LBB2_1746-.Lpost_getpc29544)>>32
	s_setpc_b64 s[14:15]
.LBB2_16084:
	v_cmp_ne_u16_e32 vcc, 0, v3
	s_andn2_b64 s[4:5], s[4:5], exec
	s_and_b64 s[8:9], vcc, exec
	v_mov_b32_e32 v2, 0
	s_or_b64 s[4:5], s[4:5], s[8:9]
	s_or_b64 exec, exec, s[6:7]
	s_and_saveexec_b64 s[6:7], s[4:5]
	s_cbranch_execz .LBB2_29545
; %bb.51923:
	s_getpc_b64 s[14:15]
.Lpost_getpc29545:
	s_add_u32 s14, s14, (.LBB2_1747-.Lpost_getpc29545)&4294967295
	s_addc_u32 s15, s15, (.LBB2_1747-.Lpost_getpc29545)>>32
	s_setpc_b64 s[14:15]
.LBB2_29545:
	s_getpc_b64 s[14:15]
.Lpost_getpc18356:
	s_add_u32 s14, s14, (.LBB2_1748-.Lpost_getpc18356)&4294967295
	s_addc_u32 s15, s15, (.LBB2_1748-.Lpost_getpc18356)>>32
	s_setpc_b64 s[14:15]
.LBB2_16085:
	s_movk_i32 s4, 0x80
	v_cmp_eq_u16_e32 vcc, s4, v3
	s_mov_b64 s[4:5], -1
                                        ; implicit-def: $sgpr10
	s_and_saveexec_b64 s[8:9], vcc
; %bb.16086:
	s_mov_b32 s10, 0x7f800001
	s_xor_b64 s[4:5], exec, -1
; %bb.16087:
	s_or_b64 exec, exec, s[8:9]
	s_and_b64 s[4:5], s[4:5], exec
                                        ; implicit-def: $vgpr3
	s_or_saveexec_b64 s[6:7], s[6:7]
	v_mov_b32_e32 v6, s10
	s_xor_b64 exec, exec, s[6:7]
	s_cbranch_execnz .LBB2_16088
; %bb.51925:
	s_getpc_b64 s[14:15]
.Lpost_getpc29546:
	s_add_u32 s14, s14, (.LBB2_1750-.Lpost_getpc29546)&4294967295
	s_addc_u32 s15, s15, (.LBB2_1750-.Lpost_getpc29546)>>32
	s_setpc_b64 s[14:15]
.LBB2_16088:
	v_cmp_ne_u16_e32 vcc, 0, v3
	s_andn2_b64 s[4:5], s[4:5], exec
	s_and_b64 s[8:9], vcc, exec
	v_mov_b32_e32 v6, 0
	s_or_b64 s[4:5], s[4:5], s[8:9]
	s_or_b64 exec, exec, s[6:7]
	s_and_saveexec_b64 s[6:7], s[4:5]
	s_cbranch_execz .LBB2_29547
; %bb.51927:
	s_getpc_b64 s[14:15]
.Lpost_getpc29547:
	s_add_u32 s14, s14, (.LBB2_1751-.Lpost_getpc29547)&4294967295
	s_addc_u32 s15, s15, (.LBB2_1751-.Lpost_getpc29547)>>32
	s_setpc_b64 s[14:15]
.LBB2_29547:
	s_getpc_b64 s[14:15]
.Lpost_getpc18357:
	s_add_u32 s14, s14, (.LBB2_1752-.Lpost_getpc18357)&4294967295
	s_addc_u32 s15, s15, (.LBB2_1752-.Lpost_getpc18357)>>32
	s_setpc_b64 s[14:15]
.LBB2_16089:
	s_movk_i32 s4, 0x80
	v_cmp_eq_u16_sdwa s[12:13], v8, s4 src0_sel:BYTE_3 src1_sel:DWORD
	s_mov_b64 s[4:5], -1
                                        ; implicit-def: $sgpr10
	s_and_saveexec_b64 s[8:9], s[12:13]
; %bb.16090:
	s_mov_b32 s10, 0x7f800001
	s_xor_b64 s[4:5], exec, -1
; %bb.16091:
	s_or_b64 exec, exec, s[8:9]
	s_and_b64 s[4:5], s[4:5], exec
	s_or_saveexec_b64 s[6:7], s[6:7]
	v_mov_b32_e32 v2, s10
	s_xor_b64 exec, exec, s[6:7]
	s_cbranch_execnz .LBB2_16092
; %bb.51929:
	s_getpc_b64 s[14:15]
.Lpost_getpc29548:
	s_add_u32 s14, s14, (.LBB2_1754-.Lpost_getpc29548)&4294967295
	s_addc_u32 s15, s15, (.LBB2_1754-.Lpost_getpc29548)>>32
	s_setpc_b64 s[14:15]
.LBB2_16092:
	v_mov_b32_e32 v2, 0
	v_cmp_ne_u16_sdwa s[8:9], v8, v2 src0_sel:BYTE_3 src1_sel:DWORD
	s_andn2_b64 s[4:5], s[4:5], exec
	s_and_b64 s[8:9], s[8:9], exec
	s_or_b64 s[4:5], s[4:5], s[8:9]
	s_or_b64 exec, exec, s[6:7]
	s_and_saveexec_b64 s[6:7], s[4:5]
	s_cbranch_execz .LBB2_29549
; %bb.51931:
	s_getpc_b64 s[14:15]
.Lpost_getpc29549:
	s_add_u32 s14, s14, (.LBB2_1755-.Lpost_getpc29549)&4294967295
	s_addc_u32 s15, s15, (.LBB2_1755-.Lpost_getpc29549)>>32
	s_setpc_b64 s[14:15]
.LBB2_29549:
	s_getpc_b64 s[14:15]
.Lpost_getpc18358:
	s_add_u32 s14, s14, (.LBB2_1756-.Lpost_getpc18358)&4294967295
	s_addc_u32 s15, s15, (.LBB2_1756-.Lpost_getpc18358)>>32
	s_setpc_b64 s[14:15]
.LBB2_16093:
	s_movk_i32 s4, 0x80
	v_cmp_eq_u16_sdwa s[12:13], v4, s4 src0_sel:BYTE_3 src1_sel:DWORD
	s_mov_b64 s[4:5], -1
                                        ; implicit-def: $sgpr10
	s_and_saveexec_b64 s[8:9], s[12:13]
; %bb.16094:
	s_mov_b32 s10, 0x7f800001
	s_xor_b64 s[4:5], exec, -1
; %bb.16095:
	s_or_b64 exec, exec, s[8:9]
	s_and_b64 s[4:5], s[4:5], exec
	s_or_saveexec_b64 s[6:7], s[6:7]
	v_mov_b32_e32 v3, s10
	s_xor_b64 exec, exec, s[6:7]
	s_cbranch_execnz .LBB2_16096
; %bb.51933:
	s_getpc_b64 s[14:15]
.Lpost_getpc29550:
	s_add_u32 s14, s14, (.LBB2_1758-.Lpost_getpc29550)&4294967295
	s_addc_u32 s15, s15, (.LBB2_1758-.Lpost_getpc29550)>>32
	s_setpc_b64 s[14:15]
.LBB2_16096:
	v_mov_b32_e32 v3, 0
	v_cmp_ne_u16_sdwa s[8:9], v4, v3 src0_sel:BYTE_3 src1_sel:DWORD
	s_andn2_b64 s[4:5], s[4:5], exec
	s_and_b64 s[8:9], s[8:9], exec
	s_or_b64 s[4:5], s[4:5], s[8:9]
	s_or_b64 exec, exec, s[6:7]
	s_and_saveexec_b64 s[6:7], s[4:5]
	s_cbranch_execz .LBB2_29551
; %bb.51935:
	s_getpc_b64 s[14:15]
.Lpost_getpc29551:
	s_add_u32 s14, s14, (.LBB2_1759-.Lpost_getpc29551)&4294967295
	s_addc_u32 s15, s15, (.LBB2_1759-.Lpost_getpc29551)>>32
	s_setpc_b64 s[14:15]
.LBB2_29551:
	s_getpc_b64 s[14:15]
.Lpost_getpc18359:
	s_add_u32 s14, s14, (.LBB2_1760-.Lpost_getpc18359)&4294967295
	s_addc_u32 s15, s15, (.LBB2_1760-.Lpost_getpc18359)>>32
	s_setpc_b64 s[14:15]
.LBB2_16097:
	s_movk_i32 s4, 0x80
	v_cmp_eq_u16_sdwa s[12:13], v9, s4 src0_sel:BYTE_0 src1_sel:DWORD
	s_mov_b64 s[4:5], -1
                                        ; implicit-def: $sgpr10
	s_and_saveexec_b64 s[8:9], s[12:13]
; %bb.16098:
	s_mov_b32 s10, 0x7f800001
	s_xor_b64 s[4:5], exec, -1
; %bb.16099:
	s_or_b64 exec, exec, s[8:9]
	s_and_b64 s[4:5], s[4:5], exec
	s_or_saveexec_b64 s[6:7], s[6:7]
	v_mov_b32_e32 v2, s10
	s_xor_b64 exec, exec, s[6:7]
	s_cbranch_execnz .LBB2_16100
; %bb.51937:
	s_getpc_b64 s[14:15]
.Lpost_getpc29552:
	s_add_u32 s14, s14, (.LBB2_1762-.Lpost_getpc29552)&4294967295
	s_addc_u32 s15, s15, (.LBB2_1762-.Lpost_getpc29552)>>32
	s_setpc_b64 s[14:15]
.LBB2_16100:
	v_mov_b32_e32 v2, 0
	v_cmp_ne_u16_sdwa s[8:9], v9, v2 src0_sel:BYTE_0 src1_sel:DWORD
	s_andn2_b64 s[4:5], s[4:5], exec
	s_and_b64 s[8:9], s[8:9], exec
	s_or_b64 s[4:5], s[4:5], s[8:9]
	s_or_b64 exec, exec, s[6:7]
	s_and_saveexec_b64 s[6:7], s[4:5]
	s_cbranch_execz .LBB2_29553
; %bb.51939:
	s_getpc_b64 s[14:15]
.Lpost_getpc29553:
	s_add_u32 s14, s14, (.LBB2_1763-.Lpost_getpc29553)&4294967295
	s_addc_u32 s15, s15, (.LBB2_1763-.Lpost_getpc29553)>>32
	s_setpc_b64 s[14:15]
.LBB2_29553:
	s_getpc_b64 s[14:15]
.Lpost_getpc18360:
	s_add_u32 s14, s14, (.LBB2_1764-.Lpost_getpc18360)&4294967295
	s_addc_u32 s15, s15, (.LBB2_1764-.Lpost_getpc18360)>>32
	s_setpc_b64 s[14:15]
.LBB2_16101:
	s_movk_i32 s4, 0x80
	v_cmp_eq_u16_sdwa s[12:13], v5, s4 src0_sel:BYTE_0 src1_sel:DWORD
	s_mov_b64 s[4:5], -1
                                        ; implicit-def: $sgpr10
	s_and_saveexec_b64 s[8:9], s[12:13]
; %bb.16102:
	s_mov_b32 s10, 0x7f800001
	s_xor_b64 s[4:5], exec, -1
; %bb.16103:
	s_or_b64 exec, exec, s[8:9]
	s_and_b64 s[4:5], s[4:5], exec
	s_or_saveexec_b64 s[6:7], s[6:7]
	v_mov_b32_e32 v3, s10
	s_xor_b64 exec, exec, s[6:7]
	s_cbranch_execnz .LBB2_16104
; %bb.51941:
	s_getpc_b64 s[14:15]
.Lpost_getpc29554:
	s_add_u32 s14, s14, (.LBB2_1766-.Lpost_getpc29554)&4294967295
	s_addc_u32 s15, s15, (.LBB2_1766-.Lpost_getpc29554)>>32
	s_setpc_b64 s[14:15]
.LBB2_16104:
	v_mov_b32_e32 v3, 0
	v_cmp_ne_u16_sdwa s[8:9], v5, v3 src0_sel:BYTE_0 src1_sel:DWORD
	s_andn2_b64 s[4:5], s[4:5], exec
	s_and_b64 s[8:9], s[8:9], exec
	s_or_b64 s[4:5], s[4:5], s[8:9]
	s_or_b64 exec, exec, s[6:7]
	s_and_saveexec_b64 s[6:7], s[4:5]
	s_cbranch_execz .LBB2_29555
; %bb.51943:
	s_getpc_b64 s[14:15]
.Lpost_getpc29555:
	s_add_u32 s14, s14, (.LBB2_1767-.Lpost_getpc29555)&4294967295
	s_addc_u32 s15, s15, (.LBB2_1767-.Lpost_getpc29555)>>32
	s_setpc_b64 s[14:15]
.LBB2_29555:
	s_getpc_b64 s[14:15]
.Lpost_getpc18361:
	s_add_u32 s14, s14, (.LBB2_1768-.Lpost_getpc18361)&4294967295
	s_addc_u32 s15, s15, (.LBB2_1768-.Lpost_getpc18361)>>32
	s_setpc_b64 s[14:15]
.LBB2_16105:
	s_movk_i32 s4, 0x80
	v_cmp_eq_u16_sdwa s[12:13], v3, s4 src0_sel:BYTE_0 src1_sel:DWORD
	s_mov_b64 s[4:5], -1
                                        ; implicit-def: $sgpr10
	s_and_saveexec_b64 s[8:9], s[12:13]
; %bb.16106:
	s_mov_b32 s10, 0x7f800001
	s_xor_b64 s[4:5], exec, -1
; %bb.16107:
	s_or_b64 exec, exec, s[8:9]
	s_and_b64 s[4:5], s[4:5], exec
	s_or_saveexec_b64 s[6:7], s[6:7]
	v_mov_b32_e32 v2, s10
	s_xor_b64 exec, exec, s[6:7]
	s_cbranch_execnz .LBB2_16108
; %bb.51945:
	s_getpc_b64 s[14:15]
.Lpost_getpc29556:
	s_add_u32 s14, s14, (.LBB2_1770-.Lpost_getpc29556)&4294967295
	s_addc_u32 s15, s15, (.LBB2_1770-.Lpost_getpc29556)>>32
	s_setpc_b64 s[14:15]
.LBB2_16108:
	v_mov_b32_e32 v2, 0
	v_cmp_ne_u16_sdwa s[8:9], v3, v2 src0_sel:BYTE_0 src1_sel:DWORD
	s_andn2_b64 s[4:5], s[4:5], exec
	s_and_b64 s[8:9], s[8:9], exec
	s_or_b64 s[4:5], s[4:5], s[8:9]
	s_or_b64 exec, exec, s[6:7]
	s_and_saveexec_b64 s[6:7], s[4:5]
	s_cbranch_execz .LBB2_29557
; %bb.51947:
	s_getpc_b64 s[14:15]
.Lpost_getpc29557:
	s_add_u32 s14, s14, (.LBB2_1771-.Lpost_getpc29557)&4294967295
	s_addc_u32 s15, s15, (.LBB2_1771-.Lpost_getpc29557)>>32
	s_setpc_b64 s[14:15]
.LBB2_29557:
	s_getpc_b64 s[14:15]
.Lpost_getpc18362:
	s_add_u32 s14, s14, (.LBB2_1772-.Lpost_getpc18362)&4294967295
	s_addc_u32 s15, s15, (.LBB2_1772-.Lpost_getpc18362)>>32
	s_setpc_b64 s[14:15]
.LBB2_16109:
	s_movk_i32 s4, 0x80
	v_cmp_eq_u16_sdwa s[12:13], v3, s4 src0_sel:BYTE_0 src1_sel:DWORD
	s_mov_b64 s[4:5], -1
                                        ; implicit-def: $sgpr10
	s_and_saveexec_b64 s[8:9], s[12:13]
; %bb.16110:
	s_mov_b32 s10, 0x7f800001
	s_xor_b64 s[4:5], exec, -1
; %bb.16111:
	s_or_b64 exec, exec, s[8:9]
	s_and_b64 s[4:5], s[4:5], exec
	s_or_saveexec_b64 s[6:7], s[6:7]
	v_mov_b32_e32 v4, s10
	s_xor_b64 exec, exec, s[6:7]
	s_cbranch_execnz .LBB2_16112
; %bb.51949:
	s_getpc_b64 s[14:15]
.Lpost_getpc29558:
	s_add_u32 s14, s14, (.LBB2_1774-.Lpost_getpc29558)&4294967295
	s_addc_u32 s15, s15, (.LBB2_1774-.Lpost_getpc29558)>>32
	s_setpc_b64 s[14:15]
.LBB2_16112:
	v_mov_b32_e32 v4, 0
	v_cmp_ne_u16_sdwa s[8:9], v3, v4 src0_sel:BYTE_0 src1_sel:DWORD
	s_andn2_b64 s[4:5], s[4:5], exec
	s_and_b64 s[8:9], s[8:9], exec
	s_or_b64 s[4:5], s[4:5], s[8:9]
	s_or_b64 exec, exec, s[6:7]
	s_and_saveexec_b64 s[6:7], s[4:5]
	s_cbranch_execz .LBB2_29559
; %bb.51951:
	s_getpc_b64 s[14:15]
.Lpost_getpc29559:
	s_add_u32 s14, s14, (.LBB2_1775-.Lpost_getpc29559)&4294967295
	s_addc_u32 s15, s15, (.LBB2_1775-.Lpost_getpc29559)>>32
	s_setpc_b64 s[14:15]
.LBB2_29559:
	s_getpc_b64 s[14:15]
.Lpost_getpc18363:
	s_add_u32 s14, s14, (.LBB2_1776-.Lpost_getpc18363)&4294967295
	s_addc_u32 s15, s15, (.LBB2_1776-.Lpost_getpc18363)>>32
	s_setpc_b64 s[14:15]
.LBB2_16113:
	s_movk_i32 s4, 0x80
	v_cmp_eq_u16_e32 vcc, s4, v3
	s_mov_b64 s[4:5], -1
                                        ; implicit-def: $sgpr10
	s_and_saveexec_b64 s[8:9], vcc
; %bb.16114:
	s_mov_b32 s10, 0x7f800001
	s_xor_b64 s[4:5], exec, -1
; %bb.16115:
	s_or_b64 exec, exec, s[8:9]
	s_and_b64 s[4:5], s[4:5], exec
                                        ; implicit-def: $vgpr3
	s_or_saveexec_b64 s[6:7], s[6:7]
	v_mov_b32_e32 v2, s10
	s_xor_b64 exec, exec, s[6:7]
	s_cbranch_execnz .LBB2_16116
; %bb.51953:
	s_getpc_b64 s[14:15]
.Lpost_getpc29560:
	s_add_u32 s14, s14, (.LBB2_1778-.Lpost_getpc29560)&4294967295
	s_addc_u32 s15, s15, (.LBB2_1778-.Lpost_getpc29560)>>32
	s_setpc_b64 s[14:15]
.LBB2_16116:
	v_cmp_ne_u16_e32 vcc, 0, v3
	s_andn2_b64 s[4:5], s[4:5], exec
	s_and_b64 s[8:9], vcc, exec
	v_mov_b32_e32 v2, 0
	s_or_b64 s[4:5], s[4:5], s[8:9]
	s_or_b64 exec, exec, s[6:7]
	s_and_saveexec_b64 s[6:7], s[4:5]
	s_cbranch_execz .LBB2_29561
; %bb.51955:
	s_getpc_b64 s[14:15]
.Lpost_getpc29561:
	s_add_u32 s14, s14, (.LBB2_1779-.Lpost_getpc29561)&4294967295
	s_addc_u32 s15, s15, (.LBB2_1779-.Lpost_getpc29561)>>32
	s_setpc_b64 s[14:15]
.LBB2_29561:
	s_getpc_b64 s[14:15]
.Lpost_getpc18364:
	s_add_u32 s14, s14, (.LBB2_1780-.Lpost_getpc18364)&4294967295
	s_addc_u32 s15, s15, (.LBB2_1780-.Lpost_getpc18364)>>32
	s_setpc_b64 s[14:15]
.LBB2_16117:
	s_movk_i32 s4, 0x80
	v_cmp_eq_u16_e32 vcc, s4, v3
	s_mov_b64 s[4:5], -1
                                        ; implicit-def: $sgpr10
	s_and_saveexec_b64 s[8:9], vcc
; %bb.16118:
	s_mov_b32 s10, 0x7f800001
	s_xor_b64 s[4:5], exec, -1
; %bb.16119:
	s_or_b64 exec, exec, s[8:9]
	s_and_b64 s[4:5], s[4:5], exec
                                        ; implicit-def: $vgpr3
	s_or_saveexec_b64 s[6:7], s[6:7]
	v_mov_b32_e32 v4, s10
	s_xor_b64 exec, exec, s[6:7]
	s_cbranch_execnz .LBB2_16120
; %bb.51957:
	s_getpc_b64 s[14:15]
.Lpost_getpc29562:
	s_add_u32 s14, s14, (.LBB2_1782-.Lpost_getpc29562)&4294967295
	s_addc_u32 s15, s15, (.LBB2_1782-.Lpost_getpc29562)>>32
	s_setpc_b64 s[14:15]
.LBB2_16120:
	v_cmp_ne_u16_e32 vcc, 0, v3
	s_andn2_b64 s[4:5], s[4:5], exec
	s_and_b64 s[8:9], vcc, exec
	v_mov_b32_e32 v4, 0
	s_or_b64 s[4:5], s[4:5], s[8:9]
	s_or_b64 exec, exec, s[6:7]
	s_and_saveexec_b64 s[6:7], s[4:5]
	s_cbranch_execz .LBB2_29563
; %bb.51959:
	s_getpc_b64 s[14:15]
.Lpost_getpc29563:
	s_add_u32 s14, s14, (.LBB2_1783-.Lpost_getpc29563)&4294967295
	s_addc_u32 s15, s15, (.LBB2_1783-.Lpost_getpc29563)>>32
	s_setpc_b64 s[14:15]
.LBB2_29563:
	s_getpc_b64 s[14:15]
.Lpost_getpc18365:
	s_add_u32 s14, s14, (.LBB2_1784-.Lpost_getpc18365)&4294967295
	s_addc_u32 s15, s15, (.LBB2_1784-.Lpost_getpc18365)>>32
	s_setpc_b64 s[14:15]
.LBB2_16121:
	s_movk_i32 s4, 0x80
	v_cmp_eq_u16_sdwa s[12:13], v9, s4 src0_sel:BYTE_3 src1_sel:DWORD
	s_mov_b64 s[4:5], -1
                                        ; implicit-def: $sgpr10
	s_and_saveexec_b64 s[8:9], s[12:13]
; %bb.16122:
	s_mov_b32 s10, 0x7f800001
	s_xor_b64 s[4:5], exec, -1
; %bb.16123:
	s_or_b64 exec, exec, s[8:9]
	s_and_b64 s[4:5], s[4:5], exec
	s_or_saveexec_b64 s[6:7], s[6:7]
	v_mov_b32_e32 v2, s10
	s_xor_b64 exec, exec, s[6:7]
	s_cbranch_execnz .LBB2_16124
; %bb.51961:
	s_getpc_b64 s[14:15]
.Lpost_getpc29564:
	s_add_u32 s14, s14, (.LBB2_1786-.Lpost_getpc29564)&4294967295
	s_addc_u32 s15, s15, (.LBB2_1786-.Lpost_getpc29564)>>32
	s_setpc_b64 s[14:15]
.LBB2_16124:
	v_mov_b32_e32 v2, 0
	v_cmp_ne_u16_sdwa s[8:9], v9, v2 src0_sel:BYTE_3 src1_sel:DWORD
	s_andn2_b64 s[4:5], s[4:5], exec
	s_and_b64 s[8:9], s[8:9], exec
	s_or_b64 s[4:5], s[4:5], s[8:9]
	s_or_b64 exec, exec, s[6:7]
	s_and_saveexec_b64 s[6:7], s[4:5]
	s_cbranch_execz .LBB2_29565
; %bb.51963:
	s_getpc_b64 s[14:15]
.Lpost_getpc29565:
	s_add_u32 s14, s14, (.LBB2_1787-.Lpost_getpc29565)&4294967295
	s_addc_u32 s15, s15, (.LBB2_1787-.Lpost_getpc29565)>>32
	s_setpc_b64 s[14:15]
.LBB2_29565:
	s_getpc_b64 s[14:15]
.Lpost_getpc18366:
	s_add_u32 s14, s14, (.LBB2_1788-.Lpost_getpc18366)&4294967295
	s_addc_u32 s15, s15, (.LBB2_1788-.Lpost_getpc18366)>>32
	s_setpc_b64 s[14:15]
.LBB2_16125:
	s_movk_i32 s4, 0x80
	v_cmp_eq_u16_sdwa s[12:13], v5, s4 src0_sel:BYTE_3 src1_sel:DWORD
	s_mov_b64 s[4:5], -1
                                        ; implicit-def: $sgpr10
	s_and_saveexec_b64 s[8:9], s[12:13]
; %bb.16126:
	s_mov_b32 s10, 0x7f800001
	s_xor_b64 s[4:5], exec, -1
; %bb.16127:
	s_or_b64 exec, exec, s[8:9]
	s_and_b64 s[4:5], s[4:5], exec
	s_or_saveexec_b64 s[6:7], s[6:7]
	v_mov_b32_e32 v3, s10
	s_xor_b64 exec, exec, s[6:7]
	s_cbranch_execnz .LBB2_16128
; %bb.51965:
	s_getpc_b64 s[14:15]
.Lpost_getpc29566:
	s_add_u32 s14, s14, (.LBB2_1790-.Lpost_getpc29566)&4294967295
	s_addc_u32 s15, s15, (.LBB2_1790-.Lpost_getpc29566)>>32
	s_setpc_b64 s[14:15]
.LBB2_16128:
	v_mov_b32_e32 v3, 0
	v_cmp_ne_u16_sdwa s[8:9], v5, v3 src0_sel:BYTE_3 src1_sel:DWORD
	s_andn2_b64 s[4:5], s[4:5], exec
	s_and_b64 s[8:9], s[8:9], exec
	s_or_b64 s[4:5], s[4:5], s[8:9]
	s_or_b64 exec, exec, s[6:7]
	s_and_saveexec_b64 s[6:7], s[4:5]
	s_cbranch_execz .LBB2_29567
; %bb.51967:
	s_getpc_b64 s[14:15]
.Lpost_getpc29567:
	s_add_u32 s14, s14, (.LBB2_1791-.Lpost_getpc29567)&4294967295
	s_addc_u32 s15, s15, (.LBB2_1791-.Lpost_getpc29567)>>32
	s_setpc_b64 s[14:15]
.LBB2_29567:
	s_getpc_b64 s[14:15]
.Lpost_getpc18367:
	s_add_u32 s14, s14, (.LBB2_1792-.Lpost_getpc18367)&4294967295
	s_addc_u32 s15, s15, (.LBB2_1792-.Lpost_getpc18367)>>32
	s_setpc_b64 s[14:15]
.LBB2_16129:
	s_movk_i32 s4, 0x80
	v_cmp_eq_u16_sdwa s[12:13], v6, s4 src0_sel:BYTE_0 src1_sel:DWORD
	s_mov_b64 s[4:5], -1
                                        ; implicit-def: $sgpr10
	s_and_saveexec_b64 s[8:9], s[12:13]
; %bb.16130:
	s_mov_b32 s10, 0x7f800001
	s_xor_b64 s[4:5], exec, -1
; %bb.16131:
	s_or_b64 exec, exec, s[8:9]
	s_and_b64 s[4:5], s[4:5], exec
	s_or_saveexec_b64 s[6:7], s[6:7]
	v_mov_b32_e32 v12, s10
	s_xor_b64 exec, exec, s[6:7]
	s_cbranch_execnz .LBB2_16132
; %bb.51969:
	s_getpc_b64 s[14:15]
.Lpost_getpc29568:
	s_add_u32 s14, s14, (.LBB2_1794-.Lpost_getpc29568)&4294967295
	s_addc_u32 s15, s15, (.LBB2_1794-.Lpost_getpc29568)>>32
	s_setpc_b64 s[14:15]
.LBB2_16132:
	v_mov_b32_e32 v12, 0
	v_cmp_ne_u16_sdwa s[8:9], v6, v12 src0_sel:BYTE_0 src1_sel:DWORD
	s_andn2_b64 s[4:5], s[4:5], exec
	s_and_b64 s[8:9], s[8:9], exec
	s_or_b64 s[4:5], s[4:5], s[8:9]
	s_or_b64 exec, exec, s[6:7]
	s_and_saveexec_b64 s[6:7], s[4:5]
	s_cbranch_execz .LBB2_29569
; %bb.51971:
	s_getpc_b64 s[14:15]
.Lpost_getpc29569:
	s_add_u32 s14, s14, (.LBB2_1795-.Lpost_getpc29569)&4294967295
	s_addc_u32 s15, s15, (.LBB2_1795-.Lpost_getpc29569)>>32
	s_setpc_b64 s[14:15]
.LBB2_29569:
	s_getpc_b64 s[14:15]
.Lpost_getpc18368:
	s_add_u32 s14, s14, (.LBB2_1796-.Lpost_getpc18368)&4294967295
	s_addc_u32 s15, s15, (.LBB2_1796-.Lpost_getpc18368)>>32
	s_setpc_b64 s[14:15]
.LBB2_16133:
	s_movk_i32 s4, 0x80
	v_cmp_eq_u16_sdwa s[12:13], v2, s4 src0_sel:BYTE_0 src1_sel:DWORD
	s_mov_b64 s[4:5], -1
                                        ; implicit-def: $sgpr10
	s_and_saveexec_b64 s[8:9], s[12:13]
; %bb.16134:
	s_mov_b32 s10, 0x7f800001
	s_xor_b64 s[4:5], exec, -1
; %bb.16135:
	s_or_b64 exec, exec, s[8:9]
	s_and_b64 s[4:5], s[4:5], exec
	s_or_saveexec_b64 s[6:7], s[6:7]
	v_mov_b32_e32 v13, s10
	s_xor_b64 exec, exec, s[6:7]
	s_cbranch_execnz .LBB2_16136
; %bb.51973:
	s_getpc_b64 s[14:15]
.Lpost_getpc29570:
	s_add_u32 s14, s14, (.LBB2_1798-.Lpost_getpc29570)&4294967295
	s_addc_u32 s15, s15, (.LBB2_1798-.Lpost_getpc29570)>>32
	s_setpc_b64 s[14:15]
.LBB2_16136:
	v_mov_b32_e32 v13, 0
	v_cmp_ne_u16_sdwa s[8:9], v2, v13 src0_sel:BYTE_0 src1_sel:DWORD
	s_andn2_b64 s[4:5], s[4:5], exec
	s_and_b64 s[8:9], s[8:9], exec
	s_or_b64 s[4:5], s[4:5], s[8:9]
	s_or_b64 exec, exec, s[6:7]
	s_and_saveexec_b64 s[6:7], s[4:5]
	s_cbranch_execz .LBB2_29571
; %bb.51975:
	s_getpc_b64 s[14:15]
.Lpost_getpc29571:
	s_add_u32 s14, s14, (.LBB2_1799-.Lpost_getpc29571)&4294967295
	s_addc_u32 s15, s15, (.LBB2_1799-.Lpost_getpc29571)>>32
	s_setpc_b64 s[14:15]
.LBB2_29571:
	s_getpc_b64 s[14:15]
.Lpost_getpc18369:
	s_add_u32 s14, s14, (.LBB2_1800-.Lpost_getpc18369)&4294967295
	s_addc_u32 s15, s15, (.LBB2_1800-.Lpost_getpc18369)>>32
	s_setpc_b64 s[14:15]
.LBB2_16137:
	s_movk_i32 s4, 0x80
	v_cmp_eq_u16_sdwa s[12:13], v13, s4 src0_sel:BYTE_0 src1_sel:DWORD
	s_mov_b64 s[4:5], -1
                                        ; implicit-def: $sgpr10
	s_and_saveexec_b64 s[8:9], s[12:13]
; %bb.16138:
	s_mov_b32 s10, 0x7f800001
	s_xor_b64 s[4:5], exec, -1
; %bb.16139:
	s_or_b64 exec, exec, s[8:9]
	s_and_b64 s[4:5], s[4:5], exec
	s_or_saveexec_b64 s[6:7], s[6:7]
	v_mov_b32_e32 v12, s10
	s_xor_b64 exec, exec, s[6:7]
	s_cbranch_execnz .LBB2_16140
; %bb.51977:
	s_getpc_b64 s[14:15]
.Lpost_getpc29572:
	s_add_u32 s14, s14, (.LBB2_1802-.Lpost_getpc29572)&4294967295
	s_addc_u32 s15, s15, (.LBB2_1802-.Lpost_getpc29572)>>32
	s_setpc_b64 s[14:15]
.LBB2_16140:
	v_mov_b32_e32 v12, 0
	v_cmp_ne_u16_sdwa s[8:9], v13, v12 src0_sel:BYTE_0 src1_sel:DWORD
	s_andn2_b64 s[4:5], s[4:5], exec
	s_and_b64 s[8:9], s[8:9], exec
	s_or_b64 s[4:5], s[4:5], s[8:9]
	s_or_b64 exec, exec, s[6:7]
	s_and_saveexec_b64 s[6:7], s[4:5]
	s_cbranch_execz .LBB2_29573
; %bb.51979:
	s_getpc_b64 s[14:15]
.Lpost_getpc29573:
	s_add_u32 s14, s14, (.LBB2_1803-.Lpost_getpc29573)&4294967295
	s_addc_u32 s15, s15, (.LBB2_1803-.Lpost_getpc29573)>>32
	s_setpc_b64 s[14:15]
.LBB2_29573:
	s_getpc_b64 s[14:15]
.Lpost_getpc18370:
	s_add_u32 s14, s14, (.LBB2_1804-.Lpost_getpc18370)&4294967295
	s_addc_u32 s15, s15, (.LBB2_1804-.Lpost_getpc18370)>>32
	s_setpc_b64 s[14:15]
.LBB2_16141:
	s_movk_i32 s4, 0x80
	v_cmp_eq_u16_sdwa s[12:13], v13, s4 src0_sel:BYTE_0 src1_sel:DWORD
	s_mov_b64 s[4:5], -1
                                        ; implicit-def: $sgpr10
	s_and_saveexec_b64 s[8:9], s[12:13]
; %bb.16142:
	s_mov_b32 s10, 0x7f800001
	s_xor_b64 s[4:5], exec, -1
; %bb.16143:
	s_or_b64 exec, exec, s[8:9]
	s_and_b64 s[4:5], s[4:5], exec
	s_or_saveexec_b64 s[6:7], s[6:7]
	v_mov_b32_e32 v14, s10
	s_xor_b64 exec, exec, s[6:7]
	s_cbranch_execnz .LBB2_16144
; %bb.51981:
	s_getpc_b64 s[14:15]
.Lpost_getpc29574:
	s_add_u32 s14, s14, (.LBB2_1806-.Lpost_getpc29574)&4294967295
	s_addc_u32 s15, s15, (.LBB2_1806-.Lpost_getpc29574)>>32
	s_setpc_b64 s[14:15]
.LBB2_16144:
	v_mov_b32_e32 v14, 0
	v_cmp_ne_u16_sdwa s[8:9], v13, v14 src0_sel:BYTE_0 src1_sel:DWORD
	s_andn2_b64 s[4:5], s[4:5], exec
	s_and_b64 s[8:9], s[8:9], exec
	s_or_b64 s[4:5], s[4:5], s[8:9]
	s_or_b64 exec, exec, s[6:7]
	s_and_saveexec_b64 s[6:7], s[4:5]
	s_cbranch_execz .LBB2_29575
; %bb.51983:
	s_getpc_b64 s[14:15]
.Lpost_getpc29575:
	s_add_u32 s14, s14, (.LBB2_1807-.Lpost_getpc29575)&4294967295
	s_addc_u32 s15, s15, (.LBB2_1807-.Lpost_getpc29575)>>32
	s_setpc_b64 s[14:15]
.LBB2_29575:
	s_getpc_b64 s[14:15]
.Lpost_getpc18371:
	s_add_u32 s14, s14, (.LBB2_1808-.Lpost_getpc18371)&4294967295
	s_addc_u32 s15, s15, (.LBB2_1808-.Lpost_getpc18371)>>32
	s_setpc_b64 s[14:15]
.LBB2_16145:
	s_movk_i32 s4, 0x80
	v_cmp_eq_u16_e32 vcc, s4, v13
	s_mov_b64 s[4:5], -1
                                        ; implicit-def: $sgpr10
	s_and_saveexec_b64 s[8:9], vcc
; %bb.16146:
	s_mov_b32 s10, 0x7f800001
	s_xor_b64 s[4:5], exec, -1
; %bb.16147:
	s_or_b64 exec, exec, s[8:9]
	s_and_b64 s[4:5], s[4:5], exec
                                        ; implicit-def: $vgpr13
	s_or_saveexec_b64 s[6:7], s[6:7]
	v_mov_b32_e32 v12, s10
	s_xor_b64 exec, exec, s[6:7]
	s_cbranch_execnz .LBB2_16148
; %bb.51985:
	s_getpc_b64 s[14:15]
.Lpost_getpc29576:
	s_add_u32 s14, s14, (.LBB2_1810-.Lpost_getpc29576)&4294967295
	s_addc_u32 s15, s15, (.LBB2_1810-.Lpost_getpc29576)>>32
	s_setpc_b64 s[14:15]
.LBB2_16148:
	v_cmp_ne_u16_e32 vcc, 0, v13
	s_andn2_b64 s[4:5], s[4:5], exec
	s_and_b64 s[8:9], vcc, exec
	v_mov_b32_e32 v12, 0
	s_or_b64 s[4:5], s[4:5], s[8:9]
	s_or_b64 exec, exec, s[6:7]
	s_and_saveexec_b64 s[6:7], s[4:5]
	s_cbranch_execz .LBB2_29577
; %bb.51987:
	s_getpc_b64 s[14:15]
.Lpost_getpc29577:
	s_add_u32 s14, s14, (.LBB2_1811-.Lpost_getpc29577)&4294967295
	s_addc_u32 s15, s15, (.LBB2_1811-.Lpost_getpc29577)>>32
	s_setpc_b64 s[14:15]
.LBB2_29577:
	s_getpc_b64 s[14:15]
.Lpost_getpc18372:
	s_add_u32 s14, s14, (.LBB2_1812-.Lpost_getpc18372)&4294967295
	s_addc_u32 s15, s15, (.LBB2_1812-.Lpost_getpc18372)>>32
	s_setpc_b64 s[14:15]
.LBB2_16149:
	s_movk_i32 s4, 0x80
	v_cmp_eq_u16_e32 vcc, s4, v13
	s_mov_b64 s[4:5], -1
                                        ; implicit-def: $sgpr10
	s_and_saveexec_b64 s[8:9], vcc
; %bb.16150:
	s_mov_b32 s10, 0x7f800001
	s_xor_b64 s[4:5], exec, -1
; %bb.16151:
	s_or_b64 exec, exec, s[8:9]
	s_and_b64 s[4:5], s[4:5], exec
                                        ; implicit-def: $vgpr13
	s_or_saveexec_b64 s[6:7], s[6:7]
	v_mov_b32_e32 v14, s10
	s_xor_b64 exec, exec, s[6:7]
	s_cbranch_execnz .LBB2_16152
; %bb.51989:
	s_getpc_b64 s[14:15]
.Lpost_getpc29578:
	s_add_u32 s14, s14, (.LBB2_1814-.Lpost_getpc29578)&4294967295
	s_addc_u32 s15, s15, (.LBB2_1814-.Lpost_getpc29578)>>32
	s_setpc_b64 s[14:15]
.LBB2_16152:
	v_cmp_ne_u16_e32 vcc, 0, v13
	s_andn2_b64 s[4:5], s[4:5], exec
	s_and_b64 s[8:9], vcc, exec
	v_mov_b32_e32 v14, 0
	s_or_b64 s[4:5], s[4:5], s[8:9]
	s_or_b64 exec, exec, s[6:7]
	s_and_saveexec_b64 s[6:7], s[4:5]
	s_cbranch_execz .LBB2_29579
; %bb.51991:
	s_getpc_b64 s[14:15]
.Lpost_getpc29579:
	s_add_u32 s14, s14, (.LBB2_1815-.Lpost_getpc29579)&4294967295
	s_addc_u32 s15, s15, (.LBB2_1815-.Lpost_getpc29579)>>32
	s_setpc_b64 s[14:15]
.LBB2_29579:
	s_getpc_b64 s[14:15]
.Lpost_getpc18373:
	s_add_u32 s14, s14, (.LBB2_1816-.Lpost_getpc18373)&4294967295
	s_addc_u32 s15, s15, (.LBB2_1816-.Lpost_getpc18373)>>32
	s_setpc_b64 s[14:15]
.LBB2_16153:
	s_movk_i32 s4, 0x80
	v_cmp_eq_u16_sdwa s[12:13], v6, s4 src0_sel:BYTE_3 src1_sel:DWORD
	s_mov_b64 s[4:5], -1
                                        ; implicit-def: $sgpr10
	s_and_saveexec_b64 s[8:9], s[12:13]
; %bb.16154:
	s_mov_b32 s10, 0x7f800001
	s_xor_b64 s[4:5], exec, -1
; %bb.16155:
	s_or_b64 exec, exec, s[8:9]
	s_and_b64 s[4:5], s[4:5], exec
	s_or_saveexec_b64 s[6:7], s[6:7]
	v_mov_b32_e32 v12, s10
	s_xor_b64 exec, exec, s[6:7]
	s_cbranch_execnz .LBB2_16156
; %bb.51993:
	s_getpc_b64 s[14:15]
.Lpost_getpc29580:
	s_add_u32 s14, s14, (.LBB2_1818-.Lpost_getpc29580)&4294967295
	s_addc_u32 s15, s15, (.LBB2_1818-.Lpost_getpc29580)>>32
	s_setpc_b64 s[14:15]
.LBB2_16156:
	v_mov_b32_e32 v12, 0
	v_cmp_ne_u16_sdwa s[8:9], v6, v12 src0_sel:BYTE_3 src1_sel:DWORD
	s_andn2_b64 s[4:5], s[4:5], exec
	s_and_b64 s[8:9], s[8:9], exec
	s_or_b64 s[4:5], s[4:5], s[8:9]
	s_or_b64 exec, exec, s[6:7]
	s_and_saveexec_b64 s[6:7], s[4:5]
	s_cbranch_execz .LBB2_29581
; %bb.51995:
	s_getpc_b64 s[14:15]
.Lpost_getpc29581:
	s_add_u32 s14, s14, (.LBB2_1819-.Lpost_getpc29581)&4294967295
	s_addc_u32 s15, s15, (.LBB2_1819-.Lpost_getpc29581)>>32
	s_setpc_b64 s[14:15]
.LBB2_29581:
	s_getpc_b64 s[14:15]
.Lpost_getpc18374:
	s_add_u32 s14, s14, (.LBB2_1820-.Lpost_getpc18374)&4294967295
	s_addc_u32 s15, s15, (.LBB2_1820-.Lpost_getpc18374)>>32
	s_setpc_b64 s[14:15]
.LBB2_16157:
	s_movk_i32 s4, 0x80
	v_cmp_eq_u16_sdwa s[12:13], v2, s4 src0_sel:BYTE_3 src1_sel:DWORD
	s_mov_b64 s[4:5], -1
                                        ; implicit-def: $sgpr10
	s_and_saveexec_b64 s[8:9], s[12:13]
; %bb.16158:
	s_mov_b32 s10, 0x7f800001
	s_xor_b64 s[4:5], exec, -1
; %bb.16159:
	s_or_b64 exec, exec, s[8:9]
	s_and_b64 s[4:5], s[4:5], exec
	s_or_saveexec_b64 s[6:7], s[6:7]
	v_mov_b32_e32 v6, s10
	s_xor_b64 exec, exec, s[6:7]
	s_cbranch_execnz .LBB2_16160
; %bb.51997:
	s_getpc_b64 s[14:15]
.Lpost_getpc29582:
	s_add_u32 s14, s14, (.LBB2_1822-.Lpost_getpc29582)&4294967295
	s_addc_u32 s15, s15, (.LBB2_1822-.Lpost_getpc29582)>>32
	s_setpc_b64 s[14:15]
.LBB2_16160:
	v_mov_b32_e32 v6, 0
	v_cmp_ne_u16_sdwa s[8:9], v2, v6 src0_sel:BYTE_3 src1_sel:DWORD
	s_andn2_b64 s[4:5], s[4:5], exec
	s_and_b64 s[8:9], s[8:9], exec
	s_or_b64 s[4:5], s[4:5], s[8:9]
	s_or_b64 exec, exec, s[6:7]
	s_and_saveexec_b64 s[6:7], s[4:5]
	s_cbranch_execz .LBB2_29583
; %bb.51999:
	s_getpc_b64 s[14:15]
.Lpost_getpc29583:
	s_add_u32 s14, s14, (.LBB2_1823-.Lpost_getpc29583)&4294967295
	s_addc_u32 s15, s15, (.LBB2_1823-.Lpost_getpc29583)>>32
	s_setpc_b64 s[14:15]
.LBB2_29583:
	s_getpc_b64 s[14:15]
.Lpost_getpc18375:
	s_add_u32 s14, s14, (.LBB2_1824-.Lpost_getpc18375)&4294967295
	s_addc_u32 s15, s15, (.LBB2_1824-.Lpost_getpc18375)>>32
	s_setpc_b64 s[14:15]
.LBB2_16161:
	s_movk_i32 s4, 0x80
	v_cmp_eq_u16_sdwa s[12:13], v7, s4 src0_sel:BYTE_0 src1_sel:DWORD
	s_mov_b64 s[4:5], -1
                                        ; implicit-def: $sgpr10
	s_and_saveexec_b64 s[8:9], s[12:13]
; %bb.16162:
	s_mov_b32 s10, 0x7f800001
	s_xor_b64 s[4:5], exec, -1
; %bb.16163:
	s_or_b64 exec, exec, s[8:9]
	s_and_b64 s[4:5], s[4:5], exec
	s_or_saveexec_b64 s[6:7], s[6:7]
	v_mov_b32_e32 v2, s10
	s_xor_b64 exec, exec, s[6:7]
	s_cbranch_execnz .LBB2_16164
; %bb.52001:
	s_getpc_b64 s[14:15]
.Lpost_getpc29584:
	s_add_u32 s14, s14, (.LBB2_1826-.Lpost_getpc29584)&4294967295
	s_addc_u32 s15, s15, (.LBB2_1826-.Lpost_getpc29584)>>32
	s_setpc_b64 s[14:15]
.LBB2_16164:
	v_mov_b32_e32 v2, 0
	v_cmp_ne_u16_sdwa s[8:9], v7, v2 src0_sel:BYTE_0 src1_sel:DWORD
	s_andn2_b64 s[4:5], s[4:5], exec
	s_and_b64 s[8:9], s[8:9], exec
	s_or_b64 s[4:5], s[4:5], s[8:9]
	s_or_b64 exec, exec, s[6:7]
	s_and_saveexec_b64 s[6:7], s[4:5]
	s_cbranch_execz .LBB2_29585
; %bb.52003:
	s_getpc_b64 s[14:15]
.Lpost_getpc29585:
	s_add_u32 s14, s14, (.LBB2_1827-.Lpost_getpc29585)&4294967295
	s_addc_u32 s15, s15, (.LBB2_1827-.Lpost_getpc29585)>>32
	s_setpc_b64 s[14:15]
.LBB2_29585:
	s_getpc_b64 s[14:15]
.Lpost_getpc18376:
	s_add_u32 s14, s14, (.LBB2_1828-.Lpost_getpc18376)&4294967295
	s_addc_u32 s15, s15, (.LBB2_1828-.Lpost_getpc18376)>>32
	s_setpc_b64 s[14:15]
.LBB2_16165:
	s_movk_i32 s4, 0x80
	v_cmp_eq_u16_sdwa s[12:13], v3, s4 src0_sel:BYTE_0 src1_sel:DWORD
	s_mov_b64 s[4:5], -1
                                        ; implicit-def: $sgpr10
	s_and_saveexec_b64 s[8:9], s[12:13]
; %bb.16166:
	s_mov_b32 s10, 0x7f800001
	s_xor_b64 s[4:5], exec, -1
; %bb.16167:
	s_or_b64 exec, exec, s[8:9]
	s_and_b64 s[4:5], s[4:5], exec
	s_or_saveexec_b64 s[6:7], s[6:7]
	v_mov_b32_e32 v6, s10
	s_xor_b64 exec, exec, s[6:7]
	s_cbranch_execnz .LBB2_16168
; %bb.52005:
	s_getpc_b64 s[14:15]
.Lpost_getpc29586:
	s_add_u32 s14, s14, (.LBB2_1830-.Lpost_getpc29586)&4294967295
	s_addc_u32 s15, s15, (.LBB2_1830-.Lpost_getpc29586)>>32
	s_setpc_b64 s[14:15]
.LBB2_16168:
	v_mov_b32_e32 v6, 0
	v_cmp_ne_u16_sdwa s[8:9], v3, v6 src0_sel:BYTE_0 src1_sel:DWORD
	s_andn2_b64 s[4:5], s[4:5], exec
	s_and_b64 s[8:9], s[8:9], exec
	s_or_b64 s[4:5], s[4:5], s[8:9]
	s_or_b64 exec, exec, s[6:7]
	s_and_saveexec_b64 s[6:7], s[4:5]
	s_cbranch_execz .LBB2_29587
; %bb.52007:
	s_getpc_b64 s[14:15]
.Lpost_getpc29587:
	s_add_u32 s14, s14, (.LBB2_1831-.Lpost_getpc29587)&4294967295
	s_addc_u32 s15, s15, (.LBB2_1831-.Lpost_getpc29587)>>32
	s_setpc_b64 s[14:15]
.LBB2_29587:
	s_getpc_b64 s[14:15]
.Lpost_getpc18377:
	s_add_u32 s14, s14, (.LBB2_1832-.Lpost_getpc18377)&4294967295
	s_addc_u32 s15, s15, (.LBB2_1832-.Lpost_getpc18377)>>32
	s_setpc_b64 s[14:15]
.LBB2_16169:
	s_movk_i32 s4, 0x80
	v_cmp_eq_u16_sdwa s[12:13], v6, s4 src0_sel:BYTE_0 src1_sel:DWORD
	s_mov_b64 s[4:5], -1
                                        ; implicit-def: $sgpr10
	s_and_saveexec_b64 s[8:9], s[12:13]
; %bb.16170:
	s_mov_b32 s10, 0x7f800001
	s_xor_b64 s[4:5], exec, -1
; %bb.16171:
	s_or_b64 exec, exec, s[8:9]
	s_and_b64 s[4:5], s[4:5], exec
	s_or_saveexec_b64 s[6:7], s[6:7]
	v_mov_b32_e32 v2, s10
	s_xor_b64 exec, exec, s[6:7]
	s_cbranch_execnz .LBB2_16172
; %bb.52009:
	s_getpc_b64 s[14:15]
.Lpost_getpc29588:
	s_add_u32 s14, s14, (.LBB2_1834-.Lpost_getpc29588)&4294967295
	s_addc_u32 s15, s15, (.LBB2_1834-.Lpost_getpc29588)>>32
	s_setpc_b64 s[14:15]
.LBB2_16172:
	v_mov_b32_e32 v2, 0
	v_cmp_ne_u16_sdwa s[8:9], v6, v2 src0_sel:BYTE_0 src1_sel:DWORD
	s_andn2_b64 s[4:5], s[4:5], exec
	s_and_b64 s[8:9], s[8:9], exec
	s_or_b64 s[4:5], s[4:5], s[8:9]
	s_or_b64 exec, exec, s[6:7]
	s_and_saveexec_b64 s[6:7], s[4:5]
	s_cbranch_execz .LBB2_29589
; %bb.52011:
	s_getpc_b64 s[14:15]
.Lpost_getpc29589:
	s_add_u32 s14, s14, (.LBB2_1835-.Lpost_getpc29589)&4294967295
	s_addc_u32 s15, s15, (.LBB2_1835-.Lpost_getpc29589)>>32
	s_setpc_b64 s[14:15]
.LBB2_29589:
	s_getpc_b64 s[14:15]
.Lpost_getpc18378:
	s_add_u32 s14, s14, (.LBB2_1836-.Lpost_getpc18378)&4294967295
	s_addc_u32 s15, s15, (.LBB2_1836-.Lpost_getpc18378)>>32
	s_setpc_b64 s[14:15]
.LBB2_16173:
	s_movk_i32 s4, 0x80
	v_cmp_eq_u16_sdwa s[12:13], v6, s4 src0_sel:BYTE_0 src1_sel:DWORD
	s_mov_b64 s[4:5], -1
                                        ; implicit-def: $sgpr10
	s_and_saveexec_b64 s[8:9], s[12:13]
; %bb.16174:
	s_mov_b32 s10, 0x7f800001
	s_xor_b64 s[4:5], exec, -1
; %bb.16175:
	s_or_b64 exec, exec, s[8:9]
	s_and_b64 s[4:5], s[4:5], exec
	s_or_saveexec_b64 s[6:7], s[6:7]
	v_mov_b32_e32 v12, s10
	s_xor_b64 exec, exec, s[6:7]
	s_cbranch_execnz .LBB2_16176
; %bb.52013:
	s_getpc_b64 s[14:15]
.Lpost_getpc29590:
	s_add_u32 s14, s14, (.LBB2_1838-.Lpost_getpc29590)&4294967295
	s_addc_u32 s15, s15, (.LBB2_1838-.Lpost_getpc29590)>>32
	s_setpc_b64 s[14:15]
.LBB2_16176:
	v_mov_b32_e32 v12, 0
	v_cmp_ne_u16_sdwa s[8:9], v6, v12 src0_sel:BYTE_0 src1_sel:DWORD
	s_andn2_b64 s[4:5], s[4:5], exec
	s_and_b64 s[8:9], s[8:9], exec
	s_or_b64 s[4:5], s[4:5], s[8:9]
	s_or_b64 exec, exec, s[6:7]
	s_and_saveexec_b64 s[6:7], s[4:5]
	s_cbranch_execz .LBB2_29591
; %bb.52015:
	s_getpc_b64 s[14:15]
.Lpost_getpc29591:
	s_add_u32 s14, s14, (.LBB2_1839-.Lpost_getpc29591)&4294967295
	s_addc_u32 s15, s15, (.LBB2_1839-.Lpost_getpc29591)>>32
	s_setpc_b64 s[14:15]
.LBB2_29591:
	s_getpc_b64 s[14:15]
.Lpost_getpc18379:
	s_add_u32 s14, s14, (.LBB2_1840-.Lpost_getpc18379)&4294967295
	s_addc_u32 s15, s15, (.LBB2_1840-.Lpost_getpc18379)>>32
	s_setpc_b64 s[14:15]
.LBB2_16177:
	s_movk_i32 s4, 0x80
	v_cmp_eq_u16_e32 vcc, s4, v6
	s_mov_b64 s[4:5], -1
                                        ; implicit-def: $sgpr10
	s_and_saveexec_b64 s[8:9], vcc
; %bb.16178:
	s_mov_b32 s10, 0x7f800001
	s_xor_b64 s[4:5], exec, -1
; %bb.16179:
	s_or_b64 exec, exec, s[8:9]
	s_and_b64 s[4:5], s[4:5], exec
                                        ; implicit-def: $vgpr6
	s_or_saveexec_b64 s[6:7], s[6:7]
	v_mov_b32_e32 v2, s10
	s_xor_b64 exec, exec, s[6:7]
	s_cbranch_execnz .LBB2_16180
; %bb.52017:
	s_getpc_b64 s[14:15]
.Lpost_getpc29592:
	s_add_u32 s14, s14, (.LBB2_1842-.Lpost_getpc29592)&4294967295
	s_addc_u32 s15, s15, (.LBB2_1842-.Lpost_getpc29592)>>32
	s_setpc_b64 s[14:15]
.LBB2_16180:
	v_cmp_ne_u16_e32 vcc, 0, v6
	s_andn2_b64 s[4:5], s[4:5], exec
	s_and_b64 s[8:9], vcc, exec
	v_mov_b32_e32 v2, 0
	s_or_b64 s[4:5], s[4:5], s[8:9]
	s_or_b64 exec, exec, s[6:7]
	s_and_saveexec_b64 s[6:7], s[4:5]
	s_cbranch_execz .LBB2_29593
; %bb.52019:
	s_getpc_b64 s[14:15]
.Lpost_getpc29593:
	s_add_u32 s14, s14, (.LBB2_1843-.Lpost_getpc29593)&4294967295
	s_addc_u32 s15, s15, (.LBB2_1843-.Lpost_getpc29593)>>32
	s_setpc_b64 s[14:15]
.LBB2_29593:
	s_getpc_b64 s[14:15]
.Lpost_getpc18380:
	s_add_u32 s14, s14, (.LBB2_1844-.Lpost_getpc18380)&4294967295
	s_addc_u32 s15, s15, (.LBB2_1844-.Lpost_getpc18380)>>32
	s_setpc_b64 s[14:15]
.LBB2_16181:
	s_movk_i32 s4, 0x80
	v_cmp_eq_u16_e32 vcc, s4, v6
	s_mov_b64 s[4:5], -1
                                        ; implicit-def: $sgpr10
	s_and_saveexec_b64 s[8:9], vcc
; %bb.16182:
	s_mov_b32 s10, 0x7f800001
	s_xor_b64 s[4:5], exec, -1
; %bb.16183:
	s_or_b64 exec, exec, s[8:9]
	s_and_b64 s[4:5], s[4:5], exec
                                        ; implicit-def: $vgpr6
	s_or_saveexec_b64 s[6:7], s[6:7]
	v_mov_b32_e32 v12, s10
	s_xor_b64 exec, exec, s[6:7]
	s_cbranch_execnz .LBB2_16184
; %bb.52021:
	s_getpc_b64 s[14:15]
.Lpost_getpc29594:
	s_add_u32 s14, s14, (.LBB2_1846-.Lpost_getpc29594)&4294967295
	s_addc_u32 s15, s15, (.LBB2_1846-.Lpost_getpc29594)>>32
	s_setpc_b64 s[14:15]
.LBB2_16184:
	v_cmp_ne_u16_e32 vcc, 0, v6
	s_andn2_b64 s[4:5], s[4:5], exec
	s_and_b64 s[8:9], vcc, exec
	v_mov_b32_e32 v12, 0
	s_or_b64 s[4:5], s[4:5], s[8:9]
	s_or_b64 exec, exec, s[6:7]
	s_and_saveexec_b64 s[6:7], s[4:5]
	s_cbranch_execz .LBB2_29595
; %bb.52023:
	s_getpc_b64 s[14:15]
.Lpost_getpc29595:
	s_add_u32 s14, s14, (.LBB2_1847-.Lpost_getpc29595)&4294967295
	s_addc_u32 s15, s15, (.LBB2_1847-.Lpost_getpc29595)>>32
	s_setpc_b64 s[14:15]
.LBB2_29595:
	s_getpc_b64 s[14:15]
.Lpost_getpc18381:
	s_add_u32 s14, s14, (.LBB2_1848-.Lpost_getpc18381)&4294967295
	s_addc_u32 s15, s15, (.LBB2_1848-.Lpost_getpc18381)>>32
	s_setpc_b64 s[14:15]
.LBB2_16185:
	s_movk_i32 s4, 0x80
	v_cmp_eq_u16_sdwa s[12:13], v7, s4 src0_sel:BYTE_3 src1_sel:DWORD
	s_mov_b64 s[4:5], -1
                                        ; implicit-def: $sgpr10
	s_and_saveexec_b64 s[8:9], s[12:13]
; %bb.16186:
	s_mov_b32 s10, 0x7f800001
	s_xor_b64 s[4:5], exec, -1
; %bb.16187:
	s_or_b64 exec, exec, s[8:9]
	s_and_b64 s[4:5], s[4:5], exec
	s_or_saveexec_b64 s[6:7], s[6:7]
	v_mov_b32_e32 v2, s10
	s_xor_b64 exec, exec, s[6:7]
	s_cbranch_execnz .LBB2_16188
; %bb.52025:
	s_getpc_b64 s[14:15]
.Lpost_getpc29596:
	s_add_u32 s14, s14, (.LBB2_1850-.Lpost_getpc29596)&4294967295
	s_addc_u32 s15, s15, (.LBB2_1850-.Lpost_getpc29596)>>32
	s_setpc_b64 s[14:15]
.LBB2_16188:
	v_mov_b32_e32 v2, 0
	v_cmp_ne_u16_sdwa s[8:9], v7, v2 src0_sel:BYTE_3 src1_sel:DWORD
	s_andn2_b64 s[4:5], s[4:5], exec
	s_and_b64 s[8:9], s[8:9], exec
	s_or_b64 s[4:5], s[4:5], s[8:9]
	s_or_b64 exec, exec, s[6:7]
	s_and_saveexec_b64 s[6:7], s[4:5]
	s_cbranch_execz .LBB2_29597
; %bb.52027:
	s_getpc_b64 s[14:15]
.Lpost_getpc29597:
	s_add_u32 s14, s14, (.LBB2_1851-.Lpost_getpc29597)&4294967295
	s_addc_u32 s15, s15, (.LBB2_1851-.Lpost_getpc29597)>>32
	s_setpc_b64 s[14:15]
.LBB2_29597:
	s_getpc_b64 s[14:15]
.Lpost_getpc18382:
	s_add_u32 s14, s14, (.LBB2_1852-.Lpost_getpc18382)&4294967295
	s_addc_u32 s15, s15, (.LBB2_1852-.Lpost_getpc18382)>>32
	s_setpc_b64 s[14:15]
.LBB2_16189:
	s_movk_i32 s4, 0x80
	v_cmp_eq_u16_sdwa s[12:13], v3, s4 src0_sel:BYTE_3 src1_sel:DWORD
	s_mov_b64 s[4:5], -1
                                        ; implicit-def: $sgpr10
	s_and_saveexec_b64 s[8:9], s[12:13]
; %bb.16190:
	s_mov_b32 s10, 0x7f800001
	s_xor_b64 s[4:5], exec, -1
; %bb.16191:
	s_or_b64 exec, exec, s[8:9]
	s_and_b64 s[4:5], s[4:5], exec
	s_or_saveexec_b64 s[6:7], s[6:7]
	v_mov_b32_e32 v6, s10
	s_xor_b64 exec, exec, s[6:7]
	s_cbranch_execnz .LBB2_16192
; %bb.52029:
	s_getpc_b64 s[14:15]
.Lpost_getpc29598:
	s_add_u32 s14, s14, (.LBB2_1854-.Lpost_getpc29598)&4294967295
	s_addc_u32 s15, s15, (.LBB2_1854-.Lpost_getpc29598)>>32
	s_setpc_b64 s[14:15]
.LBB2_16192:
	v_mov_b32_e32 v6, 0
	v_cmp_ne_u16_sdwa s[8:9], v3, v6 src0_sel:BYTE_3 src1_sel:DWORD
	s_andn2_b64 s[4:5], s[4:5], exec
	s_and_b64 s[8:9], s[8:9], exec
	s_or_b64 s[4:5], s[4:5], s[8:9]
	s_or_b64 exec, exec, s[6:7]
	s_and_saveexec_b64 s[6:7], s[4:5]
	s_cbranch_execz .LBB2_29599
; %bb.52031:
	s_getpc_b64 s[14:15]
.Lpost_getpc29599:
	s_add_u32 s14, s14, (.LBB2_1855-.Lpost_getpc29599)&4294967295
	s_addc_u32 s15, s15, (.LBB2_1855-.Lpost_getpc29599)>>32
	s_setpc_b64 s[14:15]
.LBB2_29599:
	s_getpc_b64 s[14:15]
.Lpost_getpc18383:
	s_add_u32 s14, s14, (.LBB2_1856-.Lpost_getpc18383)&4294967295
	s_addc_u32 s15, s15, (.LBB2_1856-.Lpost_getpc18383)>>32
	s_setpc_b64 s[14:15]
.LBB2_16193:
	s_movk_i32 s4, 0x80
	v_cmp_eq_u16_sdwa s[12:13], v8, s4 src0_sel:BYTE_0 src1_sel:DWORD
	s_mov_b64 s[4:5], -1
                                        ; implicit-def: $sgpr10
	s_and_saveexec_b64 s[8:9], s[12:13]
; %bb.16194:
	s_mov_b32 s10, 0x7f800001
	s_xor_b64 s[4:5], exec, -1
; %bb.16195:
	s_or_b64 exec, exec, s[8:9]
	s_and_b64 s[4:5], s[4:5], exec
	s_or_saveexec_b64 s[6:7], s[6:7]
	v_mov_b32_e32 v2, s10
	s_xor_b64 exec, exec, s[6:7]
	s_cbranch_execnz .LBB2_16196
; %bb.52033:
	s_getpc_b64 s[14:15]
.Lpost_getpc29600:
	s_add_u32 s14, s14, (.LBB2_1858-.Lpost_getpc29600)&4294967295
	s_addc_u32 s15, s15, (.LBB2_1858-.Lpost_getpc29600)>>32
	s_setpc_b64 s[14:15]
.LBB2_16196:
	v_mov_b32_e32 v2, 0
	v_cmp_ne_u16_sdwa s[8:9], v8, v2 src0_sel:BYTE_0 src1_sel:DWORD
	s_andn2_b64 s[4:5], s[4:5], exec
	s_and_b64 s[8:9], s[8:9], exec
	s_or_b64 s[4:5], s[4:5], s[8:9]
	s_or_b64 exec, exec, s[6:7]
	s_and_saveexec_b64 s[6:7], s[4:5]
	s_cbranch_execz .LBB2_29601
; %bb.52035:
	s_getpc_b64 s[14:15]
.Lpost_getpc29601:
	s_add_u32 s14, s14, (.LBB2_1859-.Lpost_getpc29601)&4294967295
	s_addc_u32 s15, s15, (.LBB2_1859-.Lpost_getpc29601)>>32
	s_setpc_b64 s[14:15]
.LBB2_29601:
	s_getpc_b64 s[14:15]
.Lpost_getpc18384:
	s_add_u32 s14, s14, (.LBB2_1860-.Lpost_getpc18384)&4294967295
	s_addc_u32 s15, s15, (.LBB2_1860-.Lpost_getpc18384)>>32
	s_setpc_b64 s[14:15]
.LBB2_16197:
	s_movk_i32 s4, 0x80
	v_cmp_eq_u16_sdwa s[12:13], v4, s4 src0_sel:BYTE_0 src1_sel:DWORD
	s_mov_b64 s[4:5], -1
                                        ; implicit-def: $sgpr10
	s_and_saveexec_b64 s[8:9], s[12:13]
; %bb.16198:
	s_mov_b32 s10, 0x7f800001
	s_xor_b64 s[4:5], exec, -1
; %bb.16199:
	s_or_b64 exec, exec, s[8:9]
	s_and_b64 s[4:5], s[4:5], exec
	s_or_saveexec_b64 s[6:7], s[6:7]
	v_mov_b32_e32 v3, s10
	s_xor_b64 exec, exec, s[6:7]
	s_cbranch_execnz .LBB2_16200
; %bb.52037:
	s_getpc_b64 s[14:15]
.Lpost_getpc29602:
	s_add_u32 s14, s14, (.LBB2_1862-.Lpost_getpc29602)&4294967295
	s_addc_u32 s15, s15, (.LBB2_1862-.Lpost_getpc29602)>>32
	s_setpc_b64 s[14:15]
.LBB2_16200:
	v_mov_b32_e32 v3, 0
	v_cmp_ne_u16_sdwa s[8:9], v4, v3 src0_sel:BYTE_0 src1_sel:DWORD
	s_andn2_b64 s[4:5], s[4:5], exec
	s_and_b64 s[8:9], s[8:9], exec
	s_or_b64 s[4:5], s[4:5], s[8:9]
	s_or_b64 exec, exec, s[6:7]
	s_and_saveexec_b64 s[6:7], s[4:5]
	s_cbranch_execz .LBB2_29603
; %bb.52039:
	s_getpc_b64 s[14:15]
.Lpost_getpc29603:
	s_add_u32 s14, s14, (.LBB2_1863-.Lpost_getpc29603)&4294967295
	s_addc_u32 s15, s15, (.LBB2_1863-.Lpost_getpc29603)>>32
	s_setpc_b64 s[14:15]
.LBB2_29603:
	s_getpc_b64 s[14:15]
.Lpost_getpc18385:
	s_add_u32 s14, s14, (.LBB2_1864-.Lpost_getpc18385)&4294967295
	s_addc_u32 s15, s15, (.LBB2_1864-.Lpost_getpc18385)>>32
	s_setpc_b64 s[14:15]
.LBB2_16201:
	s_movk_i32 s4, 0x80
	v_cmp_eq_u16_sdwa s[12:13], v3, s4 src0_sel:BYTE_0 src1_sel:DWORD
	s_mov_b64 s[4:5], -1
                                        ; implicit-def: $sgpr10
	s_and_saveexec_b64 s[8:9], s[12:13]
; %bb.16202:
	s_mov_b32 s10, 0x7f800001
	s_xor_b64 s[4:5], exec, -1
; %bb.16203:
	s_or_b64 exec, exec, s[8:9]
	s_and_b64 s[4:5], s[4:5], exec
	s_or_saveexec_b64 s[6:7], s[6:7]
	v_mov_b32_e32 v2, s10
	s_xor_b64 exec, exec, s[6:7]
	s_cbranch_execnz .LBB2_16204
; %bb.52041:
	s_getpc_b64 s[14:15]
.Lpost_getpc29604:
	s_add_u32 s14, s14, (.LBB2_1866-.Lpost_getpc29604)&4294967295
	s_addc_u32 s15, s15, (.LBB2_1866-.Lpost_getpc29604)>>32
	s_setpc_b64 s[14:15]
.LBB2_16204:
	v_mov_b32_e32 v2, 0
	v_cmp_ne_u16_sdwa s[8:9], v3, v2 src0_sel:BYTE_0 src1_sel:DWORD
	s_andn2_b64 s[4:5], s[4:5], exec
	s_and_b64 s[8:9], s[8:9], exec
	s_or_b64 s[4:5], s[4:5], s[8:9]
	s_or_b64 exec, exec, s[6:7]
	s_and_saveexec_b64 s[6:7], s[4:5]
	s_cbranch_execz .LBB2_29605
; %bb.52043:
	s_getpc_b64 s[14:15]
.Lpost_getpc29605:
	s_add_u32 s14, s14, (.LBB2_1867-.Lpost_getpc29605)&4294967295
	s_addc_u32 s15, s15, (.LBB2_1867-.Lpost_getpc29605)>>32
	s_setpc_b64 s[14:15]
.LBB2_29605:
	s_getpc_b64 s[14:15]
.Lpost_getpc18386:
	s_add_u32 s14, s14, (.LBB2_1868-.Lpost_getpc18386)&4294967295
	s_addc_u32 s15, s15, (.LBB2_1868-.Lpost_getpc18386)>>32
	s_setpc_b64 s[14:15]
.LBB2_16205:
	s_movk_i32 s4, 0x80
	v_cmp_eq_u16_sdwa s[12:13], v3, s4 src0_sel:BYTE_0 src1_sel:DWORD
	s_mov_b64 s[4:5], -1
                                        ; implicit-def: $sgpr10
	s_and_saveexec_b64 s[8:9], s[12:13]
; %bb.16206:
	s_mov_b32 s10, 0x7f800001
	s_xor_b64 s[4:5], exec, -1
; %bb.16207:
	s_or_b64 exec, exec, s[8:9]
	s_and_b64 s[4:5], s[4:5], exec
	s_or_saveexec_b64 s[6:7], s[6:7]
	v_mov_b32_e32 v6, s10
	s_xor_b64 exec, exec, s[6:7]
	s_cbranch_execnz .LBB2_16208
; %bb.52045:
	s_getpc_b64 s[14:15]
.Lpost_getpc29606:
	s_add_u32 s14, s14, (.LBB2_1870-.Lpost_getpc29606)&4294967295
	s_addc_u32 s15, s15, (.LBB2_1870-.Lpost_getpc29606)>>32
	s_setpc_b64 s[14:15]
.LBB2_16208:
	v_mov_b32_e32 v6, 0
	v_cmp_ne_u16_sdwa s[8:9], v3, v6 src0_sel:BYTE_0 src1_sel:DWORD
	s_andn2_b64 s[4:5], s[4:5], exec
	s_and_b64 s[8:9], s[8:9], exec
	s_or_b64 s[4:5], s[4:5], s[8:9]
	s_or_b64 exec, exec, s[6:7]
	s_and_saveexec_b64 s[6:7], s[4:5]
	s_cbranch_execz .LBB2_29607
; %bb.52047:
	s_getpc_b64 s[14:15]
.Lpost_getpc29607:
	s_add_u32 s14, s14, (.LBB2_1871-.Lpost_getpc29607)&4294967295
	s_addc_u32 s15, s15, (.LBB2_1871-.Lpost_getpc29607)>>32
	s_setpc_b64 s[14:15]
.LBB2_29607:
	s_getpc_b64 s[14:15]
.Lpost_getpc18387:
	s_add_u32 s14, s14, (.LBB2_1872-.Lpost_getpc18387)&4294967295
	s_addc_u32 s15, s15, (.LBB2_1872-.Lpost_getpc18387)>>32
	s_setpc_b64 s[14:15]
.LBB2_16209:
	s_movk_i32 s4, 0x80
	v_cmp_eq_u16_e32 vcc, s4, v3
	s_mov_b64 s[4:5], -1
                                        ; implicit-def: $sgpr10
	s_and_saveexec_b64 s[8:9], vcc
; %bb.16210:
	s_mov_b32 s10, 0x7f800001
	s_xor_b64 s[4:5], exec, -1
; %bb.16211:
	s_or_b64 exec, exec, s[8:9]
	s_and_b64 s[4:5], s[4:5], exec
                                        ; implicit-def: $vgpr3
	s_or_saveexec_b64 s[6:7], s[6:7]
	v_mov_b32_e32 v2, s10
	s_xor_b64 exec, exec, s[6:7]
	s_cbranch_execnz .LBB2_16212
; %bb.52049:
	s_getpc_b64 s[14:15]
.Lpost_getpc29608:
	s_add_u32 s14, s14, (.LBB2_1874-.Lpost_getpc29608)&4294967295
	s_addc_u32 s15, s15, (.LBB2_1874-.Lpost_getpc29608)>>32
	s_setpc_b64 s[14:15]
.LBB2_16212:
	v_cmp_ne_u16_e32 vcc, 0, v3
	s_andn2_b64 s[4:5], s[4:5], exec
	s_and_b64 s[8:9], vcc, exec
	v_mov_b32_e32 v2, 0
	s_or_b64 s[4:5], s[4:5], s[8:9]
	s_or_b64 exec, exec, s[6:7]
	s_and_saveexec_b64 s[6:7], s[4:5]
	s_cbranch_execz .LBB2_29609
; %bb.52051:
	s_getpc_b64 s[14:15]
.Lpost_getpc29609:
	s_add_u32 s14, s14, (.LBB2_1875-.Lpost_getpc29609)&4294967295
	s_addc_u32 s15, s15, (.LBB2_1875-.Lpost_getpc29609)>>32
	s_setpc_b64 s[14:15]
.LBB2_29609:
	s_getpc_b64 s[14:15]
.Lpost_getpc18388:
	s_add_u32 s14, s14, (.LBB2_1876-.Lpost_getpc18388)&4294967295
	s_addc_u32 s15, s15, (.LBB2_1876-.Lpost_getpc18388)>>32
	s_setpc_b64 s[14:15]
.LBB2_16213:
	s_movk_i32 s4, 0x80
	v_cmp_eq_u16_e32 vcc, s4, v3
	s_mov_b64 s[4:5], -1
                                        ; implicit-def: $sgpr10
	s_and_saveexec_b64 s[8:9], vcc
; %bb.16214:
	s_mov_b32 s10, 0x7f800001
	s_xor_b64 s[4:5], exec, -1
; %bb.16215:
	s_or_b64 exec, exec, s[8:9]
	s_and_b64 s[4:5], s[4:5], exec
                                        ; implicit-def: $vgpr3
	s_or_saveexec_b64 s[6:7], s[6:7]
	v_mov_b32_e32 v6, s10
	s_xor_b64 exec, exec, s[6:7]
	s_cbranch_execnz .LBB2_16216
; %bb.52053:
	s_getpc_b64 s[14:15]
.Lpost_getpc29610:
	s_add_u32 s14, s14, (.LBB2_1878-.Lpost_getpc29610)&4294967295
	s_addc_u32 s15, s15, (.LBB2_1878-.Lpost_getpc29610)>>32
	s_setpc_b64 s[14:15]
.LBB2_16216:
	v_cmp_ne_u16_e32 vcc, 0, v3
	s_andn2_b64 s[4:5], s[4:5], exec
	s_and_b64 s[8:9], vcc, exec
	v_mov_b32_e32 v6, 0
	s_or_b64 s[4:5], s[4:5], s[8:9]
	s_or_b64 exec, exec, s[6:7]
	s_and_saveexec_b64 s[6:7], s[4:5]
	s_cbranch_execz .LBB2_29611
; %bb.52055:
	s_getpc_b64 s[14:15]
.Lpost_getpc29611:
	s_add_u32 s14, s14, (.LBB2_1879-.Lpost_getpc29611)&4294967295
	s_addc_u32 s15, s15, (.LBB2_1879-.Lpost_getpc29611)>>32
	s_setpc_b64 s[14:15]
.LBB2_29611:
	s_getpc_b64 s[14:15]
.Lpost_getpc18389:
	s_add_u32 s14, s14, (.LBB2_1880-.Lpost_getpc18389)&4294967295
	s_addc_u32 s15, s15, (.LBB2_1880-.Lpost_getpc18389)>>32
	s_setpc_b64 s[14:15]
.LBB2_16217:
	s_movk_i32 s4, 0x80
	v_cmp_eq_u16_sdwa s[12:13], v8, s4 src0_sel:BYTE_3 src1_sel:DWORD
	s_mov_b64 s[4:5], -1
                                        ; implicit-def: $sgpr10
	s_and_saveexec_b64 s[8:9], s[12:13]
; %bb.16218:
	s_mov_b32 s10, 0x7f800001
	s_xor_b64 s[4:5], exec, -1
; %bb.16219:
	s_or_b64 exec, exec, s[8:9]
	s_and_b64 s[4:5], s[4:5], exec
	s_or_saveexec_b64 s[6:7], s[6:7]
	v_mov_b32_e32 v2, s10
	s_xor_b64 exec, exec, s[6:7]
	s_cbranch_execnz .LBB2_16220
; %bb.52057:
	s_getpc_b64 s[14:15]
.Lpost_getpc29612:
	s_add_u32 s14, s14, (.LBB2_1882-.Lpost_getpc29612)&4294967295
	s_addc_u32 s15, s15, (.LBB2_1882-.Lpost_getpc29612)>>32
	s_setpc_b64 s[14:15]
.LBB2_16220:
	v_mov_b32_e32 v2, 0
	v_cmp_ne_u16_sdwa s[8:9], v8, v2 src0_sel:BYTE_3 src1_sel:DWORD
	s_andn2_b64 s[4:5], s[4:5], exec
	s_and_b64 s[8:9], s[8:9], exec
	s_or_b64 s[4:5], s[4:5], s[8:9]
	s_or_b64 exec, exec, s[6:7]
	s_and_saveexec_b64 s[6:7], s[4:5]
	s_cbranch_execz .LBB2_29613
; %bb.52059:
	s_getpc_b64 s[14:15]
.Lpost_getpc29613:
	s_add_u32 s14, s14, (.LBB2_1883-.Lpost_getpc29613)&4294967295
	s_addc_u32 s15, s15, (.LBB2_1883-.Lpost_getpc29613)>>32
	s_setpc_b64 s[14:15]
.LBB2_29613:
	s_getpc_b64 s[14:15]
.Lpost_getpc18390:
	s_add_u32 s14, s14, (.LBB2_1884-.Lpost_getpc18390)&4294967295
	s_addc_u32 s15, s15, (.LBB2_1884-.Lpost_getpc18390)>>32
	s_setpc_b64 s[14:15]
.LBB2_16221:
	s_movk_i32 s4, 0x80
	v_cmp_eq_u16_sdwa s[12:13], v4, s4 src0_sel:BYTE_3 src1_sel:DWORD
	s_mov_b64 s[4:5], -1
                                        ; implicit-def: $sgpr10
	s_and_saveexec_b64 s[8:9], s[12:13]
; %bb.16222:
	s_mov_b32 s10, 0x7f800001
	s_xor_b64 s[4:5], exec, -1
; %bb.16223:
	s_or_b64 exec, exec, s[8:9]
	s_and_b64 s[4:5], s[4:5], exec
	s_or_saveexec_b64 s[6:7], s[6:7]
	v_mov_b32_e32 v3, s10
	s_xor_b64 exec, exec, s[6:7]
	s_cbranch_execnz .LBB2_16224
; %bb.52061:
	s_getpc_b64 s[14:15]
.Lpost_getpc29614:
	s_add_u32 s14, s14, (.LBB2_1886-.Lpost_getpc29614)&4294967295
	s_addc_u32 s15, s15, (.LBB2_1886-.Lpost_getpc29614)>>32
	s_setpc_b64 s[14:15]
.LBB2_16224:
	v_mov_b32_e32 v3, 0
	v_cmp_ne_u16_sdwa s[8:9], v4, v3 src0_sel:BYTE_3 src1_sel:DWORD
	s_andn2_b64 s[4:5], s[4:5], exec
	s_and_b64 s[8:9], s[8:9], exec
	s_or_b64 s[4:5], s[4:5], s[8:9]
	s_or_b64 exec, exec, s[6:7]
	s_and_saveexec_b64 s[6:7], s[4:5]
	s_cbranch_execz .LBB2_29615
; %bb.52063:
	s_getpc_b64 s[14:15]
.Lpost_getpc29615:
	s_add_u32 s14, s14, (.LBB2_1887-.Lpost_getpc29615)&4294967295
	s_addc_u32 s15, s15, (.LBB2_1887-.Lpost_getpc29615)>>32
	s_setpc_b64 s[14:15]
.LBB2_29615:
	s_getpc_b64 s[14:15]
.Lpost_getpc18391:
	s_add_u32 s14, s14, (.LBB2_1888-.Lpost_getpc18391)&4294967295
	s_addc_u32 s15, s15, (.LBB2_1888-.Lpost_getpc18391)>>32
	s_setpc_b64 s[14:15]
.LBB2_16225:
	s_movk_i32 s4, 0x80
	v_cmp_eq_u16_sdwa s[12:13], v9, s4 src0_sel:BYTE_0 src1_sel:DWORD
	s_mov_b64 s[4:5], -1
                                        ; implicit-def: $sgpr10
	s_and_saveexec_b64 s[8:9], s[12:13]
; %bb.16226:
	s_mov_b32 s10, 0x7f800001
	s_xor_b64 s[4:5], exec, -1
; %bb.16227:
	s_or_b64 exec, exec, s[8:9]
	s_and_b64 s[4:5], s[4:5], exec
	s_or_saveexec_b64 s[6:7], s[6:7]
	v_mov_b32_e32 v2, s10
	s_xor_b64 exec, exec, s[6:7]
	s_cbranch_execnz .LBB2_16228
; %bb.52065:
	s_getpc_b64 s[14:15]
.Lpost_getpc29616:
	s_add_u32 s14, s14, (.LBB2_1890-.Lpost_getpc29616)&4294967295
	s_addc_u32 s15, s15, (.LBB2_1890-.Lpost_getpc29616)>>32
	s_setpc_b64 s[14:15]
.LBB2_16228:
	v_mov_b32_e32 v2, 0
	v_cmp_ne_u16_sdwa s[8:9], v9, v2 src0_sel:BYTE_0 src1_sel:DWORD
	s_andn2_b64 s[4:5], s[4:5], exec
	s_and_b64 s[8:9], s[8:9], exec
	s_or_b64 s[4:5], s[4:5], s[8:9]
	s_or_b64 exec, exec, s[6:7]
	s_and_saveexec_b64 s[6:7], s[4:5]
	s_cbranch_execz .LBB2_29617
; %bb.52067:
	s_getpc_b64 s[14:15]
.Lpost_getpc29617:
	s_add_u32 s14, s14, (.LBB2_1891-.Lpost_getpc29617)&4294967295
	s_addc_u32 s15, s15, (.LBB2_1891-.Lpost_getpc29617)>>32
	s_setpc_b64 s[14:15]
.LBB2_29617:
	s_getpc_b64 s[14:15]
.Lpost_getpc18392:
	s_add_u32 s14, s14, (.LBB2_1892-.Lpost_getpc18392)&4294967295
	s_addc_u32 s15, s15, (.LBB2_1892-.Lpost_getpc18392)>>32
	s_setpc_b64 s[14:15]
.LBB2_16229:
	s_movk_i32 s4, 0x80
	v_cmp_eq_u16_sdwa s[12:13], v5, s4 src0_sel:BYTE_0 src1_sel:DWORD
	s_mov_b64 s[4:5], -1
                                        ; implicit-def: $sgpr10
	s_and_saveexec_b64 s[8:9], s[12:13]
; %bb.16230:
	s_mov_b32 s10, 0x7f800001
	s_xor_b64 s[4:5], exec, -1
; %bb.16231:
	s_or_b64 exec, exec, s[8:9]
	s_and_b64 s[4:5], s[4:5], exec
	s_or_saveexec_b64 s[6:7], s[6:7]
	v_mov_b32_e32 v3, s10
	s_xor_b64 exec, exec, s[6:7]
	s_cbranch_execnz .LBB2_16232
; %bb.52069:
	s_getpc_b64 s[14:15]
.Lpost_getpc29618:
	s_add_u32 s14, s14, (.LBB2_1894-.Lpost_getpc29618)&4294967295
	s_addc_u32 s15, s15, (.LBB2_1894-.Lpost_getpc29618)>>32
	s_setpc_b64 s[14:15]
.LBB2_16232:
	v_mov_b32_e32 v3, 0
	v_cmp_ne_u16_sdwa s[8:9], v5, v3 src0_sel:BYTE_0 src1_sel:DWORD
	s_andn2_b64 s[4:5], s[4:5], exec
	s_and_b64 s[8:9], s[8:9], exec
	s_or_b64 s[4:5], s[4:5], s[8:9]
	s_or_b64 exec, exec, s[6:7]
	s_and_saveexec_b64 s[6:7], s[4:5]
	s_cbranch_execz .LBB2_29619
; %bb.52071:
	s_getpc_b64 s[14:15]
.Lpost_getpc29619:
	s_add_u32 s14, s14, (.LBB2_1895-.Lpost_getpc29619)&4294967295
	s_addc_u32 s15, s15, (.LBB2_1895-.Lpost_getpc29619)>>32
	s_setpc_b64 s[14:15]
.LBB2_29619:
	s_getpc_b64 s[14:15]
.Lpost_getpc18393:
	s_add_u32 s14, s14, (.LBB2_1896-.Lpost_getpc18393)&4294967295
	s_addc_u32 s15, s15, (.LBB2_1896-.Lpost_getpc18393)>>32
	s_setpc_b64 s[14:15]
.LBB2_16233:
	s_movk_i32 s4, 0x80
	v_cmp_eq_u16_sdwa s[12:13], v3, s4 src0_sel:BYTE_0 src1_sel:DWORD
	s_mov_b64 s[4:5], -1
                                        ; implicit-def: $sgpr10
	s_and_saveexec_b64 s[8:9], s[12:13]
; %bb.16234:
	s_mov_b32 s10, 0x7f800001
	s_xor_b64 s[4:5], exec, -1
; %bb.16235:
	s_or_b64 exec, exec, s[8:9]
	s_and_b64 s[4:5], s[4:5], exec
	s_or_saveexec_b64 s[6:7], s[6:7]
	v_mov_b32_e32 v2, s10
	s_xor_b64 exec, exec, s[6:7]
	s_cbranch_execnz .LBB2_16236
; %bb.52073:
	s_getpc_b64 s[14:15]
.Lpost_getpc29620:
	s_add_u32 s14, s14, (.LBB2_1898-.Lpost_getpc29620)&4294967295
	s_addc_u32 s15, s15, (.LBB2_1898-.Lpost_getpc29620)>>32
	s_setpc_b64 s[14:15]
.LBB2_16236:
	v_mov_b32_e32 v2, 0
	v_cmp_ne_u16_sdwa s[8:9], v3, v2 src0_sel:BYTE_0 src1_sel:DWORD
	s_andn2_b64 s[4:5], s[4:5], exec
	s_and_b64 s[8:9], s[8:9], exec
	s_or_b64 s[4:5], s[4:5], s[8:9]
	s_or_b64 exec, exec, s[6:7]
	s_and_saveexec_b64 s[6:7], s[4:5]
	s_cbranch_execz .LBB2_29621
; %bb.52075:
	s_getpc_b64 s[14:15]
.Lpost_getpc29621:
	s_add_u32 s14, s14, (.LBB2_1899-.Lpost_getpc29621)&4294967295
	s_addc_u32 s15, s15, (.LBB2_1899-.Lpost_getpc29621)>>32
	s_setpc_b64 s[14:15]
.LBB2_29621:
	s_getpc_b64 s[14:15]
.Lpost_getpc18394:
	s_add_u32 s14, s14, (.LBB2_1900-.Lpost_getpc18394)&4294967295
	s_addc_u32 s15, s15, (.LBB2_1900-.Lpost_getpc18394)>>32
	s_setpc_b64 s[14:15]
.LBB2_16237:
	s_movk_i32 s4, 0x80
	v_cmp_eq_u16_sdwa s[12:13], v3, s4 src0_sel:BYTE_0 src1_sel:DWORD
	s_mov_b64 s[4:5], -1
                                        ; implicit-def: $sgpr10
	s_and_saveexec_b64 s[8:9], s[12:13]
; %bb.16238:
	s_mov_b32 s10, 0x7f800001
	s_xor_b64 s[4:5], exec, -1
; %bb.16239:
	s_or_b64 exec, exec, s[8:9]
	s_and_b64 s[4:5], s[4:5], exec
	s_or_saveexec_b64 s[6:7], s[6:7]
	v_mov_b32_e32 v4, s10
	s_xor_b64 exec, exec, s[6:7]
	s_cbranch_execnz .LBB2_16240
; %bb.52077:
	s_getpc_b64 s[14:15]
.Lpost_getpc29622:
	s_add_u32 s14, s14, (.LBB2_1902-.Lpost_getpc29622)&4294967295
	s_addc_u32 s15, s15, (.LBB2_1902-.Lpost_getpc29622)>>32
	s_setpc_b64 s[14:15]
.LBB2_16240:
	v_mov_b32_e32 v4, 0
	v_cmp_ne_u16_sdwa s[8:9], v3, v4 src0_sel:BYTE_0 src1_sel:DWORD
	s_andn2_b64 s[4:5], s[4:5], exec
	s_and_b64 s[8:9], s[8:9], exec
	s_or_b64 s[4:5], s[4:5], s[8:9]
	s_or_b64 exec, exec, s[6:7]
	s_and_saveexec_b64 s[6:7], s[4:5]
	s_cbranch_execz .LBB2_29623
; %bb.52079:
	s_getpc_b64 s[14:15]
.Lpost_getpc29623:
	s_add_u32 s14, s14, (.LBB2_1903-.Lpost_getpc29623)&4294967295
	s_addc_u32 s15, s15, (.LBB2_1903-.Lpost_getpc29623)>>32
	s_setpc_b64 s[14:15]
.LBB2_29623:
	s_getpc_b64 s[14:15]
.Lpost_getpc18395:
	s_add_u32 s14, s14, (.LBB2_1904-.Lpost_getpc18395)&4294967295
	s_addc_u32 s15, s15, (.LBB2_1904-.Lpost_getpc18395)>>32
	s_setpc_b64 s[14:15]
.LBB2_16241:
	s_movk_i32 s4, 0x80
	v_cmp_eq_u16_e32 vcc, s4, v3
	s_mov_b64 s[4:5], -1
                                        ; implicit-def: $sgpr10
	s_and_saveexec_b64 s[8:9], vcc
; %bb.16242:
	s_mov_b32 s10, 0x7f800001
	s_xor_b64 s[4:5], exec, -1
; %bb.16243:
	s_or_b64 exec, exec, s[8:9]
	s_and_b64 s[4:5], s[4:5], exec
                                        ; implicit-def: $vgpr3
	s_or_saveexec_b64 s[6:7], s[6:7]
	v_mov_b32_e32 v2, s10
	s_xor_b64 exec, exec, s[6:7]
	s_cbranch_execnz .LBB2_16244
; %bb.52081:
	s_getpc_b64 s[14:15]
.Lpost_getpc29624:
	s_add_u32 s14, s14, (.LBB2_1906-.Lpost_getpc29624)&4294967295
	s_addc_u32 s15, s15, (.LBB2_1906-.Lpost_getpc29624)>>32
	s_setpc_b64 s[14:15]
.LBB2_16244:
	v_cmp_ne_u16_e32 vcc, 0, v3
	s_andn2_b64 s[4:5], s[4:5], exec
	s_and_b64 s[8:9], vcc, exec
	v_mov_b32_e32 v2, 0
	s_or_b64 s[4:5], s[4:5], s[8:9]
	s_or_b64 exec, exec, s[6:7]
	s_and_saveexec_b64 s[6:7], s[4:5]
	s_cbranch_execz .LBB2_29625
; %bb.52083:
	s_getpc_b64 s[14:15]
.Lpost_getpc29625:
	s_add_u32 s14, s14, (.LBB2_1907-.Lpost_getpc29625)&4294967295
	s_addc_u32 s15, s15, (.LBB2_1907-.Lpost_getpc29625)>>32
	s_setpc_b64 s[14:15]
.LBB2_29625:
	s_getpc_b64 s[14:15]
.Lpost_getpc18396:
	s_add_u32 s14, s14, (.LBB2_1908-.Lpost_getpc18396)&4294967295
	s_addc_u32 s15, s15, (.LBB2_1908-.Lpost_getpc18396)>>32
	s_setpc_b64 s[14:15]
.LBB2_16245:
	s_movk_i32 s4, 0x80
	v_cmp_eq_u16_e32 vcc, s4, v3
	s_mov_b64 s[4:5], -1
                                        ; implicit-def: $sgpr10
	s_and_saveexec_b64 s[8:9], vcc
; %bb.16246:
	s_mov_b32 s10, 0x7f800001
	s_xor_b64 s[4:5], exec, -1
; %bb.16247:
	s_or_b64 exec, exec, s[8:9]
	s_and_b64 s[4:5], s[4:5], exec
                                        ; implicit-def: $vgpr3
	s_or_saveexec_b64 s[6:7], s[6:7]
	v_mov_b32_e32 v4, s10
	s_xor_b64 exec, exec, s[6:7]
	s_cbranch_execnz .LBB2_16248
; %bb.52085:
	s_getpc_b64 s[14:15]
.Lpost_getpc29626:
	s_add_u32 s14, s14, (.LBB2_1910-.Lpost_getpc29626)&4294967295
	s_addc_u32 s15, s15, (.LBB2_1910-.Lpost_getpc29626)>>32
	s_setpc_b64 s[14:15]
.LBB2_16248:
	v_cmp_ne_u16_e32 vcc, 0, v3
	s_andn2_b64 s[4:5], s[4:5], exec
	s_and_b64 s[8:9], vcc, exec
	v_mov_b32_e32 v4, 0
	s_or_b64 s[4:5], s[4:5], s[8:9]
	s_or_b64 exec, exec, s[6:7]
	s_and_saveexec_b64 s[6:7], s[4:5]
	s_cbranch_execz .LBB2_29627
; %bb.52087:
	s_getpc_b64 s[14:15]
.Lpost_getpc29627:
	s_add_u32 s14, s14, (.LBB2_1911-.Lpost_getpc29627)&4294967295
	s_addc_u32 s15, s15, (.LBB2_1911-.Lpost_getpc29627)>>32
	s_setpc_b64 s[14:15]
.LBB2_29627:
	s_getpc_b64 s[14:15]
.Lpost_getpc18397:
	s_add_u32 s14, s14, (.LBB2_1912-.Lpost_getpc18397)&4294967295
	s_addc_u32 s15, s15, (.LBB2_1912-.Lpost_getpc18397)>>32
	s_setpc_b64 s[14:15]
.LBB2_16249:
	s_movk_i32 s4, 0x80
	v_cmp_eq_u16_sdwa s[12:13], v9, s4 src0_sel:BYTE_3 src1_sel:DWORD
	s_mov_b64 s[4:5], -1
                                        ; implicit-def: $sgpr10
	s_and_saveexec_b64 s[8:9], s[12:13]
; %bb.16250:
	s_mov_b32 s10, 0x7f800001
	s_xor_b64 s[4:5], exec, -1
; %bb.16251:
	s_or_b64 exec, exec, s[8:9]
	s_and_b64 s[4:5], s[4:5], exec
	s_or_saveexec_b64 s[6:7], s[6:7]
	v_mov_b32_e32 v2, s10
	s_xor_b64 exec, exec, s[6:7]
	s_cbranch_execnz .LBB2_16252
; %bb.52089:
	s_getpc_b64 s[14:15]
.Lpost_getpc29628:
	s_add_u32 s14, s14, (.LBB2_1914-.Lpost_getpc29628)&4294967295
	s_addc_u32 s15, s15, (.LBB2_1914-.Lpost_getpc29628)>>32
	s_setpc_b64 s[14:15]
.LBB2_16252:
	v_mov_b32_e32 v2, 0
	v_cmp_ne_u16_sdwa s[8:9], v9, v2 src0_sel:BYTE_3 src1_sel:DWORD
	s_andn2_b64 s[4:5], s[4:5], exec
	s_and_b64 s[8:9], s[8:9], exec
	s_or_b64 s[4:5], s[4:5], s[8:9]
	s_or_b64 exec, exec, s[6:7]
	s_and_saveexec_b64 s[6:7], s[4:5]
	s_cbranch_execz .LBB2_29629
; %bb.52091:
	s_getpc_b64 s[14:15]
.Lpost_getpc29629:
	s_add_u32 s14, s14, (.LBB2_1915-.Lpost_getpc29629)&4294967295
	s_addc_u32 s15, s15, (.LBB2_1915-.Lpost_getpc29629)>>32
	s_setpc_b64 s[14:15]
.LBB2_29629:
	s_getpc_b64 s[14:15]
.Lpost_getpc18398:
	s_add_u32 s14, s14, (.LBB2_1916-.Lpost_getpc18398)&4294967295
	s_addc_u32 s15, s15, (.LBB2_1916-.Lpost_getpc18398)>>32
	s_setpc_b64 s[14:15]
.LBB2_16253:
	s_movk_i32 s4, 0x80
	v_cmp_eq_u16_sdwa s[12:13], v5, s4 src0_sel:BYTE_3 src1_sel:DWORD
	s_mov_b64 s[4:5], -1
                                        ; implicit-def: $sgpr10
	s_and_saveexec_b64 s[8:9], s[12:13]
; %bb.16254:
	s_mov_b32 s10, 0x7f800001
	s_xor_b64 s[4:5], exec, -1
; %bb.16255:
	s_or_b64 exec, exec, s[8:9]
	s_and_b64 s[4:5], s[4:5], exec
	s_or_saveexec_b64 s[6:7], s[6:7]
	v_mov_b32_e32 v3, s10
	s_xor_b64 exec, exec, s[6:7]
	s_cbranch_execnz .LBB2_16256
; %bb.52093:
	s_getpc_b64 s[14:15]
.Lpost_getpc29630:
	s_add_u32 s14, s14, (.LBB2_1918-.Lpost_getpc29630)&4294967295
	s_addc_u32 s15, s15, (.LBB2_1918-.Lpost_getpc29630)>>32
	s_setpc_b64 s[14:15]
.LBB2_16256:
	v_mov_b32_e32 v3, 0
	v_cmp_ne_u16_sdwa s[8:9], v5, v3 src0_sel:BYTE_3 src1_sel:DWORD
	s_andn2_b64 s[4:5], s[4:5], exec
	s_and_b64 s[8:9], s[8:9], exec
	s_or_b64 s[4:5], s[4:5], s[8:9]
	s_or_b64 exec, exec, s[6:7]
	s_and_saveexec_b64 s[6:7], s[4:5]
	s_cbranch_execz .LBB2_29631
; %bb.52095:
	s_getpc_b64 s[14:15]
.Lpost_getpc29631:
	s_add_u32 s14, s14, (.LBB2_1919-.Lpost_getpc29631)&4294967295
	s_addc_u32 s15, s15, (.LBB2_1919-.Lpost_getpc29631)>>32
	s_setpc_b64 s[14:15]
.LBB2_29631:
	s_getpc_b64 s[14:15]
.Lpost_getpc18399:
	s_add_u32 s14, s14, (.LBB2_1920-.Lpost_getpc18399)&4294967295
	s_addc_u32 s15, s15, (.LBB2_1920-.Lpost_getpc18399)>>32
	s_setpc_b64 s[14:15]
.LBB2_16257:
	s_movk_i32 s4, 0x80
	v_cmp_eq_u16_sdwa s[12:13], v6, s4 src0_sel:BYTE_0 src1_sel:DWORD
	s_mov_b64 s[4:5], -1
                                        ; implicit-def: $sgpr10
	s_and_saveexec_b64 s[8:9], s[12:13]
; %bb.16258:
	s_mov_b32 s10, 0x7f800001
	s_xor_b64 s[4:5], exec, -1
; %bb.16259:
	s_or_b64 exec, exec, s[8:9]
	s_and_b64 s[4:5], s[4:5], exec
	s_or_saveexec_b64 s[6:7], s[6:7]
	v_mov_b32_e32 v12, s10
	s_xor_b64 exec, exec, s[6:7]
	s_cbranch_execnz .LBB2_16260
; %bb.52097:
	s_getpc_b64 s[14:15]
.Lpost_getpc29632:
	s_add_u32 s14, s14, (.LBB2_1922-.Lpost_getpc29632)&4294967295
	s_addc_u32 s15, s15, (.LBB2_1922-.Lpost_getpc29632)>>32
	s_setpc_b64 s[14:15]
.LBB2_16260:
	v_mov_b32_e32 v12, 0
	v_cmp_ne_u16_sdwa s[8:9], v6, v12 src0_sel:BYTE_0 src1_sel:DWORD
	s_andn2_b64 s[4:5], s[4:5], exec
	s_and_b64 s[8:9], s[8:9], exec
	s_or_b64 s[4:5], s[4:5], s[8:9]
	s_or_b64 exec, exec, s[6:7]
	s_and_saveexec_b64 s[6:7], s[4:5]
	s_cbranch_execz .LBB2_29633
; %bb.52099:
	s_getpc_b64 s[14:15]
.Lpost_getpc29633:
	s_add_u32 s14, s14, (.LBB2_1923-.Lpost_getpc29633)&4294967295
	s_addc_u32 s15, s15, (.LBB2_1923-.Lpost_getpc29633)>>32
	s_setpc_b64 s[14:15]
.LBB2_29633:
	s_getpc_b64 s[14:15]
.Lpost_getpc18400:
	s_add_u32 s14, s14, (.LBB2_1924-.Lpost_getpc18400)&4294967295
	s_addc_u32 s15, s15, (.LBB2_1924-.Lpost_getpc18400)>>32
	s_setpc_b64 s[14:15]
.LBB2_16261:
	s_movk_i32 s4, 0x80
	v_cmp_eq_u16_sdwa s[12:13], v2, s4 src0_sel:BYTE_0 src1_sel:DWORD
	s_mov_b64 s[4:5], -1
                                        ; implicit-def: $sgpr10
	s_and_saveexec_b64 s[8:9], s[12:13]
; %bb.16262:
	s_mov_b32 s10, 0x7f800001
	s_xor_b64 s[4:5], exec, -1
; %bb.16263:
	s_or_b64 exec, exec, s[8:9]
	s_and_b64 s[4:5], s[4:5], exec
	s_or_saveexec_b64 s[6:7], s[6:7]
	v_mov_b32_e32 v13, s10
	s_xor_b64 exec, exec, s[6:7]
	s_cbranch_execnz .LBB2_16264
; %bb.52101:
	s_getpc_b64 s[14:15]
.Lpost_getpc29634:
	s_add_u32 s14, s14, (.LBB2_1926-.Lpost_getpc29634)&4294967295
	s_addc_u32 s15, s15, (.LBB2_1926-.Lpost_getpc29634)>>32
	s_setpc_b64 s[14:15]
.LBB2_16264:
	v_mov_b32_e32 v13, 0
	v_cmp_ne_u16_sdwa s[8:9], v2, v13 src0_sel:BYTE_0 src1_sel:DWORD
	s_andn2_b64 s[4:5], s[4:5], exec
	s_and_b64 s[8:9], s[8:9], exec
	s_or_b64 s[4:5], s[4:5], s[8:9]
	s_or_b64 exec, exec, s[6:7]
	s_and_saveexec_b64 s[6:7], s[4:5]
	s_cbranch_execz .LBB2_29635
; %bb.52103:
	s_getpc_b64 s[14:15]
.Lpost_getpc29635:
	s_add_u32 s14, s14, (.LBB2_1927-.Lpost_getpc29635)&4294967295
	s_addc_u32 s15, s15, (.LBB2_1927-.Lpost_getpc29635)>>32
	s_setpc_b64 s[14:15]
.LBB2_29635:
	s_getpc_b64 s[14:15]
.Lpost_getpc18401:
	s_add_u32 s14, s14, (.LBB2_1928-.Lpost_getpc18401)&4294967295
	s_addc_u32 s15, s15, (.LBB2_1928-.Lpost_getpc18401)>>32
	s_setpc_b64 s[14:15]
.LBB2_16265:
	s_movk_i32 s4, 0x80
	v_cmp_eq_u16_sdwa s[12:13], v13, s4 src0_sel:BYTE_0 src1_sel:DWORD
	s_mov_b64 s[4:5], -1
                                        ; implicit-def: $sgpr10
	s_and_saveexec_b64 s[8:9], s[12:13]
; %bb.16266:
	s_mov_b32 s10, 0x7f800001
	s_xor_b64 s[4:5], exec, -1
; %bb.16267:
	s_or_b64 exec, exec, s[8:9]
	s_and_b64 s[4:5], s[4:5], exec
	s_or_saveexec_b64 s[6:7], s[6:7]
	v_mov_b32_e32 v12, s10
	s_xor_b64 exec, exec, s[6:7]
	s_cbranch_execnz .LBB2_16268
; %bb.52105:
	s_getpc_b64 s[14:15]
.Lpost_getpc29636:
	s_add_u32 s14, s14, (.LBB2_1930-.Lpost_getpc29636)&4294967295
	s_addc_u32 s15, s15, (.LBB2_1930-.Lpost_getpc29636)>>32
	s_setpc_b64 s[14:15]
.LBB2_16268:
	v_mov_b32_e32 v12, 0
	v_cmp_ne_u16_sdwa s[8:9], v13, v12 src0_sel:BYTE_0 src1_sel:DWORD
	s_andn2_b64 s[4:5], s[4:5], exec
	s_and_b64 s[8:9], s[8:9], exec
	s_or_b64 s[4:5], s[4:5], s[8:9]
	s_or_b64 exec, exec, s[6:7]
	s_and_saveexec_b64 s[6:7], s[4:5]
	s_cbranch_execz .LBB2_29637
; %bb.52107:
	s_getpc_b64 s[14:15]
.Lpost_getpc29637:
	s_add_u32 s14, s14, (.LBB2_1931-.Lpost_getpc29637)&4294967295
	s_addc_u32 s15, s15, (.LBB2_1931-.Lpost_getpc29637)>>32
	s_setpc_b64 s[14:15]
.LBB2_29637:
	s_getpc_b64 s[14:15]
.Lpost_getpc18402:
	s_add_u32 s14, s14, (.LBB2_1932-.Lpost_getpc18402)&4294967295
	s_addc_u32 s15, s15, (.LBB2_1932-.Lpost_getpc18402)>>32
	s_setpc_b64 s[14:15]
.LBB2_16269:
	s_movk_i32 s4, 0x80
	v_cmp_eq_u16_sdwa s[12:13], v13, s4 src0_sel:BYTE_0 src1_sel:DWORD
	s_mov_b64 s[4:5], -1
                                        ; implicit-def: $sgpr10
	s_and_saveexec_b64 s[8:9], s[12:13]
; %bb.16270:
	s_mov_b32 s10, 0x7f800001
	s_xor_b64 s[4:5], exec, -1
; %bb.16271:
	s_or_b64 exec, exec, s[8:9]
	s_and_b64 s[4:5], s[4:5], exec
	s_or_saveexec_b64 s[6:7], s[6:7]
	v_mov_b32_e32 v14, s10
	s_xor_b64 exec, exec, s[6:7]
	s_cbranch_execnz .LBB2_16272
; %bb.52109:
	s_getpc_b64 s[14:15]
.Lpost_getpc29638:
	s_add_u32 s14, s14, (.LBB2_1934-.Lpost_getpc29638)&4294967295
	s_addc_u32 s15, s15, (.LBB2_1934-.Lpost_getpc29638)>>32
	s_setpc_b64 s[14:15]
.LBB2_16272:
	v_mov_b32_e32 v14, 0
	v_cmp_ne_u16_sdwa s[8:9], v13, v14 src0_sel:BYTE_0 src1_sel:DWORD
	s_andn2_b64 s[4:5], s[4:5], exec
	s_and_b64 s[8:9], s[8:9], exec
	s_or_b64 s[4:5], s[4:5], s[8:9]
	s_or_b64 exec, exec, s[6:7]
	s_and_saveexec_b64 s[6:7], s[4:5]
	s_cbranch_execz .LBB2_29639
; %bb.52111:
	s_getpc_b64 s[14:15]
.Lpost_getpc29639:
	s_add_u32 s14, s14, (.LBB2_1935-.Lpost_getpc29639)&4294967295
	s_addc_u32 s15, s15, (.LBB2_1935-.Lpost_getpc29639)>>32
	s_setpc_b64 s[14:15]
.LBB2_29639:
	s_getpc_b64 s[14:15]
.Lpost_getpc18403:
	s_add_u32 s14, s14, (.LBB2_1936-.Lpost_getpc18403)&4294967295
	s_addc_u32 s15, s15, (.LBB2_1936-.Lpost_getpc18403)>>32
	s_setpc_b64 s[14:15]
.LBB2_16273:
	s_movk_i32 s4, 0x80
	v_cmp_eq_u16_e32 vcc, s4, v13
	s_mov_b64 s[4:5], -1
                                        ; implicit-def: $sgpr10
	s_and_saveexec_b64 s[8:9], vcc
; %bb.16274:
	s_mov_b32 s10, 0x7f800001
	s_xor_b64 s[4:5], exec, -1
; %bb.16275:
	s_or_b64 exec, exec, s[8:9]
	s_and_b64 s[4:5], s[4:5], exec
                                        ; implicit-def: $vgpr13
	s_or_saveexec_b64 s[6:7], s[6:7]
	v_mov_b32_e32 v12, s10
	s_xor_b64 exec, exec, s[6:7]
	s_cbranch_execnz .LBB2_16276
; %bb.52113:
	s_getpc_b64 s[14:15]
.Lpost_getpc29640:
	s_add_u32 s14, s14, (.LBB2_1938-.Lpost_getpc29640)&4294967295
	s_addc_u32 s15, s15, (.LBB2_1938-.Lpost_getpc29640)>>32
	s_setpc_b64 s[14:15]
.LBB2_16276:
	v_cmp_ne_u16_e32 vcc, 0, v13
	s_andn2_b64 s[4:5], s[4:5], exec
	s_and_b64 s[8:9], vcc, exec
	v_mov_b32_e32 v12, 0
	s_or_b64 s[4:5], s[4:5], s[8:9]
	s_or_b64 exec, exec, s[6:7]
	s_and_saveexec_b64 s[6:7], s[4:5]
	s_cbranch_execz .LBB2_29641
; %bb.52115:
	s_getpc_b64 s[14:15]
.Lpost_getpc29641:
	s_add_u32 s14, s14, (.LBB2_1939-.Lpost_getpc29641)&4294967295
	s_addc_u32 s15, s15, (.LBB2_1939-.Lpost_getpc29641)>>32
	s_setpc_b64 s[14:15]
.LBB2_29641:
	s_getpc_b64 s[14:15]
.Lpost_getpc18404:
	s_add_u32 s14, s14, (.LBB2_1940-.Lpost_getpc18404)&4294967295
	s_addc_u32 s15, s15, (.LBB2_1940-.Lpost_getpc18404)>>32
	s_setpc_b64 s[14:15]
.LBB2_16277:
	s_movk_i32 s4, 0x80
	v_cmp_eq_u16_e32 vcc, s4, v13
	s_mov_b64 s[4:5], -1
                                        ; implicit-def: $sgpr10
	s_and_saveexec_b64 s[8:9], vcc
; %bb.16278:
	s_mov_b32 s10, 0x7f800001
	s_xor_b64 s[4:5], exec, -1
; %bb.16279:
	s_or_b64 exec, exec, s[8:9]
	s_and_b64 s[4:5], s[4:5], exec
                                        ; implicit-def: $vgpr13
	s_or_saveexec_b64 s[6:7], s[6:7]
	v_mov_b32_e32 v14, s10
	s_xor_b64 exec, exec, s[6:7]
	s_cbranch_execnz .LBB2_16280
; %bb.52117:
	s_getpc_b64 s[14:15]
.Lpost_getpc29642:
	s_add_u32 s14, s14, (.LBB2_1942-.Lpost_getpc29642)&4294967295
	s_addc_u32 s15, s15, (.LBB2_1942-.Lpost_getpc29642)>>32
	s_setpc_b64 s[14:15]
.LBB2_16280:
	v_cmp_ne_u16_e32 vcc, 0, v13
	s_andn2_b64 s[4:5], s[4:5], exec
	s_and_b64 s[8:9], vcc, exec
	v_mov_b32_e32 v14, 0
	s_or_b64 s[4:5], s[4:5], s[8:9]
	s_or_b64 exec, exec, s[6:7]
	s_and_saveexec_b64 s[6:7], s[4:5]
	s_cbranch_execz .LBB2_29643
; %bb.52119:
	s_getpc_b64 s[14:15]
.Lpost_getpc29643:
	s_add_u32 s14, s14, (.LBB2_1943-.Lpost_getpc29643)&4294967295
	s_addc_u32 s15, s15, (.LBB2_1943-.Lpost_getpc29643)>>32
	s_setpc_b64 s[14:15]
.LBB2_29643:
	s_getpc_b64 s[14:15]
.Lpost_getpc18405:
	s_add_u32 s14, s14, (.LBB2_1944-.Lpost_getpc18405)&4294967295
	s_addc_u32 s15, s15, (.LBB2_1944-.Lpost_getpc18405)>>32
	s_setpc_b64 s[14:15]
.LBB2_16281:
	s_movk_i32 s4, 0x80
	v_cmp_eq_u16_sdwa s[12:13], v6, s4 src0_sel:BYTE_3 src1_sel:DWORD
	s_mov_b64 s[4:5], -1
                                        ; implicit-def: $sgpr10
	s_and_saveexec_b64 s[8:9], s[12:13]
; %bb.16282:
	s_mov_b32 s10, 0x7f800001
	s_xor_b64 s[4:5], exec, -1
; %bb.16283:
	s_or_b64 exec, exec, s[8:9]
	s_and_b64 s[4:5], s[4:5], exec
	s_or_saveexec_b64 s[6:7], s[6:7]
	v_mov_b32_e32 v12, s10
	s_xor_b64 exec, exec, s[6:7]
	s_cbranch_execnz .LBB2_16284
; %bb.52121:
	s_getpc_b64 s[14:15]
.Lpost_getpc29644:
	s_add_u32 s14, s14, (.LBB2_1946-.Lpost_getpc29644)&4294967295
	s_addc_u32 s15, s15, (.LBB2_1946-.Lpost_getpc29644)>>32
	s_setpc_b64 s[14:15]
.LBB2_16284:
	v_mov_b32_e32 v12, 0
	v_cmp_ne_u16_sdwa s[8:9], v6, v12 src0_sel:BYTE_3 src1_sel:DWORD
	s_andn2_b64 s[4:5], s[4:5], exec
	s_and_b64 s[8:9], s[8:9], exec
	s_or_b64 s[4:5], s[4:5], s[8:9]
	s_or_b64 exec, exec, s[6:7]
	s_and_saveexec_b64 s[6:7], s[4:5]
	s_cbranch_execz .LBB2_29645
; %bb.52123:
	s_getpc_b64 s[14:15]
.Lpost_getpc29645:
	s_add_u32 s14, s14, (.LBB2_1947-.Lpost_getpc29645)&4294967295
	s_addc_u32 s15, s15, (.LBB2_1947-.Lpost_getpc29645)>>32
	s_setpc_b64 s[14:15]
.LBB2_29645:
	s_getpc_b64 s[14:15]
.Lpost_getpc18406:
	s_add_u32 s14, s14, (.LBB2_1948-.Lpost_getpc18406)&4294967295
	s_addc_u32 s15, s15, (.LBB2_1948-.Lpost_getpc18406)>>32
	s_setpc_b64 s[14:15]
.LBB2_16285:
	s_movk_i32 s4, 0x80
	v_cmp_eq_u16_sdwa s[12:13], v2, s4 src0_sel:BYTE_3 src1_sel:DWORD
	s_mov_b64 s[4:5], -1
                                        ; implicit-def: $sgpr10
	s_and_saveexec_b64 s[8:9], s[12:13]
; %bb.16286:
	s_mov_b32 s10, 0x7f800001
	s_xor_b64 s[4:5], exec, -1
; %bb.16287:
	s_or_b64 exec, exec, s[8:9]
	s_and_b64 s[4:5], s[4:5], exec
	s_or_saveexec_b64 s[6:7], s[6:7]
	v_mov_b32_e32 v6, s10
	s_xor_b64 exec, exec, s[6:7]
	s_cbranch_execnz .LBB2_16288
; %bb.52125:
	s_getpc_b64 s[14:15]
.Lpost_getpc29646:
	s_add_u32 s14, s14, (.LBB2_1950-.Lpost_getpc29646)&4294967295
	s_addc_u32 s15, s15, (.LBB2_1950-.Lpost_getpc29646)>>32
	s_setpc_b64 s[14:15]
.LBB2_16288:
	v_mov_b32_e32 v6, 0
	v_cmp_ne_u16_sdwa s[8:9], v2, v6 src0_sel:BYTE_3 src1_sel:DWORD
	s_andn2_b64 s[4:5], s[4:5], exec
	s_and_b64 s[8:9], s[8:9], exec
	s_or_b64 s[4:5], s[4:5], s[8:9]
	s_or_b64 exec, exec, s[6:7]
	s_and_saveexec_b64 s[6:7], s[4:5]
	s_cbranch_execz .LBB2_29647
; %bb.52127:
	s_getpc_b64 s[14:15]
.Lpost_getpc29647:
	s_add_u32 s14, s14, (.LBB2_1951-.Lpost_getpc29647)&4294967295
	s_addc_u32 s15, s15, (.LBB2_1951-.Lpost_getpc29647)>>32
	s_setpc_b64 s[14:15]
.LBB2_29647:
	s_getpc_b64 s[14:15]
.Lpost_getpc18407:
	s_add_u32 s14, s14, (.LBB2_1952-.Lpost_getpc18407)&4294967295
	s_addc_u32 s15, s15, (.LBB2_1952-.Lpost_getpc18407)>>32
	s_setpc_b64 s[14:15]
.LBB2_16289:
	s_movk_i32 s4, 0x80
	v_cmp_eq_u16_sdwa s[12:13], v7, s4 src0_sel:BYTE_0 src1_sel:DWORD
	s_mov_b64 s[4:5], -1
                                        ; implicit-def: $sgpr10
	s_and_saveexec_b64 s[8:9], s[12:13]
; %bb.16290:
	s_mov_b32 s10, 0x7f800001
	s_xor_b64 s[4:5], exec, -1
; %bb.16291:
	s_or_b64 exec, exec, s[8:9]
	s_and_b64 s[4:5], s[4:5], exec
	s_or_saveexec_b64 s[6:7], s[6:7]
	v_mov_b32_e32 v2, s10
	s_xor_b64 exec, exec, s[6:7]
	s_cbranch_execnz .LBB2_16292
; %bb.52129:
	s_getpc_b64 s[14:15]
.Lpost_getpc29648:
	s_add_u32 s14, s14, (.LBB2_1954-.Lpost_getpc29648)&4294967295
	s_addc_u32 s15, s15, (.LBB2_1954-.Lpost_getpc29648)>>32
	s_setpc_b64 s[14:15]
.LBB2_16292:
	v_mov_b32_e32 v2, 0
	v_cmp_ne_u16_sdwa s[8:9], v7, v2 src0_sel:BYTE_0 src1_sel:DWORD
	s_andn2_b64 s[4:5], s[4:5], exec
	s_and_b64 s[8:9], s[8:9], exec
	s_or_b64 s[4:5], s[4:5], s[8:9]
	s_or_b64 exec, exec, s[6:7]
	s_and_saveexec_b64 s[6:7], s[4:5]
	s_cbranch_execz .LBB2_29649
; %bb.52131:
	s_getpc_b64 s[14:15]
.Lpost_getpc29649:
	s_add_u32 s14, s14, (.LBB2_1955-.Lpost_getpc29649)&4294967295
	s_addc_u32 s15, s15, (.LBB2_1955-.Lpost_getpc29649)>>32
	s_setpc_b64 s[14:15]
.LBB2_29649:
	s_getpc_b64 s[14:15]
.Lpost_getpc18408:
	s_add_u32 s14, s14, (.LBB2_1956-.Lpost_getpc18408)&4294967295
	s_addc_u32 s15, s15, (.LBB2_1956-.Lpost_getpc18408)>>32
	s_setpc_b64 s[14:15]
.LBB2_16293:
	s_movk_i32 s4, 0x80
	v_cmp_eq_u16_sdwa s[12:13], v3, s4 src0_sel:BYTE_0 src1_sel:DWORD
	s_mov_b64 s[4:5], -1
                                        ; implicit-def: $sgpr10
	s_and_saveexec_b64 s[8:9], s[12:13]
; %bb.16294:
	s_mov_b32 s10, 0x7f800001
	s_xor_b64 s[4:5], exec, -1
; %bb.16295:
	s_or_b64 exec, exec, s[8:9]
	s_and_b64 s[4:5], s[4:5], exec
	s_or_saveexec_b64 s[6:7], s[6:7]
	v_mov_b32_e32 v6, s10
	s_xor_b64 exec, exec, s[6:7]
	s_cbranch_execnz .LBB2_16296
; %bb.52133:
	s_getpc_b64 s[14:15]
.Lpost_getpc29650:
	s_add_u32 s14, s14, (.LBB2_1958-.Lpost_getpc29650)&4294967295
	s_addc_u32 s15, s15, (.LBB2_1958-.Lpost_getpc29650)>>32
	s_setpc_b64 s[14:15]
.LBB2_16296:
	v_mov_b32_e32 v6, 0
	v_cmp_ne_u16_sdwa s[8:9], v3, v6 src0_sel:BYTE_0 src1_sel:DWORD
	s_andn2_b64 s[4:5], s[4:5], exec
	s_and_b64 s[8:9], s[8:9], exec
	s_or_b64 s[4:5], s[4:5], s[8:9]
	s_or_b64 exec, exec, s[6:7]
	s_and_saveexec_b64 s[6:7], s[4:5]
	s_cbranch_execz .LBB2_29651
; %bb.52135:
	s_getpc_b64 s[14:15]
.Lpost_getpc29651:
	s_add_u32 s14, s14, (.LBB2_1959-.Lpost_getpc29651)&4294967295
	s_addc_u32 s15, s15, (.LBB2_1959-.Lpost_getpc29651)>>32
	s_setpc_b64 s[14:15]
.LBB2_29651:
	s_getpc_b64 s[14:15]
.Lpost_getpc18409:
	s_add_u32 s14, s14, (.LBB2_1960-.Lpost_getpc18409)&4294967295
	s_addc_u32 s15, s15, (.LBB2_1960-.Lpost_getpc18409)>>32
	s_setpc_b64 s[14:15]
.LBB2_16297:
	s_movk_i32 s4, 0x80
	v_cmp_eq_u16_sdwa s[12:13], v6, s4 src0_sel:BYTE_0 src1_sel:DWORD
	s_mov_b64 s[4:5], -1
                                        ; implicit-def: $sgpr10
	s_and_saveexec_b64 s[8:9], s[12:13]
; %bb.16298:
	s_mov_b32 s10, 0x7f800001
	s_xor_b64 s[4:5], exec, -1
; %bb.16299:
	s_or_b64 exec, exec, s[8:9]
	s_and_b64 s[4:5], s[4:5], exec
	s_or_saveexec_b64 s[6:7], s[6:7]
	v_mov_b32_e32 v2, s10
	s_xor_b64 exec, exec, s[6:7]
	s_cbranch_execnz .LBB2_16300
; %bb.52137:
	s_getpc_b64 s[14:15]
.Lpost_getpc29652:
	s_add_u32 s14, s14, (.LBB2_1962-.Lpost_getpc29652)&4294967295
	s_addc_u32 s15, s15, (.LBB2_1962-.Lpost_getpc29652)>>32
	s_setpc_b64 s[14:15]
.LBB2_16300:
	v_mov_b32_e32 v2, 0
	v_cmp_ne_u16_sdwa s[8:9], v6, v2 src0_sel:BYTE_0 src1_sel:DWORD
	s_andn2_b64 s[4:5], s[4:5], exec
	s_and_b64 s[8:9], s[8:9], exec
	s_or_b64 s[4:5], s[4:5], s[8:9]
	s_or_b64 exec, exec, s[6:7]
	s_and_saveexec_b64 s[6:7], s[4:5]
	s_cbranch_execz .LBB2_29653
; %bb.52139:
	s_getpc_b64 s[14:15]
.Lpost_getpc29653:
	s_add_u32 s14, s14, (.LBB2_1963-.Lpost_getpc29653)&4294967295
	s_addc_u32 s15, s15, (.LBB2_1963-.Lpost_getpc29653)>>32
	s_setpc_b64 s[14:15]
.LBB2_29653:
	s_getpc_b64 s[14:15]
.Lpost_getpc18410:
	s_add_u32 s14, s14, (.LBB2_1964-.Lpost_getpc18410)&4294967295
	s_addc_u32 s15, s15, (.LBB2_1964-.Lpost_getpc18410)>>32
	s_setpc_b64 s[14:15]
.LBB2_16301:
	s_movk_i32 s4, 0x80
	v_cmp_eq_u16_sdwa s[12:13], v6, s4 src0_sel:BYTE_0 src1_sel:DWORD
	s_mov_b64 s[4:5], -1
                                        ; implicit-def: $sgpr10
	s_and_saveexec_b64 s[8:9], s[12:13]
; %bb.16302:
	s_mov_b32 s10, 0x7f800001
	s_xor_b64 s[4:5], exec, -1
; %bb.16303:
	s_or_b64 exec, exec, s[8:9]
	s_and_b64 s[4:5], s[4:5], exec
	s_or_saveexec_b64 s[6:7], s[6:7]
	v_mov_b32_e32 v12, s10
	s_xor_b64 exec, exec, s[6:7]
	s_cbranch_execnz .LBB2_16304
; %bb.52141:
	s_getpc_b64 s[14:15]
.Lpost_getpc29654:
	s_add_u32 s14, s14, (.LBB2_1966-.Lpost_getpc29654)&4294967295
	s_addc_u32 s15, s15, (.LBB2_1966-.Lpost_getpc29654)>>32
	s_setpc_b64 s[14:15]
.LBB2_16304:
	v_mov_b32_e32 v12, 0
	v_cmp_ne_u16_sdwa s[8:9], v6, v12 src0_sel:BYTE_0 src1_sel:DWORD
	s_andn2_b64 s[4:5], s[4:5], exec
	s_and_b64 s[8:9], s[8:9], exec
	s_or_b64 s[4:5], s[4:5], s[8:9]
	s_or_b64 exec, exec, s[6:7]
	s_and_saveexec_b64 s[6:7], s[4:5]
	s_cbranch_execz .LBB2_29655
; %bb.52143:
	s_getpc_b64 s[14:15]
.Lpost_getpc29655:
	s_add_u32 s14, s14, (.LBB2_1967-.Lpost_getpc29655)&4294967295
	s_addc_u32 s15, s15, (.LBB2_1967-.Lpost_getpc29655)>>32
	s_setpc_b64 s[14:15]
.LBB2_29655:
	s_getpc_b64 s[14:15]
.Lpost_getpc18411:
	s_add_u32 s14, s14, (.LBB2_1968-.Lpost_getpc18411)&4294967295
	s_addc_u32 s15, s15, (.LBB2_1968-.Lpost_getpc18411)>>32
	s_setpc_b64 s[14:15]
.LBB2_16305:
	s_movk_i32 s4, 0x80
	v_cmp_eq_u16_e32 vcc, s4, v6
	s_mov_b64 s[4:5], -1
                                        ; implicit-def: $sgpr10
	s_and_saveexec_b64 s[8:9], vcc
; %bb.16306:
	s_mov_b32 s10, 0x7f800001
	s_xor_b64 s[4:5], exec, -1
; %bb.16307:
	s_or_b64 exec, exec, s[8:9]
	s_and_b64 s[4:5], s[4:5], exec
                                        ; implicit-def: $vgpr6
	s_or_saveexec_b64 s[6:7], s[6:7]
	v_mov_b32_e32 v2, s10
	s_xor_b64 exec, exec, s[6:7]
	s_cbranch_execnz .LBB2_16308
; %bb.52145:
	s_getpc_b64 s[14:15]
.Lpost_getpc29656:
	s_add_u32 s14, s14, (.LBB2_1970-.Lpost_getpc29656)&4294967295
	s_addc_u32 s15, s15, (.LBB2_1970-.Lpost_getpc29656)>>32
	s_setpc_b64 s[14:15]
.LBB2_16308:
	v_cmp_ne_u16_e32 vcc, 0, v6
	s_andn2_b64 s[4:5], s[4:5], exec
	s_and_b64 s[8:9], vcc, exec
	v_mov_b32_e32 v2, 0
	s_or_b64 s[4:5], s[4:5], s[8:9]
	s_or_b64 exec, exec, s[6:7]
	s_and_saveexec_b64 s[6:7], s[4:5]
	s_cbranch_execz .LBB2_29657
; %bb.52147:
	s_getpc_b64 s[14:15]
.Lpost_getpc29657:
	s_add_u32 s14, s14, (.LBB2_1971-.Lpost_getpc29657)&4294967295
	s_addc_u32 s15, s15, (.LBB2_1971-.Lpost_getpc29657)>>32
	s_setpc_b64 s[14:15]
.LBB2_29657:
	s_getpc_b64 s[14:15]
.Lpost_getpc18412:
	s_add_u32 s14, s14, (.LBB2_1972-.Lpost_getpc18412)&4294967295
	s_addc_u32 s15, s15, (.LBB2_1972-.Lpost_getpc18412)>>32
	s_setpc_b64 s[14:15]
.LBB2_16309:
	s_movk_i32 s4, 0x80
	v_cmp_eq_u16_e32 vcc, s4, v6
	s_mov_b64 s[4:5], -1
                                        ; implicit-def: $sgpr10
	s_and_saveexec_b64 s[8:9], vcc
; %bb.16310:
	s_mov_b32 s10, 0x7f800001
	s_xor_b64 s[4:5], exec, -1
; %bb.16311:
	s_or_b64 exec, exec, s[8:9]
	s_and_b64 s[4:5], s[4:5], exec
                                        ; implicit-def: $vgpr6
	s_or_saveexec_b64 s[6:7], s[6:7]
	v_mov_b32_e32 v12, s10
	s_xor_b64 exec, exec, s[6:7]
	s_cbranch_execnz .LBB2_16312
; %bb.52149:
	s_getpc_b64 s[14:15]
.Lpost_getpc29658:
	s_add_u32 s14, s14, (.LBB2_1974-.Lpost_getpc29658)&4294967295
	s_addc_u32 s15, s15, (.LBB2_1974-.Lpost_getpc29658)>>32
	s_setpc_b64 s[14:15]
.LBB2_16312:
	v_cmp_ne_u16_e32 vcc, 0, v6
	s_andn2_b64 s[4:5], s[4:5], exec
	s_and_b64 s[8:9], vcc, exec
	v_mov_b32_e32 v12, 0
	s_or_b64 s[4:5], s[4:5], s[8:9]
	s_or_b64 exec, exec, s[6:7]
	s_and_saveexec_b64 s[6:7], s[4:5]
	s_cbranch_execz .LBB2_29659
; %bb.52151:
	s_getpc_b64 s[14:15]
.Lpost_getpc29659:
	s_add_u32 s14, s14, (.LBB2_1975-.Lpost_getpc29659)&4294967295
	s_addc_u32 s15, s15, (.LBB2_1975-.Lpost_getpc29659)>>32
	s_setpc_b64 s[14:15]
.LBB2_29659:
	s_getpc_b64 s[14:15]
.Lpost_getpc18413:
	s_add_u32 s14, s14, (.LBB2_1976-.Lpost_getpc18413)&4294967295
	s_addc_u32 s15, s15, (.LBB2_1976-.Lpost_getpc18413)>>32
	s_setpc_b64 s[14:15]
.LBB2_16313:
	s_movk_i32 s4, 0x80
	v_cmp_eq_u16_sdwa s[12:13], v7, s4 src0_sel:BYTE_3 src1_sel:DWORD
	s_mov_b64 s[4:5], -1
                                        ; implicit-def: $sgpr10
	s_and_saveexec_b64 s[8:9], s[12:13]
; %bb.16314:
	s_mov_b32 s10, 0x7f800001
	s_xor_b64 s[4:5], exec, -1
; %bb.16315:
	s_or_b64 exec, exec, s[8:9]
	s_and_b64 s[4:5], s[4:5], exec
	s_or_saveexec_b64 s[6:7], s[6:7]
	v_mov_b32_e32 v2, s10
	s_xor_b64 exec, exec, s[6:7]
	s_cbranch_execnz .LBB2_16316
; %bb.52153:
	s_getpc_b64 s[14:15]
.Lpost_getpc29660:
	s_add_u32 s14, s14, (.LBB2_1978-.Lpost_getpc29660)&4294967295
	s_addc_u32 s15, s15, (.LBB2_1978-.Lpost_getpc29660)>>32
	s_setpc_b64 s[14:15]
.LBB2_16316:
	v_mov_b32_e32 v2, 0
	v_cmp_ne_u16_sdwa s[8:9], v7, v2 src0_sel:BYTE_3 src1_sel:DWORD
	s_andn2_b64 s[4:5], s[4:5], exec
	s_and_b64 s[8:9], s[8:9], exec
	s_or_b64 s[4:5], s[4:5], s[8:9]
	s_or_b64 exec, exec, s[6:7]
	s_and_saveexec_b64 s[6:7], s[4:5]
	s_cbranch_execz .LBB2_29661
; %bb.52155:
	s_getpc_b64 s[14:15]
.Lpost_getpc29661:
	s_add_u32 s14, s14, (.LBB2_1979-.Lpost_getpc29661)&4294967295
	s_addc_u32 s15, s15, (.LBB2_1979-.Lpost_getpc29661)>>32
	s_setpc_b64 s[14:15]
.LBB2_29661:
	s_getpc_b64 s[14:15]
.Lpost_getpc18414:
	s_add_u32 s14, s14, (.LBB2_1980-.Lpost_getpc18414)&4294967295
	s_addc_u32 s15, s15, (.LBB2_1980-.Lpost_getpc18414)>>32
	s_setpc_b64 s[14:15]
.LBB2_16317:
	s_movk_i32 s4, 0x80
	v_cmp_eq_u16_sdwa s[12:13], v3, s4 src0_sel:BYTE_3 src1_sel:DWORD
	s_mov_b64 s[4:5], -1
                                        ; implicit-def: $sgpr10
	s_and_saveexec_b64 s[8:9], s[12:13]
; %bb.16318:
	s_mov_b32 s10, 0x7f800001
	s_xor_b64 s[4:5], exec, -1
; %bb.16319:
	s_or_b64 exec, exec, s[8:9]
	s_and_b64 s[4:5], s[4:5], exec
	s_or_saveexec_b64 s[6:7], s[6:7]
	v_mov_b32_e32 v6, s10
	s_xor_b64 exec, exec, s[6:7]
	s_cbranch_execnz .LBB2_16320
; %bb.52157:
	s_getpc_b64 s[14:15]
.Lpost_getpc29662:
	s_add_u32 s14, s14, (.LBB2_1982-.Lpost_getpc29662)&4294967295
	s_addc_u32 s15, s15, (.LBB2_1982-.Lpost_getpc29662)>>32
	s_setpc_b64 s[14:15]
.LBB2_16320:
	v_mov_b32_e32 v6, 0
	v_cmp_ne_u16_sdwa s[8:9], v3, v6 src0_sel:BYTE_3 src1_sel:DWORD
	s_andn2_b64 s[4:5], s[4:5], exec
	s_and_b64 s[8:9], s[8:9], exec
	s_or_b64 s[4:5], s[4:5], s[8:9]
	s_or_b64 exec, exec, s[6:7]
	s_and_saveexec_b64 s[6:7], s[4:5]
	s_cbranch_execz .LBB2_29663
; %bb.52159:
	s_getpc_b64 s[14:15]
.Lpost_getpc29663:
	s_add_u32 s14, s14, (.LBB2_1983-.Lpost_getpc29663)&4294967295
	s_addc_u32 s15, s15, (.LBB2_1983-.Lpost_getpc29663)>>32
	s_setpc_b64 s[14:15]
.LBB2_29663:
	s_getpc_b64 s[14:15]
.Lpost_getpc18415:
	s_add_u32 s14, s14, (.LBB2_1984-.Lpost_getpc18415)&4294967295
	s_addc_u32 s15, s15, (.LBB2_1984-.Lpost_getpc18415)>>32
	s_setpc_b64 s[14:15]
.LBB2_16321:
	s_movk_i32 s4, 0x80
	v_cmp_eq_u16_sdwa s[12:13], v8, s4 src0_sel:BYTE_0 src1_sel:DWORD
	s_mov_b64 s[4:5], -1
                                        ; implicit-def: $sgpr10
	s_and_saveexec_b64 s[8:9], s[12:13]
; %bb.16322:
	s_mov_b32 s10, 0x7f800001
	s_xor_b64 s[4:5], exec, -1
; %bb.16323:
	s_or_b64 exec, exec, s[8:9]
	s_and_b64 s[4:5], s[4:5], exec
	s_or_saveexec_b64 s[6:7], s[6:7]
	v_mov_b32_e32 v2, s10
	s_xor_b64 exec, exec, s[6:7]
	s_cbranch_execnz .LBB2_16324
; %bb.52161:
	s_getpc_b64 s[14:15]
.Lpost_getpc29664:
	s_add_u32 s14, s14, (.LBB2_1986-.Lpost_getpc29664)&4294967295
	s_addc_u32 s15, s15, (.LBB2_1986-.Lpost_getpc29664)>>32
	s_setpc_b64 s[14:15]
.LBB2_16324:
	v_mov_b32_e32 v2, 0
	v_cmp_ne_u16_sdwa s[8:9], v8, v2 src0_sel:BYTE_0 src1_sel:DWORD
	s_andn2_b64 s[4:5], s[4:5], exec
	s_and_b64 s[8:9], s[8:9], exec
	s_or_b64 s[4:5], s[4:5], s[8:9]
	s_or_b64 exec, exec, s[6:7]
	s_and_saveexec_b64 s[6:7], s[4:5]
	s_cbranch_execz .LBB2_29665
; %bb.52163:
	s_getpc_b64 s[14:15]
.Lpost_getpc29665:
	s_add_u32 s14, s14, (.LBB2_1987-.Lpost_getpc29665)&4294967295
	s_addc_u32 s15, s15, (.LBB2_1987-.Lpost_getpc29665)>>32
	s_setpc_b64 s[14:15]
.LBB2_29665:
	s_getpc_b64 s[14:15]
.Lpost_getpc18416:
	s_add_u32 s14, s14, (.LBB2_1988-.Lpost_getpc18416)&4294967295
	s_addc_u32 s15, s15, (.LBB2_1988-.Lpost_getpc18416)>>32
	s_setpc_b64 s[14:15]
.LBB2_16325:
	s_movk_i32 s4, 0x80
	v_cmp_eq_u16_sdwa s[12:13], v4, s4 src0_sel:BYTE_0 src1_sel:DWORD
	s_mov_b64 s[4:5], -1
                                        ; implicit-def: $sgpr10
	s_and_saveexec_b64 s[8:9], s[12:13]
; %bb.16326:
	s_mov_b32 s10, 0x7f800001
	s_xor_b64 s[4:5], exec, -1
; %bb.16327:
	s_or_b64 exec, exec, s[8:9]
	s_and_b64 s[4:5], s[4:5], exec
	s_or_saveexec_b64 s[6:7], s[6:7]
	v_mov_b32_e32 v3, s10
	s_xor_b64 exec, exec, s[6:7]
	s_cbranch_execnz .LBB2_16328
; %bb.52165:
	s_getpc_b64 s[14:15]
.Lpost_getpc29666:
	s_add_u32 s14, s14, (.LBB2_1990-.Lpost_getpc29666)&4294967295
	s_addc_u32 s15, s15, (.LBB2_1990-.Lpost_getpc29666)>>32
	s_setpc_b64 s[14:15]
.LBB2_16328:
	v_mov_b32_e32 v3, 0
	v_cmp_ne_u16_sdwa s[8:9], v4, v3 src0_sel:BYTE_0 src1_sel:DWORD
	s_andn2_b64 s[4:5], s[4:5], exec
	s_and_b64 s[8:9], s[8:9], exec
	s_or_b64 s[4:5], s[4:5], s[8:9]
	s_or_b64 exec, exec, s[6:7]
	s_and_saveexec_b64 s[6:7], s[4:5]
	s_cbranch_execz .LBB2_29667
; %bb.52167:
	s_getpc_b64 s[14:15]
.Lpost_getpc29667:
	s_add_u32 s14, s14, (.LBB2_1991-.Lpost_getpc29667)&4294967295
	s_addc_u32 s15, s15, (.LBB2_1991-.Lpost_getpc29667)>>32
	s_setpc_b64 s[14:15]
.LBB2_29667:
	s_getpc_b64 s[14:15]
.Lpost_getpc18417:
	s_add_u32 s14, s14, (.LBB2_1992-.Lpost_getpc18417)&4294967295
	s_addc_u32 s15, s15, (.LBB2_1992-.Lpost_getpc18417)>>32
	s_setpc_b64 s[14:15]
.LBB2_16329:
	s_movk_i32 s4, 0x80
	v_cmp_eq_u16_sdwa s[12:13], v3, s4 src0_sel:BYTE_0 src1_sel:DWORD
	s_mov_b64 s[4:5], -1
                                        ; implicit-def: $sgpr10
	s_and_saveexec_b64 s[8:9], s[12:13]
; %bb.16330:
	s_mov_b32 s10, 0x7f800001
	s_xor_b64 s[4:5], exec, -1
; %bb.16331:
	s_or_b64 exec, exec, s[8:9]
	s_and_b64 s[4:5], s[4:5], exec
	s_or_saveexec_b64 s[6:7], s[6:7]
	v_mov_b32_e32 v2, s10
	s_xor_b64 exec, exec, s[6:7]
	s_cbranch_execnz .LBB2_16332
; %bb.52169:
	s_getpc_b64 s[14:15]
.Lpost_getpc29668:
	s_add_u32 s14, s14, (.LBB2_1994-.Lpost_getpc29668)&4294967295
	s_addc_u32 s15, s15, (.LBB2_1994-.Lpost_getpc29668)>>32
	s_setpc_b64 s[14:15]
.LBB2_16332:
	v_mov_b32_e32 v2, 0
	v_cmp_ne_u16_sdwa s[8:9], v3, v2 src0_sel:BYTE_0 src1_sel:DWORD
	s_andn2_b64 s[4:5], s[4:5], exec
	s_and_b64 s[8:9], s[8:9], exec
	s_or_b64 s[4:5], s[4:5], s[8:9]
	s_or_b64 exec, exec, s[6:7]
	s_and_saveexec_b64 s[6:7], s[4:5]
	s_cbranch_execz .LBB2_29669
; %bb.52171:
	s_getpc_b64 s[14:15]
.Lpost_getpc29669:
	s_add_u32 s14, s14, (.LBB2_1995-.Lpost_getpc29669)&4294967295
	s_addc_u32 s15, s15, (.LBB2_1995-.Lpost_getpc29669)>>32
	s_setpc_b64 s[14:15]
.LBB2_29669:
	s_getpc_b64 s[14:15]
.Lpost_getpc18418:
	s_add_u32 s14, s14, (.LBB2_1996-.Lpost_getpc18418)&4294967295
	s_addc_u32 s15, s15, (.LBB2_1996-.Lpost_getpc18418)>>32
	s_setpc_b64 s[14:15]
.LBB2_16333:
	s_movk_i32 s4, 0x80
	v_cmp_eq_u16_sdwa s[12:13], v3, s4 src0_sel:BYTE_0 src1_sel:DWORD
	s_mov_b64 s[4:5], -1
                                        ; implicit-def: $sgpr10
	s_and_saveexec_b64 s[8:9], s[12:13]
; %bb.16334:
	s_mov_b32 s10, 0x7f800001
	s_xor_b64 s[4:5], exec, -1
; %bb.16335:
	s_or_b64 exec, exec, s[8:9]
	s_and_b64 s[4:5], s[4:5], exec
	s_or_saveexec_b64 s[6:7], s[6:7]
	v_mov_b32_e32 v6, s10
	s_xor_b64 exec, exec, s[6:7]
	s_cbranch_execnz .LBB2_16336
; %bb.52173:
	s_getpc_b64 s[14:15]
.Lpost_getpc29670:
	s_add_u32 s14, s14, (.LBB2_1998-.Lpost_getpc29670)&4294967295
	s_addc_u32 s15, s15, (.LBB2_1998-.Lpost_getpc29670)>>32
	s_setpc_b64 s[14:15]
.LBB2_16336:
	v_mov_b32_e32 v6, 0
	v_cmp_ne_u16_sdwa s[8:9], v3, v6 src0_sel:BYTE_0 src1_sel:DWORD
	s_andn2_b64 s[4:5], s[4:5], exec
	s_and_b64 s[8:9], s[8:9], exec
	s_or_b64 s[4:5], s[4:5], s[8:9]
	s_or_b64 exec, exec, s[6:7]
	s_and_saveexec_b64 s[6:7], s[4:5]
	s_cbranch_execz .LBB2_29671
; %bb.52175:
	s_getpc_b64 s[14:15]
.Lpost_getpc29671:
	s_add_u32 s14, s14, (.LBB2_1999-.Lpost_getpc29671)&4294967295
	s_addc_u32 s15, s15, (.LBB2_1999-.Lpost_getpc29671)>>32
	s_setpc_b64 s[14:15]
.LBB2_29671:
	s_getpc_b64 s[14:15]
.Lpost_getpc18419:
	s_add_u32 s14, s14, (.LBB2_2000-.Lpost_getpc18419)&4294967295
	s_addc_u32 s15, s15, (.LBB2_2000-.Lpost_getpc18419)>>32
	s_setpc_b64 s[14:15]
.LBB2_16337:
	s_movk_i32 s4, 0x80
	v_cmp_eq_u16_e32 vcc, s4, v3
	s_mov_b64 s[4:5], -1
                                        ; implicit-def: $sgpr10
	s_and_saveexec_b64 s[8:9], vcc
; %bb.16338:
	s_mov_b32 s10, 0x7f800001
	s_xor_b64 s[4:5], exec, -1
; %bb.16339:
	s_or_b64 exec, exec, s[8:9]
	s_and_b64 s[4:5], s[4:5], exec
                                        ; implicit-def: $vgpr3
	s_or_saveexec_b64 s[6:7], s[6:7]
	v_mov_b32_e32 v2, s10
	s_xor_b64 exec, exec, s[6:7]
	s_cbranch_execnz .LBB2_16340
; %bb.52177:
	s_getpc_b64 s[14:15]
.Lpost_getpc29672:
	s_add_u32 s14, s14, (.LBB2_2002-.Lpost_getpc29672)&4294967295
	s_addc_u32 s15, s15, (.LBB2_2002-.Lpost_getpc29672)>>32
	s_setpc_b64 s[14:15]
.LBB2_16340:
	v_cmp_ne_u16_e32 vcc, 0, v3
	s_andn2_b64 s[4:5], s[4:5], exec
	s_and_b64 s[8:9], vcc, exec
	v_mov_b32_e32 v2, 0
	s_or_b64 s[4:5], s[4:5], s[8:9]
	s_or_b64 exec, exec, s[6:7]
	s_and_saveexec_b64 s[6:7], s[4:5]
	s_cbranch_execz .LBB2_29673
; %bb.52179:
	s_getpc_b64 s[14:15]
.Lpost_getpc29673:
	s_add_u32 s14, s14, (.LBB2_2003-.Lpost_getpc29673)&4294967295
	s_addc_u32 s15, s15, (.LBB2_2003-.Lpost_getpc29673)>>32
	s_setpc_b64 s[14:15]
.LBB2_29673:
	s_getpc_b64 s[14:15]
.Lpost_getpc18420:
	s_add_u32 s14, s14, (.LBB2_2004-.Lpost_getpc18420)&4294967295
	s_addc_u32 s15, s15, (.LBB2_2004-.Lpost_getpc18420)>>32
	s_setpc_b64 s[14:15]
.LBB2_16341:
	s_movk_i32 s4, 0x80
	v_cmp_eq_u16_e32 vcc, s4, v3
	s_mov_b64 s[4:5], -1
                                        ; implicit-def: $sgpr10
	s_and_saveexec_b64 s[8:9], vcc
; %bb.16342:
	s_mov_b32 s10, 0x7f800001
	s_xor_b64 s[4:5], exec, -1
; %bb.16343:
	s_or_b64 exec, exec, s[8:9]
	s_and_b64 s[4:5], s[4:5], exec
                                        ; implicit-def: $vgpr3
	s_or_saveexec_b64 s[6:7], s[6:7]
	v_mov_b32_e32 v6, s10
	s_xor_b64 exec, exec, s[6:7]
	s_cbranch_execnz .LBB2_16344
; %bb.52181:
	s_getpc_b64 s[14:15]
.Lpost_getpc29674:
	s_add_u32 s14, s14, (.LBB2_2006-.Lpost_getpc29674)&4294967295
	s_addc_u32 s15, s15, (.LBB2_2006-.Lpost_getpc29674)>>32
	s_setpc_b64 s[14:15]
.LBB2_16344:
	v_cmp_ne_u16_e32 vcc, 0, v3
	s_andn2_b64 s[4:5], s[4:5], exec
	s_and_b64 s[8:9], vcc, exec
	v_mov_b32_e32 v6, 0
	s_or_b64 s[4:5], s[4:5], s[8:9]
	s_or_b64 exec, exec, s[6:7]
	s_and_saveexec_b64 s[6:7], s[4:5]
	s_cbranch_execz .LBB2_29675
; %bb.52183:
	s_getpc_b64 s[14:15]
.Lpost_getpc29675:
	s_add_u32 s14, s14, (.LBB2_2007-.Lpost_getpc29675)&4294967295
	s_addc_u32 s15, s15, (.LBB2_2007-.Lpost_getpc29675)>>32
	s_setpc_b64 s[14:15]
.LBB2_29675:
	s_getpc_b64 s[14:15]
.Lpost_getpc18421:
	s_add_u32 s14, s14, (.LBB2_2008-.Lpost_getpc18421)&4294967295
	s_addc_u32 s15, s15, (.LBB2_2008-.Lpost_getpc18421)>>32
	s_setpc_b64 s[14:15]
.LBB2_16345:
	s_movk_i32 s4, 0x80
	v_cmp_eq_u16_sdwa s[12:13], v8, s4 src0_sel:BYTE_3 src1_sel:DWORD
	s_mov_b64 s[4:5], -1
                                        ; implicit-def: $sgpr10
	s_and_saveexec_b64 s[8:9], s[12:13]
; %bb.16346:
	s_mov_b32 s10, 0x7f800001
	s_xor_b64 s[4:5], exec, -1
; %bb.16347:
	s_or_b64 exec, exec, s[8:9]
	s_and_b64 s[4:5], s[4:5], exec
	s_or_saveexec_b64 s[6:7], s[6:7]
	v_mov_b32_e32 v2, s10
	s_xor_b64 exec, exec, s[6:7]
	s_cbranch_execnz .LBB2_16348
; %bb.52185:
	s_getpc_b64 s[14:15]
.Lpost_getpc29676:
	s_add_u32 s14, s14, (.LBB2_2010-.Lpost_getpc29676)&4294967295
	s_addc_u32 s15, s15, (.LBB2_2010-.Lpost_getpc29676)>>32
	s_setpc_b64 s[14:15]
.LBB2_16348:
	v_mov_b32_e32 v2, 0
	v_cmp_ne_u16_sdwa s[8:9], v8, v2 src0_sel:BYTE_3 src1_sel:DWORD
	s_andn2_b64 s[4:5], s[4:5], exec
	s_and_b64 s[8:9], s[8:9], exec
	s_or_b64 s[4:5], s[4:5], s[8:9]
	s_or_b64 exec, exec, s[6:7]
	s_and_saveexec_b64 s[6:7], s[4:5]
	s_cbranch_execz .LBB2_29677
; %bb.52187:
	s_getpc_b64 s[14:15]
.Lpost_getpc29677:
	s_add_u32 s14, s14, (.LBB2_2011-.Lpost_getpc29677)&4294967295
	s_addc_u32 s15, s15, (.LBB2_2011-.Lpost_getpc29677)>>32
	s_setpc_b64 s[14:15]
.LBB2_29677:
	s_getpc_b64 s[14:15]
.Lpost_getpc18422:
	s_add_u32 s14, s14, (.LBB2_2012-.Lpost_getpc18422)&4294967295
	s_addc_u32 s15, s15, (.LBB2_2012-.Lpost_getpc18422)>>32
	s_setpc_b64 s[14:15]
.LBB2_16349:
	s_movk_i32 s4, 0x80
	v_cmp_eq_u16_sdwa s[12:13], v4, s4 src0_sel:BYTE_3 src1_sel:DWORD
	s_mov_b64 s[4:5], -1
                                        ; implicit-def: $sgpr10
	s_and_saveexec_b64 s[8:9], s[12:13]
; %bb.16350:
	s_mov_b32 s10, 0x7f800001
	s_xor_b64 s[4:5], exec, -1
; %bb.16351:
	s_or_b64 exec, exec, s[8:9]
	s_and_b64 s[4:5], s[4:5], exec
	s_or_saveexec_b64 s[6:7], s[6:7]
	v_mov_b32_e32 v3, s10
	s_xor_b64 exec, exec, s[6:7]
	s_cbranch_execnz .LBB2_16352
; %bb.52189:
	s_getpc_b64 s[14:15]
.Lpost_getpc29678:
	s_add_u32 s14, s14, (.LBB2_2014-.Lpost_getpc29678)&4294967295
	s_addc_u32 s15, s15, (.LBB2_2014-.Lpost_getpc29678)>>32
	s_setpc_b64 s[14:15]
.LBB2_16352:
	v_mov_b32_e32 v3, 0
	v_cmp_ne_u16_sdwa s[8:9], v4, v3 src0_sel:BYTE_3 src1_sel:DWORD
	s_andn2_b64 s[4:5], s[4:5], exec
	s_and_b64 s[8:9], s[8:9], exec
	s_or_b64 s[4:5], s[4:5], s[8:9]
	s_or_b64 exec, exec, s[6:7]
	s_and_saveexec_b64 s[6:7], s[4:5]
	s_cbranch_execz .LBB2_29679
; %bb.52191:
	s_getpc_b64 s[14:15]
.Lpost_getpc29679:
	s_add_u32 s14, s14, (.LBB2_2015-.Lpost_getpc29679)&4294967295
	s_addc_u32 s15, s15, (.LBB2_2015-.Lpost_getpc29679)>>32
	s_setpc_b64 s[14:15]
.LBB2_29679:
	s_getpc_b64 s[14:15]
.Lpost_getpc18423:
	s_add_u32 s14, s14, (.LBB2_2016-.Lpost_getpc18423)&4294967295
	s_addc_u32 s15, s15, (.LBB2_2016-.Lpost_getpc18423)>>32
	s_setpc_b64 s[14:15]
.LBB2_16353:
	s_movk_i32 s4, 0x80
	v_cmp_eq_u16_sdwa s[12:13], v9, s4 src0_sel:BYTE_0 src1_sel:DWORD
	s_mov_b64 s[4:5], -1
                                        ; implicit-def: $sgpr10
	s_and_saveexec_b64 s[8:9], s[12:13]
; %bb.16354:
	s_mov_b32 s10, 0x7f800001
	s_xor_b64 s[4:5], exec, -1
; %bb.16355:
	s_or_b64 exec, exec, s[8:9]
	s_and_b64 s[4:5], s[4:5], exec
	s_or_saveexec_b64 s[6:7], s[6:7]
	v_mov_b32_e32 v2, s10
	s_xor_b64 exec, exec, s[6:7]
	s_cbranch_execnz .LBB2_16356
; %bb.52193:
	s_getpc_b64 s[14:15]
.Lpost_getpc29680:
	s_add_u32 s14, s14, (.LBB2_2018-.Lpost_getpc29680)&4294967295
	s_addc_u32 s15, s15, (.LBB2_2018-.Lpost_getpc29680)>>32
	s_setpc_b64 s[14:15]
.LBB2_16356:
	v_mov_b32_e32 v2, 0
	v_cmp_ne_u16_sdwa s[8:9], v9, v2 src0_sel:BYTE_0 src1_sel:DWORD
	s_andn2_b64 s[4:5], s[4:5], exec
	s_and_b64 s[8:9], s[8:9], exec
	s_or_b64 s[4:5], s[4:5], s[8:9]
	s_or_b64 exec, exec, s[6:7]
	s_and_saveexec_b64 s[6:7], s[4:5]
	s_cbranch_execz .LBB2_29681
; %bb.52195:
	s_getpc_b64 s[14:15]
.Lpost_getpc29681:
	s_add_u32 s14, s14, (.LBB2_2019-.Lpost_getpc29681)&4294967295
	s_addc_u32 s15, s15, (.LBB2_2019-.Lpost_getpc29681)>>32
	s_setpc_b64 s[14:15]
.LBB2_29681:
	s_getpc_b64 s[14:15]
.Lpost_getpc18424:
	s_add_u32 s14, s14, (.LBB2_2020-.Lpost_getpc18424)&4294967295
	s_addc_u32 s15, s15, (.LBB2_2020-.Lpost_getpc18424)>>32
	s_setpc_b64 s[14:15]
.LBB2_16357:
	s_movk_i32 s4, 0x80
	v_cmp_eq_u16_sdwa s[12:13], v5, s4 src0_sel:BYTE_0 src1_sel:DWORD
	s_mov_b64 s[4:5], -1
                                        ; implicit-def: $sgpr10
	s_and_saveexec_b64 s[8:9], s[12:13]
; %bb.16358:
	s_mov_b32 s10, 0x7f800001
	s_xor_b64 s[4:5], exec, -1
; %bb.16359:
	s_or_b64 exec, exec, s[8:9]
	s_and_b64 s[4:5], s[4:5], exec
	s_or_saveexec_b64 s[6:7], s[6:7]
	v_mov_b32_e32 v3, s10
	s_xor_b64 exec, exec, s[6:7]
	s_cbranch_execnz .LBB2_16360
; %bb.52197:
	s_getpc_b64 s[14:15]
.Lpost_getpc29682:
	s_add_u32 s14, s14, (.LBB2_2022-.Lpost_getpc29682)&4294967295
	s_addc_u32 s15, s15, (.LBB2_2022-.Lpost_getpc29682)>>32
	s_setpc_b64 s[14:15]
.LBB2_16360:
	v_mov_b32_e32 v3, 0
	v_cmp_ne_u16_sdwa s[8:9], v5, v3 src0_sel:BYTE_0 src1_sel:DWORD
	s_andn2_b64 s[4:5], s[4:5], exec
	s_and_b64 s[8:9], s[8:9], exec
	s_or_b64 s[4:5], s[4:5], s[8:9]
	s_or_b64 exec, exec, s[6:7]
	s_and_saveexec_b64 s[6:7], s[4:5]
	s_cbranch_execz .LBB2_29683
; %bb.52199:
	s_getpc_b64 s[14:15]
.Lpost_getpc29683:
	s_add_u32 s14, s14, (.LBB2_2023-.Lpost_getpc29683)&4294967295
	s_addc_u32 s15, s15, (.LBB2_2023-.Lpost_getpc29683)>>32
	s_setpc_b64 s[14:15]
.LBB2_29683:
	s_getpc_b64 s[14:15]
.Lpost_getpc18425:
	s_add_u32 s14, s14, (.LBB2_2024-.Lpost_getpc18425)&4294967295
	s_addc_u32 s15, s15, (.LBB2_2024-.Lpost_getpc18425)>>32
	s_setpc_b64 s[14:15]
.LBB2_16361:
	s_movk_i32 s4, 0x80
	v_cmp_eq_u16_sdwa s[12:13], v3, s4 src0_sel:BYTE_0 src1_sel:DWORD
	s_mov_b64 s[4:5], -1
                                        ; implicit-def: $sgpr10
	s_and_saveexec_b64 s[8:9], s[12:13]
; %bb.16362:
	s_mov_b32 s10, 0x7f800001
	s_xor_b64 s[4:5], exec, -1
; %bb.16363:
	s_or_b64 exec, exec, s[8:9]
	s_and_b64 s[4:5], s[4:5], exec
	s_or_saveexec_b64 s[6:7], s[6:7]
	v_mov_b32_e32 v2, s10
	s_xor_b64 exec, exec, s[6:7]
	s_cbranch_execnz .LBB2_16364
; %bb.52201:
	s_getpc_b64 s[14:15]
.Lpost_getpc29684:
	s_add_u32 s14, s14, (.LBB2_2026-.Lpost_getpc29684)&4294967295
	s_addc_u32 s15, s15, (.LBB2_2026-.Lpost_getpc29684)>>32
	s_setpc_b64 s[14:15]
.LBB2_16364:
	v_mov_b32_e32 v2, 0
	v_cmp_ne_u16_sdwa s[8:9], v3, v2 src0_sel:BYTE_0 src1_sel:DWORD
	s_andn2_b64 s[4:5], s[4:5], exec
	s_and_b64 s[8:9], s[8:9], exec
	s_or_b64 s[4:5], s[4:5], s[8:9]
	s_or_b64 exec, exec, s[6:7]
	s_and_saveexec_b64 s[6:7], s[4:5]
	s_cbranch_execz .LBB2_29685
; %bb.52203:
	s_getpc_b64 s[14:15]
.Lpost_getpc29685:
	s_add_u32 s14, s14, (.LBB2_2027-.Lpost_getpc29685)&4294967295
	s_addc_u32 s15, s15, (.LBB2_2027-.Lpost_getpc29685)>>32
	s_setpc_b64 s[14:15]
.LBB2_29685:
	s_getpc_b64 s[14:15]
.Lpost_getpc18426:
	s_add_u32 s14, s14, (.LBB2_2028-.Lpost_getpc18426)&4294967295
	s_addc_u32 s15, s15, (.LBB2_2028-.Lpost_getpc18426)>>32
	s_setpc_b64 s[14:15]
.LBB2_16365:
	s_movk_i32 s4, 0x80
	v_cmp_eq_u16_sdwa s[12:13], v3, s4 src0_sel:BYTE_0 src1_sel:DWORD
	s_mov_b64 s[4:5], -1
                                        ; implicit-def: $sgpr10
	s_and_saveexec_b64 s[8:9], s[12:13]
; %bb.16366:
	s_mov_b32 s10, 0x7f800001
	s_xor_b64 s[4:5], exec, -1
; %bb.16367:
	s_or_b64 exec, exec, s[8:9]
	s_and_b64 s[4:5], s[4:5], exec
	s_or_saveexec_b64 s[6:7], s[6:7]
	v_mov_b32_e32 v4, s10
	s_xor_b64 exec, exec, s[6:7]
	s_cbranch_execnz .LBB2_16368
; %bb.52205:
	s_getpc_b64 s[14:15]
.Lpost_getpc29686:
	s_add_u32 s14, s14, (.LBB2_2030-.Lpost_getpc29686)&4294967295
	s_addc_u32 s15, s15, (.LBB2_2030-.Lpost_getpc29686)>>32
	s_setpc_b64 s[14:15]
.LBB2_16368:
	v_mov_b32_e32 v4, 0
	v_cmp_ne_u16_sdwa s[8:9], v3, v4 src0_sel:BYTE_0 src1_sel:DWORD
	s_andn2_b64 s[4:5], s[4:5], exec
	s_and_b64 s[8:9], s[8:9], exec
	s_or_b64 s[4:5], s[4:5], s[8:9]
	s_or_b64 exec, exec, s[6:7]
	s_and_saveexec_b64 s[6:7], s[4:5]
	s_cbranch_execz .LBB2_29687
; %bb.52207:
	s_getpc_b64 s[14:15]
.Lpost_getpc29687:
	s_add_u32 s14, s14, (.LBB2_2031-.Lpost_getpc29687)&4294967295
	s_addc_u32 s15, s15, (.LBB2_2031-.Lpost_getpc29687)>>32
	s_setpc_b64 s[14:15]
.LBB2_29687:
	s_getpc_b64 s[14:15]
.Lpost_getpc18427:
	s_add_u32 s14, s14, (.LBB2_2032-.Lpost_getpc18427)&4294967295
	s_addc_u32 s15, s15, (.LBB2_2032-.Lpost_getpc18427)>>32
	s_setpc_b64 s[14:15]
.LBB2_16369:
	s_movk_i32 s4, 0x80
	v_cmp_eq_u16_e32 vcc, s4, v3
	s_mov_b64 s[4:5], -1
                                        ; implicit-def: $sgpr10
	s_and_saveexec_b64 s[8:9], vcc
; %bb.16370:
	s_mov_b32 s10, 0x7f800001
	s_xor_b64 s[4:5], exec, -1
; %bb.16371:
	s_or_b64 exec, exec, s[8:9]
	s_and_b64 s[4:5], s[4:5], exec
                                        ; implicit-def: $vgpr3
	s_or_saveexec_b64 s[6:7], s[6:7]
	v_mov_b32_e32 v2, s10
	s_xor_b64 exec, exec, s[6:7]
	s_cbranch_execnz .LBB2_16372
; %bb.52209:
	s_getpc_b64 s[14:15]
.Lpost_getpc29688:
	s_add_u32 s14, s14, (.LBB2_2034-.Lpost_getpc29688)&4294967295
	s_addc_u32 s15, s15, (.LBB2_2034-.Lpost_getpc29688)>>32
	s_setpc_b64 s[14:15]
.LBB2_16372:
	v_cmp_ne_u16_e32 vcc, 0, v3
	s_andn2_b64 s[4:5], s[4:5], exec
	s_and_b64 s[8:9], vcc, exec
	v_mov_b32_e32 v2, 0
	s_or_b64 s[4:5], s[4:5], s[8:9]
	s_or_b64 exec, exec, s[6:7]
	s_and_saveexec_b64 s[6:7], s[4:5]
	s_cbranch_execz .LBB2_29689
; %bb.52211:
	s_getpc_b64 s[14:15]
.Lpost_getpc29689:
	s_add_u32 s14, s14, (.LBB2_2035-.Lpost_getpc29689)&4294967295
	s_addc_u32 s15, s15, (.LBB2_2035-.Lpost_getpc29689)>>32
	s_setpc_b64 s[14:15]
.LBB2_29689:
	s_getpc_b64 s[14:15]
.Lpost_getpc18428:
	s_add_u32 s14, s14, (.LBB2_2036-.Lpost_getpc18428)&4294967295
	s_addc_u32 s15, s15, (.LBB2_2036-.Lpost_getpc18428)>>32
	s_setpc_b64 s[14:15]
.LBB2_16373:
	s_movk_i32 s4, 0x80
	v_cmp_eq_u16_e32 vcc, s4, v3
	s_mov_b64 s[4:5], -1
                                        ; implicit-def: $sgpr10
	s_and_saveexec_b64 s[8:9], vcc
; %bb.16374:
	s_mov_b32 s10, 0x7f800001
	s_xor_b64 s[4:5], exec, -1
; %bb.16375:
	s_or_b64 exec, exec, s[8:9]
	s_and_b64 s[4:5], s[4:5], exec
                                        ; implicit-def: $vgpr3
	s_or_saveexec_b64 s[6:7], s[6:7]
	v_mov_b32_e32 v4, s10
	s_xor_b64 exec, exec, s[6:7]
	s_cbranch_execnz .LBB2_16376
; %bb.52213:
	s_getpc_b64 s[14:15]
.Lpost_getpc29690:
	s_add_u32 s14, s14, (.LBB2_2038-.Lpost_getpc29690)&4294967295
	s_addc_u32 s15, s15, (.LBB2_2038-.Lpost_getpc29690)>>32
	s_setpc_b64 s[14:15]
.LBB2_16376:
	v_cmp_ne_u16_e32 vcc, 0, v3
	s_andn2_b64 s[4:5], s[4:5], exec
	s_and_b64 s[8:9], vcc, exec
	v_mov_b32_e32 v4, 0
	s_or_b64 s[4:5], s[4:5], s[8:9]
	s_or_b64 exec, exec, s[6:7]
	s_and_saveexec_b64 s[6:7], s[4:5]
	s_cbranch_execz .LBB2_29691
; %bb.52215:
	s_getpc_b64 s[14:15]
.Lpost_getpc29691:
	s_add_u32 s14, s14, (.LBB2_2039-.Lpost_getpc29691)&4294967295
	s_addc_u32 s15, s15, (.LBB2_2039-.Lpost_getpc29691)>>32
	s_setpc_b64 s[14:15]
.LBB2_29691:
	s_getpc_b64 s[14:15]
.Lpost_getpc18429:
	s_add_u32 s14, s14, (.LBB2_2040-.Lpost_getpc18429)&4294967295
	s_addc_u32 s15, s15, (.LBB2_2040-.Lpost_getpc18429)>>32
	s_setpc_b64 s[14:15]
.LBB2_16377:
	s_movk_i32 s4, 0x80
	v_cmp_eq_u16_sdwa s[12:13], v9, s4 src0_sel:BYTE_3 src1_sel:DWORD
	s_mov_b64 s[4:5], -1
                                        ; implicit-def: $sgpr10
	s_and_saveexec_b64 s[8:9], s[12:13]
; %bb.16378:
	s_mov_b32 s10, 0x7f800001
	s_xor_b64 s[4:5], exec, -1
; %bb.16379:
	s_or_b64 exec, exec, s[8:9]
	s_and_b64 s[4:5], s[4:5], exec
	s_or_saveexec_b64 s[6:7], s[6:7]
	v_mov_b32_e32 v2, s10
	s_xor_b64 exec, exec, s[6:7]
	s_cbranch_execnz .LBB2_16380
; %bb.52217:
	s_getpc_b64 s[14:15]
.Lpost_getpc29692:
	s_add_u32 s14, s14, (.LBB2_2042-.Lpost_getpc29692)&4294967295
	s_addc_u32 s15, s15, (.LBB2_2042-.Lpost_getpc29692)>>32
	s_setpc_b64 s[14:15]
.LBB2_16380:
	v_mov_b32_e32 v2, 0
	v_cmp_ne_u16_sdwa s[8:9], v9, v2 src0_sel:BYTE_3 src1_sel:DWORD
	s_andn2_b64 s[4:5], s[4:5], exec
	s_and_b64 s[8:9], s[8:9], exec
	s_or_b64 s[4:5], s[4:5], s[8:9]
	s_or_b64 exec, exec, s[6:7]
	s_and_saveexec_b64 s[6:7], s[4:5]
	s_cbranch_execz .LBB2_29693
; %bb.52219:
	s_getpc_b64 s[14:15]
.Lpost_getpc29693:
	s_add_u32 s14, s14, (.LBB2_2043-.Lpost_getpc29693)&4294967295
	s_addc_u32 s15, s15, (.LBB2_2043-.Lpost_getpc29693)>>32
	s_setpc_b64 s[14:15]
.LBB2_29693:
	s_getpc_b64 s[14:15]
.Lpost_getpc18430:
	s_add_u32 s14, s14, (.LBB2_2044-.Lpost_getpc18430)&4294967295
	s_addc_u32 s15, s15, (.LBB2_2044-.Lpost_getpc18430)>>32
	s_setpc_b64 s[14:15]
.LBB2_16381:
	s_movk_i32 s4, 0x80
	v_cmp_eq_u16_sdwa s[12:13], v5, s4 src0_sel:BYTE_3 src1_sel:DWORD
	s_mov_b64 s[4:5], -1
                                        ; implicit-def: $sgpr10
	s_and_saveexec_b64 s[8:9], s[12:13]
; %bb.16382:
	s_mov_b32 s10, 0x7f800001
	s_xor_b64 s[4:5], exec, -1
; %bb.16383:
	s_or_b64 exec, exec, s[8:9]
	s_and_b64 s[4:5], s[4:5], exec
	s_or_saveexec_b64 s[6:7], s[6:7]
	v_mov_b32_e32 v3, s10
	s_xor_b64 exec, exec, s[6:7]
	s_cbranch_execnz .LBB2_16384
; %bb.52221:
	s_getpc_b64 s[14:15]
.Lpost_getpc29694:
	s_add_u32 s14, s14, (.LBB2_2046-.Lpost_getpc29694)&4294967295
	s_addc_u32 s15, s15, (.LBB2_2046-.Lpost_getpc29694)>>32
	s_setpc_b64 s[14:15]
.LBB2_16384:
	v_mov_b32_e32 v3, 0
	v_cmp_ne_u16_sdwa s[8:9], v5, v3 src0_sel:BYTE_3 src1_sel:DWORD
	s_andn2_b64 s[4:5], s[4:5], exec
	s_and_b64 s[8:9], s[8:9], exec
	s_or_b64 s[4:5], s[4:5], s[8:9]
	s_or_b64 exec, exec, s[6:7]
	s_and_saveexec_b64 s[6:7], s[4:5]
	s_cbranch_execz .LBB2_29695
; %bb.52223:
	s_getpc_b64 s[14:15]
.Lpost_getpc29695:
	s_add_u32 s14, s14, (.LBB2_2047-.Lpost_getpc29695)&4294967295
	s_addc_u32 s15, s15, (.LBB2_2047-.Lpost_getpc29695)>>32
	s_setpc_b64 s[14:15]
.LBB2_29695:
	s_getpc_b64 s[14:15]
.Lpost_getpc18431:
	s_add_u32 s14, s14, (.LBB2_2048-.Lpost_getpc18431)&4294967295
	s_addc_u32 s15, s15, (.LBB2_2048-.Lpost_getpc18431)>>32
	s_setpc_b64 s[14:15]
.LBB2_16385:
	s_movk_i32 s4, 0x80
	v_cmp_eq_u16_sdwa s[12:13], v6, s4 src0_sel:BYTE_0 src1_sel:DWORD
	s_mov_b64 s[4:5], -1
                                        ; implicit-def: $sgpr10
	s_and_saveexec_b64 s[8:9], s[12:13]
; %bb.16386:
	s_mov_b32 s10, 0x7f800001
	s_xor_b64 s[4:5], exec, -1
; %bb.16387:
	s_or_b64 exec, exec, s[8:9]
	s_and_b64 s[4:5], s[4:5], exec
	s_or_saveexec_b64 s[6:7], s[6:7]
	v_mov_b32_e32 v12, s10
	s_xor_b64 exec, exec, s[6:7]
	s_cbranch_execnz .LBB2_16388
; %bb.52225:
	s_getpc_b64 s[14:15]
.Lpost_getpc29696:
	s_add_u32 s14, s14, (.LBB2_2050-.Lpost_getpc29696)&4294967295
	s_addc_u32 s15, s15, (.LBB2_2050-.Lpost_getpc29696)>>32
	s_setpc_b64 s[14:15]
.LBB2_16388:
	v_mov_b32_e32 v12, 0
	v_cmp_ne_u16_sdwa s[8:9], v6, v12 src0_sel:BYTE_0 src1_sel:DWORD
	s_andn2_b64 s[4:5], s[4:5], exec
	s_and_b64 s[8:9], s[8:9], exec
	s_or_b64 s[4:5], s[4:5], s[8:9]
	s_or_b64 exec, exec, s[6:7]
	s_and_saveexec_b64 s[6:7], s[4:5]
	s_cbranch_execz .LBB2_29697
; %bb.52227:
	s_getpc_b64 s[14:15]
.Lpost_getpc29697:
	s_add_u32 s14, s14, (.LBB2_2051-.Lpost_getpc29697)&4294967295
	s_addc_u32 s15, s15, (.LBB2_2051-.Lpost_getpc29697)>>32
	s_setpc_b64 s[14:15]
.LBB2_29697:
	s_getpc_b64 s[14:15]
.Lpost_getpc18432:
	s_add_u32 s14, s14, (.LBB2_2052-.Lpost_getpc18432)&4294967295
	s_addc_u32 s15, s15, (.LBB2_2052-.Lpost_getpc18432)>>32
	s_setpc_b64 s[14:15]
.LBB2_16389:
	s_movk_i32 s4, 0x80
	v_cmp_eq_u16_sdwa s[12:13], v2, s4 src0_sel:BYTE_0 src1_sel:DWORD
	s_mov_b64 s[4:5], -1
                                        ; implicit-def: $sgpr10
	s_and_saveexec_b64 s[8:9], s[12:13]
; %bb.16390:
	s_mov_b32 s10, 0x7f800001
	s_xor_b64 s[4:5], exec, -1
; %bb.16391:
	s_or_b64 exec, exec, s[8:9]
	s_and_b64 s[4:5], s[4:5], exec
	s_or_saveexec_b64 s[6:7], s[6:7]
	v_mov_b32_e32 v13, s10
	s_xor_b64 exec, exec, s[6:7]
	s_cbranch_execnz .LBB2_16392
; %bb.52229:
	s_getpc_b64 s[14:15]
.Lpost_getpc29698:
	s_add_u32 s14, s14, (.LBB2_2054-.Lpost_getpc29698)&4294967295
	s_addc_u32 s15, s15, (.LBB2_2054-.Lpost_getpc29698)>>32
	s_setpc_b64 s[14:15]
.LBB2_16392:
	v_mov_b32_e32 v13, 0
	v_cmp_ne_u16_sdwa s[8:9], v2, v13 src0_sel:BYTE_0 src1_sel:DWORD
	s_andn2_b64 s[4:5], s[4:5], exec
	s_and_b64 s[8:9], s[8:9], exec
	s_or_b64 s[4:5], s[4:5], s[8:9]
	s_or_b64 exec, exec, s[6:7]
	s_and_saveexec_b64 s[6:7], s[4:5]
	s_cbranch_execz .LBB2_29699
; %bb.52231:
	s_getpc_b64 s[14:15]
.Lpost_getpc29699:
	s_add_u32 s14, s14, (.LBB2_2055-.Lpost_getpc29699)&4294967295
	s_addc_u32 s15, s15, (.LBB2_2055-.Lpost_getpc29699)>>32
	s_setpc_b64 s[14:15]
.LBB2_29699:
	s_getpc_b64 s[14:15]
.Lpost_getpc18433:
	s_add_u32 s14, s14, (.LBB2_2056-.Lpost_getpc18433)&4294967295
	s_addc_u32 s15, s15, (.LBB2_2056-.Lpost_getpc18433)>>32
	s_setpc_b64 s[14:15]
.LBB2_16393:
	s_movk_i32 s4, 0x80
	v_cmp_eq_u16_sdwa s[12:13], v13, s4 src0_sel:BYTE_0 src1_sel:DWORD
	s_mov_b64 s[4:5], -1
                                        ; implicit-def: $sgpr10
	s_and_saveexec_b64 s[8:9], s[12:13]
; %bb.16394:
	s_mov_b32 s10, 0x7f800001
	s_xor_b64 s[4:5], exec, -1
; %bb.16395:
	s_or_b64 exec, exec, s[8:9]
	s_and_b64 s[4:5], s[4:5], exec
	s_or_saveexec_b64 s[6:7], s[6:7]
	v_mov_b32_e32 v12, s10
	s_xor_b64 exec, exec, s[6:7]
	s_cbranch_execnz .LBB2_16396
; %bb.52233:
	s_getpc_b64 s[14:15]
.Lpost_getpc29700:
	s_add_u32 s14, s14, (.LBB2_2058-.Lpost_getpc29700)&4294967295
	s_addc_u32 s15, s15, (.LBB2_2058-.Lpost_getpc29700)>>32
	s_setpc_b64 s[14:15]
.LBB2_16396:
	v_mov_b32_e32 v12, 0
	v_cmp_ne_u16_sdwa s[8:9], v13, v12 src0_sel:BYTE_0 src1_sel:DWORD
	s_andn2_b64 s[4:5], s[4:5], exec
	s_and_b64 s[8:9], s[8:9], exec
	s_or_b64 s[4:5], s[4:5], s[8:9]
	s_or_b64 exec, exec, s[6:7]
	s_and_saveexec_b64 s[6:7], s[4:5]
	s_cbranch_execz .LBB2_29701
; %bb.52235:
	s_getpc_b64 s[14:15]
.Lpost_getpc29701:
	s_add_u32 s14, s14, (.LBB2_2059-.Lpost_getpc29701)&4294967295
	s_addc_u32 s15, s15, (.LBB2_2059-.Lpost_getpc29701)>>32
	s_setpc_b64 s[14:15]
.LBB2_29701:
	s_getpc_b64 s[14:15]
.Lpost_getpc18434:
	s_add_u32 s14, s14, (.LBB2_2060-.Lpost_getpc18434)&4294967295
	s_addc_u32 s15, s15, (.LBB2_2060-.Lpost_getpc18434)>>32
	s_setpc_b64 s[14:15]
.LBB2_16397:
	s_movk_i32 s4, 0x80
	v_cmp_eq_u16_sdwa s[12:13], v13, s4 src0_sel:BYTE_0 src1_sel:DWORD
	s_mov_b64 s[4:5], -1
                                        ; implicit-def: $sgpr10
	s_and_saveexec_b64 s[8:9], s[12:13]
; %bb.16398:
	s_mov_b32 s10, 0x7f800001
	s_xor_b64 s[4:5], exec, -1
; %bb.16399:
	s_or_b64 exec, exec, s[8:9]
	s_and_b64 s[4:5], s[4:5], exec
	s_or_saveexec_b64 s[6:7], s[6:7]
	v_mov_b32_e32 v14, s10
	s_xor_b64 exec, exec, s[6:7]
	s_cbranch_execnz .LBB2_16400
; %bb.52237:
	s_getpc_b64 s[14:15]
.Lpost_getpc29702:
	s_add_u32 s14, s14, (.LBB2_2062-.Lpost_getpc29702)&4294967295
	s_addc_u32 s15, s15, (.LBB2_2062-.Lpost_getpc29702)>>32
	s_setpc_b64 s[14:15]
.LBB2_16400:
	v_mov_b32_e32 v14, 0
	v_cmp_ne_u16_sdwa s[8:9], v13, v14 src0_sel:BYTE_0 src1_sel:DWORD
	s_andn2_b64 s[4:5], s[4:5], exec
	s_and_b64 s[8:9], s[8:9], exec
	s_or_b64 s[4:5], s[4:5], s[8:9]
	s_or_b64 exec, exec, s[6:7]
	s_and_saveexec_b64 s[6:7], s[4:5]
	s_cbranch_execz .LBB2_29703
; %bb.52239:
	s_getpc_b64 s[14:15]
.Lpost_getpc29703:
	s_add_u32 s14, s14, (.LBB2_2063-.Lpost_getpc29703)&4294967295
	s_addc_u32 s15, s15, (.LBB2_2063-.Lpost_getpc29703)>>32
	s_setpc_b64 s[14:15]
.LBB2_29703:
	s_getpc_b64 s[14:15]
.Lpost_getpc18435:
	s_add_u32 s14, s14, (.LBB2_2064-.Lpost_getpc18435)&4294967295
	s_addc_u32 s15, s15, (.LBB2_2064-.Lpost_getpc18435)>>32
	s_setpc_b64 s[14:15]
.LBB2_16401:
	s_movk_i32 s4, 0x80
	v_cmp_eq_u16_e32 vcc, s4, v13
	s_mov_b64 s[4:5], -1
                                        ; implicit-def: $sgpr10
	s_and_saveexec_b64 s[8:9], vcc
; %bb.16402:
	s_mov_b32 s10, 0x7f800001
	s_xor_b64 s[4:5], exec, -1
; %bb.16403:
	s_or_b64 exec, exec, s[8:9]
	s_and_b64 s[4:5], s[4:5], exec
                                        ; implicit-def: $vgpr13
	s_or_saveexec_b64 s[6:7], s[6:7]
	v_mov_b32_e32 v12, s10
	s_xor_b64 exec, exec, s[6:7]
	s_cbranch_execnz .LBB2_16404
; %bb.52241:
	s_getpc_b64 s[14:15]
.Lpost_getpc29704:
	s_add_u32 s14, s14, (.LBB2_2066-.Lpost_getpc29704)&4294967295
	s_addc_u32 s15, s15, (.LBB2_2066-.Lpost_getpc29704)>>32
	s_setpc_b64 s[14:15]
.LBB2_16404:
	v_cmp_ne_u16_e32 vcc, 0, v13
	s_andn2_b64 s[4:5], s[4:5], exec
	s_and_b64 s[8:9], vcc, exec
	v_mov_b32_e32 v12, 0
	s_or_b64 s[4:5], s[4:5], s[8:9]
	s_or_b64 exec, exec, s[6:7]
	s_and_saveexec_b64 s[6:7], s[4:5]
	s_cbranch_execz .LBB2_29705
; %bb.52243:
	s_getpc_b64 s[14:15]
.Lpost_getpc29705:
	s_add_u32 s14, s14, (.LBB2_2067-.Lpost_getpc29705)&4294967295
	s_addc_u32 s15, s15, (.LBB2_2067-.Lpost_getpc29705)>>32
	s_setpc_b64 s[14:15]
.LBB2_29705:
	s_getpc_b64 s[14:15]
.Lpost_getpc18436:
	s_add_u32 s14, s14, (.LBB2_2068-.Lpost_getpc18436)&4294967295
	s_addc_u32 s15, s15, (.LBB2_2068-.Lpost_getpc18436)>>32
	s_setpc_b64 s[14:15]
.LBB2_16405:
	s_movk_i32 s4, 0x80
	v_cmp_eq_u16_e32 vcc, s4, v13
	s_mov_b64 s[4:5], -1
                                        ; implicit-def: $sgpr10
	s_and_saveexec_b64 s[8:9], vcc
; %bb.16406:
	s_mov_b32 s10, 0x7f800001
	s_xor_b64 s[4:5], exec, -1
; %bb.16407:
	s_or_b64 exec, exec, s[8:9]
	s_and_b64 s[4:5], s[4:5], exec
                                        ; implicit-def: $vgpr13
	s_or_saveexec_b64 s[6:7], s[6:7]
	v_mov_b32_e32 v14, s10
	s_xor_b64 exec, exec, s[6:7]
	s_cbranch_execnz .LBB2_16408
; %bb.52245:
	s_getpc_b64 s[14:15]
.Lpost_getpc29706:
	s_add_u32 s14, s14, (.LBB2_2070-.Lpost_getpc29706)&4294967295
	s_addc_u32 s15, s15, (.LBB2_2070-.Lpost_getpc29706)>>32
	s_setpc_b64 s[14:15]
.LBB2_16408:
	v_cmp_ne_u16_e32 vcc, 0, v13
	s_andn2_b64 s[4:5], s[4:5], exec
	s_and_b64 s[8:9], vcc, exec
	v_mov_b32_e32 v14, 0
	s_or_b64 s[4:5], s[4:5], s[8:9]
	s_or_b64 exec, exec, s[6:7]
	s_and_saveexec_b64 s[6:7], s[4:5]
	s_cbranch_execz .LBB2_29707
; %bb.52247:
	s_getpc_b64 s[14:15]
.Lpost_getpc29707:
	s_add_u32 s14, s14, (.LBB2_2071-.Lpost_getpc29707)&4294967295
	s_addc_u32 s15, s15, (.LBB2_2071-.Lpost_getpc29707)>>32
	s_setpc_b64 s[14:15]
.LBB2_29707:
	s_getpc_b64 s[14:15]
.Lpost_getpc18437:
	s_add_u32 s14, s14, (.LBB2_2072-.Lpost_getpc18437)&4294967295
	s_addc_u32 s15, s15, (.LBB2_2072-.Lpost_getpc18437)>>32
	s_setpc_b64 s[14:15]
.LBB2_16409:
	s_movk_i32 s4, 0x80
	v_cmp_eq_u16_sdwa s[12:13], v6, s4 src0_sel:BYTE_3 src1_sel:DWORD
	s_mov_b64 s[4:5], -1
                                        ; implicit-def: $sgpr10
	s_and_saveexec_b64 s[8:9], s[12:13]
; %bb.16410:
	s_mov_b32 s10, 0x7f800001
	s_xor_b64 s[4:5], exec, -1
; %bb.16411:
	s_or_b64 exec, exec, s[8:9]
	s_and_b64 s[4:5], s[4:5], exec
	s_or_saveexec_b64 s[6:7], s[6:7]
	v_mov_b32_e32 v12, s10
	s_xor_b64 exec, exec, s[6:7]
	s_cbranch_execnz .LBB2_16412
; %bb.52249:
	s_getpc_b64 s[14:15]
.Lpost_getpc29708:
	s_add_u32 s14, s14, (.LBB2_2074-.Lpost_getpc29708)&4294967295
	s_addc_u32 s15, s15, (.LBB2_2074-.Lpost_getpc29708)>>32
	s_setpc_b64 s[14:15]
.LBB2_16412:
	v_mov_b32_e32 v12, 0
	v_cmp_ne_u16_sdwa s[8:9], v6, v12 src0_sel:BYTE_3 src1_sel:DWORD
	s_andn2_b64 s[4:5], s[4:5], exec
	s_and_b64 s[8:9], s[8:9], exec
	s_or_b64 s[4:5], s[4:5], s[8:9]
	s_or_b64 exec, exec, s[6:7]
	s_and_saveexec_b64 s[6:7], s[4:5]
	s_cbranch_execz .LBB2_29709
; %bb.52251:
	s_getpc_b64 s[14:15]
.Lpost_getpc29709:
	s_add_u32 s14, s14, (.LBB2_2075-.Lpost_getpc29709)&4294967295
	s_addc_u32 s15, s15, (.LBB2_2075-.Lpost_getpc29709)>>32
	s_setpc_b64 s[14:15]
.LBB2_29709:
	s_getpc_b64 s[14:15]
.Lpost_getpc18438:
	s_add_u32 s14, s14, (.LBB2_2076-.Lpost_getpc18438)&4294967295
	s_addc_u32 s15, s15, (.LBB2_2076-.Lpost_getpc18438)>>32
	s_setpc_b64 s[14:15]
.LBB2_16413:
	s_movk_i32 s4, 0x80
	v_cmp_eq_u16_sdwa s[12:13], v2, s4 src0_sel:BYTE_3 src1_sel:DWORD
	s_mov_b64 s[4:5], -1
                                        ; implicit-def: $sgpr10
	s_and_saveexec_b64 s[8:9], s[12:13]
; %bb.16414:
	s_mov_b32 s10, 0x7f800001
	s_xor_b64 s[4:5], exec, -1
; %bb.16415:
	s_or_b64 exec, exec, s[8:9]
	s_and_b64 s[4:5], s[4:5], exec
	s_or_saveexec_b64 s[6:7], s[6:7]
	v_mov_b32_e32 v6, s10
	s_xor_b64 exec, exec, s[6:7]
	s_cbranch_execnz .LBB2_16416
; %bb.52253:
	s_getpc_b64 s[14:15]
.Lpost_getpc29710:
	s_add_u32 s14, s14, (.LBB2_2078-.Lpost_getpc29710)&4294967295
	s_addc_u32 s15, s15, (.LBB2_2078-.Lpost_getpc29710)>>32
	s_setpc_b64 s[14:15]
.LBB2_16416:
	v_mov_b32_e32 v6, 0
	v_cmp_ne_u16_sdwa s[8:9], v2, v6 src0_sel:BYTE_3 src1_sel:DWORD
	s_andn2_b64 s[4:5], s[4:5], exec
	s_and_b64 s[8:9], s[8:9], exec
	s_or_b64 s[4:5], s[4:5], s[8:9]
	s_or_b64 exec, exec, s[6:7]
	s_and_saveexec_b64 s[6:7], s[4:5]
	s_cbranch_execz .LBB2_29711
; %bb.52255:
	s_getpc_b64 s[14:15]
.Lpost_getpc29711:
	s_add_u32 s14, s14, (.LBB2_2079-.Lpost_getpc29711)&4294967295
	s_addc_u32 s15, s15, (.LBB2_2079-.Lpost_getpc29711)>>32
	s_setpc_b64 s[14:15]
.LBB2_29711:
	s_getpc_b64 s[14:15]
.Lpost_getpc18439:
	s_add_u32 s14, s14, (.LBB2_2080-.Lpost_getpc18439)&4294967295
	s_addc_u32 s15, s15, (.LBB2_2080-.Lpost_getpc18439)>>32
	s_setpc_b64 s[14:15]
.LBB2_16417:
	s_movk_i32 s4, 0x80
	v_cmp_eq_u16_sdwa s[12:13], v7, s4 src0_sel:BYTE_0 src1_sel:DWORD
	s_mov_b64 s[4:5], -1
                                        ; implicit-def: $sgpr10
	s_and_saveexec_b64 s[8:9], s[12:13]
; %bb.16418:
	s_mov_b32 s10, 0x7f800001
	s_xor_b64 s[4:5], exec, -1
; %bb.16419:
	s_or_b64 exec, exec, s[8:9]
	s_and_b64 s[4:5], s[4:5], exec
	s_or_saveexec_b64 s[6:7], s[6:7]
	v_mov_b32_e32 v2, s10
	s_xor_b64 exec, exec, s[6:7]
	s_cbranch_execnz .LBB2_16420
; %bb.52257:
	s_getpc_b64 s[14:15]
.Lpost_getpc29712:
	s_add_u32 s14, s14, (.LBB2_2082-.Lpost_getpc29712)&4294967295
	s_addc_u32 s15, s15, (.LBB2_2082-.Lpost_getpc29712)>>32
	s_setpc_b64 s[14:15]
.LBB2_16420:
	v_mov_b32_e32 v2, 0
	v_cmp_ne_u16_sdwa s[8:9], v7, v2 src0_sel:BYTE_0 src1_sel:DWORD
	s_andn2_b64 s[4:5], s[4:5], exec
	s_and_b64 s[8:9], s[8:9], exec
	s_or_b64 s[4:5], s[4:5], s[8:9]
	s_or_b64 exec, exec, s[6:7]
	s_and_saveexec_b64 s[6:7], s[4:5]
	s_cbranch_execz .LBB2_29713
; %bb.52259:
	s_getpc_b64 s[14:15]
.Lpost_getpc29713:
	s_add_u32 s14, s14, (.LBB2_2083-.Lpost_getpc29713)&4294967295
	s_addc_u32 s15, s15, (.LBB2_2083-.Lpost_getpc29713)>>32
	s_setpc_b64 s[14:15]
.LBB2_29713:
	s_getpc_b64 s[14:15]
.Lpost_getpc18440:
	s_add_u32 s14, s14, (.LBB2_2084-.Lpost_getpc18440)&4294967295
	s_addc_u32 s15, s15, (.LBB2_2084-.Lpost_getpc18440)>>32
	s_setpc_b64 s[14:15]
.LBB2_16421:
	s_movk_i32 s4, 0x80
	v_cmp_eq_u16_sdwa s[12:13], v3, s4 src0_sel:BYTE_0 src1_sel:DWORD
	s_mov_b64 s[4:5], -1
                                        ; implicit-def: $sgpr10
	s_and_saveexec_b64 s[8:9], s[12:13]
; %bb.16422:
	s_mov_b32 s10, 0x7f800001
	s_xor_b64 s[4:5], exec, -1
; %bb.16423:
	s_or_b64 exec, exec, s[8:9]
	s_and_b64 s[4:5], s[4:5], exec
	s_or_saveexec_b64 s[6:7], s[6:7]
	v_mov_b32_e32 v6, s10
	s_xor_b64 exec, exec, s[6:7]
	s_cbranch_execnz .LBB2_16424
; %bb.52261:
	s_getpc_b64 s[14:15]
.Lpost_getpc29714:
	s_add_u32 s14, s14, (.LBB2_2086-.Lpost_getpc29714)&4294967295
	s_addc_u32 s15, s15, (.LBB2_2086-.Lpost_getpc29714)>>32
	s_setpc_b64 s[14:15]
.LBB2_16424:
	v_mov_b32_e32 v6, 0
	v_cmp_ne_u16_sdwa s[8:9], v3, v6 src0_sel:BYTE_0 src1_sel:DWORD
	s_andn2_b64 s[4:5], s[4:5], exec
	s_and_b64 s[8:9], s[8:9], exec
	s_or_b64 s[4:5], s[4:5], s[8:9]
	s_or_b64 exec, exec, s[6:7]
	s_and_saveexec_b64 s[6:7], s[4:5]
	s_cbranch_execz .LBB2_29715
; %bb.52263:
	s_getpc_b64 s[14:15]
.Lpost_getpc29715:
	s_add_u32 s14, s14, (.LBB2_2087-.Lpost_getpc29715)&4294967295
	s_addc_u32 s15, s15, (.LBB2_2087-.Lpost_getpc29715)>>32
	s_setpc_b64 s[14:15]
.LBB2_29715:
	s_getpc_b64 s[14:15]
.Lpost_getpc18441:
	s_add_u32 s14, s14, (.LBB2_2088-.Lpost_getpc18441)&4294967295
	s_addc_u32 s15, s15, (.LBB2_2088-.Lpost_getpc18441)>>32
	s_setpc_b64 s[14:15]
.LBB2_16425:
	s_movk_i32 s4, 0x80
	v_cmp_eq_u16_sdwa s[12:13], v6, s4 src0_sel:BYTE_0 src1_sel:DWORD
	s_mov_b64 s[4:5], -1
                                        ; implicit-def: $sgpr10
	s_and_saveexec_b64 s[8:9], s[12:13]
; %bb.16426:
	s_mov_b32 s10, 0x7f800001
	s_xor_b64 s[4:5], exec, -1
; %bb.16427:
	s_or_b64 exec, exec, s[8:9]
	s_and_b64 s[4:5], s[4:5], exec
	s_or_saveexec_b64 s[6:7], s[6:7]
	v_mov_b32_e32 v2, s10
	s_xor_b64 exec, exec, s[6:7]
	s_cbranch_execnz .LBB2_16428
; %bb.52265:
	s_getpc_b64 s[14:15]
.Lpost_getpc29716:
	s_add_u32 s14, s14, (.LBB2_2090-.Lpost_getpc29716)&4294967295
	s_addc_u32 s15, s15, (.LBB2_2090-.Lpost_getpc29716)>>32
	s_setpc_b64 s[14:15]
.LBB2_16428:
	v_mov_b32_e32 v2, 0
	v_cmp_ne_u16_sdwa s[8:9], v6, v2 src0_sel:BYTE_0 src1_sel:DWORD
	s_andn2_b64 s[4:5], s[4:5], exec
	s_and_b64 s[8:9], s[8:9], exec
	s_or_b64 s[4:5], s[4:5], s[8:9]
	s_or_b64 exec, exec, s[6:7]
	s_and_saveexec_b64 s[6:7], s[4:5]
	s_cbranch_execz .LBB2_29717
; %bb.52267:
	s_getpc_b64 s[14:15]
.Lpost_getpc29717:
	s_add_u32 s14, s14, (.LBB2_2091-.Lpost_getpc29717)&4294967295
	s_addc_u32 s15, s15, (.LBB2_2091-.Lpost_getpc29717)>>32
	s_setpc_b64 s[14:15]
.LBB2_29717:
	s_getpc_b64 s[14:15]
.Lpost_getpc18442:
	s_add_u32 s14, s14, (.LBB2_2092-.Lpost_getpc18442)&4294967295
	s_addc_u32 s15, s15, (.LBB2_2092-.Lpost_getpc18442)>>32
	s_setpc_b64 s[14:15]
.LBB2_16429:
	s_movk_i32 s4, 0x80
	v_cmp_eq_u16_sdwa s[12:13], v6, s4 src0_sel:BYTE_0 src1_sel:DWORD
	s_mov_b64 s[4:5], -1
                                        ; implicit-def: $sgpr10
	s_and_saveexec_b64 s[8:9], s[12:13]
; %bb.16430:
	s_mov_b32 s10, 0x7f800001
	s_xor_b64 s[4:5], exec, -1
; %bb.16431:
	s_or_b64 exec, exec, s[8:9]
	s_and_b64 s[4:5], s[4:5], exec
	s_or_saveexec_b64 s[6:7], s[6:7]
	v_mov_b32_e32 v12, s10
	s_xor_b64 exec, exec, s[6:7]
	s_cbranch_execnz .LBB2_16432
; %bb.52269:
	s_getpc_b64 s[14:15]
.Lpost_getpc29718:
	s_add_u32 s14, s14, (.LBB2_2094-.Lpost_getpc29718)&4294967295
	s_addc_u32 s15, s15, (.LBB2_2094-.Lpost_getpc29718)>>32
	s_setpc_b64 s[14:15]
.LBB2_16432:
	v_mov_b32_e32 v12, 0
	v_cmp_ne_u16_sdwa s[8:9], v6, v12 src0_sel:BYTE_0 src1_sel:DWORD
	s_andn2_b64 s[4:5], s[4:5], exec
	s_and_b64 s[8:9], s[8:9], exec
	s_or_b64 s[4:5], s[4:5], s[8:9]
	s_or_b64 exec, exec, s[6:7]
	s_and_saveexec_b64 s[6:7], s[4:5]
	s_cbranch_execz .LBB2_29719
; %bb.52271:
	s_getpc_b64 s[14:15]
.Lpost_getpc29719:
	s_add_u32 s14, s14, (.LBB2_2095-.Lpost_getpc29719)&4294967295
	s_addc_u32 s15, s15, (.LBB2_2095-.Lpost_getpc29719)>>32
	s_setpc_b64 s[14:15]
.LBB2_29719:
	s_getpc_b64 s[14:15]
.Lpost_getpc18443:
	s_add_u32 s14, s14, (.LBB2_2096-.Lpost_getpc18443)&4294967295
	s_addc_u32 s15, s15, (.LBB2_2096-.Lpost_getpc18443)>>32
	s_setpc_b64 s[14:15]
.LBB2_16433:
	s_movk_i32 s4, 0x80
	v_cmp_eq_u16_e32 vcc, s4, v6
	s_mov_b64 s[4:5], -1
                                        ; implicit-def: $sgpr10
	s_and_saveexec_b64 s[8:9], vcc
; %bb.16434:
	s_mov_b32 s10, 0x7f800001
	s_xor_b64 s[4:5], exec, -1
; %bb.16435:
	s_or_b64 exec, exec, s[8:9]
	s_and_b64 s[4:5], s[4:5], exec
                                        ; implicit-def: $vgpr6
	s_or_saveexec_b64 s[6:7], s[6:7]
	v_mov_b32_e32 v2, s10
	s_xor_b64 exec, exec, s[6:7]
	s_cbranch_execnz .LBB2_16436
; %bb.52273:
	s_getpc_b64 s[14:15]
.Lpost_getpc29720:
	s_add_u32 s14, s14, (.LBB2_2098-.Lpost_getpc29720)&4294967295
	s_addc_u32 s15, s15, (.LBB2_2098-.Lpost_getpc29720)>>32
	s_setpc_b64 s[14:15]
.LBB2_16436:
	v_cmp_ne_u16_e32 vcc, 0, v6
	s_andn2_b64 s[4:5], s[4:5], exec
	s_and_b64 s[8:9], vcc, exec
	v_mov_b32_e32 v2, 0
	s_or_b64 s[4:5], s[4:5], s[8:9]
	s_or_b64 exec, exec, s[6:7]
	s_and_saveexec_b64 s[6:7], s[4:5]
	s_cbranch_execz .LBB2_29721
; %bb.52275:
	s_getpc_b64 s[14:15]
.Lpost_getpc29721:
	s_add_u32 s14, s14, (.LBB2_2099-.Lpost_getpc29721)&4294967295
	s_addc_u32 s15, s15, (.LBB2_2099-.Lpost_getpc29721)>>32
	s_setpc_b64 s[14:15]
.LBB2_29721:
	s_getpc_b64 s[14:15]
.Lpost_getpc18444:
	s_add_u32 s14, s14, (.LBB2_2100-.Lpost_getpc18444)&4294967295
	s_addc_u32 s15, s15, (.LBB2_2100-.Lpost_getpc18444)>>32
	s_setpc_b64 s[14:15]
.LBB2_16437:
	s_movk_i32 s4, 0x80
	v_cmp_eq_u16_e32 vcc, s4, v6
	s_mov_b64 s[4:5], -1
                                        ; implicit-def: $sgpr10
	s_and_saveexec_b64 s[8:9], vcc
; %bb.16438:
	s_mov_b32 s10, 0x7f800001
	s_xor_b64 s[4:5], exec, -1
; %bb.16439:
	s_or_b64 exec, exec, s[8:9]
	s_and_b64 s[4:5], s[4:5], exec
                                        ; implicit-def: $vgpr6
	s_or_saveexec_b64 s[6:7], s[6:7]
	v_mov_b32_e32 v12, s10
	s_xor_b64 exec, exec, s[6:7]
	s_cbranch_execnz .LBB2_16440
; %bb.52277:
	s_getpc_b64 s[14:15]
.Lpost_getpc29722:
	s_add_u32 s14, s14, (.LBB2_2102-.Lpost_getpc29722)&4294967295
	s_addc_u32 s15, s15, (.LBB2_2102-.Lpost_getpc29722)>>32
	s_setpc_b64 s[14:15]
.LBB2_16440:
	v_cmp_ne_u16_e32 vcc, 0, v6
	s_andn2_b64 s[4:5], s[4:5], exec
	s_and_b64 s[8:9], vcc, exec
	v_mov_b32_e32 v12, 0
	s_or_b64 s[4:5], s[4:5], s[8:9]
	s_or_b64 exec, exec, s[6:7]
	s_and_saveexec_b64 s[6:7], s[4:5]
	s_cbranch_execz .LBB2_29723
; %bb.52279:
	s_getpc_b64 s[14:15]
.Lpost_getpc29723:
	s_add_u32 s14, s14, (.LBB2_2103-.Lpost_getpc29723)&4294967295
	s_addc_u32 s15, s15, (.LBB2_2103-.Lpost_getpc29723)>>32
	s_setpc_b64 s[14:15]
.LBB2_29723:
	s_getpc_b64 s[14:15]
.Lpost_getpc18445:
	s_add_u32 s14, s14, (.LBB2_2104-.Lpost_getpc18445)&4294967295
	s_addc_u32 s15, s15, (.LBB2_2104-.Lpost_getpc18445)>>32
	s_setpc_b64 s[14:15]
.LBB2_16441:
	s_movk_i32 s4, 0x80
	v_cmp_eq_u16_sdwa s[12:13], v7, s4 src0_sel:BYTE_3 src1_sel:DWORD
	s_mov_b64 s[4:5], -1
                                        ; implicit-def: $sgpr10
	s_and_saveexec_b64 s[8:9], s[12:13]
; %bb.16442:
	s_mov_b32 s10, 0x7f800001
	s_xor_b64 s[4:5], exec, -1
; %bb.16443:
	s_or_b64 exec, exec, s[8:9]
	s_and_b64 s[4:5], s[4:5], exec
	s_or_saveexec_b64 s[6:7], s[6:7]
	v_mov_b32_e32 v2, s10
	s_xor_b64 exec, exec, s[6:7]
	s_cbranch_execnz .LBB2_16444
; %bb.52281:
	s_getpc_b64 s[14:15]
.Lpost_getpc29724:
	s_add_u32 s14, s14, (.LBB2_2106-.Lpost_getpc29724)&4294967295
	s_addc_u32 s15, s15, (.LBB2_2106-.Lpost_getpc29724)>>32
	s_setpc_b64 s[14:15]
.LBB2_16444:
	v_mov_b32_e32 v2, 0
	v_cmp_ne_u16_sdwa s[8:9], v7, v2 src0_sel:BYTE_3 src1_sel:DWORD
	s_andn2_b64 s[4:5], s[4:5], exec
	s_and_b64 s[8:9], s[8:9], exec
	s_or_b64 s[4:5], s[4:5], s[8:9]
	s_or_b64 exec, exec, s[6:7]
	s_and_saveexec_b64 s[6:7], s[4:5]
	s_cbranch_execz .LBB2_29725
; %bb.52283:
	s_getpc_b64 s[14:15]
.Lpost_getpc29725:
	s_add_u32 s14, s14, (.LBB2_2107-.Lpost_getpc29725)&4294967295
	s_addc_u32 s15, s15, (.LBB2_2107-.Lpost_getpc29725)>>32
	s_setpc_b64 s[14:15]
.LBB2_29725:
	s_getpc_b64 s[14:15]
.Lpost_getpc18446:
	s_add_u32 s14, s14, (.LBB2_2108-.Lpost_getpc18446)&4294967295
	s_addc_u32 s15, s15, (.LBB2_2108-.Lpost_getpc18446)>>32
	s_setpc_b64 s[14:15]
.LBB2_16445:
	s_movk_i32 s4, 0x80
	v_cmp_eq_u16_sdwa s[12:13], v3, s4 src0_sel:BYTE_3 src1_sel:DWORD
	s_mov_b64 s[4:5], -1
                                        ; implicit-def: $sgpr10
	s_and_saveexec_b64 s[8:9], s[12:13]
; %bb.16446:
	s_mov_b32 s10, 0x7f800001
	s_xor_b64 s[4:5], exec, -1
; %bb.16447:
	s_or_b64 exec, exec, s[8:9]
	s_and_b64 s[4:5], s[4:5], exec
	s_or_saveexec_b64 s[6:7], s[6:7]
	v_mov_b32_e32 v6, s10
	s_xor_b64 exec, exec, s[6:7]
	s_cbranch_execnz .LBB2_16448
; %bb.52285:
	s_getpc_b64 s[14:15]
.Lpost_getpc29726:
	s_add_u32 s14, s14, (.LBB2_2110-.Lpost_getpc29726)&4294967295
	s_addc_u32 s15, s15, (.LBB2_2110-.Lpost_getpc29726)>>32
	s_setpc_b64 s[14:15]
.LBB2_16448:
	v_mov_b32_e32 v6, 0
	v_cmp_ne_u16_sdwa s[8:9], v3, v6 src0_sel:BYTE_3 src1_sel:DWORD
	s_andn2_b64 s[4:5], s[4:5], exec
	s_and_b64 s[8:9], s[8:9], exec
	s_or_b64 s[4:5], s[4:5], s[8:9]
	s_or_b64 exec, exec, s[6:7]
	s_and_saveexec_b64 s[6:7], s[4:5]
	s_cbranch_execz .LBB2_29727
; %bb.52287:
	s_getpc_b64 s[14:15]
.Lpost_getpc29727:
	s_add_u32 s14, s14, (.LBB2_2111-.Lpost_getpc29727)&4294967295
	s_addc_u32 s15, s15, (.LBB2_2111-.Lpost_getpc29727)>>32
	s_setpc_b64 s[14:15]
.LBB2_29727:
	s_getpc_b64 s[14:15]
.Lpost_getpc18447:
	s_add_u32 s14, s14, (.LBB2_2112-.Lpost_getpc18447)&4294967295
	s_addc_u32 s15, s15, (.LBB2_2112-.Lpost_getpc18447)>>32
	s_setpc_b64 s[14:15]
.LBB2_16449:
	s_movk_i32 s4, 0x80
	v_cmp_eq_u16_sdwa s[12:13], v8, s4 src0_sel:BYTE_0 src1_sel:DWORD
	s_mov_b64 s[4:5], -1
                                        ; implicit-def: $sgpr10
	s_and_saveexec_b64 s[8:9], s[12:13]
; %bb.16450:
	s_mov_b32 s10, 0x7f800001
	s_xor_b64 s[4:5], exec, -1
; %bb.16451:
	s_or_b64 exec, exec, s[8:9]
	s_and_b64 s[4:5], s[4:5], exec
	s_or_saveexec_b64 s[6:7], s[6:7]
	v_mov_b32_e32 v2, s10
	s_xor_b64 exec, exec, s[6:7]
	s_cbranch_execnz .LBB2_16452
; %bb.52289:
	s_getpc_b64 s[14:15]
.Lpost_getpc29728:
	s_add_u32 s14, s14, (.LBB2_2114-.Lpost_getpc29728)&4294967295
	s_addc_u32 s15, s15, (.LBB2_2114-.Lpost_getpc29728)>>32
	s_setpc_b64 s[14:15]
.LBB2_16452:
	v_mov_b32_e32 v2, 0
	v_cmp_ne_u16_sdwa s[8:9], v8, v2 src0_sel:BYTE_0 src1_sel:DWORD
	s_andn2_b64 s[4:5], s[4:5], exec
	s_and_b64 s[8:9], s[8:9], exec
	s_or_b64 s[4:5], s[4:5], s[8:9]
	s_or_b64 exec, exec, s[6:7]
	s_and_saveexec_b64 s[6:7], s[4:5]
	s_cbranch_execz .LBB2_29729
; %bb.52291:
	s_getpc_b64 s[14:15]
.Lpost_getpc29729:
	s_add_u32 s14, s14, (.LBB2_2115-.Lpost_getpc29729)&4294967295
	s_addc_u32 s15, s15, (.LBB2_2115-.Lpost_getpc29729)>>32
	s_setpc_b64 s[14:15]
.LBB2_29729:
	s_getpc_b64 s[14:15]
.Lpost_getpc18448:
	s_add_u32 s14, s14, (.LBB2_2116-.Lpost_getpc18448)&4294967295
	s_addc_u32 s15, s15, (.LBB2_2116-.Lpost_getpc18448)>>32
	s_setpc_b64 s[14:15]
.LBB2_16453:
	s_movk_i32 s4, 0x80
	v_cmp_eq_u16_sdwa s[12:13], v4, s4 src0_sel:BYTE_0 src1_sel:DWORD
	s_mov_b64 s[4:5], -1
                                        ; implicit-def: $sgpr10
	s_and_saveexec_b64 s[8:9], s[12:13]
; %bb.16454:
	s_mov_b32 s10, 0x7f800001
	s_xor_b64 s[4:5], exec, -1
; %bb.16455:
	s_or_b64 exec, exec, s[8:9]
	s_and_b64 s[4:5], s[4:5], exec
	s_or_saveexec_b64 s[6:7], s[6:7]
	v_mov_b32_e32 v3, s10
	s_xor_b64 exec, exec, s[6:7]
	s_cbranch_execnz .LBB2_16456
; %bb.52293:
	s_getpc_b64 s[14:15]
.Lpost_getpc29730:
	s_add_u32 s14, s14, (.LBB2_2118-.Lpost_getpc29730)&4294967295
	s_addc_u32 s15, s15, (.LBB2_2118-.Lpost_getpc29730)>>32
	s_setpc_b64 s[14:15]
.LBB2_16456:
	v_mov_b32_e32 v3, 0
	v_cmp_ne_u16_sdwa s[8:9], v4, v3 src0_sel:BYTE_0 src1_sel:DWORD
	s_andn2_b64 s[4:5], s[4:5], exec
	s_and_b64 s[8:9], s[8:9], exec
	s_or_b64 s[4:5], s[4:5], s[8:9]
	s_or_b64 exec, exec, s[6:7]
	s_and_saveexec_b64 s[6:7], s[4:5]
	s_cbranch_execz .LBB2_29731
; %bb.52295:
	s_getpc_b64 s[14:15]
.Lpost_getpc29731:
	s_add_u32 s14, s14, (.LBB2_2119-.Lpost_getpc29731)&4294967295
	s_addc_u32 s15, s15, (.LBB2_2119-.Lpost_getpc29731)>>32
	s_setpc_b64 s[14:15]
.LBB2_29731:
	s_getpc_b64 s[14:15]
.Lpost_getpc18449:
	s_add_u32 s14, s14, (.LBB2_2120-.Lpost_getpc18449)&4294967295
	s_addc_u32 s15, s15, (.LBB2_2120-.Lpost_getpc18449)>>32
	s_setpc_b64 s[14:15]
.LBB2_16457:
	s_movk_i32 s4, 0x80
	v_cmp_eq_u16_sdwa s[12:13], v3, s4 src0_sel:BYTE_0 src1_sel:DWORD
	s_mov_b64 s[4:5], -1
                                        ; implicit-def: $sgpr10
	s_and_saveexec_b64 s[8:9], s[12:13]
; %bb.16458:
	s_mov_b32 s10, 0x7f800001
	s_xor_b64 s[4:5], exec, -1
; %bb.16459:
	s_or_b64 exec, exec, s[8:9]
	s_and_b64 s[4:5], s[4:5], exec
	s_or_saveexec_b64 s[6:7], s[6:7]
	v_mov_b32_e32 v2, s10
	s_xor_b64 exec, exec, s[6:7]
	s_cbranch_execnz .LBB2_16460
; %bb.52297:
	s_getpc_b64 s[14:15]
.Lpost_getpc29732:
	s_add_u32 s14, s14, (.LBB2_2122-.Lpost_getpc29732)&4294967295
	s_addc_u32 s15, s15, (.LBB2_2122-.Lpost_getpc29732)>>32
	s_setpc_b64 s[14:15]
.LBB2_16460:
	v_mov_b32_e32 v2, 0
	v_cmp_ne_u16_sdwa s[8:9], v3, v2 src0_sel:BYTE_0 src1_sel:DWORD
	s_andn2_b64 s[4:5], s[4:5], exec
	s_and_b64 s[8:9], s[8:9], exec
	s_or_b64 s[4:5], s[4:5], s[8:9]
	s_or_b64 exec, exec, s[6:7]
	s_and_saveexec_b64 s[6:7], s[4:5]
	s_cbranch_execz .LBB2_29733
; %bb.52299:
	s_getpc_b64 s[14:15]
.Lpost_getpc29733:
	s_add_u32 s14, s14, (.LBB2_2123-.Lpost_getpc29733)&4294967295
	s_addc_u32 s15, s15, (.LBB2_2123-.Lpost_getpc29733)>>32
	s_setpc_b64 s[14:15]
.LBB2_29733:
	s_getpc_b64 s[14:15]
.Lpost_getpc18450:
	s_add_u32 s14, s14, (.LBB2_2124-.Lpost_getpc18450)&4294967295
	s_addc_u32 s15, s15, (.LBB2_2124-.Lpost_getpc18450)>>32
	s_setpc_b64 s[14:15]
.LBB2_16461:
	s_movk_i32 s4, 0x80
	v_cmp_eq_u16_sdwa s[12:13], v3, s4 src0_sel:BYTE_0 src1_sel:DWORD
	s_mov_b64 s[4:5], -1
                                        ; implicit-def: $sgpr10
	s_and_saveexec_b64 s[8:9], s[12:13]
; %bb.16462:
	s_mov_b32 s10, 0x7f800001
	s_xor_b64 s[4:5], exec, -1
; %bb.16463:
	s_or_b64 exec, exec, s[8:9]
	s_and_b64 s[4:5], s[4:5], exec
	s_or_saveexec_b64 s[6:7], s[6:7]
	v_mov_b32_e32 v6, s10
	s_xor_b64 exec, exec, s[6:7]
	s_cbranch_execnz .LBB2_16464
; %bb.52301:
	s_getpc_b64 s[14:15]
.Lpost_getpc29734:
	s_add_u32 s14, s14, (.LBB2_2126-.Lpost_getpc29734)&4294967295
	s_addc_u32 s15, s15, (.LBB2_2126-.Lpost_getpc29734)>>32
	s_setpc_b64 s[14:15]
.LBB2_16464:
	v_mov_b32_e32 v6, 0
	v_cmp_ne_u16_sdwa s[8:9], v3, v6 src0_sel:BYTE_0 src1_sel:DWORD
	s_andn2_b64 s[4:5], s[4:5], exec
	s_and_b64 s[8:9], s[8:9], exec
	s_or_b64 s[4:5], s[4:5], s[8:9]
	s_or_b64 exec, exec, s[6:7]
	s_and_saveexec_b64 s[6:7], s[4:5]
	s_cbranch_execz .LBB2_29735
; %bb.52303:
	s_getpc_b64 s[14:15]
.Lpost_getpc29735:
	s_add_u32 s14, s14, (.LBB2_2127-.Lpost_getpc29735)&4294967295
	s_addc_u32 s15, s15, (.LBB2_2127-.Lpost_getpc29735)>>32
	s_setpc_b64 s[14:15]
.LBB2_29735:
	s_getpc_b64 s[14:15]
.Lpost_getpc18451:
	s_add_u32 s14, s14, (.LBB2_2128-.Lpost_getpc18451)&4294967295
	s_addc_u32 s15, s15, (.LBB2_2128-.Lpost_getpc18451)>>32
	s_setpc_b64 s[14:15]
.LBB2_16465:
	s_movk_i32 s4, 0x80
	v_cmp_eq_u16_e32 vcc, s4, v3
	s_mov_b64 s[4:5], -1
                                        ; implicit-def: $sgpr10
	s_and_saveexec_b64 s[8:9], vcc
; %bb.16466:
	s_mov_b32 s10, 0x7f800001
	s_xor_b64 s[4:5], exec, -1
; %bb.16467:
	s_or_b64 exec, exec, s[8:9]
	s_and_b64 s[4:5], s[4:5], exec
                                        ; implicit-def: $vgpr3
	s_or_saveexec_b64 s[6:7], s[6:7]
	v_mov_b32_e32 v2, s10
	s_xor_b64 exec, exec, s[6:7]
	s_cbranch_execnz .LBB2_16468
; %bb.52305:
	s_getpc_b64 s[14:15]
.Lpost_getpc29736:
	s_add_u32 s14, s14, (.LBB2_2130-.Lpost_getpc29736)&4294967295
	s_addc_u32 s15, s15, (.LBB2_2130-.Lpost_getpc29736)>>32
	s_setpc_b64 s[14:15]
.LBB2_16468:
	v_cmp_ne_u16_e32 vcc, 0, v3
	s_andn2_b64 s[4:5], s[4:5], exec
	s_and_b64 s[8:9], vcc, exec
	v_mov_b32_e32 v2, 0
	s_or_b64 s[4:5], s[4:5], s[8:9]
	s_or_b64 exec, exec, s[6:7]
	s_and_saveexec_b64 s[6:7], s[4:5]
	s_cbranch_execz .LBB2_29737
; %bb.52307:
	s_getpc_b64 s[14:15]
.Lpost_getpc29737:
	s_add_u32 s14, s14, (.LBB2_2131-.Lpost_getpc29737)&4294967295
	s_addc_u32 s15, s15, (.LBB2_2131-.Lpost_getpc29737)>>32
	s_setpc_b64 s[14:15]
.LBB2_29737:
	s_getpc_b64 s[14:15]
.Lpost_getpc18452:
	s_add_u32 s14, s14, (.LBB2_2132-.Lpost_getpc18452)&4294967295
	s_addc_u32 s15, s15, (.LBB2_2132-.Lpost_getpc18452)>>32
	s_setpc_b64 s[14:15]
.LBB2_16469:
	s_movk_i32 s4, 0x80
	v_cmp_eq_u16_e32 vcc, s4, v3
	s_mov_b64 s[4:5], -1
                                        ; implicit-def: $sgpr10
	s_and_saveexec_b64 s[8:9], vcc
; %bb.16470:
	s_mov_b32 s10, 0x7f800001
	s_xor_b64 s[4:5], exec, -1
; %bb.16471:
	s_or_b64 exec, exec, s[8:9]
	s_and_b64 s[4:5], s[4:5], exec
                                        ; implicit-def: $vgpr3
	s_or_saveexec_b64 s[6:7], s[6:7]
	v_mov_b32_e32 v6, s10
	s_xor_b64 exec, exec, s[6:7]
	s_cbranch_execnz .LBB2_16472
; %bb.52309:
	s_getpc_b64 s[14:15]
.Lpost_getpc29738:
	s_add_u32 s14, s14, (.LBB2_2134-.Lpost_getpc29738)&4294967295
	s_addc_u32 s15, s15, (.LBB2_2134-.Lpost_getpc29738)>>32
	s_setpc_b64 s[14:15]
.LBB2_16472:
	v_cmp_ne_u16_e32 vcc, 0, v3
	s_andn2_b64 s[4:5], s[4:5], exec
	s_and_b64 s[8:9], vcc, exec
	v_mov_b32_e32 v6, 0
	s_or_b64 s[4:5], s[4:5], s[8:9]
	s_or_b64 exec, exec, s[6:7]
	s_and_saveexec_b64 s[6:7], s[4:5]
	s_cbranch_execz .LBB2_29739
; %bb.52311:
	s_getpc_b64 s[14:15]
.Lpost_getpc29739:
	s_add_u32 s14, s14, (.LBB2_2135-.Lpost_getpc29739)&4294967295
	s_addc_u32 s15, s15, (.LBB2_2135-.Lpost_getpc29739)>>32
	s_setpc_b64 s[14:15]
.LBB2_29739:
	s_getpc_b64 s[14:15]
.Lpost_getpc18453:
	s_add_u32 s14, s14, (.LBB2_2136-.Lpost_getpc18453)&4294967295
	s_addc_u32 s15, s15, (.LBB2_2136-.Lpost_getpc18453)>>32
	s_setpc_b64 s[14:15]
.LBB2_16473:
	s_movk_i32 s4, 0x80
	v_cmp_eq_u16_sdwa s[12:13], v8, s4 src0_sel:BYTE_3 src1_sel:DWORD
	s_mov_b64 s[4:5], -1
                                        ; implicit-def: $sgpr10
	s_and_saveexec_b64 s[8:9], s[12:13]
; %bb.16474:
	s_mov_b32 s10, 0x7f800001
	s_xor_b64 s[4:5], exec, -1
; %bb.16475:
	s_or_b64 exec, exec, s[8:9]
	s_and_b64 s[4:5], s[4:5], exec
	s_or_saveexec_b64 s[6:7], s[6:7]
	v_mov_b32_e32 v2, s10
	s_xor_b64 exec, exec, s[6:7]
	s_cbranch_execnz .LBB2_16476
; %bb.52313:
	s_getpc_b64 s[14:15]
.Lpost_getpc29740:
	s_add_u32 s14, s14, (.LBB2_2138-.Lpost_getpc29740)&4294967295
	s_addc_u32 s15, s15, (.LBB2_2138-.Lpost_getpc29740)>>32
	s_setpc_b64 s[14:15]
.LBB2_16476:
	v_mov_b32_e32 v2, 0
	v_cmp_ne_u16_sdwa s[8:9], v8, v2 src0_sel:BYTE_3 src1_sel:DWORD
	s_andn2_b64 s[4:5], s[4:5], exec
	s_and_b64 s[8:9], s[8:9], exec
	s_or_b64 s[4:5], s[4:5], s[8:9]
	s_or_b64 exec, exec, s[6:7]
	s_and_saveexec_b64 s[6:7], s[4:5]
	s_cbranch_execz .LBB2_29741
; %bb.52315:
	s_getpc_b64 s[14:15]
.Lpost_getpc29741:
	s_add_u32 s14, s14, (.LBB2_2139-.Lpost_getpc29741)&4294967295
	s_addc_u32 s15, s15, (.LBB2_2139-.Lpost_getpc29741)>>32
	s_setpc_b64 s[14:15]
.LBB2_29741:
	s_getpc_b64 s[14:15]
.Lpost_getpc18454:
	s_add_u32 s14, s14, (.LBB2_2140-.Lpost_getpc18454)&4294967295
	s_addc_u32 s15, s15, (.LBB2_2140-.Lpost_getpc18454)>>32
	s_setpc_b64 s[14:15]
.LBB2_16477:
	s_movk_i32 s4, 0x80
	v_cmp_eq_u16_sdwa s[12:13], v4, s4 src0_sel:BYTE_3 src1_sel:DWORD
	s_mov_b64 s[4:5], -1
                                        ; implicit-def: $sgpr10
	s_and_saveexec_b64 s[8:9], s[12:13]
; %bb.16478:
	s_mov_b32 s10, 0x7f800001
	s_xor_b64 s[4:5], exec, -1
; %bb.16479:
	s_or_b64 exec, exec, s[8:9]
	s_and_b64 s[4:5], s[4:5], exec
	s_or_saveexec_b64 s[6:7], s[6:7]
	v_mov_b32_e32 v3, s10
	s_xor_b64 exec, exec, s[6:7]
	s_cbranch_execnz .LBB2_16480
; %bb.52317:
	s_getpc_b64 s[14:15]
.Lpost_getpc29742:
	s_add_u32 s14, s14, (.LBB2_2142-.Lpost_getpc29742)&4294967295
	s_addc_u32 s15, s15, (.LBB2_2142-.Lpost_getpc29742)>>32
	s_setpc_b64 s[14:15]
.LBB2_16480:
	v_mov_b32_e32 v3, 0
	v_cmp_ne_u16_sdwa s[8:9], v4, v3 src0_sel:BYTE_3 src1_sel:DWORD
	s_andn2_b64 s[4:5], s[4:5], exec
	s_and_b64 s[8:9], s[8:9], exec
	s_or_b64 s[4:5], s[4:5], s[8:9]
	s_or_b64 exec, exec, s[6:7]
	s_and_saveexec_b64 s[6:7], s[4:5]
	s_cbranch_execz .LBB2_29743
; %bb.52319:
	s_getpc_b64 s[14:15]
.Lpost_getpc29743:
	s_add_u32 s14, s14, (.LBB2_2143-.Lpost_getpc29743)&4294967295
	s_addc_u32 s15, s15, (.LBB2_2143-.Lpost_getpc29743)>>32
	s_setpc_b64 s[14:15]
.LBB2_29743:
	s_getpc_b64 s[14:15]
.Lpost_getpc18455:
	s_add_u32 s14, s14, (.LBB2_2144-.Lpost_getpc18455)&4294967295
	s_addc_u32 s15, s15, (.LBB2_2144-.Lpost_getpc18455)>>32
	s_setpc_b64 s[14:15]
.LBB2_16481:
	s_movk_i32 s4, 0x80
	v_cmp_eq_u16_sdwa s[12:13], v9, s4 src0_sel:BYTE_0 src1_sel:DWORD
	s_mov_b64 s[4:5], -1
                                        ; implicit-def: $sgpr10
	s_and_saveexec_b64 s[8:9], s[12:13]
; %bb.16482:
	s_mov_b32 s10, 0x7f800001
	s_xor_b64 s[4:5], exec, -1
; %bb.16483:
	s_or_b64 exec, exec, s[8:9]
	s_and_b64 s[4:5], s[4:5], exec
	s_or_saveexec_b64 s[6:7], s[6:7]
	v_mov_b32_e32 v2, s10
	s_xor_b64 exec, exec, s[6:7]
	s_cbranch_execnz .LBB2_16484
; %bb.52321:
	s_getpc_b64 s[14:15]
.Lpost_getpc29744:
	s_add_u32 s14, s14, (.LBB2_2146-.Lpost_getpc29744)&4294967295
	s_addc_u32 s15, s15, (.LBB2_2146-.Lpost_getpc29744)>>32
	s_setpc_b64 s[14:15]
.LBB2_16484:
	v_mov_b32_e32 v2, 0
	v_cmp_ne_u16_sdwa s[8:9], v9, v2 src0_sel:BYTE_0 src1_sel:DWORD
	s_andn2_b64 s[4:5], s[4:5], exec
	s_and_b64 s[8:9], s[8:9], exec
	s_or_b64 s[4:5], s[4:5], s[8:9]
	s_or_b64 exec, exec, s[6:7]
	s_and_saveexec_b64 s[6:7], s[4:5]
	s_cbranch_execz .LBB2_29745
; %bb.52323:
	s_getpc_b64 s[14:15]
.Lpost_getpc29745:
	s_add_u32 s14, s14, (.LBB2_2147-.Lpost_getpc29745)&4294967295
	s_addc_u32 s15, s15, (.LBB2_2147-.Lpost_getpc29745)>>32
	s_setpc_b64 s[14:15]
.LBB2_29745:
	s_getpc_b64 s[14:15]
.Lpost_getpc18456:
	s_add_u32 s14, s14, (.LBB2_2148-.Lpost_getpc18456)&4294967295
	s_addc_u32 s15, s15, (.LBB2_2148-.Lpost_getpc18456)>>32
	s_setpc_b64 s[14:15]
.LBB2_16485:
	s_movk_i32 s4, 0x80
	v_cmp_eq_u16_sdwa s[12:13], v5, s4 src0_sel:BYTE_0 src1_sel:DWORD
	s_mov_b64 s[4:5], -1
                                        ; implicit-def: $sgpr10
	s_and_saveexec_b64 s[8:9], s[12:13]
; %bb.16486:
	s_mov_b32 s10, 0x7f800001
	s_xor_b64 s[4:5], exec, -1
; %bb.16487:
	s_or_b64 exec, exec, s[8:9]
	s_and_b64 s[4:5], s[4:5], exec
	s_or_saveexec_b64 s[6:7], s[6:7]
	v_mov_b32_e32 v3, s10
	s_xor_b64 exec, exec, s[6:7]
	s_cbranch_execnz .LBB2_16488
; %bb.52325:
	s_getpc_b64 s[14:15]
.Lpost_getpc29746:
	s_add_u32 s14, s14, (.LBB2_2150-.Lpost_getpc29746)&4294967295
	s_addc_u32 s15, s15, (.LBB2_2150-.Lpost_getpc29746)>>32
	s_setpc_b64 s[14:15]
.LBB2_16488:
	v_mov_b32_e32 v3, 0
	v_cmp_ne_u16_sdwa s[8:9], v5, v3 src0_sel:BYTE_0 src1_sel:DWORD
	s_andn2_b64 s[4:5], s[4:5], exec
	s_and_b64 s[8:9], s[8:9], exec
	s_or_b64 s[4:5], s[4:5], s[8:9]
	s_or_b64 exec, exec, s[6:7]
	s_and_saveexec_b64 s[6:7], s[4:5]
	s_cbranch_execz .LBB2_29747
; %bb.52327:
	s_getpc_b64 s[14:15]
.Lpost_getpc29747:
	s_add_u32 s14, s14, (.LBB2_2151-.Lpost_getpc29747)&4294967295
	s_addc_u32 s15, s15, (.LBB2_2151-.Lpost_getpc29747)>>32
	s_setpc_b64 s[14:15]
.LBB2_29747:
	s_getpc_b64 s[14:15]
.Lpost_getpc18457:
	s_add_u32 s14, s14, (.LBB2_2152-.Lpost_getpc18457)&4294967295
	s_addc_u32 s15, s15, (.LBB2_2152-.Lpost_getpc18457)>>32
	s_setpc_b64 s[14:15]
.LBB2_16489:
	s_movk_i32 s4, 0x80
	v_cmp_eq_u16_sdwa s[12:13], v3, s4 src0_sel:BYTE_0 src1_sel:DWORD
	s_mov_b64 s[4:5], -1
                                        ; implicit-def: $sgpr10
	s_and_saveexec_b64 s[8:9], s[12:13]
; %bb.16490:
	s_mov_b32 s10, 0x7f800001
	s_xor_b64 s[4:5], exec, -1
; %bb.16491:
	s_or_b64 exec, exec, s[8:9]
	s_and_b64 s[4:5], s[4:5], exec
	s_or_saveexec_b64 s[6:7], s[6:7]
	v_mov_b32_e32 v2, s10
	s_xor_b64 exec, exec, s[6:7]
	s_cbranch_execnz .LBB2_16492
; %bb.52329:
	s_getpc_b64 s[14:15]
.Lpost_getpc29748:
	s_add_u32 s14, s14, (.LBB2_2154-.Lpost_getpc29748)&4294967295
	s_addc_u32 s15, s15, (.LBB2_2154-.Lpost_getpc29748)>>32
	s_setpc_b64 s[14:15]
.LBB2_16492:
	v_mov_b32_e32 v2, 0
	v_cmp_ne_u16_sdwa s[8:9], v3, v2 src0_sel:BYTE_0 src1_sel:DWORD
	s_andn2_b64 s[4:5], s[4:5], exec
	s_and_b64 s[8:9], s[8:9], exec
	s_or_b64 s[4:5], s[4:5], s[8:9]
	s_or_b64 exec, exec, s[6:7]
	s_and_saveexec_b64 s[6:7], s[4:5]
	s_cbranch_execz .LBB2_29749
; %bb.52331:
	s_getpc_b64 s[14:15]
.Lpost_getpc29749:
	s_add_u32 s14, s14, (.LBB2_2155-.Lpost_getpc29749)&4294967295
	s_addc_u32 s15, s15, (.LBB2_2155-.Lpost_getpc29749)>>32
	s_setpc_b64 s[14:15]
.LBB2_29749:
	s_getpc_b64 s[14:15]
.Lpost_getpc18458:
	s_add_u32 s14, s14, (.LBB2_2156-.Lpost_getpc18458)&4294967295
	s_addc_u32 s15, s15, (.LBB2_2156-.Lpost_getpc18458)>>32
	s_setpc_b64 s[14:15]
.LBB2_16493:
	s_movk_i32 s4, 0x80
	v_cmp_eq_u16_sdwa s[12:13], v3, s4 src0_sel:BYTE_0 src1_sel:DWORD
	s_mov_b64 s[4:5], -1
                                        ; implicit-def: $sgpr10
	s_and_saveexec_b64 s[8:9], s[12:13]
; %bb.16494:
	s_mov_b32 s10, 0x7f800001
	s_xor_b64 s[4:5], exec, -1
; %bb.16495:
	s_or_b64 exec, exec, s[8:9]
	s_and_b64 s[4:5], s[4:5], exec
	s_or_saveexec_b64 s[6:7], s[6:7]
	v_mov_b32_e32 v4, s10
	s_xor_b64 exec, exec, s[6:7]
	s_cbranch_execnz .LBB2_16496
; %bb.52333:
	s_getpc_b64 s[14:15]
.Lpost_getpc29750:
	s_add_u32 s14, s14, (.LBB2_2158-.Lpost_getpc29750)&4294967295
	s_addc_u32 s15, s15, (.LBB2_2158-.Lpost_getpc29750)>>32
	s_setpc_b64 s[14:15]
.LBB2_16496:
	v_mov_b32_e32 v4, 0
	v_cmp_ne_u16_sdwa s[8:9], v3, v4 src0_sel:BYTE_0 src1_sel:DWORD
	s_andn2_b64 s[4:5], s[4:5], exec
	s_and_b64 s[8:9], s[8:9], exec
	s_or_b64 s[4:5], s[4:5], s[8:9]
	s_or_b64 exec, exec, s[6:7]
	s_and_saveexec_b64 s[6:7], s[4:5]
	s_cbranch_execz .LBB2_29751
; %bb.52335:
	s_getpc_b64 s[14:15]
.Lpost_getpc29751:
	s_add_u32 s14, s14, (.LBB2_2159-.Lpost_getpc29751)&4294967295
	s_addc_u32 s15, s15, (.LBB2_2159-.Lpost_getpc29751)>>32
	s_setpc_b64 s[14:15]
.LBB2_29751:
	s_getpc_b64 s[14:15]
.Lpost_getpc18459:
	s_add_u32 s14, s14, (.LBB2_2160-.Lpost_getpc18459)&4294967295
	s_addc_u32 s15, s15, (.LBB2_2160-.Lpost_getpc18459)>>32
	s_setpc_b64 s[14:15]
.LBB2_16497:
	s_movk_i32 s4, 0x80
	v_cmp_eq_u16_e32 vcc, s4, v3
	s_mov_b64 s[4:5], -1
                                        ; implicit-def: $sgpr10
	s_and_saveexec_b64 s[8:9], vcc
; %bb.16498:
	s_mov_b32 s10, 0x7f800001
	s_xor_b64 s[4:5], exec, -1
; %bb.16499:
	s_or_b64 exec, exec, s[8:9]
	s_and_b64 s[4:5], s[4:5], exec
                                        ; implicit-def: $vgpr3
	s_or_saveexec_b64 s[6:7], s[6:7]
	v_mov_b32_e32 v2, s10
	s_xor_b64 exec, exec, s[6:7]
	s_cbranch_execnz .LBB2_16500
; %bb.52337:
	s_getpc_b64 s[14:15]
.Lpost_getpc29752:
	s_add_u32 s14, s14, (.LBB2_2162-.Lpost_getpc29752)&4294967295
	s_addc_u32 s15, s15, (.LBB2_2162-.Lpost_getpc29752)>>32
	s_setpc_b64 s[14:15]
.LBB2_16500:
	v_cmp_ne_u16_e32 vcc, 0, v3
	s_andn2_b64 s[4:5], s[4:5], exec
	s_and_b64 s[8:9], vcc, exec
	v_mov_b32_e32 v2, 0
	s_or_b64 s[4:5], s[4:5], s[8:9]
	s_or_b64 exec, exec, s[6:7]
	s_and_saveexec_b64 s[6:7], s[4:5]
	s_cbranch_execz .LBB2_29753
; %bb.52339:
	s_getpc_b64 s[14:15]
.Lpost_getpc29753:
	s_add_u32 s14, s14, (.LBB2_2163-.Lpost_getpc29753)&4294967295
	s_addc_u32 s15, s15, (.LBB2_2163-.Lpost_getpc29753)>>32
	s_setpc_b64 s[14:15]
.LBB2_29753:
	s_getpc_b64 s[14:15]
.Lpost_getpc18460:
	s_add_u32 s14, s14, (.LBB2_2164-.Lpost_getpc18460)&4294967295
	s_addc_u32 s15, s15, (.LBB2_2164-.Lpost_getpc18460)>>32
	s_setpc_b64 s[14:15]
.LBB2_16501:
	s_movk_i32 s4, 0x80
	v_cmp_eq_u16_e32 vcc, s4, v3
	s_mov_b64 s[4:5], -1
                                        ; implicit-def: $sgpr10
	s_and_saveexec_b64 s[8:9], vcc
; %bb.16502:
	s_mov_b32 s10, 0x7f800001
	s_xor_b64 s[4:5], exec, -1
; %bb.16503:
	s_or_b64 exec, exec, s[8:9]
	s_and_b64 s[4:5], s[4:5], exec
                                        ; implicit-def: $vgpr3
	s_or_saveexec_b64 s[6:7], s[6:7]
	v_mov_b32_e32 v4, s10
	s_xor_b64 exec, exec, s[6:7]
	s_cbranch_execnz .LBB2_16504
; %bb.52341:
	s_getpc_b64 s[14:15]
.Lpost_getpc29754:
	s_add_u32 s14, s14, (.LBB2_2166-.Lpost_getpc29754)&4294967295
	s_addc_u32 s15, s15, (.LBB2_2166-.Lpost_getpc29754)>>32
	s_setpc_b64 s[14:15]
.LBB2_16504:
	v_cmp_ne_u16_e32 vcc, 0, v3
	s_andn2_b64 s[4:5], s[4:5], exec
	s_and_b64 s[8:9], vcc, exec
	v_mov_b32_e32 v4, 0
	s_or_b64 s[4:5], s[4:5], s[8:9]
	s_or_b64 exec, exec, s[6:7]
	s_and_saveexec_b64 s[6:7], s[4:5]
	s_cbranch_execz .LBB2_29755
; %bb.52343:
	s_getpc_b64 s[14:15]
.Lpost_getpc29755:
	s_add_u32 s14, s14, (.LBB2_2167-.Lpost_getpc29755)&4294967295
	s_addc_u32 s15, s15, (.LBB2_2167-.Lpost_getpc29755)>>32
	s_setpc_b64 s[14:15]
.LBB2_29755:
	s_getpc_b64 s[14:15]
.Lpost_getpc18461:
	s_add_u32 s14, s14, (.LBB2_2168-.Lpost_getpc18461)&4294967295
	s_addc_u32 s15, s15, (.LBB2_2168-.Lpost_getpc18461)>>32
	s_setpc_b64 s[14:15]
.LBB2_16505:
	s_movk_i32 s4, 0x80
	v_cmp_eq_u16_sdwa s[12:13], v9, s4 src0_sel:BYTE_3 src1_sel:DWORD
	s_mov_b64 s[4:5], -1
                                        ; implicit-def: $sgpr10
	s_and_saveexec_b64 s[8:9], s[12:13]
; %bb.16506:
	s_mov_b32 s10, 0x7f800001
	s_xor_b64 s[4:5], exec, -1
; %bb.16507:
	s_or_b64 exec, exec, s[8:9]
	s_and_b64 s[4:5], s[4:5], exec
	s_or_saveexec_b64 s[6:7], s[6:7]
	v_mov_b32_e32 v2, s10
	s_xor_b64 exec, exec, s[6:7]
	s_cbranch_execnz .LBB2_16508
; %bb.52345:
	s_getpc_b64 s[14:15]
.Lpost_getpc29756:
	s_add_u32 s14, s14, (.LBB2_2170-.Lpost_getpc29756)&4294967295
	s_addc_u32 s15, s15, (.LBB2_2170-.Lpost_getpc29756)>>32
	s_setpc_b64 s[14:15]
.LBB2_16508:
	v_mov_b32_e32 v2, 0
	v_cmp_ne_u16_sdwa s[8:9], v9, v2 src0_sel:BYTE_3 src1_sel:DWORD
	s_andn2_b64 s[4:5], s[4:5], exec
	s_and_b64 s[8:9], s[8:9], exec
	s_or_b64 s[4:5], s[4:5], s[8:9]
	s_or_b64 exec, exec, s[6:7]
	s_and_saveexec_b64 s[6:7], s[4:5]
	s_cbranch_execz .LBB2_29757
; %bb.52347:
	s_getpc_b64 s[14:15]
.Lpost_getpc29757:
	s_add_u32 s14, s14, (.LBB2_2171-.Lpost_getpc29757)&4294967295
	s_addc_u32 s15, s15, (.LBB2_2171-.Lpost_getpc29757)>>32
	s_setpc_b64 s[14:15]
.LBB2_29757:
	s_getpc_b64 s[14:15]
.Lpost_getpc18462:
	s_add_u32 s14, s14, (.LBB2_2172-.Lpost_getpc18462)&4294967295
	s_addc_u32 s15, s15, (.LBB2_2172-.Lpost_getpc18462)>>32
	s_setpc_b64 s[14:15]
.LBB2_16509:
	s_movk_i32 s4, 0x80
	v_cmp_eq_u16_sdwa s[12:13], v5, s4 src0_sel:BYTE_3 src1_sel:DWORD
	s_mov_b64 s[4:5], -1
                                        ; implicit-def: $sgpr10
	s_and_saveexec_b64 s[8:9], s[12:13]
; %bb.16510:
	s_mov_b32 s10, 0x7f800001
	s_xor_b64 s[4:5], exec, -1
; %bb.16511:
	s_or_b64 exec, exec, s[8:9]
	s_and_b64 s[4:5], s[4:5], exec
	s_or_saveexec_b64 s[6:7], s[6:7]
	v_mov_b32_e32 v3, s10
	s_xor_b64 exec, exec, s[6:7]
	s_cbranch_execnz .LBB2_16512
; %bb.52349:
	s_getpc_b64 s[14:15]
.Lpost_getpc29758:
	s_add_u32 s14, s14, (.LBB2_2174-.Lpost_getpc29758)&4294967295
	s_addc_u32 s15, s15, (.LBB2_2174-.Lpost_getpc29758)>>32
	s_setpc_b64 s[14:15]
.LBB2_16512:
	v_mov_b32_e32 v3, 0
	v_cmp_ne_u16_sdwa s[8:9], v5, v3 src0_sel:BYTE_3 src1_sel:DWORD
	s_andn2_b64 s[4:5], s[4:5], exec
	s_and_b64 s[8:9], s[8:9], exec
	s_or_b64 s[4:5], s[4:5], s[8:9]
	s_or_b64 exec, exec, s[6:7]
	s_and_saveexec_b64 s[6:7], s[4:5]
	s_cbranch_execz .LBB2_29759
; %bb.52351:
	s_getpc_b64 s[14:15]
.Lpost_getpc29759:
	s_add_u32 s14, s14, (.LBB2_2175-.Lpost_getpc29759)&4294967295
	s_addc_u32 s15, s15, (.LBB2_2175-.Lpost_getpc29759)>>32
	s_setpc_b64 s[14:15]
.LBB2_29759:
	s_getpc_b64 s[14:15]
.Lpost_getpc18463:
	s_add_u32 s14, s14, (.LBB2_2176-.Lpost_getpc18463)&4294967295
	s_addc_u32 s15, s15, (.LBB2_2176-.Lpost_getpc18463)>>32
	s_setpc_b64 s[14:15]
.LBB2_16513:
	s_movk_i32 s4, 0x80
	v_cmp_eq_u16_sdwa s[12:13], v6, s4 src0_sel:BYTE_0 src1_sel:DWORD
	s_mov_b64 s[4:5], -1
                                        ; implicit-def: $sgpr10
	s_and_saveexec_b64 s[8:9], s[12:13]
; %bb.16514:
	s_mov_b32 s10, 0x7f800001
	s_xor_b64 s[4:5], exec, -1
; %bb.16515:
	s_or_b64 exec, exec, s[8:9]
	s_and_b64 s[4:5], s[4:5], exec
	s_or_saveexec_b64 s[6:7], s[6:7]
	v_mov_b32_e32 v12, s10
	s_xor_b64 exec, exec, s[6:7]
	s_cbranch_execnz .LBB2_16516
; %bb.52353:
	s_getpc_b64 s[14:15]
.Lpost_getpc29760:
	s_add_u32 s14, s14, (.LBB2_2178-.Lpost_getpc29760)&4294967295
	s_addc_u32 s15, s15, (.LBB2_2178-.Lpost_getpc29760)>>32
	s_setpc_b64 s[14:15]
.LBB2_16516:
	v_mov_b32_e32 v12, 0
	v_cmp_ne_u16_sdwa s[8:9], v6, v12 src0_sel:BYTE_0 src1_sel:DWORD
	s_andn2_b64 s[4:5], s[4:5], exec
	s_and_b64 s[8:9], s[8:9], exec
	s_or_b64 s[4:5], s[4:5], s[8:9]
	s_or_b64 exec, exec, s[6:7]
	s_and_saveexec_b64 s[6:7], s[4:5]
	s_cbranch_execz .LBB2_29761
; %bb.52355:
	s_getpc_b64 s[14:15]
.Lpost_getpc29761:
	s_add_u32 s14, s14, (.LBB2_2179-.Lpost_getpc29761)&4294967295
	s_addc_u32 s15, s15, (.LBB2_2179-.Lpost_getpc29761)>>32
	s_setpc_b64 s[14:15]
.LBB2_29761:
	s_getpc_b64 s[14:15]
.Lpost_getpc18464:
	s_add_u32 s14, s14, (.LBB2_2180-.Lpost_getpc18464)&4294967295
	s_addc_u32 s15, s15, (.LBB2_2180-.Lpost_getpc18464)>>32
	s_setpc_b64 s[14:15]
.LBB2_16517:
	s_movk_i32 s4, 0x80
	v_cmp_eq_u16_sdwa s[12:13], v2, s4 src0_sel:BYTE_0 src1_sel:DWORD
	s_mov_b64 s[4:5], -1
                                        ; implicit-def: $sgpr10
	s_and_saveexec_b64 s[8:9], s[12:13]
; %bb.16518:
	s_mov_b32 s10, 0x7f800001
	s_xor_b64 s[4:5], exec, -1
; %bb.16519:
	s_or_b64 exec, exec, s[8:9]
	s_and_b64 s[4:5], s[4:5], exec
	s_or_saveexec_b64 s[6:7], s[6:7]
	v_mov_b32_e32 v13, s10
	s_xor_b64 exec, exec, s[6:7]
	s_cbranch_execnz .LBB2_16520
; %bb.52357:
	s_getpc_b64 s[14:15]
.Lpost_getpc29762:
	s_add_u32 s14, s14, (.LBB2_2182-.Lpost_getpc29762)&4294967295
	s_addc_u32 s15, s15, (.LBB2_2182-.Lpost_getpc29762)>>32
	s_setpc_b64 s[14:15]
.LBB2_16520:
	v_mov_b32_e32 v13, 0
	v_cmp_ne_u16_sdwa s[8:9], v2, v13 src0_sel:BYTE_0 src1_sel:DWORD
	s_andn2_b64 s[4:5], s[4:5], exec
	s_and_b64 s[8:9], s[8:9], exec
	s_or_b64 s[4:5], s[4:5], s[8:9]
	s_or_b64 exec, exec, s[6:7]
	s_and_saveexec_b64 s[6:7], s[4:5]
	s_cbranch_execz .LBB2_29763
; %bb.52359:
	s_getpc_b64 s[14:15]
.Lpost_getpc29763:
	s_add_u32 s14, s14, (.LBB2_2183-.Lpost_getpc29763)&4294967295
	s_addc_u32 s15, s15, (.LBB2_2183-.Lpost_getpc29763)>>32
	s_setpc_b64 s[14:15]
.LBB2_29763:
	s_getpc_b64 s[14:15]
.Lpost_getpc18465:
	s_add_u32 s14, s14, (.LBB2_2184-.Lpost_getpc18465)&4294967295
	s_addc_u32 s15, s15, (.LBB2_2184-.Lpost_getpc18465)>>32
	s_setpc_b64 s[14:15]
.LBB2_16521:
	s_movk_i32 s4, 0x80
	v_cmp_eq_u16_sdwa s[12:13], v13, s4 src0_sel:BYTE_0 src1_sel:DWORD
	s_mov_b64 s[4:5], -1
                                        ; implicit-def: $sgpr10
	s_and_saveexec_b64 s[8:9], s[12:13]
; %bb.16522:
	s_mov_b32 s10, 0x7f800001
	s_xor_b64 s[4:5], exec, -1
; %bb.16523:
	s_or_b64 exec, exec, s[8:9]
	s_and_b64 s[4:5], s[4:5], exec
	s_or_saveexec_b64 s[6:7], s[6:7]
	v_mov_b32_e32 v12, s10
	s_xor_b64 exec, exec, s[6:7]
	s_cbranch_execnz .LBB2_16524
; %bb.52361:
	s_getpc_b64 s[14:15]
.Lpost_getpc29764:
	s_add_u32 s14, s14, (.LBB2_2186-.Lpost_getpc29764)&4294967295
	s_addc_u32 s15, s15, (.LBB2_2186-.Lpost_getpc29764)>>32
	s_setpc_b64 s[14:15]
.LBB2_16524:
	v_mov_b32_e32 v12, 0
	v_cmp_ne_u16_sdwa s[8:9], v13, v12 src0_sel:BYTE_0 src1_sel:DWORD
	s_andn2_b64 s[4:5], s[4:5], exec
	s_and_b64 s[8:9], s[8:9], exec
	s_or_b64 s[4:5], s[4:5], s[8:9]
	s_or_b64 exec, exec, s[6:7]
	s_and_saveexec_b64 s[6:7], s[4:5]
	s_cbranch_execz .LBB2_29765
; %bb.52363:
	s_getpc_b64 s[14:15]
.Lpost_getpc29765:
	s_add_u32 s14, s14, (.LBB2_2187-.Lpost_getpc29765)&4294967295
	s_addc_u32 s15, s15, (.LBB2_2187-.Lpost_getpc29765)>>32
	s_setpc_b64 s[14:15]
.LBB2_29765:
	s_getpc_b64 s[14:15]
.Lpost_getpc18466:
	s_add_u32 s14, s14, (.LBB2_2188-.Lpost_getpc18466)&4294967295
	s_addc_u32 s15, s15, (.LBB2_2188-.Lpost_getpc18466)>>32
	s_setpc_b64 s[14:15]
.LBB2_16525:
	s_movk_i32 s4, 0x80
	v_cmp_eq_u16_sdwa s[12:13], v13, s4 src0_sel:BYTE_0 src1_sel:DWORD
	s_mov_b64 s[4:5], -1
                                        ; implicit-def: $sgpr10
	s_and_saveexec_b64 s[8:9], s[12:13]
; %bb.16526:
	s_mov_b32 s10, 0x7f800001
	s_xor_b64 s[4:5], exec, -1
; %bb.16527:
	s_or_b64 exec, exec, s[8:9]
	s_and_b64 s[4:5], s[4:5], exec
	s_or_saveexec_b64 s[6:7], s[6:7]
	v_mov_b32_e32 v14, s10
	s_xor_b64 exec, exec, s[6:7]
	s_cbranch_execnz .LBB2_16528
; %bb.52365:
	s_getpc_b64 s[14:15]
.Lpost_getpc29766:
	s_add_u32 s14, s14, (.LBB2_2190-.Lpost_getpc29766)&4294967295
	s_addc_u32 s15, s15, (.LBB2_2190-.Lpost_getpc29766)>>32
	s_setpc_b64 s[14:15]
.LBB2_16528:
	v_mov_b32_e32 v14, 0
	v_cmp_ne_u16_sdwa s[8:9], v13, v14 src0_sel:BYTE_0 src1_sel:DWORD
	s_andn2_b64 s[4:5], s[4:5], exec
	s_and_b64 s[8:9], s[8:9], exec
	s_or_b64 s[4:5], s[4:5], s[8:9]
	s_or_b64 exec, exec, s[6:7]
	s_and_saveexec_b64 s[6:7], s[4:5]
	s_cbranch_execz .LBB2_29767
; %bb.52367:
	s_getpc_b64 s[14:15]
.Lpost_getpc29767:
	s_add_u32 s14, s14, (.LBB2_2191-.Lpost_getpc29767)&4294967295
	s_addc_u32 s15, s15, (.LBB2_2191-.Lpost_getpc29767)>>32
	s_setpc_b64 s[14:15]
.LBB2_29767:
	s_getpc_b64 s[14:15]
.Lpost_getpc18467:
	s_add_u32 s14, s14, (.LBB2_2192-.Lpost_getpc18467)&4294967295
	s_addc_u32 s15, s15, (.LBB2_2192-.Lpost_getpc18467)>>32
	s_setpc_b64 s[14:15]
.LBB2_16529:
	s_movk_i32 s4, 0x80
	v_cmp_eq_u16_e32 vcc, s4, v13
	s_mov_b64 s[4:5], -1
                                        ; implicit-def: $sgpr10
	s_and_saveexec_b64 s[8:9], vcc
; %bb.16530:
	s_mov_b32 s10, 0x7f800001
	s_xor_b64 s[4:5], exec, -1
; %bb.16531:
	s_or_b64 exec, exec, s[8:9]
	s_and_b64 s[4:5], s[4:5], exec
                                        ; implicit-def: $vgpr13
	s_or_saveexec_b64 s[6:7], s[6:7]
	v_mov_b32_e32 v12, s10
	s_xor_b64 exec, exec, s[6:7]
	s_cbranch_execnz .LBB2_16532
; %bb.52369:
	s_getpc_b64 s[14:15]
.Lpost_getpc29768:
	s_add_u32 s14, s14, (.LBB2_2194-.Lpost_getpc29768)&4294967295
	s_addc_u32 s15, s15, (.LBB2_2194-.Lpost_getpc29768)>>32
	s_setpc_b64 s[14:15]
.LBB2_16532:
	v_cmp_ne_u16_e32 vcc, 0, v13
	s_andn2_b64 s[4:5], s[4:5], exec
	s_and_b64 s[8:9], vcc, exec
	v_mov_b32_e32 v12, 0
	s_or_b64 s[4:5], s[4:5], s[8:9]
	s_or_b64 exec, exec, s[6:7]
	s_and_saveexec_b64 s[6:7], s[4:5]
	s_cbranch_execz .LBB2_29769
; %bb.52371:
	s_getpc_b64 s[14:15]
.Lpost_getpc29769:
	s_add_u32 s14, s14, (.LBB2_2195-.Lpost_getpc29769)&4294967295
	s_addc_u32 s15, s15, (.LBB2_2195-.Lpost_getpc29769)>>32
	s_setpc_b64 s[14:15]
.LBB2_29769:
	s_getpc_b64 s[14:15]
.Lpost_getpc18468:
	s_add_u32 s14, s14, (.LBB2_2196-.Lpost_getpc18468)&4294967295
	s_addc_u32 s15, s15, (.LBB2_2196-.Lpost_getpc18468)>>32
	s_setpc_b64 s[14:15]
.LBB2_16533:
	s_movk_i32 s4, 0x80
	v_cmp_eq_u16_e32 vcc, s4, v13
	s_mov_b64 s[4:5], -1
                                        ; implicit-def: $sgpr10
	s_and_saveexec_b64 s[8:9], vcc
; %bb.16534:
	s_mov_b32 s10, 0x7f800001
	s_xor_b64 s[4:5], exec, -1
; %bb.16535:
	s_or_b64 exec, exec, s[8:9]
	s_and_b64 s[4:5], s[4:5], exec
                                        ; implicit-def: $vgpr13
	s_or_saveexec_b64 s[6:7], s[6:7]
	v_mov_b32_e32 v14, s10
	s_xor_b64 exec, exec, s[6:7]
	s_cbranch_execnz .LBB2_16536
; %bb.52373:
	s_getpc_b64 s[14:15]
.Lpost_getpc29770:
	s_add_u32 s14, s14, (.LBB2_2198-.Lpost_getpc29770)&4294967295
	s_addc_u32 s15, s15, (.LBB2_2198-.Lpost_getpc29770)>>32
	s_setpc_b64 s[14:15]
.LBB2_16536:
	v_cmp_ne_u16_e32 vcc, 0, v13
	s_andn2_b64 s[4:5], s[4:5], exec
	s_and_b64 s[8:9], vcc, exec
	v_mov_b32_e32 v14, 0
	s_or_b64 s[4:5], s[4:5], s[8:9]
	s_or_b64 exec, exec, s[6:7]
	s_and_saveexec_b64 s[6:7], s[4:5]
	s_cbranch_execz .LBB2_29771
; %bb.52375:
	s_getpc_b64 s[14:15]
.Lpost_getpc29771:
	s_add_u32 s14, s14, (.LBB2_2199-.Lpost_getpc29771)&4294967295
	s_addc_u32 s15, s15, (.LBB2_2199-.Lpost_getpc29771)>>32
	s_setpc_b64 s[14:15]
.LBB2_29771:
	s_getpc_b64 s[14:15]
.Lpost_getpc18469:
	s_add_u32 s14, s14, (.LBB2_2200-.Lpost_getpc18469)&4294967295
	s_addc_u32 s15, s15, (.LBB2_2200-.Lpost_getpc18469)>>32
	s_setpc_b64 s[14:15]
.LBB2_16537:
	s_movk_i32 s4, 0x80
	v_cmp_eq_u16_sdwa s[12:13], v6, s4 src0_sel:BYTE_3 src1_sel:DWORD
	s_mov_b64 s[4:5], -1
                                        ; implicit-def: $sgpr10
	s_and_saveexec_b64 s[8:9], s[12:13]
; %bb.16538:
	s_mov_b32 s10, 0x7f800001
	s_xor_b64 s[4:5], exec, -1
; %bb.16539:
	s_or_b64 exec, exec, s[8:9]
	s_and_b64 s[4:5], s[4:5], exec
	s_or_saveexec_b64 s[6:7], s[6:7]
	v_mov_b32_e32 v12, s10
	s_xor_b64 exec, exec, s[6:7]
	s_cbranch_execnz .LBB2_16540
; %bb.52377:
	s_getpc_b64 s[14:15]
.Lpost_getpc29772:
	s_add_u32 s14, s14, (.LBB2_2202-.Lpost_getpc29772)&4294967295
	s_addc_u32 s15, s15, (.LBB2_2202-.Lpost_getpc29772)>>32
	s_setpc_b64 s[14:15]
.LBB2_16540:
	v_mov_b32_e32 v12, 0
	v_cmp_ne_u16_sdwa s[8:9], v6, v12 src0_sel:BYTE_3 src1_sel:DWORD
	s_andn2_b64 s[4:5], s[4:5], exec
	s_and_b64 s[8:9], s[8:9], exec
	s_or_b64 s[4:5], s[4:5], s[8:9]
	s_or_b64 exec, exec, s[6:7]
	s_and_saveexec_b64 s[6:7], s[4:5]
	s_cbranch_execz .LBB2_29773
; %bb.52379:
	s_getpc_b64 s[14:15]
.Lpost_getpc29773:
	s_add_u32 s14, s14, (.LBB2_2203-.Lpost_getpc29773)&4294967295
	s_addc_u32 s15, s15, (.LBB2_2203-.Lpost_getpc29773)>>32
	s_setpc_b64 s[14:15]
.LBB2_29773:
	s_getpc_b64 s[14:15]
.Lpost_getpc18470:
	s_add_u32 s14, s14, (.LBB2_2204-.Lpost_getpc18470)&4294967295
	s_addc_u32 s15, s15, (.LBB2_2204-.Lpost_getpc18470)>>32
	s_setpc_b64 s[14:15]
.LBB2_16541:
	s_movk_i32 s4, 0x80
	v_cmp_eq_u16_sdwa s[12:13], v2, s4 src0_sel:BYTE_3 src1_sel:DWORD
	s_mov_b64 s[4:5], -1
                                        ; implicit-def: $sgpr10
	s_and_saveexec_b64 s[8:9], s[12:13]
; %bb.16542:
	s_mov_b32 s10, 0x7f800001
	s_xor_b64 s[4:5], exec, -1
; %bb.16543:
	s_or_b64 exec, exec, s[8:9]
	s_and_b64 s[4:5], s[4:5], exec
	s_or_saveexec_b64 s[6:7], s[6:7]
	v_mov_b32_e32 v6, s10
	s_xor_b64 exec, exec, s[6:7]
	s_cbranch_execnz .LBB2_16544
; %bb.52381:
	s_getpc_b64 s[14:15]
.Lpost_getpc29774:
	s_add_u32 s14, s14, (.LBB2_2206-.Lpost_getpc29774)&4294967295
	s_addc_u32 s15, s15, (.LBB2_2206-.Lpost_getpc29774)>>32
	s_setpc_b64 s[14:15]
.LBB2_16544:
	v_mov_b32_e32 v6, 0
	v_cmp_ne_u16_sdwa s[8:9], v2, v6 src0_sel:BYTE_3 src1_sel:DWORD
	s_andn2_b64 s[4:5], s[4:5], exec
	s_and_b64 s[8:9], s[8:9], exec
	s_or_b64 s[4:5], s[4:5], s[8:9]
	s_or_b64 exec, exec, s[6:7]
	s_and_saveexec_b64 s[6:7], s[4:5]
	s_cbranch_execz .LBB2_29775
; %bb.52383:
	s_getpc_b64 s[14:15]
.Lpost_getpc29775:
	s_add_u32 s14, s14, (.LBB2_2207-.Lpost_getpc29775)&4294967295
	s_addc_u32 s15, s15, (.LBB2_2207-.Lpost_getpc29775)>>32
	s_setpc_b64 s[14:15]
.LBB2_29775:
	s_getpc_b64 s[14:15]
.Lpost_getpc18471:
	s_add_u32 s14, s14, (.LBB2_2208-.Lpost_getpc18471)&4294967295
	s_addc_u32 s15, s15, (.LBB2_2208-.Lpost_getpc18471)>>32
	s_setpc_b64 s[14:15]
.LBB2_16545:
	s_movk_i32 s4, 0x80
	v_cmp_eq_u16_sdwa s[12:13], v7, s4 src0_sel:BYTE_0 src1_sel:DWORD
	s_mov_b64 s[4:5], -1
                                        ; implicit-def: $sgpr10
	s_and_saveexec_b64 s[8:9], s[12:13]
; %bb.16546:
	s_mov_b32 s10, 0x7f800001
	s_xor_b64 s[4:5], exec, -1
; %bb.16547:
	s_or_b64 exec, exec, s[8:9]
	s_and_b64 s[4:5], s[4:5], exec
	s_or_saveexec_b64 s[6:7], s[6:7]
	v_mov_b32_e32 v2, s10
	s_xor_b64 exec, exec, s[6:7]
	s_cbranch_execnz .LBB2_16548
; %bb.52385:
	s_getpc_b64 s[14:15]
.Lpost_getpc29776:
	s_add_u32 s14, s14, (.LBB2_2210-.Lpost_getpc29776)&4294967295
	s_addc_u32 s15, s15, (.LBB2_2210-.Lpost_getpc29776)>>32
	s_setpc_b64 s[14:15]
.LBB2_16548:
	v_mov_b32_e32 v2, 0
	v_cmp_ne_u16_sdwa s[8:9], v7, v2 src0_sel:BYTE_0 src1_sel:DWORD
	s_andn2_b64 s[4:5], s[4:5], exec
	s_and_b64 s[8:9], s[8:9], exec
	s_or_b64 s[4:5], s[4:5], s[8:9]
	s_or_b64 exec, exec, s[6:7]
	s_and_saveexec_b64 s[6:7], s[4:5]
	s_cbranch_execz .LBB2_29777
; %bb.52387:
	s_getpc_b64 s[14:15]
.Lpost_getpc29777:
	s_add_u32 s14, s14, (.LBB2_2211-.Lpost_getpc29777)&4294967295
	s_addc_u32 s15, s15, (.LBB2_2211-.Lpost_getpc29777)>>32
	s_setpc_b64 s[14:15]
.LBB2_29777:
	s_getpc_b64 s[14:15]
.Lpost_getpc18472:
	s_add_u32 s14, s14, (.LBB2_2212-.Lpost_getpc18472)&4294967295
	s_addc_u32 s15, s15, (.LBB2_2212-.Lpost_getpc18472)>>32
	s_setpc_b64 s[14:15]
.LBB2_16549:
	s_movk_i32 s4, 0x80
	v_cmp_eq_u16_sdwa s[12:13], v3, s4 src0_sel:BYTE_0 src1_sel:DWORD
	s_mov_b64 s[4:5], -1
                                        ; implicit-def: $sgpr10
	s_and_saveexec_b64 s[8:9], s[12:13]
; %bb.16550:
	s_mov_b32 s10, 0x7f800001
	s_xor_b64 s[4:5], exec, -1
; %bb.16551:
	s_or_b64 exec, exec, s[8:9]
	s_and_b64 s[4:5], s[4:5], exec
	s_or_saveexec_b64 s[6:7], s[6:7]
	v_mov_b32_e32 v6, s10
	s_xor_b64 exec, exec, s[6:7]
	s_cbranch_execnz .LBB2_16552
; %bb.52389:
	s_getpc_b64 s[14:15]
.Lpost_getpc29778:
	s_add_u32 s14, s14, (.LBB2_2214-.Lpost_getpc29778)&4294967295
	s_addc_u32 s15, s15, (.LBB2_2214-.Lpost_getpc29778)>>32
	s_setpc_b64 s[14:15]
.LBB2_16552:
	v_mov_b32_e32 v6, 0
	v_cmp_ne_u16_sdwa s[8:9], v3, v6 src0_sel:BYTE_0 src1_sel:DWORD
	s_andn2_b64 s[4:5], s[4:5], exec
	s_and_b64 s[8:9], s[8:9], exec
	s_or_b64 s[4:5], s[4:5], s[8:9]
	s_or_b64 exec, exec, s[6:7]
	s_and_saveexec_b64 s[6:7], s[4:5]
	s_cbranch_execz .LBB2_29779
; %bb.52391:
	s_getpc_b64 s[14:15]
.Lpost_getpc29779:
	s_add_u32 s14, s14, (.LBB2_2215-.Lpost_getpc29779)&4294967295
	s_addc_u32 s15, s15, (.LBB2_2215-.Lpost_getpc29779)>>32
	s_setpc_b64 s[14:15]
.LBB2_29779:
	s_getpc_b64 s[14:15]
.Lpost_getpc18473:
	s_add_u32 s14, s14, (.LBB2_2216-.Lpost_getpc18473)&4294967295
	s_addc_u32 s15, s15, (.LBB2_2216-.Lpost_getpc18473)>>32
	s_setpc_b64 s[14:15]
.LBB2_16553:
	s_movk_i32 s4, 0x80
	v_cmp_eq_u16_sdwa s[12:13], v6, s4 src0_sel:BYTE_0 src1_sel:DWORD
	s_mov_b64 s[4:5], -1
                                        ; implicit-def: $sgpr10
	s_and_saveexec_b64 s[8:9], s[12:13]
; %bb.16554:
	s_mov_b32 s10, 0x7f800001
	s_xor_b64 s[4:5], exec, -1
; %bb.16555:
	s_or_b64 exec, exec, s[8:9]
	s_and_b64 s[4:5], s[4:5], exec
	s_or_saveexec_b64 s[6:7], s[6:7]
	v_mov_b32_e32 v2, s10
	s_xor_b64 exec, exec, s[6:7]
	s_cbranch_execnz .LBB2_16556
; %bb.52393:
	s_getpc_b64 s[14:15]
.Lpost_getpc29780:
	s_add_u32 s14, s14, (.LBB2_2218-.Lpost_getpc29780)&4294967295
	s_addc_u32 s15, s15, (.LBB2_2218-.Lpost_getpc29780)>>32
	s_setpc_b64 s[14:15]
.LBB2_16556:
	v_mov_b32_e32 v2, 0
	v_cmp_ne_u16_sdwa s[8:9], v6, v2 src0_sel:BYTE_0 src1_sel:DWORD
	s_andn2_b64 s[4:5], s[4:5], exec
	s_and_b64 s[8:9], s[8:9], exec
	s_or_b64 s[4:5], s[4:5], s[8:9]
	s_or_b64 exec, exec, s[6:7]
	s_and_saveexec_b64 s[6:7], s[4:5]
	s_cbranch_execz .LBB2_29781
; %bb.52395:
	s_getpc_b64 s[14:15]
.Lpost_getpc29781:
	s_add_u32 s14, s14, (.LBB2_2219-.Lpost_getpc29781)&4294967295
	s_addc_u32 s15, s15, (.LBB2_2219-.Lpost_getpc29781)>>32
	s_setpc_b64 s[14:15]
.LBB2_29781:
	s_getpc_b64 s[14:15]
.Lpost_getpc18474:
	s_add_u32 s14, s14, (.LBB2_2220-.Lpost_getpc18474)&4294967295
	s_addc_u32 s15, s15, (.LBB2_2220-.Lpost_getpc18474)>>32
	s_setpc_b64 s[14:15]
.LBB2_16557:
	s_movk_i32 s4, 0x80
	v_cmp_eq_u16_sdwa s[12:13], v6, s4 src0_sel:BYTE_0 src1_sel:DWORD
	s_mov_b64 s[4:5], -1
                                        ; implicit-def: $sgpr10
	s_and_saveexec_b64 s[8:9], s[12:13]
; %bb.16558:
	s_mov_b32 s10, 0x7f800001
	s_xor_b64 s[4:5], exec, -1
; %bb.16559:
	s_or_b64 exec, exec, s[8:9]
	s_and_b64 s[4:5], s[4:5], exec
	s_or_saveexec_b64 s[6:7], s[6:7]
	v_mov_b32_e32 v12, s10
	s_xor_b64 exec, exec, s[6:7]
	s_cbranch_execnz .LBB2_16560
; %bb.52397:
	s_getpc_b64 s[14:15]
.Lpost_getpc29782:
	s_add_u32 s14, s14, (.LBB2_2222-.Lpost_getpc29782)&4294967295
	s_addc_u32 s15, s15, (.LBB2_2222-.Lpost_getpc29782)>>32
	s_setpc_b64 s[14:15]
.LBB2_16560:
	v_mov_b32_e32 v12, 0
	v_cmp_ne_u16_sdwa s[8:9], v6, v12 src0_sel:BYTE_0 src1_sel:DWORD
	s_andn2_b64 s[4:5], s[4:5], exec
	s_and_b64 s[8:9], s[8:9], exec
	s_or_b64 s[4:5], s[4:5], s[8:9]
	s_or_b64 exec, exec, s[6:7]
	s_and_saveexec_b64 s[6:7], s[4:5]
	s_cbranch_execz .LBB2_29783
; %bb.52399:
	s_getpc_b64 s[14:15]
.Lpost_getpc29783:
	s_add_u32 s14, s14, (.LBB2_2223-.Lpost_getpc29783)&4294967295
	s_addc_u32 s15, s15, (.LBB2_2223-.Lpost_getpc29783)>>32
	s_setpc_b64 s[14:15]
.LBB2_29783:
	s_getpc_b64 s[14:15]
.Lpost_getpc18475:
	s_add_u32 s14, s14, (.LBB2_2224-.Lpost_getpc18475)&4294967295
	s_addc_u32 s15, s15, (.LBB2_2224-.Lpost_getpc18475)>>32
	s_setpc_b64 s[14:15]
.LBB2_16561:
	s_movk_i32 s4, 0x80
	v_cmp_eq_u16_e32 vcc, s4, v6
	s_mov_b64 s[4:5], -1
                                        ; implicit-def: $sgpr10
	s_and_saveexec_b64 s[8:9], vcc
; %bb.16562:
	s_mov_b32 s10, 0x7f800001
	s_xor_b64 s[4:5], exec, -1
; %bb.16563:
	s_or_b64 exec, exec, s[8:9]
	s_and_b64 s[4:5], s[4:5], exec
                                        ; implicit-def: $vgpr6
	s_or_saveexec_b64 s[6:7], s[6:7]
	v_mov_b32_e32 v2, s10
	s_xor_b64 exec, exec, s[6:7]
	s_cbranch_execnz .LBB2_16564
; %bb.52401:
	s_getpc_b64 s[14:15]
.Lpost_getpc29784:
	s_add_u32 s14, s14, (.LBB2_2226-.Lpost_getpc29784)&4294967295
	s_addc_u32 s15, s15, (.LBB2_2226-.Lpost_getpc29784)>>32
	s_setpc_b64 s[14:15]
.LBB2_16564:
	v_cmp_ne_u16_e32 vcc, 0, v6
	s_andn2_b64 s[4:5], s[4:5], exec
	s_and_b64 s[8:9], vcc, exec
	v_mov_b32_e32 v2, 0
	s_or_b64 s[4:5], s[4:5], s[8:9]
	s_or_b64 exec, exec, s[6:7]
	s_and_saveexec_b64 s[6:7], s[4:5]
	s_cbranch_execz .LBB2_29785
; %bb.52403:
	s_getpc_b64 s[14:15]
.Lpost_getpc29785:
	s_add_u32 s14, s14, (.LBB2_2227-.Lpost_getpc29785)&4294967295
	s_addc_u32 s15, s15, (.LBB2_2227-.Lpost_getpc29785)>>32
	s_setpc_b64 s[14:15]
.LBB2_29785:
	s_getpc_b64 s[14:15]
.Lpost_getpc18476:
	s_add_u32 s14, s14, (.LBB2_2228-.Lpost_getpc18476)&4294967295
	s_addc_u32 s15, s15, (.LBB2_2228-.Lpost_getpc18476)>>32
	s_setpc_b64 s[14:15]
.LBB2_16565:
	s_movk_i32 s4, 0x80
	v_cmp_eq_u16_e32 vcc, s4, v6
	s_mov_b64 s[4:5], -1
                                        ; implicit-def: $sgpr10
	s_and_saveexec_b64 s[8:9], vcc
; %bb.16566:
	s_mov_b32 s10, 0x7f800001
	s_xor_b64 s[4:5], exec, -1
; %bb.16567:
	s_or_b64 exec, exec, s[8:9]
	s_and_b64 s[4:5], s[4:5], exec
                                        ; implicit-def: $vgpr6
	s_or_saveexec_b64 s[6:7], s[6:7]
	v_mov_b32_e32 v12, s10
	s_xor_b64 exec, exec, s[6:7]
	s_cbranch_execnz .LBB2_16568
; %bb.52405:
	s_getpc_b64 s[14:15]
.Lpost_getpc29786:
	s_add_u32 s14, s14, (.LBB2_2230-.Lpost_getpc29786)&4294967295
	s_addc_u32 s15, s15, (.LBB2_2230-.Lpost_getpc29786)>>32
	s_setpc_b64 s[14:15]
.LBB2_16568:
	v_cmp_ne_u16_e32 vcc, 0, v6
	s_andn2_b64 s[4:5], s[4:5], exec
	s_and_b64 s[8:9], vcc, exec
	v_mov_b32_e32 v12, 0
	s_or_b64 s[4:5], s[4:5], s[8:9]
	s_or_b64 exec, exec, s[6:7]
	s_and_saveexec_b64 s[6:7], s[4:5]
	s_cbranch_execz .LBB2_29787
; %bb.52407:
	s_getpc_b64 s[14:15]
.Lpost_getpc29787:
	s_add_u32 s14, s14, (.LBB2_2231-.Lpost_getpc29787)&4294967295
	s_addc_u32 s15, s15, (.LBB2_2231-.Lpost_getpc29787)>>32
	s_setpc_b64 s[14:15]
.LBB2_29787:
	s_getpc_b64 s[14:15]
.Lpost_getpc18477:
	s_add_u32 s14, s14, (.LBB2_2232-.Lpost_getpc18477)&4294967295
	s_addc_u32 s15, s15, (.LBB2_2232-.Lpost_getpc18477)>>32
	s_setpc_b64 s[14:15]
.LBB2_16569:
	s_movk_i32 s4, 0x80
	v_cmp_eq_u16_sdwa s[12:13], v7, s4 src0_sel:BYTE_3 src1_sel:DWORD
	s_mov_b64 s[4:5], -1
                                        ; implicit-def: $sgpr10
	s_and_saveexec_b64 s[8:9], s[12:13]
; %bb.16570:
	s_mov_b32 s10, 0x7f800001
	s_xor_b64 s[4:5], exec, -1
; %bb.16571:
	s_or_b64 exec, exec, s[8:9]
	s_and_b64 s[4:5], s[4:5], exec
	s_or_saveexec_b64 s[6:7], s[6:7]
	v_mov_b32_e32 v2, s10
	s_xor_b64 exec, exec, s[6:7]
	s_cbranch_execnz .LBB2_16572
; %bb.52409:
	s_getpc_b64 s[14:15]
.Lpost_getpc29788:
	s_add_u32 s14, s14, (.LBB2_2234-.Lpost_getpc29788)&4294967295
	s_addc_u32 s15, s15, (.LBB2_2234-.Lpost_getpc29788)>>32
	s_setpc_b64 s[14:15]
.LBB2_16572:
	v_mov_b32_e32 v2, 0
	v_cmp_ne_u16_sdwa s[8:9], v7, v2 src0_sel:BYTE_3 src1_sel:DWORD
	s_andn2_b64 s[4:5], s[4:5], exec
	s_and_b64 s[8:9], s[8:9], exec
	s_or_b64 s[4:5], s[4:5], s[8:9]
	s_or_b64 exec, exec, s[6:7]
	s_and_saveexec_b64 s[6:7], s[4:5]
	s_cbranch_execz .LBB2_29789
; %bb.52411:
	s_getpc_b64 s[14:15]
.Lpost_getpc29789:
	s_add_u32 s14, s14, (.LBB2_2235-.Lpost_getpc29789)&4294967295
	s_addc_u32 s15, s15, (.LBB2_2235-.Lpost_getpc29789)>>32
	s_setpc_b64 s[14:15]
.LBB2_29789:
	s_getpc_b64 s[14:15]
.Lpost_getpc18478:
	s_add_u32 s14, s14, (.LBB2_2236-.Lpost_getpc18478)&4294967295
	s_addc_u32 s15, s15, (.LBB2_2236-.Lpost_getpc18478)>>32
	s_setpc_b64 s[14:15]
.LBB2_16573:
	s_movk_i32 s4, 0x80
	v_cmp_eq_u16_sdwa s[12:13], v3, s4 src0_sel:BYTE_3 src1_sel:DWORD
	s_mov_b64 s[4:5], -1
                                        ; implicit-def: $sgpr10
	s_and_saveexec_b64 s[8:9], s[12:13]
; %bb.16574:
	s_mov_b32 s10, 0x7f800001
	s_xor_b64 s[4:5], exec, -1
; %bb.16575:
	s_or_b64 exec, exec, s[8:9]
	s_and_b64 s[4:5], s[4:5], exec
	s_or_saveexec_b64 s[6:7], s[6:7]
	v_mov_b32_e32 v6, s10
	s_xor_b64 exec, exec, s[6:7]
	s_cbranch_execnz .LBB2_16576
; %bb.52413:
	s_getpc_b64 s[14:15]
.Lpost_getpc29790:
	s_add_u32 s14, s14, (.LBB2_2238-.Lpost_getpc29790)&4294967295
	s_addc_u32 s15, s15, (.LBB2_2238-.Lpost_getpc29790)>>32
	s_setpc_b64 s[14:15]
.LBB2_16576:
	v_mov_b32_e32 v6, 0
	v_cmp_ne_u16_sdwa s[8:9], v3, v6 src0_sel:BYTE_3 src1_sel:DWORD
	s_andn2_b64 s[4:5], s[4:5], exec
	s_and_b64 s[8:9], s[8:9], exec
	s_or_b64 s[4:5], s[4:5], s[8:9]
	s_or_b64 exec, exec, s[6:7]
	s_and_saveexec_b64 s[6:7], s[4:5]
	s_cbranch_execz .LBB2_29791
; %bb.52415:
	s_getpc_b64 s[14:15]
.Lpost_getpc29791:
	s_add_u32 s14, s14, (.LBB2_2239-.Lpost_getpc29791)&4294967295
	s_addc_u32 s15, s15, (.LBB2_2239-.Lpost_getpc29791)>>32
	s_setpc_b64 s[14:15]
.LBB2_29791:
	s_getpc_b64 s[14:15]
.Lpost_getpc18479:
	s_add_u32 s14, s14, (.LBB2_2240-.Lpost_getpc18479)&4294967295
	s_addc_u32 s15, s15, (.LBB2_2240-.Lpost_getpc18479)>>32
	s_setpc_b64 s[14:15]
.LBB2_16577:
	s_movk_i32 s4, 0x80
	v_cmp_eq_u16_sdwa s[12:13], v8, s4 src0_sel:BYTE_0 src1_sel:DWORD
	s_mov_b64 s[4:5], -1
                                        ; implicit-def: $sgpr10
	s_and_saveexec_b64 s[8:9], s[12:13]
; %bb.16578:
	s_mov_b32 s10, 0x7f800001
	s_xor_b64 s[4:5], exec, -1
; %bb.16579:
	s_or_b64 exec, exec, s[8:9]
	s_and_b64 s[4:5], s[4:5], exec
	s_or_saveexec_b64 s[6:7], s[6:7]
	v_mov_b32_e32 v2, s10
	s_xor_b64 exec, exec, s[6:7]
	s_cbranch_execnz .LBB2_16580
; %bb.52417:
	s_getpc_b64 s[14:15]
.Lpost_getpc29792:
	s_add_u32 s14, s14, (.LBB2_2242-.Lpost_getpc29792)&4294967295
	s_addc_u32 s15, s15, (.LBB2_2242-.Lpost_getpc29792)>>32
	s_setpc_b64 s[14:15]
.LBB2_16580:
	v_mov_b32_e32 v2, 0
	v_cmp_ne_u16_sdwa s[8:9], v8, v2 src0_sel:BYTE_0 src1_sel:DWORD
	s_andn2_b64 s[4:5], s[4:5], exec
	s_and_b64 s[8:9], s[8:9], exec
	s_or_b64 s[4:5], s[4:5], s[8:9]
	s_or_b64 exec, exec, s[6:7]
	s_and_saveexec_b64 s[6:7], s[4:5]
	s_cbranch_execz .LBB2_29793
; %bb.52419:
	s_getpc_b64 s[14:15]
.Lpost_getpc29793:
	s_add_u32 s14, s14, (.LBB2_2243-.Lpost_getpc29793)&4294967295
	s_addc_u32 s15, s15, (.LBB2_2243-.Lpost_getpc29793)>>32
	s_setpc_b64 s[14:15]
.LBB2_29793:
	s_getpc_b64 s[14:15]
.Lpost_getpc18480:
	s_add_u32 s14, s14, (.LBB2_2244-.Lpost_getpc18480)&4294967295
	s_addc_u32 s15, s15, (.LBB2_2244-.Lpost_getpc18480)>>32
	s_setpc_b64 s[14:15]
.LBB2_16581:
	s_movk_i32 s4, 0x80
	v_cmp_eq_u16_sdwa s[12:13], v4, s4 src0_sel:BYTE_0 src1_sel:DWORD
	s_mov_b64 s[4:5], -1
                                        ; implicit-def: $sgpr10
	s_and_saveexec_b64 s[8:9], s[12:13]
; %bb.16582:
	s_mov_b32 s10, 0x7f800001
	s_xor_b64 s[4:5], exec, -1
; %bb.16583:
	s_or_b64 exec, exec, s[8:9]
	s_and_b64 s[4:5], s[4:5], exec
	s_or_saveexec_b64 s[6:7], s[6:7]
	v_mov_b32_e32 v3, s10
	s_xor_b64 exec, exec, s[6:7]
	s_cbranch_execnz .LBB2_16584
; %bb.52421:
	s_getpc_b64 s[14:15]
.Lpost_getpc29794:
	s_add_u32 s14, s14, (.LBB2_2246-.Lpost_getpc29794)&4294967295
	s_addc_u32 s15, s15, (.LBB2_2246-.Lpost_getpc29794)>>32
	s_setpc_b64 s[14:15]
.LBB2_16584:
	v_mov_b32_e32 v3, 0
	v_cmp_ne_u16_sdwa s[8:9], v4, v3 src0_sel:BYTE_0 src1_sel:DWORD
	s_andn2_b64 s[4:5], s[4:5], exec
	s_and_b64 s[8:9], s[8:9], exec
	s_or_b64 s[4:5], s[4:5], s[8:9]
	s_or_b64 exec, exec, s[6:7]
	s_and_saveexec_b64 s[6:7], s[4:5]
	s_cbranch_execz .LBB2_29795
; %bb.52423:
	s_getpc_b64 s[14:15]
.Lpost_getpc29795:
	s_add_u32 s14, s14, (.LBB2_2247-.Lpost_getpc29795)&4294967295
	s_addc_u32 s15, s15, (.LBB2_2247-.Lpost_getpc29795)>>32
	s_setpc_b64 s[14:15]
.LBB2_29795:
	s_getpc_b64 s[14:15]
.Lpost_getpc18481:
	s_add_u32 s14, s14, (.LBB2_2248-.Lpost_getpc18481)&4294967295
	s_addc_u32 s15, s15, (.LBB2_2248-.Lpost_getpc18481)>>32
	s_setpc_b64 s[14:15]
.LBB2_16585:
	s_movk_i32 s4, 0x80
	v_cmp_eq_u16_sdwa s[12:13], v3, s4 src0_sel:BYTE_0 src1_sel:DWORD
	s_mov_b64 s[4:5], -1
                                        ; implicit-def: $sgpr10
	s_and_saveexec_b64 s[8:9], s[12:13]
; %bb.16586:
	s_mov_b32 s10, 0x7f800001
	s_xor_b64 s[4:5], exec, -1
; %bb.16587:
	s_or_b64 exec, exec, s[8:9]
	s_and_b64 s[4:5], s[4:5], exec
	s_or_saveexec_b64 s[6:7], s[6:7]
	v_mov_b32_e32 v2, s10
	s_xor_b64 exec, exec, s[6:7]
	s_cbranch_execnz .LBB2_16588
; %bb.52425:
	s_getpc_b64 s[14:15]
.Lpost_getpc29796:
	s_add_u32 s14, s14, (.LBB2_2250-.Lpost_getpc29796)&4294967295
	s_addc_u32 s15, s15, (.LBB2_2250-.Lpost_getpc29796)>>32
	s_setpc_b64 s[14:15]
.LBB2_16588:
	v_mov_b32_e32 v2, 0
	v_cmp_ne_u16_sdwa s[8:9], v3, v2 src0_sel:BYTE_0 src1_sel:DWORD
	s_andn2_b64 s[4:5], s[4:5], exec
	s_and_b64 s[8:9], s[8:9], exec
	s_or_b64 s[4:5], s[4:5], s[8:9]
	s_or_b64 exec, exec, s[6:7]
	s_and_saveexec_b64 s[6:7], s[4:5]
	s_cbranch_execz .LBB2_29797
; %bb.52427:
	s_getpc_b64 s[14:15]
.Lpost_getpc29797:
	s_add_u32 s14, s14, (.LBB2_2251-.Lpost_getpc29797)&4294967295
	s_addc_u32 s15, s15, (.LBB2_2251-.Lpost_getpc29797)>>32
	s_setpc_b64 s[14:15]
.LBB2_29797:
	s_getpc_b64 s[14:15]
.Lpost_getpc18482:
	s_add_u32 s14, s14, (.LBB2_2252-.Lpost_getpc18482)&4294967295
	s_addc_u32 s15, s15, (.LBB2_2252-.Lpost_getpc18482)>>32
	s_setpc_b64 s[14:15]
.LBB2_16589:
	s_movk_i32 s4, 0x80
	v_cmp_eq_u16_sdwa s[12:13], v3, s4 src0_sel:BYTE_0 src1_sel:DWORD
	s_mov_b64 s[4:5], -1
                                        ; implicit-def: $sgpr10
	s_and_saveexec_b64 s[8:9], s[12:13]
; %bb.16590:
	s_mov_b32 s10, 0x7f800001
	s_xor_b64 s[4:5], exec, -1
; %bb.16591:
	s_or_b64 exec, exec, s[8:9]
	s_and_b64 s[4:5], s[4:5], exec
	s_or_saveexec_b64 s[6:7], s[6:7]
	v_mov_b32_e32 v6, s10
	s_xor_b64 exec, exec, s[6:7]
	s_cbranch_execnz .LBB2_16592
; %bb.52429:
	s_getpc_b64 s[14:15]
.Lpost_getpc29798:
	s_add_u32 s14, s14, (.LBB2_2254-.Lpost_getpc29798)&4294967295
	s_addc_u32 s15, s15, (.LBB2_2254-.Lpost_getpc29798)>>32
	s_setpc_b64 s[14:15]
.LBB2_16592:
	v_mov_b32_e32 v6, 0
	v_cmp_ne_u16_sdwa s[8:9], v3, v6 src0_sel:BYTE_0 src1_sel:DWORD
	s_andn2_b64 s[4:5], s[4:5], exec
	s_and_b64 s[8:9], s[8:9], exec
	s_or_b64 s[4:5], s[4:5], s[8:9]
	s_or_b64 exec, exec, s[6:7]
	s_and_saveexec_b64 s[6:7], s[4:5]
	s_cbranch_execz .LBB2_29799
; %bb.52431:
	s_getpc_b64 s[14:15]
.Lpost_getpc29799:
	s_add_u32 s14, s14, (.LBB2_2255-.Lpost_getpc29799)&4294967295
	s_addc_u32 s15, s15, (.LBB2_2255-.Lpost_getpc29799)>>32
	s_setpc_b64 s[14:15]
.LBB2_29799:
	s_getpc_b64 s[14:15]
.Lpost_getpc18483:
	s_add_u32 s14, s14, (.LBB2_2256-.Lpost_getpc18483)&4294967295
	s_addc_u32 s15, s15, (.LBB2_2256-.Lpost_getpc18483)>>32
	s_setpc_b64 s[14:15]
.LBB2_16593:
	s_movk_i32 s4, 0x80
	v_cmp_eq_u16_e32 vcc, s4, v3
	s_mov_b64 s[4:5], -1
                                        ; implicit-def: $sgpr10
	s_and_saveexec_b64 s[8:9], vcc
; %bb.16594:
	s_mov_b32 s10, 0x7f800001
	s_xor_b64 s[4:5], exec, -1
; %bb.16595:
	s_or_b64 exec, exec, s[8:9]
	s_and_b64 s[4:5], s[4:5], exec
                                        ; implicit-def: $vgpr3
	s_or_saveexec_b64 s[6:7], s[6:7]
	v_mov_b32_e32 v2, s10
	s_xor_b64 exec, exec, s[6:7]
	s_cbranch_execnz .LBB2_16596
; %bb.52433:
	s_getpc_b64 s[14:15]
.Lpost_getpc29800:
	s_add_u32 s14, s14, (.LBB2_2258-.Lpost_getpc29800)&4294967295
	s_addc_u32 s15, s15, (.LBB2_2258-.Lpost_getpc29800)>>32
	s_setpc_b64 s[14:15]
.LBB2_16596:
	v_cmp_ne_u16_e32 vcc, 0, v3
	s_andn2_b64 s[4:5], s[4:5], exec
	s_and_b64 s[8:9], vcc, exec
	v_mov_b32_e32 v2, 0
	s_or_b64 s[4:5], s[4:5], s[8:9]
	s_or_b64 exec, exec, s[6:7]
	s_and_saveexec_b64 s[6:7], s[4:5]
	s_cbranch_execz .LBB2_29801
; %bb.52435:
	s_getpc_b64 s[14:15]
.Lpost_getpc29801:
	s_add_u32 s14, s14, (.LBB2_2259-.Lpost_getpc29801)&4294967295
	s_addc_u32 s15, s15, (.LBB2_2259-.Lpost_getpc29801)>>32
	s_setpc_b64 s[14:15]
.LBB2_29801:
	s_getpc_b64 s[14:15]
.Lpost_getpc18484:
	s_add_u32 s14, s14, (.LBB2_2260-.Lpost_getpc18484)&4294967295
	s_addc_u32 s15, s15, (.LBB2_2260-.Lpost_getpc18484)>>32
	s_setpc_b64 s[14:15]
.LBB2_16597:
	s_movk_i32 s4, 0x80
	v_cmp_eq_u16_e32 vcc, s4, v3
	s_mov_b64 s[4:5], -1
                                        ; implicit-def: $sgpr10
	s_and_saveexec_b64 s[8:9], vcc
; %bb.16598:
	s_mov_b32 s10, 0x7f800001
	s_xor_b64 s[4:5], exec, -1
; %bb.16599:
	s_or_b64 exec, exec, s[8:9]
	s_and_b64 s[4:5], s[4:5], exec
                                        ; implicit-def: $vgpr3
	s_or_saveexec_b64 s[6:7], s[6:7]
	v_mov_b32_e32 v6, s10
	s_xor_b64 exec, exec, s[6:7]
	s_cbranch_execnz .LBB2_16600
; %bb.52437:
	s_getpc_b64 s[14:15]
.Lpost_getpc29802:
	s_add_u32 s14, s14, (.LBB2_2262-.Lpost_getpc29802)&4294967295
	s_addc_u32 s15, s15, (.LBB2_2262-.Lpost_getpc29802)>>32
	s_setpc_b64 s[14:15]
.LBB2_16600:
	v_cmp_ne_u16_e32 vcc, 0, v3
	s_andn2_b64 s[4:5], s[4:5], exec
	s_and_b64 s[8:9], vcc, exec
	v_mov_b32_e32 v6, 0
	s_or_b64 s[4:5], s[4:5], s[8:9]
	s_or_b64 exec, exec, s[6:7]
	s_and_saveexec_b64 s[6:7], s[4:5]
	s_cbranch_execz .LBB2_29803
; %bb.52439:
	s_getpc_b64 s[14:15]
.Lpost_getpc29803:
	s_add_u32 s14, s14, (.LBB2_2263-.Lpost_getpc29803)&4294967295
	s_addc_u32 s15, s15, (.LBB2_2263-.Lpost_getpc29803)>>32
	s_setpc_b64 s[14:15]
.LBB2_29803:
	s_getpc_b64 s[14:15]
.Lpost_getpc18485:
	s_add_u32 s14, s14, (.LBB2_2264-.Lpost_getpc18485)&4294967295
	s_addc_u32 s15, s15, (.LBB2_2264-.Lpost_getpc18485)>>32
	s_setpc_b64 s[14:15]
.LBB2_16601:
	s_movk_i32 s4, 0x80
	v_cmp_eq_u16_sdwa s[12:13], v8, s4 src0_sel:BYTE_3 src1_sel:DWORD
	s_mov_b64 s[4:5], -1
                                        ; implicit-def: $sgpr10
	s_and_saveexec_b64 s[8:9], s[12:13]
; %bb.16602:
	s_mov_b32 s10, 0x7f800001
	s_xor_b64 s[4:5], exec, -1
; %bb.16603:
	s_or_b64 exec, exec, s[8:9]
	s_and_b64 s[4:5], s[4:5], exec
	s_or_saveexec_b64 s[6:7], s[6:7]
	v_mov_b32_e32 v2, s10
	s_xor_b64 exec, exec, s[6:7]
	s_cbranch_execnz .LBB2_16604
; %bb.52441:
	s_getpc_b64 s[14:15]
.Lpost_getpc29804:
	s_add_u32 s14, s14, (.LBB2_2266-.Lpost_getpc29804)&4294967295
	s_addc_u32 s15, s15, (.LBB2_2266-.Lpost_getpc29804)>>32
	s_setpc_b64 s[14:15]
.LBB2_16604:
	v_mov_b32_e32 v2, 0
	v_cmp_ne_u16_sdwa s[8:9], v8, v2 src0_sel:BYTE_3 src1_sel:DWORD
	s_andn2_b64 s[4:5], s[4:5], exec
	s_and_b64 s[8:9], s[8:9], exec
	s_or_b64 s[4:5], s[4:5], s[8:9]
	s_or_b64 exec, exec, s[6:7]
	s_and_saveexec_b64 s[6:7], s[4:5]
	s_cbranch_execz .LBB2_29805
; %bb.52443:
	s_getpc_b64 s[14:15]
.Lpost_getpc29805:
	s_add_u32 s14, s14, (.LBB2_2267-.Lpost_getpc29805)&4294967295
	s_addc_u32 s15, s15, (.LBB2_2267-.Lpost_getpc29805)>>32
	s_setpc_b64 s[14:15]
.LBB2_29805:
	s_getpc_b64 s[14:15]
.Lpost_getpc18486:
	s_add_u32 s14, s14, (.LBB2_2268-.Lpost_getpc18486)&4294967295
	s_addc_u32 s15, s15, (.LBB2_2268-.Lpost_getpc18486)>>32
	s_setpc_b64 s[14:15]
.LBB2_16605:
	s_movk_i32 s4, 0x80
	v_cmp_eq_u16_sdwa s[12:13], v4, s4 src0_sel:BYTE_3 src1_sel:DWORD
	s_mov_b64 s[4:5], -1
                                        ; implicit-def: $sgpr10
	s_and_saveexec_b64 s[8:9], s[12:13]
; %bb.16606:
	s_mov_b32 s10, 0x7f800001
	s_xor_b64 s[4:5], exec, -1
; %bb.16607:
	s_or_b64 exec, exec, s[8:9]
	s_and_b64 s[4:5], s[4:5], exec
	s_or_saveexec_b64 s[6:7], s[6:7]
	v_mov_b32_e32 v3, s10
	s_xor_b64 exec, exec, s[6:7]
	s_cbranch_execnz .LBB2_16608
; %bb.52445:
	s_getpc_b64 s[14:15]
.Lpost_getpc29806:
	s_add_u32 s14, s14, (.LBB2_2270-.Lpost_getpc29806)&4294967295
	s_addc_u32 s15, s15, (.LBB2_2270-.Lpost_getpc29806)>>32
	s_setpc_b64 s[14:15]
.LBB2_16608:
	v_mov_b32_e32 v3, 0
	v_cmp_ne_u16_sdwa s[8:9], v4, v3 src0_sel:BYTE_3 src1_sel:DWORD
	s_andn2_b64 s[4:5], s[4:5], exec
	s_and_b64 s[8:9], s[8:9], exec
	s_or_b64 s[4:5], s[4:5], s[8:9]
	s_or_b64 exec, exec, s[6:7]
	s_and_saveexec_b64 s[6:7], s[4:5]
	s_cbranch_execz .LBB2_29807
; %bb.52447:
	s_getpc_b64 s[14:15]
.Lpost_getpc29807:
	s_add_u32 s14, s14, (.LBB2_2271-.Lpost_getpc29807)&4294967295
	s_addc_u32 s15, s15, (.LBB2_2271-.Lpost_getpc29807)>>32
	s_setpc_b64 s[14:15]
.LBB2_29807:
	s_getpc_b64 s[14:15]
.Lpost_getpc18487:
	s_add_u32 s14, s14, (.LBB2_2272-.Lpost_getpc18487)&4294967295
	s_addc_u32 s15, s15, (.LBB2_2272-.Lpost_getpc18487)>>32
	s_setpc_b64 s[14:15]
.LBB2_16609:
	s_movk_i32 s4, 0x80
	v_cmp_eq_u16_sdwa s[12:13], v9, s4 src0_sel:BYTE_0 src1_sel:DWORD
	s_mov_b64 s[4:5], -1
                                        ; implicit-def: $sgpr10
	s_and_saveexec_b64 s[8:9], s[12:13]
; %bb.16610:
	s_mov_b32 s10, 0x7f800001
	s_xor_b64 s[4:5], exec, -1
; %bb.16611:
	s_or_b64 exec, exec, s[8:9]
	s_and_b64 s[4:5], s[4:5], exec
	s_or_saveexec_b64 s[6:7], s[6:7]
	v_mov_b32_e32 v2, s10
	s_xor_b64 exec, exec, s[6:7]
	s_cbranch_execnz .LBB2_16612
; %bb.52449:
	s_getpc_b64 s[14:15]
.Lpost_getpc29808:
	s_add_u32 s14, s14, (.LBB2_2274-.Lpost_getpc29808)&4294967295
	s_addc_u32 s15, s15, (.LBB2_2274-.Lpost_getpc29808)>>32
	s_setpc_b64 s[14:15]
.LBB2_16612:
	v_mov_b32_e32 v2, 0
	v_cmp_ne_u16_sdwa s[8:9], v9, v2 src0_sel:BYTE_0 src1_sel:DWORD
	s_andn2_b64 s[4:5], s[4:5], exec
	s_and_b64 s[8:9], s[8:9], exec
	s_or_b64 s[4:5], s[4:5], s[8:9]
	s_or_b64 exec, exec, s[6:7]
	s_and_saveexec_b64 s[6:7], s[4:5]
	s_cbranch_execz .LBB2_29809
; %bb.52451:
	s_getpc_b64 s[14:15]
.Lpost_getpc29809:
	s_add_u32 s14, s14, (.LBB2_2275-.Lpost_getpc29809)&4294967295
	s_addc_u32 s15, s15, (.LBB2_2275-.Lpost_getpc29809)>>32
	s_setpc_b64 s[14:15]
.LBB2_29809:
	s_getpc_b64 s[14:15]
.Lpost_getpc18488:
	s_add_u32 s14, s14, (.LBB2_2276-.Lpost_getpc18488)&4294967295
	s_addc_u32 s15, s15, (.LBB2_2276-.Lpost_getpc18488)>>32
	s_setpc_b64 s[14:15]
.LBB2_16613:
	s_movk_i32 s4, 0x80
	v_cmp_eq_u16_sdwa s[12:13], v5, s4 src0_sel:BYTE_0 src1_sel:DWORD
	s_mov_b64 s[4:5], -1
                                        ; implicit-def: $sgpr10
	s_and_saveexec_b64 s[8:9], s[12:13]
; %bb.16614:
	s_mov_b32 s10, 0x7f800001
	s_xor_b64 s[4:5], exec, -1
; %bb.16615:
	s_or_b64 exec, exec, s[8:9]
	s_and_b64 s[4:5], s[4:5], exec
	s_or_saveexec_b64 s[6:7], s[6:7]
	v_mov_b32_e32 v3, s10
	s_xor_b64 exec, exec, s[6:7]
	s_cbranch_execnz .LBB2_16616
; %bb.52453:
	s_getpc_b64 s[14:15]
.Lpost_getpc29810:
	s_add_u32 s14, s14, (.LBB2_2278-.Lpost_getpc29810)&4294967295
	s_addc_u32 s15, s15, (.LBB2_2278-.Lpost_getpc29810)>>32
	s_setpc_b64 s[14:15]
.LBB2_16616:
	v_mov_b32_e32 v3, 0
	v_cmp_ne_u16_sdwa s[8:9], v5, v3 src0_sel:BYTE_0 src1_sel:DWORD
	s_andn2_b64 s[4:5], s[4:5], exec
	s_and_b64 s[8:9], s[8:9], exec
	s_or_b64 s[4:5], s[4:5], s[8:9]
	s_or_b64 exec, exec, s[6:7]
	s_and_saveexec_b64 s[6:7], s[4:5]
	s_cbranch_execz .LBB2_29811
; %bb.52455:
	s_getpc_b64 s[14:15]
.Lpost_getpc29811:
	s_add_u32 s14, s14, (.LBB2_2279-.Lpost_getpc29811)&4294967295
	s_addc_u32 s15, s15, (.LBB2_2279-.Lpost_getpc29811)>>32
	s_setpc_b64 s[14:15]
.LBB2_29811:
	s_getpc_b64 s[14:15]
.Lpost_getpc18489:
	s_add_u32 s14, s14, (.LBB2_2280-.Lpost_getpc18489)&4294967295
	s_addc_u32 s15, s15, (.LBB2_2280-.Lpost_getpc18489)>>32
	s_setpc_b64 s[14:15]
.LBB2_16617:
	s_movk_i32 s4, 0x80
	v_cmp_eq_u16_sdwa s[12:13], v3, s4 src0_sel:BYTE_0 src1_sel:DWORD
	s_mov_b64 s[4:5], -1
                                        ; implicit-def: $sgpr10
	s_and_saveexec_b64 s[8:9], s[12:13]
; %bb.16618:
	s_mov_b32 s10, 0x7f800001
	s_xor_b64 s[4:5], exec, -1
; %bb.16619:
	s_or_b64 exec, exec, s[8:9]
	s_and_b64 s[4:5], s[4:5], exec
	s_or_saveexec_b64 s[6:7], s[6:7]
	v_mov_b32_e32 v2, s10
	s_xor_b64 exec, exec, s[6:7]
	s_cbranch_execnz .LBB2_16620
; %bb.52457:
	s_getpc_b64 s[14:15]
.Lpost_getpc29812:
	s_add_u32 s14, s14, (.LBB2_2282-.Lpost_getpc29812)&4294967295
	s_addc_u32 s15, s15, (.LBB2_2282-.Lpost_getpc29812)>>32
	s_setpc_b64 s[14:15]
.LBB2_16620:
	v_mov_b32_e32 v2, 0
	v_cmp_ne_u16_sdwa s[8:9], v3, v2 src0_sel:BYTE_0 src1_sel:DWORD
	s_andn2_b64 s[4:5], s[4:5], exec
	s_and_b64 s[8:9], s[8:9], exec
	s_or_b64 s[4:5], s[4:5], s[8:9]
	s_or_b64 exec, exec, s[6:7]
	s_and_saveexec_b64 s[6:7], s[4:5]
	s_cbranch_execz .LBB2_29813
; %bb.52459:
	s_getpc_b64 s[14:15]
.Lpost_getpc29813:
	s_add_u32 s14, s14, (.LBB2_2283-.Lpost_getpc29813)&4294967295
	s_addc_u32 s15, s15, (.LBB2_2283-.Lpost_getpc29813)>>32
	s_setpc_b64 s[14:15]
.LBB2_29813:
	s_getpc_b64 s[14:15]
.Lpost_getpc18490:
	s_add_u32 s14, s14, (.LBB2_2284-.Lpost_getpc18490)&4294967295
	s_addc_u32 s15, s15, (.LBB2_2284-.Lpost_getpc18490)>>32
	s_setpc_b64 s[14:15]
.LBB2_16621:
	s_movk_i32 s4, 0x80
	v_cmp_eq_u16_sdwa s[12:13], v3, s4 src0_sel:BYTE_0 src1_sel:DWORD
	s_mov_b64 s[4:5], -1
                                        ; implicit-def: $sgpr10
	s_and_saveexec_b64 s[8:9], s[12:13]
; %bb.16622:
	s_mov_b32 s10, 0x7f800001
	s_xor_b64 s[4:5], exec, -1
; %bb.16623:
	s_or_b64 exec, exec, s[8:9]
	s_and_b64 s[4:5], s[4:5], exec
	s_or_saveexec_b64 s[6:7], s[6:7]
	v_mov_b32_e32 v4, s10
	s_xor_b64 exec, exec, s[6:7]
	s_cbranch_execnz .LBB2_16624
; %bb.52461:
	s_getpc_b64 s[14:15]
.Lpost_getpc29814:
	s_add_u32 s14, s14, (.LBB2_2286-.Lpost_getpc29814)&4294967295
	s_addc_u32 s15, s15, (.LBB2_2286-.Lpost_getpc29814)>>32
	s_setpc_b64 s[14:15]
.LBB2_16624:
	v_mov_b32_e32 v4, 0
	v_cmp_ne_u16_sdwa s[8:9], v3, v4 src0_sel:BYTE_0 src1_sel:DWORD
	s_andn2_b64 s[4:5], s[4:5], exec
	s_and_b64 s[8:9], s[8:9], exec
	s_or_b64 s[4:5], s[4:5], s[8:9]
	s_or_b64 exec, exec, s[6:7]
	s_and_saveexec_b64 s[6:7], s[4:5]
	s_cbranch_execz .LBB2_29815
; %bb.52463:
	s_getpc_b64 s[14:15]
.Lpost_getpc29815:
	s_add_u32 s14, s14, (.LBB2_2287-.Lpost_getpc29815)&4294967295
	s_addc_u32 s15, s15, (.LBB2_2287-.Lpost_getpc29815)>>32
	s_setpc_b64 s[14:15]
.LBB2_29815:
	s_getpc_b64 s[14:15]
.Lpost_getpc18491:
	s_add_u32 s14, s14, (.LBB2_2288-.Lpost_getpc18491)&4294967295
	s_addc_u32 s15, s15, (.LBB2_2288-.Lpost_getpc18491)>>32
	s_setpc_b64 s[14:15]
.LBB2_16625:
	s_movk_i32 s4, 0x80
	v_cmp_eq_u16_e32 vcc, s4, v3
	s_mov_b64 s[4:5], -1
                                        ; implicit-def: $sgpr10
	s_and_saveexec_b64 s[8:9], vcc
; %bb.16626:
	s_mov_b32 s10, 0x7f800001
	s_xor_b64 s[4:5], exec, -1
; %bb.16627:
	s_or_b64 exec, exec, s[8:9]
	s_and_b64 s[4:5], s[4:5], exec
                                        ; implicit-def: $vgpr3
	s_or_saveexec_b64 s[6:7], s[6:7]
	v_mov_b32_e32 v2, s10
	s_xor_b64 exec, exec, s[6:7]
	s_cbranch_execnz .LBB2_16628
; %bb.52465:
	s_getpc_b64 s[14:15]
.Lpost_getpc29816:
	s_add_u32 s14, s14, (.LBB2_2290-.Lpost_getpc29816)&4294967295
	s_addc_u32 s15, s15, (.LBB2_2290-.Lpost_getpc29816)>>32
	s_setpc_b64 s[14:15]
.LBB2_16628:
	v_cmp_ne_u16_e32 vcc, 0, v3
	s_andn2_b64 s[4:5], s[4:5], exec
	s_and_b64 s[8:9], vcc, exec
	v_mov_b32_e32 v2, 0
	s_or_b64 s[4:5], s[4:5], s[8:9]
	s_or_b64 exec, exec, s[6:7]
	s_and_saveexec_b64 s[6:7], s[4:5]
	s_cbranch_execz .LBB2_29817
; %bb.52467:
	s_getpc_b64 s[14:15]
.Lpost_getpc29817:
	s_add_u32 s14, s14, (.LBB2_2291-.Lpost_getpc29817)&4294967295
	s_addc_u32 s15, s15, (.LBB2_2291-.Lpost_getpc29817)>>32
	s_setpc_b64 s[14:15]
.LBB2_29817:
	s_getpc_b64 s[14:15]
.Lpost_getpc18492:
	s_add_u32 s14, s14, (.LBB2_2292-.Lpost_getpc18492)&4294967295
	s_addc_u32 s15, s15, (.LBB2_2292-.Lpost_getpc18492)>>32
	s_setpc_b64 s[14:15]
.LBB2_16629:
	s_movk_i32 s4, 0x80
	v_cmp_eq_u16_e32 vcc, s4, v3
	s_mov_b64 s[4:5], -1
                                        ; implicit-def: $sgpr10
	s_and_saveexec_b64 s[8:9], vcc
; %bb.16630:
	s_mov_b32 s10, 0x7f800001
	s_xor_b64 s[4:5], exec, -1
; %bb.16631:
	s_or_b64 exec, exec, s[8:9]
	s_and_b64 s[4:5], s[4:5], exec
                                        ; implicit-def: $vgpr3
	s_or_saveexec_b64 s[6:7], s[6:7]
	v_mov_b32_e32 v4, s10
	s_xor_b64 exec, exec, s[6:7]
	s_cbranch_execnz .LBB2_16632
; %bb.52469:
	s_getpc_b64 s[14:15]
.Lpost_getpc29818:
	s_add_u32 s14, s14, (.LBB2_2294-.Lpost_getpc29818)&4294967295
	s_addc_u32 s15, s15, (.LBB2_2294-.Lpost_getpc29818)>>32
	s_setpc_b64 s[14:15]
.LBB2_16632:
	v_cmp_ne_u16_e32 vcc, 0, v3
	s_andn2_b64 s[4:5], s[4:5], exec
	s_and_b64 s[8:9], vcc, exec
	v_mov_b32_e32 v4, 0
	s_or_b64 s[4:5], s[4:5], s[8:9]
	s_or_b64 exec, exec, s[6:7]
	s_and_saveexec_b64 s[6:7], s[4:5]
	s_cbranch_execz .LBB2_29819
; %bb.52471:
	s_getpc_b64 s[14:15]
.Lpost_getpc29819:
	s_add_u32 s14, s14, (.LBB2_2295-.Lpost_getpc29819)&4294967295
	s_addc_u32 s15, s15, (.LBB2_2295-.Lpost_getpc29819)>>32
	s_setpc_b64 s[14:15]
.LBB2_29819:
	s_getpc_b64 s[14:15]
.Lpost_getpc18493:
	s_add_u32 s14, s14, (.LBB2_2296-.Lpost_getpc18493)&4294967295
	s_addc_u32 s15, s15, (.LBB2_2296-.Lpost_getpc18493)>>32
	s_setpc_b64 s[14:15]
.LBB2_16633:
	s_movk_i32 s4, 0x80
	v_cmp_eq_u16_sdwa s[12:13], v9, s4 src0_sel:BYTE_3 src1_sel:DWORD
	s_mov_b64 s[4:5], -1
                                        ; implicit-def: $sgpr10
	s_and_saveexec_b64 s[8:9], s[12:13]
; %bb.16634:
	s_mov_b32 s10, 0x7f800001
	s_xor_b64 s[4:5], exec, -1
; %bb.16635:
	s_or_b64 exec, exec, s[8:9]
	s_and_b64 s[4:5], s[4:5], exec
	s_or_saveexec_b64 s[6:7], s[6:7]
	v_mov_b32_e32 v2, s10
	s_xor_b64 exec, exec, s[6:7]
	s_cbranch_execnz .LBB2_16636
; %bb.52473:
	s_getpc_b64 s[14:15]
.Lpost_getpc29820:
	s_add_u32 s14, s14, (.LBB2_2298-.Lpost_getpc29820)&4294967295
	s_addc_u32 s15, s15, (.LBB2_2298-.Lpost_getpc29820)>>32
	s_setpc_b64 s[14:15]
.LBB2_16636:
	v_mov_b32_e32 v2, 0
	v_cmp_ne_u16_sdwa s[8:9], v9, v2 src0_sel:BYTE_3 src1_sel:DWORD
	s_andn2_b64 s[4:5], s[4:5], exec
	s_and_b64 s[8:9], s[8:9], exec
	s_or_b64 s[4:5], s[4:5], s[8:9]
	s_or_b64 exec, exec, s[6:7]
	s_and_saveexec_b64 s[6:7], s[4:5]
	s_cbranch_execz .LBB2_29821
; %bb.52475:
	s_getpc_b64 s[14:15]
.Lpost_getpc29821:
	s_add_u32 s14, s14, (.LBB2_2299-.Lpost_getpc29821)&4294967295
	s_addc_u32 s15, s15, (.LBB2_2299-.Lpost_getpc29821)>>32
	s_setpc_b64 s[14:15]
.LBB2_29821:
	s_getpc_b64 s[14:15]
.Lpost_getpc18494:
	s_add_u32 s14, s14, (.LBB2_2300-.Lpost_getpc18494)&4294967295
	s_addc_u32 s15, s15, (.LBB2_2300-.Lpost_getpc18494)>>32
	s_setpc_b64 s[14:15]
.LBB2_16637:
	s_movk_i32 s4, 0x80
	v_cmp_eq_u16_sdwa s[12:13], v5, s4 src0_sel:BYTE_3 src1_sel:DWORD
	s_mov_b64 s[4:5], -1
                                        ; implicit-def: $sgpr10
	s_and_saveexec_b64 s[8:9], s[12:13]
; %bb.16638:
	s_mov_b32 s10, 0x7f800001
	s_xor_b64 s[4:5], exec, -1
; %bb.16639:
	s_or_b64 exec, exec, s[8:9]
	s_and_b64 s[4:5], s[4:5], exec
	s_or_saveexec_b64 s[6:7], s[6:7]
	v_mov_b32_e32 v3, s10
	s_xor_b64 exec, exec, s[6:7]
	s_cbranch_execnz .LBB2_16640
; %bb.52477:
	s_getpc_b64 s[14:15]
.Lpost_getpc29822:
	s_add_u32 s14, s14, (.LBB2_2302-.Lpost_getpc29822)&4294967295
	s_addc_u32 s15, s15, (.LBB2_2302-.Lpost_getpc29822)>>32
	s_setpc_b64 s[14:15]
.LBB2_16640:
	v_mov_b32_e32 v3, 0
	v_cmp_ne_u16_sdwa s[8:9], v5, v3 src0_sel:BYTE_3 src1_sel:DWORD
	s_andn2_b64 s[4:5], s[4:5], exec
	s_and_b64 s[8:9], s[8:9], exec
	s_or_b64 s[4:5], s[4:5], s[8:9]
	s_or_b64 exec, exec, s[6:7]
	s_and_saveexec_b64 s[6:7], s[4:5]
	s_cbranch_execz .LBB2_29823
; %bb.52479:
	s_getpc_b64 s[14:15]
.Lpost_getpc29823:
	s_add_u32 s14, s14, (.LBB2_2303-.Lpost_getpc29823)&4294967295
	s_addc_u32 s15, s15, (.LBB2_2303-.Lpost_getpc29823)>>32
	s_setpc_b64 s[14:15]
.LBB2_29823:
	s_getpc_b64 s[14:15]
.Lpost_getpc18495:
	s_add_u32 s14, s14, (.LBB2_2304-.Lpost_getpc18495)&4294967295
	s_addc_u32 s15, s15, (.LBB2_2304-.Lpost_getpc18495)>>32
	s_setpc_b64 s[14:15]
.LBB2_16641:
	s_movk_i32 s4, 0x80
	v_cmp_eq_u16_sdwa s[12:13], v6, s4 src0_sel:BYTE_0 src1_sel:DWORD
	s_mov_b64 s[4:5], -1
                                        ; implicit-def: $sgpr10
	s_and_saveexec_b64 s[8:9], s[12:13]
; %bb.16642:
	s_mov_b32 s10, 0x7f800001
	s_xor_b64 s[4:5], exec, -1
; %bb.16643:
	s_or_b64 exec, exec, s[8:9]
	s_and_b64 s[4:5], s[4:5], exec
	s_or_saveexec_b64 s[6:7], s[6:7]
	v_mov_b32_e32 v12, s10
	s_xor_b64 exec, exec, s[6:7]
	s_cbranch_execnz .LBB2_16644
; %bb.52481:
	s_getpc_b64 s[14:15]
.Lpost_getpc29824:
	s_add_u32 s14, s14, (.LBB2_2306-.Lpost_getpc29824)&4294967295
	s_addc_u32 s15, s15, (.LBB2_2306-.Lpost_getpc29824)>>32
	s_setpc_b64 s[14:15]
.LBB2_16644:
	v_mov_b32_e32 v12, 0
	v_cmp_ne_u16_sdwa s[8:9], v6, v12 src0_sel:BYTE_0 src1_sel:DWORD
	s_andn2_b64 s[4:5], s[4:5], exec
	s_and_b64 s[8:9], s[8:9], exec
	s_or_b64 s[4:5], s[4:5], s[8:9]
	s_or_b64 exec, exec, s[6:7]
	s_and_saveexec_b64 s[6:7], s[4:5]
	s_cbranch_execz .LBB2_29825
; %bb.52483:
	s_getpc_b64 s[14:15]
.Lpost_getpc29825:
	s_add_u32 s14, s14, (.LBB2_2307-.Lpost_getpc29825)&4294967295
	s_addc_u32 s15, s15, (.LBB2_2307-.Lpost_getpc29825)>>32
	s_setpc_b64 s[14:15]
.LBB2_29825:
	s_getpc_b64 s[14:15]
.Lpost_getpc18496:
	s_add_u32 s14, s14, (.LBB2_2308-.Lpost_getpc18496)&4294967295
	s_addc_u32 s15, s15, (.LBB2_2308-.Lpost_getpc18496)>>32
	s_setpc_b64 s[14:15]
.LBB2_16645:
	s_movk_i32 s4, 0x80
	v_cmp_eq_u16_sdwa s[12:13], v2, s4 src0_sel:BYTE_0 src1_sel:DWORD
	s_mov_b64 s[4:5], -1
                                        ; implicit-def: $sgpr10
	s_and_saveexec_b64 s[8:9], s[12:13]
; %bb.16646:
	s_mov_b32 s10, 0x7f800001
	s_xor_b64 s[4:5], exec, -1
; %bb.16647:
	s_or_b64 exec, exec, s[8:9]
	s_and_b64 s[4:5], s[4:5], exec
	s_or_saveexec_b64 s[6:7], s[6:7]
	v_mov_b32_e32 v13, s10
	s_xor_b64 exec, exec, s[6:7]
	s_cbranch_execnz .LBB2_16648
; %bb.52485:
	s_getpc_b64 s[14:15]
.Lpost_getpc29826:
	s_add_u32 s14, s14, (.LBB2_2310-.Lpost_getpc29826)&4294967295
	s_addc_u32 s15, s15, (.LBB2_2310-.Lpost_getpc29826)>>32
	s_setpc_b64 s[14:15]
.LBB2_16648:
	v_mov_b32_e32 v13, 0
	v_cmp_ne_u16_sdwa s[8:9], v2, v13 src0_sel:BYTE_0 src1_sel:DWORD
	s_andn2_b64 s[4:5], s[4:5], exec
	s_and_b64 s[8:9], s[8:9], exec
	s_or_b64 s[4:5], s[4:5], s[8:9]
	s_or_b64 exec, exec, s[6:7]
	s_and_saveexec_b64 s[6:7], s[4:5]
	s_cbranch_execz .LBB2_29827
; %bb.52487:
	s_getpc_b64 s[14:15]
.Lpost_getpc29827:
	s_add_u32 s14, s14, (.LBB2_2311-.Lpost_getpc29827)&4294967295
	s_addc_u32 s15, s15, (.LBB2_2311-.Lpost_getpc29827)>>32
	s_setpc_b64 s[14:15]
.LBB2_29827:
	s_getpc_b64 s[14:15]
.Lpost_getpc18497:
	s_add_u32 s14, s14, (.LBB2_2312-.Lpost_getpc18497)&4294967295
	s_addc_u32 s15, s15, (.LBB2_2312-.Lpost_getpc18497)>>32
	s_setpc_b64 s[14:15]
.LBB2_16649:
	s_movk_i32 s4, 0x80
	v_cmp_eq_u16_sdwa s[12:13], v13, s4 src0_sel:BYTE_0 src1_sel:DWORD
	s_mov_b64 s[4:5], -1
                                        ; implicit-def: $sgpr10
	s_and_saveexec_b64 s[8:9], s[12:13]
; %bb.16650:
	s_mov_b32 s10, 0x7f800001
	s_xor_b64 s[4:5], exec, -1
; %bb.16651:
	s_or_b64 exec, exec, s[8:9]
	s_and_b64 s[4:5], s[4:5], exec
	s_or_saveexec_b64 s[6:7], s[6:7]
	v_mov_b32_e32 v12, s10
	s_xor_b64 exec, exec, s[6:7]
	s_cbranch_execnz .LBB2_16652
; %bb.52489:
	s_getpc_b64 s[14:15]
.Lpost_getpc29828:
	s_add_u32 s14, s14, (.LBB2_2314-.Lpost_getpc29828)&4294967295
	s_addc_u32 s15, s15, (.LBB2_2314-.Lpost_getpc29828)>>32
	s_setpc_b64 s[14:15]
.LBB2_16652:
	v_mov_b32_e32 v12, 0
	v_cmp_ne_u16_sdwa s[8:9], v13, v12 src0_sel:BYTE_0 src1_sel:DWORD
	s_andn2_b64 s[4:5], s[4:5], exec
	s_and_b64 s[8:9], s[8:9], exec
	s_or_b64 s[4:5], s[4:5], s[8:9]
	s_or_b64 exec, exec, s[6:7]
	s_and_saveexec_b64 s[6:7], s[4:5]
	s_cbranch_execz .LBB2_29829
; %bb.52491:
	s_getpc_b64 s[14:15]
.Lpost_getpc29829:
	s_add_u32 s14, s14, (.LBB2_2315-.Lpost_getpc29829)&4294967295
	s_addc_u32 s15, s15, (.LBB2_2315-.Lpost_getpc29829)>>32
	s_setpc_b64 s[14:15]
.LBB2_29829:
	s_getpc_b64 s[14:15]
.Lpost_getpc18498:
	s_add_u32 s14, s14, (.LBB2_2316-.Lpost_getpc18498)&4294967295
	s_addc_u32 s15, s15, (.LBB2_2316-.Lpost_getpc18498)>>32
	s_setpc_b64 s[14:15]
.LBB2_16653:
	s_movk_i32 s4, 0x80
	v_cmp_eq_u16_sdwa s[12:13], v13, s4 src0_sel:BYTE_0 src1_sel:DWORD
	s_mov_b64 s[4:5], -1
                                        ; implicit-def: $sgpr10
	s_and_saveexec_b64 s[8:9], s[12:13]
; %bb.16654:
	s_mov_b32 s10, 0x7f800001
	s_xor_b64 s[4:5], exec, -1
; %bb.16655:
	s_or_b64 exec, exec, s[8:9]
	s_and_b64 s[4:5], s[4:5], exec
	s_or_saveexec_b64 s[6:7], s[6:7]
	v_mov_b32_e32 v14, s10
	s_xor_b64 exec, exec, s[6:7]
	s_cbranch_execnz .LBB2_16656
; %bb.52493:
	s_getpc_b64 s[14:15]
.Lpost_getpc29830:
	s_add_u32 s14, s14, (.LBB2_2318-.Lpost_getpc29830)&4294967295
	s_addc_u32 s15, s15, (.LBB2_2318-.Lpost_getpc29830)>>32
	s_setpc_b64 s[14:15]
.LBB2_16656:
	v_mov_b32_e32 v14, 0
	v_cmp_ne_u16_sdwa s[8:9], v13, v14 src0_sel:BYTE_0 src1_sel:DWORD
	s_andn2_b64 s[4:5], s[4:5], exec
	s_and_b64 s[8:9], s[8:9], exec
	s_or_b64 s[4:5], s[4:5], s[8:9]
	s_or_b64 exec, exec, s[6:7]
	s_and_saveexec_b64 s[6:7], s[4:5]
	s_cbranch_execz .LBB2_29831
; %bb.52495:
	s_getpc_b64 s[14:15]
.Lpost_getpc29831:
	s_add_u32 s14, s14, (.LBB2_2319-.Lpost_getpc29831)&4294967295
	s_addc_u32 s15, s15, (.LBB2_2319-.Lpost_getpc29831)>>32
	s_setpc_b64 s[14:15]
.LBB2_29831:
	s_getpc_b64 s[14:15]
.Lpost_getpc18499:
	s_add_u32 s14, s14, (.LBB2_2320-.Lpost_getpc18499)&4294967295
	s_addc_u32 s15, s15, (.LBB2_2320-.Lpost_getpc18499)>>32
	s_setpc_b64 s[14:15]
.LBB2_16657:
	s_movk_i32 s4, 0x80
	v_cmp_eq_u16_e32 vcc, s4, v13
	s_mov_b64 s[4:5], -1
                                        ; implicit-def: $sgpr10
	s_and_saveexec_b64 s[8:9], vcc
; %bb.16658:
	s_mov_b32 s10, 0x7f800001
	s_xor_b64 s[4:5], exec, -1
; %bb.16659:
	s_or_b64 exec, exec, s[8:9]
	s_and_b64 s[4:5], s[4:5], exec
                                        ; implicit-def: $vgpr13
	s_or_saveexec_b64 s[6:7], s[6:7]
	v_mov_b32_e32 v12, s10
	s_xor_b64 exec, exec, s[6:7]
	s_cbranch_execnz .LBB2_16660
; %bb.52497:
	s_getpc_b64 s[14:15]
.Lpost_getpc29832:
	s_add_u32 s14, s14, (.LBB2_2322-.Lpost_getpc29832)&4294967295
	s_addc_u32 s15, s15, (.LBB2_2322-.Lpost_getpc29832)>>32
	s_setpc_b64 s[14:15]
.LBB2_16660:
	v_cmp_ne_u16_e32 vcc, 0, v13
	s_andn2_b64 s[4:5], s[4:5], exec
	s_and_b64 s[8:9], vcc, exec
	v_mov_b32_e32 v12, 0
	s_or_b64 s[4:5], s[4:5], s[8:9]
	s_or_b64 exec, exec, s[6:7]
	s_and_saveexec_b64 s[6:7], s[4:5]
	s_cbranch_execz .LBB2_29833
; %bb.52499:
	s_getpc_b64 s[14:15]
.Lpost_getpc29833:
	s_add_u32 s14, s14, (.LBB2_2323-.Lpost_getpc29833)&4294967295
	s_addc_u32 s15, s15, (.LBB2_2323-.Lpost_getpc29833)>>32
	s_setpc_b64 s[14:15]
.LBB2_29833:
	s_getpc_b64 s[14:15]
.Lpost_getpc18500:
	s_add_u32 s14, s14, (.LBB2_2324-.Lpost_getpc18500)&4294967295
	s_addc_u32 s15, s15, (.LBB2_2324-.Lpost_getpc18500)>>32
	s_setpc_b64 s[14:15]
.LBB2_16661:
	s_movk_i32 s4, 0x80
	v_cmp_eq_u16_e32 vcc, s4, v13
	s_mov_b64 s[4:5], -1
                                        ; implicit-def: $sgpr10
	s_and_saveexec_b64 s[8:9], vcc
; %bb.16662:
	s_mov_b32 s10, 0x7f800001
	s_xor_b64 s[4:5], exec, -1
; %bb.16663:
	s_or_b64 exec, exec, s[8:9]
	s_and_b64 s[4:5], s[4:5], exec
                                        ; implicit-def: $vgpr13
	s_or_saveexec_b64 s[6:7], s[6:7]
	v_mov_b32_e32 v14, s10
	s_xor_b64 exec, exec, s[6:7]
	s_cbranch_execnz .LBB2_16664
; %bb.52501:
	s_getpc_b64 s[14:15]
.Lpost_getpc29834:
	s_add_u32 s14, s14, (.LBB2_2326-.Lpost_getpc29834)&4294967295
	s_addc_u32 s15, s15, (.LBB2_2326-.Lpost_getpc29834)>>32
	s_setpc_b64 s[14:15]
.LBB2_16664:
	v_cmp_ne_u16_e32 vcc, 0, v13
	s_andn2_b64 s[4:5], s[4:5], exec
	s_and_b64 s[8:9], vcc, exec
	v_mov_b32_e32 v14, 0
	s_or_b64 s[4:5], s[4:5], s[8:9]
	s_or_b64 exec, exec, s[6:7]
	s_and_saveexec_b64 s[6:7], s[4:5]
	s_cbranch_execz .LBB2_29835
; %bb.52503:
	s_getpc_b64 s[14:15]
.Lpost_getpc29835:
	s_add_u32 s14, s14, (.LBB2_2327-.Lpost_getpc29835)&4294967295
	s_addc_u32 s15, s15, (.LBB2_2327-.Lpost_getpc29835)>>32
	s_setpc_b64 s[14:15]
.LBB2_29835:
	s_getpc_b64 s[14:15]
.Lpost_getpc18501:
	s_add_u32 s14, s14, (.LBB2_2328-.Lpost_getpc18501)&4294967295
	s_addc_u32 s15, s15, (.LBB2_2328-.Lpost_getpc18501)>>32
	s_setpc_b64 s[14:15]
.LBB2_16665:
	s_movk_i32 s4, 0x80
	v_cmp_eq_u16_sdwa s[12:13], v6, s4 src0_sel:BYTE_3 src1_sel:DWORD
	s_mov_b64 s[4:5], -1
                                        ; implicit-def: $sgpr10
	s_and_saveexec_b64 s[8:9], s[12:13]
; %bb.16666:
	s_mov_b32 s10, 0x7f800001
	s_xor_b64 s[4:5], exec, -1
; %bb.16667:
	s_or_b64 exec, exec, s[8:9]
	s_and_b64 s[4:5], s[4:5], exec
	s_or_saveexec_b64 s[6:7], s[6:7]
	v_mov_b32_e32 v12, s10
	s_xor_b64 exec, exec, s[6:7]
	s_cbranch_execnz .LBB2_16668
; %bb.52505:
	s_getpc_b64 s[14:15]
.Lpost_getpc29836:
	s_add_u32 s14, s14, (.LBB2_2330-.Lpost_getpc29836)&4294967295
	s_addc_u32 s15, s15, (.LBB2_2330-.Lpost_getpc29836)>>32
	s_setpc_b64 s[14:15]
.LBB2_16668:
	v_mov_b32_e32 v12, 0
	v_cmp_ne_u16_sdwa s[8:9], v6, v12 src0_sel:BYTE_3 src1_sel:DWORD
	s_andn2_b64 s[4:5], s[4:5], exec
	s_and_b64 s[8:9], s[8:9], exec
	s_or_b64 s[4:5], s[4:5], s[8:9]
	s_or_b64 exec, exec, s[6:7]
	s_and_saveexec_b64 s[6:7], s[4:5]
	s_cbranch_execz .LBB2_29837
; %bb.52507:
	s_getpc_b64 s[14:15]
.Lpost_getpc29837:
	s_add_u32 s14, s14, (.LBB2_2331-.Lpost_getpc29837)&4294967295
	s_addc_u32 s15, s15, (.LBB2_2331-.Lpost_getpc29837)>>32
	s_setpc_b64 s[14:15]
.LBB2_29837:
	s_getpc_b64 s[14:15]
.Lpost_getpc18502:
	s_add_u32 s14, s14, (.LBB2_2332-.Lpost_getpc18502)&4294967295
	s_addc_u32 s15, s15, (.LBB2_2332-.Lpost_getpc18502)>>32
	s_setpc_b64 s[14:15]
.LBB2_16669:
	s_movk_i32 s4, 0x80
	v_cmp_eq_u16_sdwa s[12:13], v2, s4 src0_sel:BYTE_3 src1_sel:DWORD
	s_mov_b64 s[4:5], -1
                                        ; implicit-def: $sgpr10
	s_and_saveexec_b64 s[8:9], s[12:13]
; %bb.16670:
	s_mov_b32 s10, 0x7f800001
	s_xor_b64 s[4:5], exec, -1
; %bb.16671:
	s_or_b64 exec, exec, s[8:9]
	s_and_b64 s[4:5], s[4:5], exec
	s_or_saveexec_b64 s[6:7], s[6:7]
	v_mov_b32_e32 v6, s10
	s_xor_b64 exec, exec, s[6:7]
	s_cbranch_execnz .LBB2_16672
; %bb.52509:
	s_getpc_b64 s[14:15]
.Lpost_getpc29838:
	s_add_u32 s14, s14, (.LBB2_2334-.Lpost_getpc29838)&4294967295
	s_addc_u32 s15, s15, (.LBB2_2334-.Lpost_getpc29838)>>32
	s_setpc_b64 s[14:15]
.LBB2_16672:
	v_mov_b32_e32 v6, 0
	v_cmp_ne_u16_sdwa s[8:9], v2, v6 src0_sel:BYTE_3 src1_sel:DWORD
	s_andn2_b64 s[4:5], s[4:5], exec
	s_and_b64 s[8:9], s[8:9], exec
	s_or_b64 s[4:5], s[4:5], s[8:9]
	s_or_b64 exec, exec, s[6:7]
	s_and_saveexec_b64 s[6:7], s[4:5]
	s_cbranch_execz .LBB2_29839
; %bb.52511:
	s_getpc_b64 s[14:15]
.Lpost_getpc29839:
	s_add_u32 s14, s14, (.LBB2_2335-.Lpost_getpc29839)&4294967295
	s_addc_u32 s15, s15, (.LBB2_2335-.Lpost_getpc29839)>>32
	s_setpc_b64 s[14:15]
.LBB2_29839:
	s_getpc_b64 s[14:15]
.Lpost_getpc18503:
	s_add_u32 s14, s14, (.LBB2_2336-.Lpost_getpc18503)&4294967295
	s_addc_u32 s15, s15, (.LBB2_2336-.Lpost_getpc18503)>>32
	s_setpc_b64 s[14:15]
.LBB2_16673:
	s_movk_i32 s4, 0x80
	v_cmp_eq_u16_sdwa s[12:13], v7, s4 src0_sel:BYTE_0 src1_sel:DWORD
	s_mov_b64 s[4:5], -1
                                        ; implicit-def: $sgpr10
	s_and_saveexec_b64 s[8:9], s[12:13]
; %bb.16674:
	s_mov_b32 s10, 0x7f800001
	s_xor_b64 s[4:5], exec, -1
; %bb.16675:
	s_or_b64 exec, exec, s[8:9]
	s_and_b64 s[4:5], s[4:5], exec
	s_or_saveexec_b64 s[6:7], s[6:7]
	v_mov_b32_e32 v2, s10
	s_xor_b64 exec, exec, s[6:7]
	s_cbranch_execnz .LBB2_16676
; %bb.52513:
	s_getpc_b64 s[14:15]
.Lpost_getpc29840:
	s_add_u32 s14, s14, (.LBB2_2338-.Lpost_getpc29840)&4294967295
	s_addc_u32 s15, s15, (.LBB2_2338-.Lpost_getpc29840)>>32
	s_setpc_b64 s[14:15]
.LBB2_16676:
	v_mov_b32_e32 v2, 0
	v_cmp_ne_u16_sdwa s[8:9], v7, v2 src0_sel:BYTE_0 src1_sel:DWORD
	s_andn2_b64 s[4:5], s[4:5], exec
	s_and_b64 s[8:9], s[8:9], exec
	s_or_b64 s[4:5], s[4:5], s[8:9]
	s_or_b64 exec, exec, s[6:7]
	s_and_saveexec_b64 s[6:7], s[4:5]
	s_cbranch_execz .LBB2_29841
; %bb.52515:
	s_getpc_b64 s[14:15]
.Lpost_getpc29841:
	s_add_u32 s14, s14, (.LBB2_2339-.Lpost_getpc29841)&4294967295
	s_addc_u32 s15, s15, (.LBB2_2339-.Lpost_getpc29841)>>32
	s_setpc_b64 s[14:15]
.LBB2_29841:
	s_getpc_b64 s[14:15]
.Lpost_getpc18504:
	s_add_u32 s14, s14, (.LBB2_2340-.Lpost_getpc18504)&4294967295
	s_addc_u32 s15, s15, (.LBB2_2340-.Lpost_getpc18504)>>32
	s_setpc_b64 s[14:15]
.LBB2_16677:
	s_movk_i32 s4, 0x80
	v_cmp_eq_u16_sdwa s[12:13], v3, s4 src0_sel:BYTE_0 src1_sel:DWORD
	s_mov_b64 s[4:5], -1
                                        ; implicit-def: $sgpr10
	s_and_saveexec_b64 s[8:9], s[12:13]
; %bb.16678:
	s_mov_b32 s10, 0x7f800001
	s_xor_b64 s[4:5], exec, -1
; %bb.16679:
	s_or_b64 exec, exec, s[8:9]
	s_and_b64 s[4:5], s[4:5], exec
	s_or_saveexec_b64 s[6:7], s[6:7]
	v_mov_b32_e32 v6, s10
	s_xor_b64 exec, exec, s[6:7]
	s_cbranch_execnz .LBB2_16680
; %bb.52517:
	s_getpc_b64 s[14:15]
.Lpost_getpc29842:
	s_add_u32 s14, s14, (.LBB2_2342-.Lpost_getpc29842)&4294967295
	s_addc_u32 s15, s15, (.LBB2_2342-.Lpost_getpc29842)>>32
	s_setpc_b64 s[14:15]
.LBB2_16680:
	v_mov_b32_e32 v6, 0
	v_cmp_ne_u16_sdwa s[8:9], v3, v6 src0_sel:BYTE_0 src1_sel:DWORD
	s_andn2_b64 s[4:5], s[4:5], exec
	s_and_b64 s[8:9], s[8:9], exec
	s_or_b64 s[4:5], s[4:5], s[8:9]
	s_or_b64 exec, exec, s[6:7]
	s_and_saveexec_b64 s[6:7], s[4:5]
	s_cbranch_execz .LBB2_29843
; %bb.52519:
	s_getpc_b64 s[14:15]
.Lpost_getpc29843:
	s_add_u32 s14, s14, (.LBB2_2343-.Lpost_getpc29843)&4294967295
	s_addc_u32 s15, s15, (.LBB2_2343-.Lpost_getpc29843)>>32
	s_setpc_b64 s[14:15]
.LBB2_29843:
	s_getpc_b64 s[14:15]
.Lpost_getpc18505:
	s_add_u32 s14, s14, (.LBB2_2344-.Lpost_getpc18505)&4294967295
	s_addc_u32 s15, s15, (.LBB2_2344-.Lpost_getpc18505)>>32
	s_setpc_b64 s[14:15]
.LBB2_16681:
	s_movk_i32 s4, 0x80
	v_cmp_eq_u16_sdwa s[12:13], v6, s4 src0_sel:BYTE_0 src1_sel:DWORD
	s_mov_b64 s[4:5], -1
                                        ; implicit-def: $sgpr10
	s_and_saveexec_b64 s[8:9], s[12:13]
; %bb.16682:
	s_mov_b32 s10, 0x7f800001
	s_xor_b64 s[4:5], exec, -1
; %bb.16683:
	s_or_b64 exec, exec, s[8:9]
	s_and_b64 s[4:5], s[4:5], exec
	s_or_saveexec_b64 s[6:7], s[6:7]
	v_mov_b32_e32 v2, s10
	s_xor_b64 exec, exec, s[6:7]
	s_cbranch_execnz .LBB2_16684
; %bb.52521:
	s_getpc_b64 s[14:15]
.Lpost_getpc29844:
	s_add_u32 s14, s14, (.LBB2_2346-.Lpost_getpc29844)&4294967295
	s_addc_u32 s15, s15, (.LBB2_2346-.Lpost_getpc29844)>>32
	s_setpc_b64 s[14:15]
.LBB2_16684:
	v_mov_b32_e32 v2, 0
	v_cmp_ne_u16_sdwa s[8:9], v6, v2 src0_sel:BYTE_0 src1_sel:DWORD
	s_andn2_b64 s[4:5], s[4:5], exec
	s_and_b64 s[8:9], s[8:9], exec
	s_or_b64 s[4:5], s[4:5], s[8:9]
	s_or_b64 exec, exec, s[6:7]
	s_and_saveexec_b64 s[6:7], s[4:5]
	s_cbranch_execz .LBB2_29845
; %bb.52523:
	s_getpc_b64 s[14:15]
.Lpost_getpc29845:
	s_add_u32 s14, s14, (.LBB2_2347-.Lpost_getpc29845)&4294967295
	s_addc_u32 s15, s15, (.LBB2_2347-.Lpost_getpc29845)>>32
	s_setpc_b64 s[14:15]
.LBB2_29845:
	s_getpc_b64 s[14:15]
.Lpost_getpc18506:
	s_add_u32 s14, s14, (.LBB2_2348-.Lpost_getpc18506)&4294967295
	s_addc_u32 s15, s15, (.LBB2_2348-.Lpost_getpc18506)>>32
	s_setpc_b64 s[14:15]
.LBB2_16685:
	s_movk_i32 s4, 0x80
	v_cmp_eq_u16_sdwa s[12:13], v6, s4 src0_sel:BYTE_0 src1_sel:DWORD
	s_mov_b64 s[4:5], -1
                                        ; implicit-def: $sgpr10
	s_and_saveexec_b64 s[8:9], s[12:13]
; %bb.16686:
	s_mov_b32 s10, 0x7f800001
	s_xor_b64 s[4:5], exec, -1
; %bb.16687:
	s_or_b64 exec, exec, s[8:9]
	s_and_b64 s[4:5], s[4:5], exec
	s_or_saveexec_b64 s[6:7], s[6:7]
	v_mov_b32_e32 v12, s10
	s_xor_b64 exec, exec, s[6:7]
	s_cbranch_execnz .LBB2_16688
; %bb.52525:
	s_getpc_b64 s[14:15]
.Lpost_getpc29846:
	s_add_u32 s14, s14, (.LBB2_2350-.Lpost_getpc29846)&4294967295
	s_addc_u32 s15, s15, (.LBB2_2350-.Lpost_getpc29846)>>32
	s_setpc_b64 s[14:15]
.LBB2_16688:
	v_mov_b32_e32 v12, 0
	v_cmp_ne_u16_sdwa s[8:9], v6, v12 src0_sel:BYTE_0 src1_sel:DWORD
	s_andn2_b64 s[4:5], s[4:5], exec
	s_and_b64 s[8:9], s[8:9], exec
	s_or_b64 s[4:5], s[4:5], s[8:9]
	s_or_b64 exec, exec, s[6:7]
	s_and_saveexec_b64 s[6:7], s[4:5]
	s_cbranch_execz .LBB2_29847
; %bb.52527:
	s_getpc_b64 s[14:15]
.Lpost_getpc29847:
	s_add_u32 s14, s14, (.LBB2_2351-.Lpost_getpc29847)&4294967295
	s_addc_u32 s15, s15, (.LBB2_2351-.Lpost_getpc29847)>>32
	s_setpc_b64 s[14:15]
.LBB2_29847:
	s_getpc_b64 s[14:15]
.Lpost_getpc18507:
	s_add_u32 s14, s14, (.LBB2_2352-.Lpost_getpc18507)&4294967295
	s_addc_u32 s15, s15, (.LBB2_2352-.Lpost_getpc18507)>>32
	s_setpc_b64 s[14:15]
.LBB2_16689:
	s_movk_i32 s4, 0x80
	v_cmp_eq_u16_e32 vcc, s4, v6
	s_mov_b64 s[4:5], -1
                                        ; implicit-def: $sgpr10
	s_and_saveexec_b64 s[8:9], vcc
; %bb.16690:
	s_mov_b32 s10, 0x7f800001
	s_xor_b64 s[4:5], exec, -1
; %bb.16691:
	s_or_b64 exec, exec, s[8:9]
	s_and_b64 s[4:5], s[4:5], exec
                                        ; implicit-def: $vgpr6
	s_or_saveexec_b64 s[6:7], s[6:7]
	v_mov_b32_e32 v2, s10
	s_xor_b64 exec, exec, s[6:7]
	s_cbranch_execnz .LBB2_16692
; %bb.52529:
	s_getpc_b64 s[14:15]
.Lpost_getpc29848:
	s_add_u32 s14, s14, (.LBB2_2354-.Lpost_getpc29848)&4294967295
	s_addc_u32 s15, s15, (.LBB2_2354-.Lpost_getpc29848)>>32
	s_setpc_b64 s[14:15]
.LBB2_16692:
	v_cmp_ne_u16_e32 vcc, 0, v6
	s_andn2_b64 s[4:5], s[4:5], exec
	s_and_b64 s[8:9], vcc, exec
	v_mov_b32_e32 v2, 0
	s_or_b64 s[4:5], s[4:5], s[8:9]
	s_or_b64 exec, exec, s[6:7]
	s_and_saveexec_b64 s[6:7], s[4:5]
	s_cbranch_execz .LBB2_29849
; %bb.52531:
	s_getpc_b64 s[14:15]
.Lpost_getpc29849:
	s_add_u32 s14, s14, (.LBB2_2355-.Lpost_getpc29849)&4294967295
	s_addc_u32 s15, s15, (.LBB2_2355-.Lpost_getpc29849)>>32
	s_setpc_b64 s[14:15]
.LBB2_29849:
	s_getpc_b64 s[14:15]
.Lpost_getpc18508:
	s_add_u32 s14, s14, (.LBB2_2356-.Lpost_getpc18508)&4294967295
	s_addc_u32 s15, s15, (.LBB2_2356-.Lpost_getpc18508)>>32
	s_setpc_b64 s[14:15]
.LBB2_16693:
	s_movk_i32 s4, 0x80
	v_cmp_eq_u16_e32 vcc, s4, v6
	s_mov_b64 s[4:5], -1
                                        ; implicit-def: $sgpr10
	s_and_saveexec_b64 s[8:9], vcc
; %bb.16694:
	s_mov_b32 s10, 0x7f800001
	s_xor_b64 s[4:5], exec, -1
; %bb.16695:
	s_or_b64 exec, exec, s[8:9]
	s_and_b64 s[4:5], s[4:5], exec
                                        ; implicit-def: $vgpr6
	s_or_saveexec_b64 s[6:7], s[6:7]
	v_mov_b32_e32 v12, s10
	s_xor_b64 exec, exec, s[6:7]
	s_cbranch_execnz .LBB2_16696
; %bb.52533:
	s_getpc_b64 s[14:15]
.Lpost_getpc29850:
	s_add_u32 s14, s14, (.LBB2_2358-.Lpost_getpc29850)&4294967295
	s_addc_u32 s15, s15, (.LBB2_2358-.Lpost_getpc29850)>>32
	s_setpc_b64 s[14:15]
.LBB2_16696:
	v_cmp_ne_u16_e32 vcc, 0, v6
	s_andn2_b64 s[4:5], s[4:5], exec
	s_and_b64 s[8:9], vcc, exec
	v_mov_b32_e32 v12, 0
	s_or_b64 s[4:5], s[4:5], s[8:9]
	s_or_b64 exec, exec, s[6:7]
	s_and_saveexec_b64 s[6:7], s[4:5]
	s_cbranch_execz .LBB2_29851
; %bb.52535:
	s_getpc_b64 s[14:15]
.Lpost_getpc29851:
	s_add_u32 s14, s14, (.LBB2_2359-.Lpost_getpc29851)&4294967295
	s_addc_u32 s15, s15, (.LBB2_2359-.Lpost_getpc29851)>>32
	s_setpc_b64 s[14:15]
.LBB2_29851:
	s_getpc_b64 s[14:15]
.Lpost_getpc18509:
	s_add_u32 s14, s14, (.LBB2_2360-.Lpost_getpc18509)&4294967295
	s_addc_u32 s15, s15, (.LBB2_2360-.Lpost_getpc18509)>>32
	s_setpc_b64 s[14:15]
.LBB2_16697:
	s_movk_i32 s4, 0x80
	v_cmp_eq_u16_sdwa s[12:13], v7, s4 src0_sel:BYTE_3 src1_sel:DWORD
	s_mov_b64 s[4:5], -1
                                        ; implicit-def: $sgpr10
	s_and_saveexec_b64 s[8:9], s[12:13]
; %bb.16698:
	s_mov_b32 s10, 0x7f800001
	s_xor_b64 s[4:5], exec, -1
; %bb.16699:
	s_or_b64 exec, exec, s[8:9]
	s_and_b64 s[4:5], s[4:5], exec
	s_or_saveexec_b64 s[6:7], s[6:7]
	v_mov_b32_e32 v2, s10
	s_xor_b64 exec, exec, s[6:7]
	s_cbranch_execnz .LBB2_16700
; %bb.52537:
	s_getpc_b64 s[14:15]
.Lpost_getpc29852:
	s_add_u32 s14, s14, (.LBB2_2362-.Lpost_getpc29852)&4294967295
	s_addc_u32 s15, s15, (.LBB2_2362-.Lpost_getpc29852)>>32
	s_setpc_b64 s[14:15]
.LBB2_16700:
	v_mov_b32_e32 v2, 0
	v_cmp_ne_u16_sdwa s[8:9], v7, v2 src0_sel:BYTE_3 src1_sel:DWORD
	s_andn2_b64 s[4:5], s[4:5], exec
	s_and_b64 s[8:9], s[8:9], exec
	s_or_b64 s[4:5], s[4:5], s[8:9]
	s_or_b64 exec, exec, s[6:7]
	s_and_saveexec_b64 s[6:7], s[4:5]
	s_cbranch_execz .LBB2_29853
; %bb.52539:
	s_getpc_b64 s[14:15]
.Lpost_getpc29853:
	s_add_u32 s14, s14, (.LBB2_2363-.Lpost_getpc29853)&4294967295
	s_addc_u32 s15, s15, (.LBB2_2363-.Lpost_getpc29853)>>32
	s_setpc_b64 s[14:15]
.LBB2_29853:
	s_getpc_b64 s[14:15]
.Lpost_getpc18510:
	s_add_u32 s14, s14, (.LBB2_2364-.Lpost_getpc18510)&4294967295
	s_addc_u32 s15, s15, (.LBB2_2364-.Lpost_getpc18510)>>32
	s_setpc_b64 s[14:15]
.LBB2_16701:
	s_movk_i32 s4, 0x80
	v_cmp_eq_u16_sdwa s[12:13], v3, s4 src0_sel:BYTE_3 src1_sel:DWORD
	s_mov_b64 s[4:5], -1
                                        ; implicit-def: $sgpr10
	s_and_saveexec_b64 s[8:9], s[12:13]
; %bb.16702:
	s_mov_b32 s10, 0x7f800001
	s_xor_b64 s[4:5], exec, -1
; %bb.16703:
	s_or_b64 exec, exec, s[8:9]
	s_and_b64 s[4:5], s[4:5], exec
	s_or_saveexec_b64 s[6:7], s[6:7]
	v_mov_b32_e32 v6, s10
	s_xor_b64 exec, exec, s[6:7]
	s_cbranch_execnz .LBB2_16704
; %bb.52541:
	s_getpc_b64 s[14:15]
.Lpost_getpc29854:
	s_add_u32 s14, s14, (.LBB2_2366-.Lpost_getpc29854)&4294967295
	s_addc_u32 s15, s15, (.LBB2_2366-.Lpost_getpc29854)>>32
	s_setpc_b64 s[14:15]
.LBB2_16704:
	v_mov_b32_e32 v6, 0
	v_cmp_ne_u16_sdwa s[8:9], v3, v6 src0_sel:BYTE_3 src1_sel:DWORD
	s_andn2_b64 s[4:5], s[4:5], exec
	s_and_b64 s[8:9], s[8:9], exec
	s_or_b64 s[4:5], s[4:5], s[8:9]
	s_or_b64 exec, exec, s[6:7]
	s_and_saveexec_b64 s[6:7], s[4:5]
	s_cbranch_execz .LBB2_29855
; %bb.52543:
	s_getpc_b64 s[14:15]
.Lpost_getpc29855:
	s_add_u32 s14, s14, (.LBB2_2367-.Lpost_getpc29855)&4294967295
	s_addc_u32 s15, s15, (.LBB2_2367-.Lpost_getpc29855)>>32
	s_setpc_b64 s[14:15]
.LBB2_29855:
	s_getpc_b64 s[14:15]
.Lpost_getpc18511:
	s_add_u32 s14, s14, (.LBB2_2368-.Lpost_getpc18511)&4294967295
	s_addc_u32 s15, s15, (.LBB2_2368-.Lpost_getpc18511)>>32
	s_setpc_b64 s[14:15]
.LBB2_16705:
	s_movk_i32 s4, 0x80
	v_cmp_eq_u16_sdwa s[12:13], v8, s4 src0_sel:BYTE_0 src1_sel:DWORD
	s_mov_b64 s[4:5], -1
                                        ; implicit-def: $sgpr10
	s_and_saveexec_b64 s[8:9], s[12:13]
; %bb.16706:
	s_mov_b32 s10, 0x7f800001
	s_xor_b64 s[4:5], exec, -1
; %bb.16707:
	s_or_b64 exec, exec, s[8:9]
	s_and_b64 s[4:5], s[4:5], exec
	s_or_saveexec_b64 s[6:7], s[6:7]
	v_mov_b32_e32 v2, s10
	s_xor_b64 exec, exec, s[6:7]
	s_cbranch_execnz .LBB2_16708
; %bb.52545:
	s_getpc_b64 s[14:15]
.Lpost_getpc29856:
	s_add_u32 s14, s14, (.LBB2_2370-.Lpost_getpc29856)&4294967295
	s_addc_u32 s15, s15, (.LBB2_2370-.Lpost_getpc29856)>>32
	s_setpc_b64 s[14:15]
.LBB2_16708:
	v_mov_b32_e32 v2, 0
	v_cmp_ne_u16_sdwa s[8:9], v8, v2 src0_sel:BYTE_0 src1_sel:DWORD
	s_andn2_b64 s[4:5], s[4:5], exec
	s_and_b64 s[8:9], s[8:9], exec
	s_or_b64 s[4:5], s[4:5], s[8:9]
	s_or_b64 exec, exec, s[6:7]
	s_and_saveexec_b64 s[6:7], s[4:5]
	s_cbranch_execz .LBB2_29857
; %bb.52547:
	s_getpc_b64 s[14:15]
.Lpost_getpc29857:
	s_add_u32 s14, s14, (.LBB2_2371-.Lpost_getpc29857)&4294967295
	s_addc_u32 s15, s15, (.LBB2_2371-.Lpost_getpc29857)>>32
	s_setpc_b64 s[14:15]
.LBB2_29857:
	s_getpc_b64 s[14:15]
.Lpost_getpc18512:
	s_add_u32 s14, s14, (.LBB2_2372-.Lpost_getpc18512)&4294967295
	s_addc_u32 s15, s15, (.LBB2_2372-.Lpost_getpc18512)>>32
	s_setpc_b64 s[14:15]
.LBB2_16709:
	s_movk_i32 s4, 0x80
	v_cmp_eq_u16_sdwa s[12:13], v4, s4 src0_sel:BYTE_0 src1_sel:DWORD
	s_mov_b64 s[4:5], -1
                                        ; implicit-def: $sgpr10
	s_and_saveexec_b64 s[8:9], s[12:13]
; %bb.16710:
	s_mov_b32 s10, 0x7f800001
	s_xor_b64 s[4:5], exec, -1
; %bb.16711:
	s_or_b64 exec, exec, s[8:9]
	s_and_b64 s[4:5], s[4:5], exec
	s_or_saveexec_b64 s[6:7], s[6:7]
	v_mov_b32_e32 v3, s10
	s_xor_b64 exec, exec, s[6:7]
	s_cbranch_execnz .LBB2_16712
; %bb.52549:
	s_getpc_b64 s[14:15]
.Lpost_getpc29858:
	s_add_u32 s14, s14, (.LBB2_2374-.Lpost_getpc29858)&4294967295
	s_addc_u32 s15, s15, (.LBB2_2374-.Lpost_getpc29858)>>32
	s_setpc_b64 s[14:15]
.LBB2_16712:
	v_mov_b32_e32 v3, 0
	v_cmp_ne_u16_sdwa s[8:9], v4, v3 src0_sel:BYTE_0 src1_sel:DWORD
	s_andn2_b64 s[4:5], s[4:5], exec
	s_and_b64 s[8:9], s[8:9], exec
	s_or_b64 s[4:5], s[4:5], s[8:9]
	s_or_b64 exec, exec, s[6:7]
	s_and_saveexec_b64 s[6:7], s[4:5]
	s_cbranch_execz .LBB2_29859
; %bb.52551:
	s_getpc_b64 s[14:15]
.Lpost_getpc29859:
	s_add_u32 s14, s14, (.LBB2_2375-.Lpost_getpc29859)&4294967295
	s_addc_u32 s15, s15, (.LBB2_2375-.Lpost_getpc29859)>>32
	s_setpc_b64 s[14:15]
.LBB2_29859:
	s_getpc_b64 s[14:15]
.Lpost_getpc18513:
	s_add_u32 s14, s14, (.LBB2_2376-.Lpost_getpc18513)&4294967295
	s_addc_u32 s15, s15, (.LBB2_2376-.Lpost_getpc18513)>>32
	s_setpc_b64 s[14:15]
.LBB2_16713:
	s_movk_i32 s4, 0x80
	v_cmp_eq_u16_sdwa s[12:13], v3, s4 src0_sel:BYTE_0 src1_sel:DWORD
	s_mov_b64 s[4:5], -1
                                        ; implicit-def: $sgpr10
	s_and_saveexec_b64 s[8:9], s[12:13]
; %bb.16714:
	s_mov_b32 s10, 0x7f800001
	s_xor_b64 s[4:5], exec, -1
; %bb.16715:
	s_or_b64 exec, exec, s[8:9]
	s_and_b64 s[4:5], s[4:5], exec
	s_or_saveexec_b64 s[6:7], s[6:7]
	v_mov_b32_e32 v2, s10
	s_xor_b64 exec, exec, s[6:7]
	s_cbranch_execnz .LBB2_16716
; %bb.52553:
	s_getpc_b64 s[14:15]
.Lpost_getpc29860:
	s_add_u32 s14, s14, (.LBB2_2378-.Lpost_getpc29860)&4294967295
	s_addc_u32 s15, s15, (.LBB2_2378-.Lpost_getpc29860)>>32
	s_setpc_b64 s[14:15]
.LBB2_16716:
	v_mov_b32_e32 v2, 0
	v_cmp_ne_u16_sdwa s[8:9], v3, v2 src0_sel:BYTE_0 src1_sel:DWORD
	s_andn2_b64 s[4:5], s[4:5], exec
	s_and_b64 s[8:9], s[8:9], exec
	s_or_b64 s[4:5], s[4:5], s[8:9]
	s_or_b64 exec, exec, s[6:7]
	s_and_saveexec_b64 s[6:7], s[4:5]
	s_cbranch_execz .LBB2_29861
; %bb.52555:
	s_getpc_b64 s[14:15]
.Lpost_getpc29861:
	s_add_u32 s14, s14, (.LBB2_2379-.Lpost_getpc29861)&4294967295
	s_addc_u32 s15, s15, (.LBB2_2379-.Lpost_getpc29861)>>32
	s_setpc_b64 s[14:15]
.LBB2_29861:
	s_getpc_b64 s[14:15]
.Lpost_getpc18514:
	s_add_u32 s14, s14, (.LBB2_2380-.Lpost_getpc18514)&4294967295
	s_addc_u32 s15, s15, (.LBB2_2380-.Lpost_getpc18514)>>32
	s_setpc_b64 s[14:15]
.LBB2_16717:
	s_movk_i32 s4, 0x80
	v_cmp_eq_u16_sdwa s[12:13], v3, s4 src0_sel:BYTE_0 src1_sel:DWORD
	s_mov_b64 s[4:5], -1
                                        ; implicit-def: $sgpr10
	s_and_saveexec_b64 s[8:9], s[12:13]
; %bb.16718:
	s_mov_b32 s10, 0x7f800001
	s_xor_b64 s[4:5], exec, -1
; %bb.16719:
	s_or_b64 exec, exec, s[8:9]
	s_and_b64 s[4:5], s[4:5], exec
	s_or_saveexec_b64 s[6:7], s[6:7]
	v_mov_b32_e32 v6, s10
	s_xor_b64 exec, exec, s[6:7]
	s_cbranch_execnz .LBB2_16720
; %bb.52557:
	s_getpc_b64 s[14:15]
.Lpost_getpc29862:
	s_add_u32 s14, s14, (.LBB2_2382-.Lpost_getpc29862)&4294967295
	s_addc_u32 s15, s15, (.LBB2_2382-.Lpost_getpc29862)>>32
	s_setpc_b64 s[14:15]
.LBB2_16720:
	v_mov_b32_e32 v6, 0
	v_cmp_ne_u16_sdwa s[8:9], v3, v6 src0_sel:BYTE_0 src1_sel:DWORD
	s_andn2_b64 s[4:5], s[4:5], exec
	s_and_b64 s[8:9], s[8:9], exec
	s_or_b64 s[4:5], s[4:5], s[8:9]
	s_or_b64 exec, exec, s[6:7]
	s_and_saveexec_b64 s[6:7], s[4:5]
	s_cbranch_execz .LBB2_29863
; %bb.52559:
	s_getpc_b64 s[14:15]
.Lpost_getpc29863:
	s_add_u32 s14, s14, (.LBB2_2383-.Lpost_getpc29863)&4294967295
	s_addc_u32 s15, s15, (.LBB2_2383-.Lpost_getpc29863)>>32
	s_setpc_b64 s[14:15]
.LBB2_29863:
	s_getpc_b64 s[14:15]
.Lpost_getpc18515:
	s_add_u32 s14, s14, (.LBB2_2384-.Lpost_getpc18515)&4294967295
	s_addc_u32 s15, s15, (.LBB2_2384-.Lpost_getpc18515)>>32
	s_setpc_b64 s[14:15]
.LBB2_16721:
	s_movk_i32 s4, 0x80
	v_cmp_eq_u16_e32 vcc, s4, v3
	s_mov_b64 s[4:5], -1
                                        ; implicit-def: $sgpr10
	s_and_saveexec_b64 s[8:9], vcc
; %bb.16722:
	s_mov_b32 s10, 0x7f800001
	s_xor_b64 s[4:5], exec, -1
; %bb.16723:
	s_or_b64 exec, exec, s[8:9]
	s_and_b64 s[4:5], s[4:5], exec
                                        ; implicit-def: $vgpr3
	s_or_saveexec_b64 s[6:7], s[6:7]
	v_mov_b32_e32 v2, s10
	s_xor_b64 exec, exec, s[6:7]
	s_cbranch_execnz .LBB2_16724
; %bb.52561:
	s_getpc_b64 s[14:15]
.Lpost_getpc29864:
	s_add_u32 s14, s14, (.LBB2_2386-.Lpost_getpc29864)&4294967295
	s_addc_u32 s15, s15, (.LBB2_2386-.Lpost_getpc29864)>>32
	s_setpc_b64 s[14:15]
.LBB2_16724:
	v_cmp_ne_u16_e32 vcc, 0, v3
	s_andn2_b64 s[4:5], s[4:5], exec
	s_and_b64 s[8:9], vcc, exec
	v_mov_b32_e32 v2, 0
	s_or_b64 s[4:5], s[4:5], s[8:9]
	s_or_b64 exec, exec, s[6:7]
	s_and_saveexec_b64 s[6:7], s[4:5]
	s_cbranch_execz .LBB2_29865
; %bb.52563:
	s_getpc_b64 s[14:15]
.Lpost_getpc29865:
	s_add_u32 s14, s14, (.LBB2_2387-.Lpost_getpc29865)&4294967295
	s_addc_u32 s15, s15, (.LBB2_2387-.Lpost_getpc29865)>>32
	s_setpc_b64 s[14:15]
.LBB2_29865:
	s_getpc_b64 s[14:15]
.Lpost_getpc18516:
	s_add_u32 s14, s14, (.LBB2_2388-.Lpost_getpc18516)&4294967295
	s_addc_u32 s15, s15, (.LBB2_2388-.Lpost_getpc18516)>>32
	s_setpc_b64 s[14:15]
.LBB2_16725:
	s_movk_i32 s4, 0x80
	v_cmp_eq_u16_e32 vcc, s4, v3
	s_mov_b64 s[4:5], -1
                                        ; implicit-def: $sgpr10
	s_and_saveexec_b64 s[8:9], vcc
; %bb.16726:
	s_mov_b32 s10, 0x7f800001
	s_xor_b64 s[4:5], exec, -1
; %bb.16727:
	s_or_b64 exec, exec, s[8:9]
	s_and_b64 s[4:5], s[4:5], exec
                                        ; implicit-def: $vgpr3
	s_or_saveexec_b64 s[6:7], s[6:7]
	v_mov_b32_e32 v6, s10
	s_xor_b64 exec, exec, s[6:7]
	s_cbranch_execnz .LBB2_16728
; %bb.52565:
	s_getpc_b64 s[14:15]
.Lpost_getpc29866:
	s_add_u32 s14, s14, (.LBB2_2390-.Lpost_getpc29866)&4294967295
	s_addc_u32 s15, s15, (.LBB2_2390-.Lpost_getpc29866)>>32
	s_setpc_b64 s[14:15]
.LBB2_16728:
	v_cmp_ne_u16_e32 vcc, 0, v3
	s_andn2_b64 s[4:5], s[4:5], exec
	s_and_b64 s[8:9], vcc, exec
	v_mov_b32_e32 v6, 0
	s_or_b64 s[4:5], s[4:5], s[8:9]
	s_or_b64 exec, exec, s[6:7]
	s_and_saveexec_b64 s[6:7], s[4:5]
	s_cbranch_execz .LBB2_29867
; %bb.52567:
	s_getpc_b64 s[14:15]
.Lpost_getpc29867:
	s_add_u32 s14, s14, (.LBB2_2391-.Lpost_getpc29867)&4294967295
	s_addc_u32 s15, s15, (.LBB2_2391-.Lpost_getpc29867)>>32
	s_setpc_b64 s[14:15]
.LBB2_29867:
	s_getpc_b64 s[14:15]
.Lpost_getpc18517:
	s_add_u32 s14, s14, (.LBB2_2392-.Lpost_getpc18517)&4294967295
	s_addc_u32 s15, s15, (.LBB2_2392-.Lpost_getpc18517)>>32
	s_setpc_b64 s[14:15]
.LBB2_16729:
	s_movk_i32 s4, 0x80
	v_cmp_eq_u16_sdwa s[12:13], v8, s4 src0_sel:BYTE_3 src1_sel:DWORD
	s_mov_b64 s[4:5], -1
                                        ; implicit-def: $sgpr10
	s_and_saveexec_b64 s[8:9], s[12:13]
; %bb.16730:
	s_mov_b32 s10, 0x7f800001
	s_xor_b64 s[4:5], exec, -1
; %bb.16731:
	s_or_b64 exec, exec, s[8:9]
	s_and_b64 s[4:5], s[4:5], exec
	s_or_saveexec_b64 s[6:7], s[6:7]
	v_mov_b32_e32 v2, s10
	s_xor_b64 exec, exec, s[6:7]
	s_cbranch_execnz .LBB2_16732
; %bb.52569:
	s_getpc_b64 s[14:15]
.Lpost_getpc29868:
	s_add_u32 s14, s14, (.LBB2_2394-.Lpost_getpc29868)&4294967295
	s_addc_u32 s15, s15, (.LBB2_2394-.Lpost_getpc29868)>>32
	s_setpc_b64 s[14:15]
.LBB2_16732:
	v_mov_b32_e32 v2, 0
	v_cmp_ne_u16_sdwa s[8:9], v8, v2 src0_sel:BYTE_3 src1_sel:DWORD
	s_andn2_b64 s[4:5], s[4:5], exec
	s_and_b64 s[8:9], s[8:9], exec
	s_or_b64 s[4:5], s[4:5], s[8:9]
	s_or_b64 exec, exec, s[6:7]
	s_and_saveexec_b64 s[6:7], s[4:5]
	s_cbranch_execz .LBB2_29869
; %bb.52571:
	s_getpc_b64 s[14:15]
.Lpost_getpc29869:
	s_add_u32 s14, s14, (.LBB2_2395-.Lpost_getpc29869)&4294967295
	s_addc_u32 s15, s15, (.LBB2_2395-.Lpost_getpc29869)>>32
	s_setpc_b64 s[14:15]
.LBB2_29869:
	s_getpc_b64 s[14:15]
.Lpost_getpc18518:
	s_add_u32 s14, s14, (.LBB2_2396-.Lpost_getpc18518)&4294967295
	s_addc_u32 s15, s15, (.LBB2_2396-.Lpost_getpc18518)>>32
	s_setpc_b64 s[14:15]
.LBB2_16733:
	s_movk_i32 s4, 0x80
	v_cmp_eq_u16_sdwa s[12:13], v4, s4 src0_sel:BYTE_3 src1_sel:DWORD
	s_mov_b64 s[4:5], -1
                                        ; implicit-def: $sgpr10
	s_and_saveexec_b64 s[8:9], s[12:13]
; %bb.16734:
	s_mov_b32 s10, 0x7f800001
	s_xor_b64 s[4:5], exec, -1
; %bb.16735:
	s_or_b64 exec, exec, s[8:9]
	s_and_b64 s[4:5], s[4:5], exec
	s_or_saveexec_b64 s[6:7], s[6:7]
	v_mov_b32_e32 v3, s10
	s_xor_b64 exec, exec, s[6:7]
	s_cbranch_execnz .LBB2_16736
; %bb.52573:
	s_getpc_b64 s[14:15]
.Lpost_getpc29870:
	s_add_u32 s14, s14, (.LBB2_2398-.Lpost_getpc29870)&4294967295
	s_addc_u32 s15, s15, (.LBB2_2398-.Lpost_getpc29870)>>32
	s_setpc_b64 s[14:15]
.LBB2_16736:
	v_mov_b32_e32 v3, 0
	v_cmp_ne_u16_sdwa s[8:9], v4, v3 src0_sel:BYTE_3 src1_sel:DWORD
	s_andn2_b64 s[4:5], s[4:5], exec
	s_and_b64 s[8:9], s[8:9], exec
	s_or_b64 s[4:5], s[4:5], s[8:9]
	s_or_b64 exec, exec, s[6:7]
	s_and_saveexec_b64 s[6:7], s[4:5]
	s_cbranch_execz .LBB2_29871
; %bb.52575:
	s_getpc_b64 s[14:15]
.Lpost_getpc29871:
	s_add_u32 s14, s14, (.LBB2_2399-.Lpost_getpc29871)&4294967295
	s_addc_u32 s15, s15, (.LBB2_2399-.Lpost_getpc29871)>>32
	s_setpc_b64 s[14:15]
.LBB2_29871:
	s_getpc_b64 s[14:15]
.Lpost_getpc18519:
	s_add_u32 s14, s14, (.LBB2_2400-.Lpost_getpc18519)&4294967295
	s_addc_u32 s15, s15, (.LBB2_2400-.Lpost_getpc18519)>>32
	s_setpc_b64 s[14:15]
.LBB2_16737:
	s_movk_i32 s4, 0x80
	v_cmp_eq_u16_sdwa s[12:13], v9, s4 src0_sel:BYTE_0 src1_sel:DWORD
	s_mov_b64 s[4:5], -1
                                        ; implicit-def: $sgpr10
	s_and_saveexec_b64 s[8:9], s[12:13]
; %bb.16738:
	s_mov_b32 s10, 0x7f800001
	s_xor_b64 s[4:5], exec, -1
; %bb.16739:
	s_or_b64 exec, exec, s[8:9]
	s_and_b64 s[4:5], s[4:5], exec
	s_or_saveexec_b64 s[6:7], s[6:7]
	v_mov_b32_e32 v2, s10
	s_xor_b64 exec, exec, s[6:7]
	s_cbranch_execnz .LBB2_16740
; %bb.52577:
	s_getpc_b64 s[14:15]
.Lpost_getpc29872:
	s_add_u32 s14, s14, (.LBB2_2402-.Lpost_getpc29872)&4294967295
	s_addc_u32 s15, s15, (.LBB2_2402-.Lpost_getpc29872)>>32
	s_setpc_b64 s[14:15]
.LBB2_16740:
	v_mov_b32_e32 v2, 0
	v_cmp_ne_u16_sdwa s[8:9], v9, v2 src0_sel:BYTE_0 src1_sel:DWORD
	s_andn2_b64 s[4:5], s[4:5], exec
	s_and_b64 s[8:9], s[8:9], exec
	s_or_b64 s[4:5], s[4:5], s[8:9]
	s_or_b64 exec, exec, s[6:7]
	s_and_saveexec_b64 s[6:7], s[4:5]
	s_cbranch_execz .LBB2_29873
; %bb.52579:
	s_getpc_b64 s[14:15]
.Lpost_getpc29873:
	s_add_u32 s14, s14, (.LBB2_2403-.Lpost_getpc29873)&4294967295
	s_addc_u32 s15, s15, (.LBB2_2403-.Lpost_getpc29873)>>32
	s_setpc_b64 s[14:15]
.LBB2_29873:
	s_getpc_b64 s[14:15]
.Lpost_getpc18520:
	s_add_u32 s14, s14, (.LBB2_2404-.Lpost_getpc18520)&4294967295
	s_addc_u32 s15, s15, (.LBB2_2404-.Lpost_getpc18520)>>32
	s_setpc_b64 s[14:15]
.LBB2_16741:
	s_movk_i32 s4, 0x80
	v_cmp_eq_u16_sdwa s[12:13], v5, s4 src0_sel:BYTE_0 src1_sel:DWORD
	s_mov_b64 s[4:5], -1
                                        ; implicit-def: $sgpr10
	s_and_saveexec_b64 s[8:9], s[12:13]
; %bb.16742:
	s_mov_b32 s10, 0x7f800001
	s_xor_b64 s[4:5], exec, -1
; %bb.16743:
	s_or_b64 exec, exec, s[8:9]
	s_and_b64 s[4:5], s[4:5], exec
	s_or_saveexec_b64 s[6:7], s[6:7]
	v_mov_b32_e32 v3, s10
	s_xor_b64 exec, exec, s[6:7]
	s_cbranch_execnz .LBB2_16744
; %bb.52581:
	s_getpc_b64 s[14:15]
.Lpost_getpc29874:
	s_add_u32 s14, s14, (.LBB2_2406-.Lpost_getpc29874)&4294967295
	s_addc_u32 s15, s15, (.LBB2_2406-.Lpost_getpc29874)>>32
	s_setpc_b64 s[14:15]
.LBB2_16744:
	v_mov_b32_e32 v3, 0
	v_cmp_ne_u16_sdwa s[8:9], v5, v3 src0_sel:BYTE_0 src1_sel:DWORD
	s_andn2_b64 s[4:5], s[4:5], exec
	s_and_b64 s[8:9], s[8:9], exec
	s_or_b64 s[4:5], s[4:5], s[8:9]
	s_or_b64 exec, exec, s[6:7]
	s_and_saveexec_b64 s[6:7], s[4:5]
	s_cbranch_execz .LBB2_29875
; %bb.52583:
	s_getpc_b64 s[14:15]
.Lpost_getpc29875:
	s_add_u32 s14, s14, (.LBB2_2407-.Lpost_getpc29875)&4294967295
	s_addc_u32 s15, s15, (.LBB2_2407-.Lpost_getpc29875)>>32
	s_setpc_b64 s[14:15]
.LBB2_29875:
	s_getpc_b64 s[14:15]
.Lpost_getpc18521:
	s_add_u32 s14, s14, (.LBB2_2408-.Lpost_getpc18521)&4294967295
	s_addc_u32 s15, s15, (.LBB2_2408-.Lpost_getpc18521)>>32
	s_setpc_b64 s[14:15]
.LBB2_16745:
	s_movk_i32 s4, 0x80
	v_cmp_eq_u16_sdwa s[12:13], v3, s4 src0_sel:BYTE_0 src1_sel:DWORD
	s_mov_b64 s[4:5], -1
                                        ; implicit-def: $sgpr10
	s_and_saveexec_b64 s[8:9], s[12:13]
; %bb.16746:
	s_mov_b32 s10, 0x7f800001
	s_xor_b64 s[4:5], exec, -1
; %bb.16747:
	s_or_b64 exec, exec, s[8:9]
	s_and_b64 s[4:5], s[4:5], exec
	s_or_saveexec_b64 s[6:7], s[6:7]
	v_mov_b32_e32 v2, s10
	s_xor_b64 exec, exec, s[6:7]
	s_cbranch_execnz .LBB2_16748
; %bb.52585:
	s_getpc_b64 s[14:15]
.Lpost_getpc29876:
	s_add_u32 s14, s14, (.LBB2_2410-.Lpost_getpc29876)&4294967295
	s_addc_u32 s15, s15, (.LBB2_2410-.Lpost_getpc29876)>>32
	s_setpc_b64 s[14:15]
.LBB2_16748:
	v_mov_b32_e32 v2, 0
	v_cmp_ne_u16_sdwa s[8:9], v3, v2 src0_sel:BYTE_0 src1_sel:DWORD
	s_andn2_b64 s[4:5], s[4:5], exec
	s_and_b64 s[8:9], s[8:9], exec
	s_or_b64 s[4:5], s[4:5], s[8:9]
	s_or_b64 exec, exec, s[6:7]
	s_and_saveexec_b64 s[6:7], s[4:5]
	s_cbranch_execz .LBB2_29877
; %bb.52587:
	s_getpc_b64 s[14:15]
.Lpost_getpc29877:
	s_add_u32 s14, s14, (.LBB2_2411-.Lpost_getpc29877)&4294967295
	s_addc_u32 s15, s15, (.LBB2_2411-.Lpost_getpc29877)>>32
	s_setpc_b64 s[14:15]
.LBB2_29877:
	s_getpc_b64 s[14:15]
.Lpost_getpc18522:
	s_add_u32 s14, s14, (.LBB2_2412-.Lpost_getpc18522)&4294967295
	s_addc_u32 s15, s15, (.LBB2_2412-.Lpost_getpc18522)>>32
	s_setpc_b64 s[14:15]
.LBB2_16749:
	s_movk_i32 s4, 0x80
	v_cmp_eq_u16_sdwa s[12:13], v3, s4 src0_sel:BYTE_0 src1_sel:DWORD
	s_mov_b64 s[4:5], -1
                                        ; implicit-def: $sgpr10
	s_and_saveexec_b64 s[8:9], s[12:13]
; %bb.16750:
	s_mov_b32 s10, 0x7f800001
	s_xor_b64 s[4:5], exec, -1
; %bb.16751:
	s_or_b64 exec, exec, s[8:9]
	s_and_b64 s[4:5], s[4:5], exec
	s_or_saveexec_b64 s[6:7], s[6:7]
	v_mov_b32_e32 v4, s10
	s_xor_b64 exec, exec, s[6:7]
	s_cbranch_execnz .LBB2_16752
; %bb.52589:
	s_getpc_b64 s[14:15]
.Lpost_getpc29878:
	s_add_u32 s14, s14, (.LBB2_2414-.Lpost_getpc29878)&4294967295
	s_addc_u32 s15, s15, (.LBB2_2414-.Lpost_getpc29878)>>32
	s_setpc_b64 s[14:15]
.LBB2_16752:
	v_mov_b32_e32 v4, 0
	v_cmp_ne_u16_sdwa s[8:9], v3, v4 src0_sel:BYTE_0 src1_sel:DWORD
	s_andn2_b64 s[4:5], s[4:5], exec
	s_and_b64 s[8:9], s[8:9], exec
	s_or_b64 s[4:5], s[4:5], s[8:9]
	s_or_b64 exec, exec, s[6:7]
	s_and_saveexec_b64 s[6:7], s[4:5]
	s_cbranch_execz .LBB2_29879
; %bb.52591:
	s_getpc_b64 s[14:15]
.Lpost_getpc29879:
	s_add_u32 s14, s14, (.LBB2_2415-.Lpost_getpc29879)&4294967295
	s_addc_u32 s15, s15, (.LBB2_2415-.Lpost_getpc29879)>>32
	s_setpc_b64 s[14:15]
.LBB2_29879:
	s_getpc_b64 s[14:15]
.Lpost_getpc18523:
	s_add_u32 s14, s14, (.LBB2_2416-.Lpost_getpc18523)&4294967295
	s_addc_u32 s15, s15, (.LBB2_2416-.Lpost_getpc18523)>>32
	s_setpc_b64 s[14:15]
.LBB2_16753:
	s_movk_i32 s4, 0x80
	v_cmp_eq_u16_e32 vcc, s4, v3
	s_mov_b64 s[4:5], -1
                                        ; implicit-def: $sgpr10
	s_and_saveexec_b64 s[8:9], vcc
; %bb.16754:
	s_mov_b32 s10, 0x7f800001
	s_xor_b64 s[4:5], exec, -1
; %bb.16755:
	s_or_b64 exec, exec, s[8:9]
	s_and_b64 s[4:5], s[4:5], exec
                                        ; implicit-def: $vgpr3
	s_or_saveexec_b64 s[6:7], s[6:7]
	v_mov_b32_e32 v2, s10
	s_xor_b64 exec, exec, s[6:7]
	s_cbranch_execnz .LBB2_16756
; %bb.52593:
	s_getpc_b64 s[14:15]
.Lpost_getpc29880:
	s_add_u32 s14, s14, (.LBB2_2418-.Lpost_getpc29880)&4294967295
	s_addc_u32 s15, s15, (.LBB2_2418-.Lpost_getpc29880)>>32
	s_setpc_b64 s[14:15]
.LBB2_16756:
	v_cmp_ne_u16_e32 vcc, 0, v3
	s_andn2_b64 s[4:5], s[4:5], exec
	s_and_b64 s[8:9], vcc, exec
	v_mov_b32_e32 v2, 0
	s_or_b64 s[4:5], s[4:5], s[8:9]
	s_or_b64 exec, exec, s[6:7]
	s_and_saveexec_b64 s[6:7], s[4:5]
	s_cbranch_execz .LBB2_29881
; %bb.52595:
	s_getpc_b64 s[14:15]
.Lpost_getpc29881:
	s_add_u32 s14, s14, (.LBB2_2419-.Lpost_getpc29881)&4294967295
	s_addc_u32 s15, s15, (.LBB2_2419-.Lpost_getpc29881)>>32
	s_setpc_b64 s[14:15]
.LBB2_29881:
	s_getpc_b64 s[14:15]
.Lpost_getpc18524:
	s_add_u32 s14, s14, (.LBB2_2420-.Lpost_getpc18524)&4294967295
	s_addc_u32 s15, s15, (.LBB2_2420-.Lpost_getpc18524)>>32
	s_setpc_b64 s[14:15]
.LBB2_16757:
	s_movk_i32 s4, 0x80
	v_cmp_eq_u16_e32 vcc, s4, v3
	s_mov_b64 s[4:5], -1
                                        ; implicit-def: $sgpr10
	s_and_saveexec_b64 s[8:9], vcc
; %bb.16758:
	s_mov_b32 s10, 0x7f800001
	s_xor_b64 s[4:5], exec, -1
; %bb.16759:
	s_or_b64 exec, exec, s[8:9]
	s_and_b64 s[4:5], s[4:5], exec
                                        ; implicit-def: $vgpr3
	s_or_saveexec_b64 s[6:7], s[6:7]
	v_mov_b32_e32 v4, s10
	s_xor_b64 exec, exec, s[6:7]
	s_cbranch_execnz .LBB2_16760
; %bb.52597:
	s_getpc_b64 s[14:15]
.Lpost_getpc29882:
	s_add_u32 s14, s14, (.LBB2_2422-.Lpost_getpc29882)&4294967295
	s_addc_u32 s15, s15, (.LBB2_2422-.Lpost_getpc29882)>>32
	s_setpc_b64 s[14:15]
.LBB2_16760:
	v_cmp_ne_u16_e32 vcc, 0, v3
	s_andn2_b64 s[4:5], s[4:5], exec
	s_and_b64 s[8:9], vcc, exec
	v_mov_b32_e32 v4, 0
	s_or_b64 s[4:5], s[4:5], s[8:9]
	s_or_b64 exec, exec, s[6:7]
	s_and_saveexec_b64 s[6:7], s[4:5]
	s_cbranch_execz .LBB2_29883
; %bb.52599:
	s_getpc_b64 s[14:15]
.Lpost_getpc29883:
	s_add_u32 s14, s14, (.LBB2_2423-.Lpost_getpc29883)&4294967295
	s_addc_u32 s15, s15, (.LBB2_2423-.Lpost_getpc29883)>>32
	s_setpc_b64 s[14:15]
.LBB2_29883:
	s_getpc_b64 s[14:15]
.Lpost_getpc18525:
	s_add_u32 s14, s14, (.LBB2_2424-.Lpost_getpc18525)&4294967295
	s_addc_u32 s15, s15, (.LBB2_2424-.Lpost_getpc18525)>>32
	s_setpc_b64 s[14:15]
.LBB2_16761:
	s_movk_i32 s4, 0x80
	v_cmp_eq_u16_sdwa s[12:13], v9, s4 src0_sel:BYTE_3 src1_sel:DWORD
	s_mov_b64 s[4:5], -1
                                        ; implicit-def: $sgpr10
	s_and_saveexec_b64 s[8:9], s[12:13]
; %bb.16762:
	s_mov_b32 s10, 0x7f800001
	s_xor_b64 s[4:5], exec, -1
; %bb.16763:
	s_or_b64 exec, exec, s[8:9]
	s_and_b64 s[4:5], s[4:5], exec
	s_or_saveexec_b64 s[6:7], s[6:7]
	v_mov_b32_e32 v2, s10
	s_xor_b64 exec, exec, s[6:7]
	s_cbranch_execnz .LBB2_16764
; %bb.52601:
	s_getpc_b64 s[14:15]
.Lpost_getpc29884:
	s_add_u32 s14, s14, (.LBB2_2426-.Lpost_getpc29884)&4294967295
	s_addc_u32 s15, s15, (.LBB2_2426-.Lpost_getpc29884)>>32
	s_setpc_b64 s[14:15]
.LBB2_16764:
	v_mov_b32_e32 v2, 0
	v_cmp_ne_u16_sdwa s[8:9], v9, v2 src0_sel:BYTE_3 src1_sel:DWORD
	s_andn2_b64 s[4:5], s[4:5], exec
	s_and_b64 s[8:9], s[8:9], exec
	s_or_b64 s[4:5], s[4:5], s[8:9]
	s_or_b64 exec, exec, s[6:7]
	s_and_saveexec_b64 s[6:7], s[4:5]
	s_cbranch_execz .LBB2_29885
; %bb.52603:
	s_getpc_b64 s[14:15]
.Lpost_getpc29885:
	s_add_u32 s14, s14, (.LBB2_2427-.Lpost_getpc29885)&4294967295
	s_addc_u32 s15, s15, (.LBB2_2427-.Lpost_getpc29885)>>32
	s_setpc_b64 s[14:15]
.LBB2_29885:
	s_getpc_b64 s[14:15]
.Lpost_getpc18526:
	s_add_u32 s14, s14, (.LBB2_2428-.Lpost_getpc18526)&4294967295
	s_addc_u32 s15, s15, (.LBB2_2428-.Lpost_getpc18526)>>32
	s_setpc_b64 s[14:15]
.LBB2_16765:
	s_movk_i32 s4, 0x80
	v_cmp_eq_u16_sdwa s[12:13], v5, s4 src0_sel:BYTE_3 src1_sel:DWORD
	s_mov_b64 s[4:5], -1
                                        ; implicit-def: $sgpr10
	s_and_saveexec_b64 s[8:9], s[12:13]
; %bb.16766:
	s_mov_b32 s10, 0x7f800001
	s_xor_b64 s[4:5], exec, -1
; %bb.16767:
	s_or_b64 exec, exec, s[8:9]
	s_and_b64 s[4:5], s[4:5], exec
	s_or_saveexec_b64 s[6:7], s[6:7]
	v_mov_b32_e32 v3, s10
	s_xor_b64 exec, exec, s[6:7]
	s_cbranch_execnz .LBB2_16768
; %bb.52605:
	s_getpc_b64 s[14:15]
.Lpost_getpc29886:
	s_add_u32 s14, s14, (.LBB2_2430-.Lpost_getpc29886)&4294967295
	s_addc_u32 s15, s15, (.LBB2_2430-.Lpost_getpc29886)>>32
	s_setpc_b64 s[14:15]
.LBB2_16768:
	v_mov_b32_e32 v3, 0
	v_cmp_ne_u16_sdwa s[8:9], v5, v3 src0_sel:BYTE_3 src1_sel:DWORD
	s_andn2_b64 s[4:5], s[4:5], exec
	s_and_b64 s[8:9], s[8:9], exec
	s_or_b64 s[4:5], s[4:5], s[8:9]
	s_or_b64 exec, exec, s[6:7]
	s_and_saveexec_b64 s[6:7], s[4:5]
	s_cbranch_execz .LBB2_29887
; %bb.52607:
	s_getpc_b64 s[14:15]
.Lpost_getpc29887:
	s_add_u32 s14, s14, (.LBB2_2431-.Lpost_getpc29887)&4294967295
	s_addc_u32 s15, s15, (.LBB2_2431-.Lpost_getpc29887)>>32
	s_setpc_b64 s[14:15]
.LBB2_29887:
	s_getpc_b64 s[14:15]
.Lpost_getpc18527:
	s_add_u32 s14, s14, (.LBB2_2432-.Lpost_getpc18527)&4294967295
	s_addc_u32 s15, s15, (.LBB2_2432-.Lpost_getpc18527)>>32
	s_setpc_b64 s[14:15]
.LBB2_16769:
	s_movk_i32 s4, 0x80
	v_cmp_eq_u16_sdwa s[12:13], v6, s4 src0_sel:BYTE_0 src1_sel:DWORD
	s_mov_b64 s[4:5], -1
                                        ; implicit-def: $sgpr10
	s_and_saveexec_b64 s[8:9], s[12:13]
; %bb.16770:
	s_mov_b32 s10, 0x7f800001
	s_xor_b64 s[4:5], exec, -1
; %bb.16771:
	s_or_b64 exec, exec, s[8:9]
	s_and_b64 s[4:5], s[4:5], exec
	s_or_saveexec_b64 s[6:7], s[6:7]
	v_mov_b32_e32 v12, s10
	s_xor_b64 exec, exec, s[6:7]
	s_cbranch_execnz .LBB2_16772
; %bb.52609:
	s_getpc_b64 s[14:15]
.Lpost_getpc29888:
	s_add_u32 s14, s14, (.LBB2_2434-.Lpost_getpc29888)&4294967295
	s_addc_u32 s15, s15, (.LBB2_2434-.Lpost_getpc29888)>>32
	s_setpc_b64 s[14:15]
.LBB2_16772:
	v_mov_b32_e32 v12, 0
	v_cmp_ne_u16_sdwa s[8:9], v6, v12 src0_sel:BYTE_0 src1_sel:DWORD
	s_andn2_b64 s[4:5], s[4:5], exec
	s_and_b64 s[8:9], s[8:9], exec
	s_or_b64 s[4:5], s[4:5], s[8:9]
	s_or_b64 exec, exec, s[6:7]
	s_and_saveexec_b64 s[6:7], s[4:5]
	s_cbranch_execz .LBB2_29889
; %bb.52611:
	s_getpc_b64 s[14:15]
.Lpost_getpc29889:
	s_add_u32 s14, s14, (.LBB2_2435-.Lpost_getpc29889)&4294967295
	s_addc_u32 s15, s15, (.LBB2_2435-.Lpost_getpc29889)>>32
	s_setpc_b64 s[14:15]
.LBB2_29889:
	s_getpc_b64 s[14:15]
.Lpost_getpc18528:
	s_add_u32 s14, s14, (.LBB2_2436-.Lpost_getpc18528)&4294967295
	s_addc_u32 s15, s15, (.LBB2_2436-.Lpost_getpc18528)>>32
	s_setpc_b64 s[14:15]
.LBB2_16773:
	s_movk_i32 s4, 0x80
	v_cmp_eq_u16_sdwa s[12:13], v2, s4 src0_sel:BYTE_0 src1_sel:DWORD
	s_mov_b64 s[4:5], -1
                                        ; implicit-def: $sgpr10
	s_and_saveexec_b64 s[8:9], s[12:13]
; %bb.16774:
	s_mov_b32 s10, 0x7f800001
	s_xor_b64 s[4:5], exec, -1
; %bb.16775:
	s_or_b64 exec, exec, s[8:9]
	s_and_b64 s[4:5], s[4:5], exec
	s_or_saveexec_b64 s[6:7], s[6:7]
	v_mov_b32_e32 v13, s10
	s_xor_b64 exec, exec, s[6:7]
	s_cbranch_execnz .LBB2_16776
; %bb.52613:
	s_getpc_b64 s[14:15]
.Lpost_getpc29890:
	s_add_u32 s14, s14, (.LBB2_2438-.Lpost_getpc29890)&4294967295
	s_addc_u32 s15, s15, (.LBB2_2438-.Lpost_getpc29890)>>32
	s_setpc_b64 s[14:15]
.LBB2_16776:
	v_mov_b32_e32 v13, 0
	v_cmp_ne_u16_sdwa s[8:9], v2, v13 src0_sel:BYTE_0 src1_sel:DWORD
	s_andn2_b64 s[4:5], s[4:5], exec
	s_and_b64 s[8:9], s[8:9], exec
	s_or_b64 s[4:5], s[4:5], s[8:9]
	s_or_b64 exec, exec, s[6:7]
	s_and_saveexec_b64 s[6:7], s[4:5]
	s_cbranch_execz .LBB2_29891
; %bb.52615:
	s_getpc_b64 s[14:15]
.Lpost_getpc29891:
	s_add_u32 s14, s14, (.LBB2_2439-.Lpost_getpc29891)&4294967295
	s_addc_u32 s15, s15, (.LBB2_2439-.Lpost_getpc29891)>>32
	s_setpc_b64 s[14:15]
.LBB2_29891:
	s_getpc_b64 s[14:15]
.Lpost_getpc18529:
	s_add_u32 s14, s14, (.LBB2_2440-.Lpost_getpc18529)&4294967295
	s_addc_u32 s15, s15, (.LBB2_2440-.Lpost_getpc18529)>>32
	s_setpc_b64 s[14:15]
.LBB2_16777:
	s_movk_i32 s4, 0x80
	v_cmp_eq_u16_sdwa s[12:13], v13, s4 src0_sel:BYTE_0 src1_sel:DWORD
	s_mov_b64 s[4:5], -1
                                        ; implicit-def: $sgpr10
	s_and_saveexec_b64 s[8:9], s[12:13]
; %bb.16778:
	s_mov_b32 s10, 0x7f800001
	s_xor_b64 s[4:5], exec, -1
; %bb.16779:
	s_or_b64 exec, exec, s[8:9]
	s_and_b64 s[4:5], s[4:5], exec
	s_or_saveexec_b64 s[6:7], s[6:7]
	v_mov_b32_e32 v12, s10
	s_xor_b64 exec, exec, s[6:7]
	s_cbranch_execnz .LBB2_16780
; %bb.52617:
	s_getpc_b64 s[14:15]
.Lpost_getpc29892:
	s_add_u32 s14, s14, (.LBB2_2442-.Lpost_getpc29892)&4294967295
	s_addc_u32 s15, s15, (.LBB2_2442-.Lpost_getpc29892)>>32
	s_setpc_b64 s[14:15]
.LBB2_16780:
	v_mov_b32_e32 v12, 0
	v_cmp_ne_u16_sdwa s[8:9], v13, v12 src0_sel:BYTE_0 src1_sel:DWORD
	s_andn2_b64 s[4:5], s[4:5], exec
	s_and_b64 s[8:9], s[8:9], exec
	s_or_b64 s[4:5], s[4:5], s[8:9]
	s_or_b64 exec, exec, s[6:7]
	s_and_saveexec_b64 s[6:7], s[4:5]
	s_cbranch_execz .LBB2_29893
; %bb.52619:
	s_getpc_b64 s[14:15]
.Lpost_getpc29893:
	s_add_u32 s14, s14, (.LBB2_2443-.Lpost_getpc29893)&4294967295
	s_addc_u32 s15, s15, (.LBB2_2443-.Lpost_getpc29893)>>32
	s_setpc_b64 s[14:15]
.LBB2_29893:
	s_getpc_b64 s[14:15]
.Lpost_getpc18530:
	s_add_u32 s14, s14, (.LBB2_2444-.Lpost_getpc18530)&4294967295
	s_addc_u32 s15, s15, (.LBB2_2444-.Lpost_getpc18530)>>32
	s_setpc_b64 s[14:15]
.LBB2_16781:
	s_movk_i32 s4, 0x80
	v_cmp_eq_u16_sdwa s[12:13], v13, s4 src0_sel:BYTE_0 src1_sel:DWORD
	s_mov_b64 s[4:5], -1
                                        ; implicit-def: $sgpr10
	s_and_saveexec_b64 s[8:9], s[12:13]
; %bb.16782:
	s_mov_b32 s10, 0x7f800001
	s_xor_b64 s[4:5], exec, -1
; %bb.16783:
	s_or_b64 exec, exec, s[8:9]
	s_and_b64 s[4:5], s[4:5], exec
	s_or_saveexec_b64 s[6:7], s[6:7]
	v_mov_b32_e32 v14, s10
	s_xor_b64 exec, exec, s[6:7]
	s_cbranch_execnz .LBB2_16784
; %bb.52621:
	s_getpc_b64 s[14:15]
.Lpost_getpc29894:
	s_add_u32 s14, s14, (.LBB2_2446-.Lpost_getpc29894)&4294967295
	s_addc_u32 s15, s15, (.LBB2_2446-.Lpost_getpc29894)>>32
	s_setpc_b64 s[14:15]
.LBB2_16784:
	v_mov_b32_e32 v14, 0
	v_cmp_ne_u16_sdwa s[8:9], v13, v14 src0_sel:BYTE_0 src1_sel:DWORD
	s_andn2_b64 s[4:5], s[4:5], exec
	s_and_b64 s[8:9], s[8:9], exec
	s_or_b64 s[4:5], s[4:5], s[8:9]
	s_or_b64 exec, exec, s[6:7]
	s_and_saveexec_b64 s[6:7], s[4:5]
	s_cbranch_execz .LBB2_29895
; %bb.52623:
	s_getpc_b64 s[14:15]
.Lpost_getpc29895:
	s_add_u32 s14, s14, (.LBB2_2447-.Lpost_getpc29895)&4294967295
	s_addc_u32 s15, s15, (.LBB2_2447-.Lpost_getpc29895)>>32
	s_setpc_b64 s[14:15]
.LBB2_29895:
	s_getpc_b64 s[14:15]
.Lpost_getpc18531:
	s_add_u32 s14, s14, (.LBB2_2448-.Lpost_getpc18531)&4294967295
	s_addc_u32 s15, s15, (.LBB2_2448-.Lpost_getpc18531)>>32
	s_setpc_b64 s[14:15]
.LBB2_16785:
	s_movk_i32 s4, 0x80
	v_cmp_eq_u16_e32 vcc, s4, v13
	s_mov_b64 s[4:5], -1
                                        ; implicit-def: $sgpr10
	s_and_saveexec_b64 s[8:9], vcc
; %bb.16786:
	s_mov_b32 s10, 0x7f800001
	s_xor_b64 s[4:5], exec, -1
; %bb.16787:
	s_or_b64 exec, exec, s[8:9]
	s_and_b64 s[4:5], s[4:5], exec
                                        ; implicit-def: $vgpr13
	s_or_saveexec_b64 s[6:7], s[6:7]
	v_mov_b32_e32 v12, s10
	s_xor_b64 exec, exec, s[6:7]
	s_cbranch_execnz .LBB2_16788
; %bb.52625:
	s_getpc_b64 s[14:15]
.Lpost_getpc29896:
	s_add_u32 s14, s14, (.LBB2_2450-.Lpost_getpc29896)&4294967295
	s_addc_u32 s15, s15, (.LBB2_2450-.Lpost_getpc29896)>>32
	s_setpc_b64 s[14:15]
.LBB2_16788:
	v_cmp_ne_u16_e32 vcc, 0, v13
	s_andn2_b64 s[4:5], s[4:5], exec
	s_and_b64 s[8:9], vcc, exec
	v_mov_b32_e32 v12, 0
	s_or_b64 s[4:5], s[4:5], s[8:9]
	s_or_b64 exec, exec, s[6:7]
	s_and_saveexec_b64 s[6:7], s[4:5]
	s_cbranch_execz .LBB2_29897
; %bb.52627:
	s_getpc_b64 s[14:15]
.Lpost_getpc29897:
	s_add_u32 s14, s14, (.LBB2_2451-.Lpost_getpc29897)&4294967295
	s_addc_u32 s15, s15, (.LBB2_2451-.Lpost_getpc29897)>>32
	s_setpc_b64 s[14:15]
.LBB2_29897:
	s_getpc_b64 s[14:15]
.Lpost_getpc18532:
	s_add_u32 s14, s14, (.LBB2_2452-.Lpost_getpc18532)&4294967295
	s_addc_u32 s15, s15, (.LBB2_2452-.Lpost_getpc18532)>>32
	s_setpc_b64 s[14:15]
.LBB2_16789:
	s_movk_i32 s4, 0x80
	v_cmp_eq_u16_e32 vcc, s4, v13
	s_mov_b64 s[4:5], -1
                                        ; implicit-def: $sgpr10
	s_and_saveexec_b64 s[8:9], vcc
; %bb.16790:
	s_mov_b32 s10, 0x7f800001
	s_xor_b64 s[4:5], exec, -1
; %bb.16791:
	s_or_b64 exec, exec, s[8:9]
	s_and_b64 s[4:5], s[4:5], exec
                                        ; implicit-def: $vgpr13
	s_or_saveexec_b64 s[6:7], s[6:7]
	v_mov_b32_e32 v14, s10
	s_xor_b64 exec, exec, s[6:7]
	s_cbranch_execnz .LBB2_16792
; %bb.52629:
	s_getpc_b64 s[14:15]
.Lpost_getpc29898:
	s_add_u32 s14, s14, (.LBB2_2454-.Lpost_getpc29898)&4294967295
	s_addc_u32 s15, s15, (.LBB2_2454-.Lpost_getpc29898)>>32
	s_setpc_b64 s[14:15]
.LBB2_16792:
	v_cmp_ne_u16_e32 vcc, 0, v13
	s_andn2_b64 s[4:5], s[4:5], exec
	s_and_b64 s[8:9], vcc, exec
	v_mov_b32_e32 v14, 0
	s_or_b64 s[4:5], s[4:5], s[8:9]
	s_or_b64 exec, exec, s[6:7]
	s_and_saveexec_b64 s[6:7], s[4:5]
	s_cbranch_execz .LBB2_29899
; %bb.52631:
	s_getpc_b64 s[14:15]
.Lpost_getpc29899:
	s_add_u32 s14, s14, (.LBB2_2455-.Lpost_getpc29899)&4294967295
	s_addc_u32 s15, s15, (.LBB2_2455-.Lpost_getpc29899)>>32
	s_setpc_b64 s[14:15]
.LBB2_29899:
	s_getpc_b64 s[14:15]
.Lpost_getpc18533:
	s_add_u32 s14, s14, (.LBB2_2456-.Lpost_getpc18533)&4294967295
	s_addc_u32 s15, s15, (.LBB2_2456-.Lpost_getpc18533)>>32
	s_setpc_b64 s[14:15]
.LBB2_16793:
	s_movk_i32 s4, 0x80
	v_cmp_eq_u16_sdwa s[12:13], v6, s4 src0_sel:BYTE_3 src1_sel:DWORD
	s_mov_b64 s[4:5], -1
                                        ; implicit-def: $sgpr10
	s_and_saveexec_b64 s[8:9], s[12:13]
; %bb.16794:
	s_mov_b32 s10, 0x7f800001
	s_xor_b64 s[4:5], exec, -1
; %bb.16795:
	s_or_b64 exec, exec, s[8:9]
	s_and_b64 s[4:5], s[4:5], exec
	s_or_saveexec_b64 s[6:7], s[6:7]
	v_mov_b32_e32 v12, s10
	s_xor_b64 exec, exec, s[6:7]
	s_cbranch_execnz .LBB2_16796
; %bb.52633:
	s_getpc_b64 s[14:15]
.Lpost_getpc29900:
	s_add_u32 s14, s14, (.LBB2_2458-.Lpost_getpc29900)&4294967295
	s_addc_u32 s15, s15, (.LBB2_2458-.Lpost_getpc29900)>>32
	s_setpc_b64 s[14:15]
.LBB2_16796:
	v_mov_b32_e32 v12, 0
	v_cmp_ne_u16_sdwa s[8:9], v6, v12 src0_sel:BYTE_3 src1_sel:DWORD
	s_andn2_b64 s[4:5], s[4:5], exec
	s_and_b64 s[8:9], s[8:9], exec
	s_or_b64 s[4:5], s[4:5], s[8:9]
	s_or_b64 exec, exec, s[6:7]
	s_and_saveexec_b64 s[6:7], s[4:5]
	s_cbranch_execz .LBB2_29901
; %bb.52635:
	s_getpc_b64 s[14:15]
.Lpost_getpc29901:
	s_add_u32 s14, s14, (.LBB2_2459-.Lpost_getpc29901)&4294967295
	s_addc_u32 s15, s15, (.LBB2_2459-.Lpost_getpc29901)>>32
	s_setpc_b64 s[14:15]
.LBB2_29901:
	s_getpc_b64 s[14:15]
.Lpost_getpc18534:
	s_add_u32 s14, s14, (.LBB2_2460-.Lpost_getpc18534)&4294967295
	s_addc_u32 s15, s15, (.LBB2_2460-.Lpost_getpc18534)>>32
	s_setpc_b64 s[14:15]
.LBB2_16797:
	s_movk_i32 s4, 0x80
	v_cmp_eq_u16_sdwa s[12:13], v2, s4 src0_sel:BYTE_3 src1_sel:DWORD
	s_mov_b64 s[4:5], -1
                                        ; implicit-def: $sgpr10
	s_and_saveexec_b64 s[8:9], s[12:13]
; %bb.16798:
	s_mov_b32 s10, 0x7f800001
	s_xor_b64 s[4:5], exec, -1
; %bb.16799:
	s_or_b64 exec, exec, s[8:9]
	s_and_b64 s[4:5], s[4:5], exec
	s_or_saveexec_b64 s[6:7], s[6:7]
	v_mov_b32_e32 v6, s10
	s_xor_b64 exec, exec, s[6:7]
	s_cbranch_execnz .LBB2_16800
; %bb.52637:
	s_getpc_b64 s[14:15]
.Lpost_getpc29902:
	s_add_u32 s14, s14, (.LBB2_2462-.Lpost_getpc29902)&4294967295
	s_addc_u32 s15, s15, (.LBB2_2462-.Lpost_getpc29902)>>32
	s_setpc_b64 s[14:15]
.LBB2_16800:
	v_mov_b32_e32 v6, 0
	v_cmp_ne_u16_sdwa s[8:9], v2, v6 src0_sel:BYTE_3 src1_sel:DWORD
	s_andn2_b64 s[4:5], s[4:5], exec
	s_and_b64 s[8:9], s[8:9], exec
	s_or_b64 s[4:5], s[4:5], s[8:9]
	s_or_b64 exec, exec, s[6:7]
	s_and_saveexec_b64 s[6:7], s[4:5]
	s_cbranch_execz .LBB2_29903
; %bb.52639:
	s_getpc_b64 s[14:15]
.Lpost_getpc29903:
	s_add_u32 s14, s14, (.LBB2_2463-.Lpost_getpc29903)&4294967295
	s_addc_u32 s15, s15, (.LBB2_2463-.Lpost_getpc29903)>>32
	s_setpc_b64 s[14:15]
.LBB2_29903:
	s_getpc_b64 s[14:15]
.Lpost_getpc18535:
	s_add_u32 s14, s14, (.LBB2_2464-.Lpost_getpc18535)&4294967295
	s_addc_u32 s15, s15, (.LBB2_2464-.Lpost_getpc18535)>>32
	s_setpc_b64 s[14:15]
.LBB2_16801:
	s_movk_i32 s4, 0x80
	v_cmp_eq_u16_sdwa s[12:13], v7, s4 src0_sel:BYTE_0 src1_sel:DWORD
	s_mov_b64 s[4:5], -1
                                        ; implicit-def: $sgpr10
	s_and_saveexec_b64 s[8:9], s[12:13]
; %bb.16802:
	s_mov_b32 s10, 0x7f800001
	s_xor_b64 s[4:5], exec, -1
; %bb.16803:
	s_or_b64 exec, exec, s[8:9]
	s_and_b64 s[4:5], s[4:5], exec
	s_or_saveexec_b64 s[6:7], s[6:7]
	v_mov_b32_e32 v2, s10
	s_xor_b64 exec, exec, s[6:7]
	s_cbranch_execnz .LBB2_16804
; %bb.52641:
	s_getpc_b64 s[14:15]
.Lpost_getpc29904:
	s_add_u32 s14, s14, (.LBB2_2466-.Lpost_getpc29904)&4294967295
	s_addc_u32 s15, s15, (.LBB2_2466-.Lpost_getpc29904)>>32
	s_setpc_b64 s[14:15]
.LBB2_16804:
	v_mov_b32_e32 v2, 0
	v_cmp_ne_u16_sdwa s[8:9], v7, v2 src0_sel:BYTE_0 src1_sel:DWORD
	s_andn2_b64 s[4:5], s[4:5], exec
	s_and_b64 s[8:9], s[8:9], exec
	s_or_b64 s[4:5], s[4:5], s[8:9]
	s_or_b64 exec, exec, s[6:7]
	s_and_saveexec_b64 s[6:7], s[4:5]
	s_cbranch_execz .LBB2_29905
; %bb.52643:
	s_getpc_b64 s[14:15]
.Lpost_getpc29905:
	s_add_u32 s14, s14, (.LBB2_2467-.Lpost_getpc29905)&4294967295
	s_addc_u32 s15, s15, (.LBB2_2467-.Lpost_getpc29905)>>32
	s_setpc_b64 s[14:15]
.LBB2_29905:
	s_getpc_b64 s[14:15]
.Lpost_getpc18536:
	s_add_u32 s14, s14, (.LBB2_2468-.Lpost_getpc18536)&4294967295
	s_addc_u32 s15, s15, (.LBB2_2468-.Lpost_getpc18536)>>32
	s_setpc_b64 s[14:15]
.LBB2_16805:
	s_movk_i32 s4, 0x80
	v_cmp_eq_u16_sdwa s[12:13], v3, s4 src0_sel:BYTE_0 src1_sel:DWORD
	s_mov_b64 s[4:5], -1
                                        ; implicit-def: $sgpr10
	s_and_saveexec_b64 s[8:9], s[12:13]
; %bb.16806:
	s_mov_b32 s10, 0x7f800001
	s_xor_b64 s[4:5], exec, -1
; %bb.16807:
	s_or_b64 exec, exec, s[8:9]
	s_and_b64 s[4:5], s[4:5], exec
	s_or_saveexec_b64 s[6:7], s[6:7]
	v_mov_b32_e32 v6, s10
	s_xor_b64 exec, exec, s[6:7]
	s_cbranch_execnz .LBB2_16808
; %bb.52645:
	s_getpc_b64 s[14:15]
.Lpost_getpc29906:
	s_add_u32 s14, s14, (.LBB2_2470-.Lpost_getpc29906)&4294967295
	s_addc_u32 s15, s15, (.LBB2_2470-.Lpost_getpc29906)>>32
	s_setpc_b64 s[14:15]
.LBB2_16808:
	v_mov_b32_e32 v6, 0
	v_cmp_ne_u16_sdwa s[8:9], v3, v6 src0_sel:BYTE_0 src1_sel:DWORD
	s_andn2_b64 s[4:5], s[4:5], exec
	s_and_b64 s[8:9], s[8:9], exec
	s_or_b64 s[4:5], s[4:5], s[8:9]
	s_or_b64 exec, exec, s[6:7]
	s_and_saveexec_b64 s[6:7], s[4:5]
	s_cbranch_execz .LBB2_29907
; %bb.52647:
	s_getpc_b64 s[14:15]
.Lpost_getpc29907:
	s_add_u32 s14, s14, (.LBB2_2471-.Lpost_getpc29907)&4294967295
	s_addc_u32 s15, s15, (.LBB2_2471-.Lpost_getpc29907)>>32
	s_setpc_b64 s[14:15]
.LBB2_29907:
	s_getpc_b64 s[14:15]
.Lpost_getpc18537:
	s_add_u32 s14, s14, (.LBB2_2472-.Lpost_getpc18537)&4294967295
	s_addc_u32 s15, s15, (.LBB2_2472-.Lpost_getpc18537)>>32
	s_setpc_b64 s[14:15]
.LBB2_16809:
	s_movk_i32 s4, 0x80
	v_cmp_eq_u16_sdwa s[12:13], v6, s4 src0_sel:BYTE_0 src1_sel:DWORD
	s_mov_b64 s[4:5], -1
                                        ; implicit-def: $sgpr10
	s_and_saveexec_b64 s[8:9], s[12:13]
; %bb.16810:
	s_mov_b32 s10, 0x7f800001
	s_xor_b64 s[4:5], exec, -1
; %bb.16811:
	s_or_b64 exec, exec, s[8:9]
	s_and_b64 s[4:5], s[4:5], exec
	s_or_saveexec_b64 s[6:7], s[6:7]
	v_mov_b32_e32 v2, s10
	s_xor_b64 exec, exec, s[6:7]
	s_cbranch_execnz .LBB2_16812
; %bb.52649:
	s_getpc_b64 s[14:15]
.Lpost_getpc29908:
	s_add_u32 s14, s14, (.LBB2_2474-.Lpost_getpc29908)&4294967295
	s_addc_u32 s15, s15, (.LBB2_2474-.Lpost_getpc29908)>>32
	s_setpc_b64 s[14:15]
.LBB2_16812:
	v_mov_b32_e32 v2, 0
	v_cmp_ne_u16_sdwa s[8:9], v6, v2 src0_sel:BYTE_0 src1_sel:DWORD
	s_andn2_b64 s[4:5], s[4:5], exec
	s_and_b64 s[8:9], s[8:9], exec
	s_or_b64 s[4:5], s[4:5], s[8:9]
	s_or_b64 exec, exec, s[6:7]
	s_and_saveexec_b64 s[6:7], s[4:5]
	s_cbranch_execz .LBB2_29909
; %bb.52651:
	s_getpc_b64 s[14:15]
.Lpost_getpc29909:
	s_add_u32 s14, s14, (.LBB2_2475-.Lpost_getpc29909)&4294967295
	s_addc_u32 s15, s15, (.LBB2_2475-.Lpost_getpc29909)>>32
	s_setpc_b64 s[14:15]
.LBB2_29909:
	s_getpc_b64 s[14:15]
.Lpost_getpc18538:
	s_add_u32 s14, s14, (.LBB2_2476-.Lpost_getpc18538)&4294967295
	s_addc_u32 s15, s15, (.LBB2_2476-.Lpost_getpc18538)>>32
	s_setpc_b64 s[14:15]
.LBB2_16813:
	s_movk_i32 s4, 0x80
	v_cmp_eq_u16_sdwa s[12:13], v6, s4 src0_sel:BYTE_0 src1_sel:DWORD
	s_mov_b64 s[4:5], -1
                                        ; implicit-def: $sgpr10
	s_and_saveexec_b64 s[8:9], s[12:13]
; %bb.16814:
	s_mov_b32 s10, 0x7f800001
	s_xor_b64 s[4:5], exec, -1
; %bb.16815:
	s_or_b64 exec, exec, s[8:9]
	s_and_b64 s[4:5], s[4:5], exec
	s_or_saveexec_b64 s[6:7], s[6:7]
	v_mov_b32_e32 v12, s10
	s_xor_b64 exec, exec, s[6:7]
	s_cbranch_execnz .LBB2_16816
; %bb.52653:
	s_getpc_b64 s[14:15]
.Lpost_getpc29910:
	s_add_u32 s14, s14, (.LBB2_2478-.Lpost_getpc29910)&4294967295
	s_addc_u32 s15, s15, (.LBB2_2478-.Lpost_getpc29910)>>32
	s_setpc_b64 s[14:15]
.LBB2_16816:
	v_mov_b32_e32 v12, 0
	v_cmp_ne_u16_sdwa s[8:9], v6, v12 src0_sel:BYTE_0 src1_sel:DWORD
	s_andn2_b64 s[4:5], s[4:5], exec
	s_and_b64 s[8:9], s[8:9], exec
	s_or_b64 s[4:5], s[4:5], s[8:9]
	s_or_b64 exec, exec, s[6:7]
	s_and_saveexec_b64 s[6:7], s[4:5]
	s_cbranch_execz .LBB2_29911
; %bb.52655:
	s_getpc_b64 s[14:15]
.Lpost_getpc29911:
	s_add_u32 s14, s14, (.LBB2_2479-.Lpost_getpc29911)&4294967295
	s_addc_u32 s15, s15, (.LBB2_2479-.Lpost_getpc29911)>>32
	s_setpc_b64 s[14:15]
.LBB2_29911:
	s_getpc_b64 s[14:15]
.Lpost_getpc18539:
	s_add_u32 s14, s14, (.LBB2_2480-.Lpost_getpc18539)&4294967295
	s_addc_u32 s15, s15, (.LBB2_2480-.Lpost_getpc18539)>>32
	s_setpc_b64 s[14:15]
.LBB2_16817:
	s_movk_i32 s4, 0x80
	v_cmp_eq_u16_e32 vcc, s4, v6
	s_mov_b64 s[4:5], -1
                                        ; implicit-def: $sgpr10
	s_and_saveexec_b64 s[8:9], vcc
; %bb.16818:
	s_mov_b32 s10, 0x7f800001
	s_xor_b64 s[4:5], exec, -1
; %bb.16819:
	s_or_b64 exec, exec, s[8:9]
	s_and_b64 s[4:5], s[4:5], exec
                                        ; implicit-def: $vgpr6
	s_or_saveexec_b64 s[6:7], s[6:7]
	v_mov_b32_e32 v2, s10
	s_xor_b64 exec, exec, s[6:7]
	s_cbranch_execnz .LBB2_16820
; %bb.52657:
	s_getpc_b64 s[14:15]
.Lpost_getpc29912:
	s_add_u32 s14, s14, (.LBB2_2482-.Lpost_getpc29912)&4294967295
	s_addc_u32 s15, s15, (.LBB2_2482-.Lpost_getpc29912)>>32
	s_setpc_b64 s[14:15]
.LBB2_16820:
	v_cmp_ne_u16_e32 vcc, 0, v6
	s_andn2_b64 s[4:5], s[4:5], exec
	s_and_b64 s[8:9], vcc, exec
	v_mov_b32_e32 v2, 0
	s_or_b64 s[4:5], s[4:5], s[8:9]
	s_or_b64 exec, exec, s[6:7]
	s_and_saveexec_b64 s[6:7], s[4:5]
	s_cbranch_execz .LBB2_29913
; %bb.52659:
	s_getpc_b64 s[14:15]
.Lpost_getpc29913:
	s_add_u32 s14, s14, (.LBB2_2483-.Lpost_getpc29913)&4294967295
	s_addc_u32 s15, s15, (.LBB2_2483-.Lpost_getpc29913)>>32
	s_setpc_b64 s[14:15]
.LBB2_29913:
	s_getpc_b64 s[14:15]
.Lpost_getpc18540:
	s_add_u32 s14, s14, (.LBB2_2484-.Lpost_getpc18540)&4294967295
	s_addc_u32 s15, s15, (.LBB2_2484-.Lpost_getpc18540)>>32
	s_setpc_b64 s[14:15]
.LBB2_16821:
	s_movk_i32 s4, 0x80
	v_cmp_eq_u16_e32 vcc, s4, v6
	s_mov_b64 s[4:5], -1
                                        ; implicit-def: $sgpr10
	s_and_saveexec_b64 s[8:9], vcc
; %bb.16822:
	s_mov_b32 s10, 0x7f800001
	s_xor_b64 s[4:5], exec, -1
; %bb.16823:
	s_or_b64 exec, exec, s[8:9]
	s_and_b64 s[4:5], s[4:5], exec
                                        ; implicit-def: $vgpr6
	s_or_saveexec_b64 s[6:7], s[6:7]
	v_mov_b32_e32 v12, s10
	s_xor_b64 exec, exec, s[6:7]
	s_cbranch_execnz .LBB2_16824
; %bb.52661:
	s_getpc_b64 s[14:15]
.Lpost_getpc29914:
	s_add_u32 s14, s14, (.LBB2_2486-.Lpost_getpc29914)&4294967295
	s_addc_u32 s15, s15, (.LBB2_2486-.Lpost_getpc29914)>>32
	s_setpc_b64 s[14:15]
.LBB2_16824:
	v_cmp_ne_u16_e32 vcc, 0, v6
	s_andn2_b64 s[4:5], s[4:5], exec
	s_and_b64 s[8:9], vcc, exec
	v_mov_b32_e32 v12, 0
	s_or_b64 s[4:5], s[4:5], s[8:9]
	s_or_b64 exec, exec, s[6:7]
	s_and_saveexec_b64 s[6:7], s[4:5]
	s_cbranch_execz .LBB2_29915
; %bb.52663:
	s_getpc_b64 s[14:15]
.Lpost_getpc29915:
	s_add_u32 s14, s14, (.LBB2_2487-.Lpost_getpc29915)&4294967295
	s_addc_u32 s15, s15, (.LBB2_2487-.Lpost_getpc29915)>>32
	s_setpc_b64 s[14:15]
.LBB2_29915:
	s_getpc_b64 s[14:15]
.Lpost_getpc18541:
	s_add_u32 s14, s14, (.LBB2_2488-.Lpost_getpc18541)&4294967295
	s_addc_u32 s15, s15, (.LBB2_2488-.Lpost_getpc18541)>>32
	s_setpc_b64 s[14:15]
.LBB2_16825:
	s_movk_i32 s4, 0x80
	v_cmp_eq_u16_sdwa s[12:13], v7, s4 src0_sel:BYTE_3 src1_sel:DWORD
	s_mov_b64 s[4:5], -1
                                        ; implicit-def: $sgpr10
	s_and_saveexec_b64 s[8:9], s[12:13]
; %bb.16826:
	s_mov_b32 s10, 0x7f800001
	s_xor_b64 s[4:5], exec, -1
; %bb.16827:
	s_or_b64 exec, exec, s[8:9]
	s_and_b64 s[4:5], s[4:5], exec
	s_or_saveexec_b64 s[6:7], s[6:7]
	v_mov_b32_e32 v2, s10
	s_xor_b64 exec, exec, s[6:7]
	s_cbranch_execnz .LBB2_16828
; %bb.52665:
	s_getpc_b64 s[14:15]
.Lpost_getpc29916:
	s_add_u32 s14, s14, (.LBB2_2490-.Lpost_getpc29916)&4294967295
	s_addc_u32 s15, s15, (.LBB2_2490-.Lpost_getpc29916)>>32
	s_setpc_b64 s[14:15]
.LBB2_16828:
	v_mov_b32_e32 v2, 0
	v_cmp_ne_u16_sdwa s[8:9], v7, v2 src0_sel:BYTE_3 src1_sel:DWORD
	s_andn2_b64 s[4:5], s[4:5], exec
	s_and_b64 s[8:9], s[8:9], exec
	s_or_b64 s[4:5], s[4:5], s[8:9]
	s_or_b64 exec, exec, s[6:7]
	s_and_saveexec_b64 s[6:7], s[4:5]
	s_cbranch_execz .LBB2_29917
; %bb.52667:
	s_getpc_b64 s[14:15]
.Lpost_getpc29917:
	s_add_u32 s14, s14, (.LBB2_2491-.Lpost_getpc29917)&4294967295
	s_addc_u32 s15, s15, (.LBB2_2491-.Lpost_getpc29917)>>32
	s_setpc_b64 s[14:15]
.LBB2_29917:
	s_getpc_b64 s[14:15]
.Lpost_getpc18542:
	s_add_u32 s14, s14, (.LBB2_2492-.Lpost_getpc18542)&4294967295
	s_addc_u32 s15, s15, (.LBB2_2492-.Lpost_getpc18542)>>32
	s_setpc_b64 s[14:15]
.LBB2_16829:
	s_movk_i32 s4, 0x80
	v_cmp_eq_u16_sdwa s[12:13], v3, s4 src0_sel:BYTE_3 src1_sel:DWORD
	s_mov_b64 s[4:5], -1
                                        ; implicit-def: $sgpr10
	s_and_saveexec_b64 s[8:9], s[12:13]
; %bb.16830:
	s_mov_b32 s10, 0x7f800001
	s_xor_b64 s[4:5], exec, -1
; %bb.16831:
	s_or_b64 exec, exec, s[8:9]
	s_and_b64 s[4:5], s[4:5], exec
	s_or_saveexec_b64 s[6:7], s[6:7]
	v_mov_b32_e32 v6, s10
	s_xor_b64 exec, exec, s[6:7]
	s_cbranch_execnz .LBB2_16832
; %bb.52669:
	s_getpc_b64 s[14:15]
.Lpost_getpc29918:
	s_add_u32 s14, s14, (.LBB2_2494-.Lpost_getpc29918)&4294967295
	s_addc_u32 s15, s15, (.LBB2_2494-.Lpost_getpc29918)>>32
	s_setpc_b64 s[14:15]
.LBB2_16832:
	v_mov_b32_e32 v6, 0
	v_cmp_ne_u16_sdwa s[8:9], v3, v6 src0_sel:BYTE_3 src1_sel:DWORD
	s_andn2_b64 s[4:5], s[4:5], exec
	s_and_b64 s[8:9], s[8:9], exec
	s_or_b64 s[4:5], s[4:5], s[8:9]
	s_or_b64 exec, exec, s[6:7]
	s_and_saveexec_b64 s[6:7], s[4:5]
	s_cbranch_execz .LBB2_29919
; %bb.52671:
	s_getpc_b64 s[14:15]
.Lpost_getpc29919:
	s_add_u32 s14, s14, (.LBB2_2495-.Lpost_getpc29919)&4294967295
	s_addc_u32 s15, s15, (.LBB2_2495-.Lpost_getpc29919)>>32
	s_setpc_b64 s[14:15]
.LBB2_29919:
	s_getpc_b64 s[14:15]
.Lpost_getpc18543:
	s_add_u32 s14, s14, (.LBB2_2496-.Lpost_getpc18543)&4294967295
	s_addc_u32 s15, s15, (.LBB2_2496-.Lpost_getpc18543)>>32
	s_setpc_b64 s[14:15]
.LBB2_16833:
	s_movk_i32 s4, 0x80
	v_cmp_eq_u16_sdwa s[12:13], v8, s4 src0_sel:BYTE_0 src1_sel:DWORD
	s_mov_b64 s[4:5], -1
                                        ; implicit-def: $sgpr10
	s_and_saveexec_b64 s[8:9], s[12:13]
; %bb.16834:
	s_mov_b32 s10, 0x7f800001
	s_xor_b64 s[4:5], exec, -1
; %bb.16835:
	s_or_b64 exec, exec, s[8:9]
	s_and_b64 s[4:5], s[4:5], exec
	s_or_saveexec_b64 s[6:7], s[6:7]
	v_mov_b32_e32 v2, s10
	s_xor_b64 exec, exec, s[6:7]
	s_cbranch_execnz .LBB2_16836
; %bb.52673:
	s_getpc_b64 s[14:15]
.Lpost_getpc29920:
	s_add_u32 s14, s14, (.LBB2_2498-.Lpost_getpc29920)&4294967295
	s_addc_u32 s15, s15, (.LBB2_2498-.Lpost_getpc29920)>>32
	s_setpc_b64 s[14:15]
.LBB2_16836:
	v_mov_b32_e32 v2, 0
	v_cmp_ne_u16_sdwa s[8:9], v8, v2 src0_sel:BYTE_0 src1_sel:DWORD
	s_andn2_b64 s[4:5], s[4:5], exec
	s_and_b64 s[8:9], s[8:9], exec
	s_or_b64 s[4:5], s[4:5], s[8:9]
	s_or_b64 exec, exec, s[6:7]
	s_and_saveexec_b64 s[6:7], s[4:5]
	s_cbranch_execz .LBB2_29921
; %bb.52675:
	s_getpc_b64 s[14:15]
.Lpost_getpc29921:
	s_add_u32 s14, s14, (.LBB2_2499-.Lpost_getpc29921)&4294967295
	s_addc_u32 s15, s15, (.LBB2_2499-.Lpost_getpc29921)>>32
	s_setpc_b64 s[14:15]
.LBB2_29921:
	s_getpc_b64 s[14:15]
.Lpost_getpc18544:
	s_add_u32 s14, s14, (.LBB2_2500-.Lpost_getpc18544)&4294967295
	s_addc_u32 s15, s15, (.LBB2_2500-.Lpost_getpc18544)>>32
	s_setpc_b64 s[14:15]
.LBB2_16837:
	s_movk_i32 s4, 0x80
	v_cmp_eq_u16_sdwa s[12:13], v4, s4 src0_sel:BYTE_0 src1_sel:DWORD
	s_mov_b64 s[4:5], -1
                                        ; implicit-def: $sgpr10
	s_and_saveexec_b64 s[8:9], s[12:13]
; %bb.16838:
	s_mov_b32 s10, 0x7f800001
	s_xor_b64 s[4:5], exec, -1
; %bb.16839:
	s_or_b64 exec, exec, s[8:9]
	s_and_b64 s[4:5], s[4:5], exec
	s_or_saveexec_b64 s[6:7], s[6:7]
	v_mov_b32_e32 v3, s10
	s_xor_b64 exec, exec, s[6:7]
	s_cbranch_execnz .LBB2_16840
; %bb.52677:
	s_getpc_b64 s[14:15]
.Lpost_getpc29922:
	s_add_u32 s14, s14, (.LBB2_2502-.Lpost_getpc29922)&4294967295
	s_addc_u32 s15, s15, (.LBB2_2502-.Lpost_getpc29922)>>32
	s_setpc_b64 s[14:15]
.LBB2_16840:
	v_mov_b32_e32 v3, 0
	v_cmp_ne_u16_sdwa s[8:9], v4, v3 src0_sel:BYTE_0 src1_sel:DWORD
	s_andn2_b64 s[4:5], s[4:5], exec
	s_and_b64 s[8:9], s[8:9], exec
	s_or_b64 s[4:5], s[4:5], s[8:9]
	s_or_b64 exec, exec, s[6:7]
	s_and_saveexec_b64 s[6:7], s[4:5]
	s_cbranch_execz .LBB2_29923
; %bb.52679:
	s_getpc_b64 s[14:15]
.Lpost_getpc29923:
	s_add_u32 s14, s14, (.LBB2_2503-.Lpost_getpc29923)&4294967295
	s_addc_u32 s15, s15, (.LBB2_2503-.Lpost_getpc29923)>>32
	s_setpc_b64 s[14:15]
.LBB2_29923:
	s_getpc_b64 s[14:15]
.Lpost_getpc18545:
	s_add_u32 s14, s14, (.LBB2_2504-.Lpost_getpc18545)&4294967295
	s_addc_u32 s15, s15, (.LBB2_2504-.Lpost_getpc18545)>>32
	s_setpc_b64 s[14:15]
.LBB2_16841:
	s_movk_i32 s4, 0x80
	v_cmp_eq_u16_sdwa s[12:13], v3, s4 src0_sel:BYTE_0 src1_sel:DWORD
	s_mov_b64 s[4:5], -1
                                        ; implicit-def: $sgpr10
	s_and_saveexec_b64 s[8:9], s[12:13]
; %bb.16842:
	s_mov_b32 s10, 0x7f800001
	s_xor_b64 s[4:5], exec, -1
; %bb.16843:
	s_or_b64 exec, exec, s[8:9]
	s_and_b64 s[4:5], s[4:5], exec
	s_or_saveexec_b64 s[6:7], s[6:7]
	v_mov_b32_e32 v2, s10
	s_xor_b64 exec, exec, s[6:7]
	s_cbranch_execnz .LBB2_16844
; %bb.52681:
	s_getpc_b64 s[14:15]
.Lpost_getpc29924:
	s_add_u32 s14, s14, (.LBB2_2506-.Lpost_getpc29924)&4294967295
	s_addc_u32 s15, s15, (.LBB2_2506-.Lpost_getpc29924)>>32
	s_setpc_b64 s[14:15]
.LBB2_16844:
	v_mov_b32_e32 v2, 0
	v_cmp_ne_u16_sdwa s[8:9], v3, v2 src0_sel:BYTE_0 src1_sel:DWORD
	s_andn2_b64 s[4:5], s[4:5], exec
	s_and_b64 s[8:9], s[8:9], exec
	s_or_b64 s[4:5], s[4:5], s[8:9]
	s_or_b64 exec, exec, s[6:7]
	s_and_saveexec_b64 s[6:7], s[4:5]
	s_cbranch_execz .LBB2_29925
; %bb.52683:
	s_getpc_b64 s[14:15]
.Lpost_getpc29925:
	s_add_u32 s14, s14, (.LBB2_2507-.Lpost_getpc29925)&4294967295
	s_addc_u32 s15, s15, (.LBB2_2507-.Lpost_getpc29925)>>32
	s_setpc_b64 s[14:15]
.LBB2_29925:
	s_getpc_b64 s[14:15]
.Lpost_getpc18546:
	s_add_u32 s14, s14, (.LBB2_2508-.Lpost_getpc18546)&4294967295
	s_addc_u32 s15, s15, (.LBB2_2508-.Lpost_getpc18546)>>32
	s_setpc_b64 s[14:15]
.LBB2_16845:
	s_movk_i32 s4, 0x80
	v_cmp_eq_u16_sdwa s[12:13], v3, s4 src0_sel:BYTE_0 src1_sel:DWORD
	s_mov_b64 s[4:5], -1
                                        ; implicit-def: $sgpr10
	s_and_saveexec_b64 s[8:9], s[12:13]
; %bb.16846:
	s_mov_b32 s10, 0x7f800001
	s_xor_b64 s[4:5], exec, -1
; %bb.16847:
	s_or_b64 exec, exec, s[8:9]
	s_and_b64 s[4:5], s[4:5], exec
	s_or_saveexec_b64 s[6:7], s[6:7]
	v_mov_b32_e32 v6, s10
	s_xor_b64 exec, exec, s[6:7]
	s_cbranch_execnz .LBB2_16848
; %bb.52685:
	s_getpc_b64 s[14:15]
.Lpost_getpc29926:
	s_add_u32 s14, s14, (.LBB2_2510-.Lpost_getpc29926)&4294967295
	s_addc_u32 s15, s15, (.LBB2_2510-.Lpost_getpc29926)>>32
	s_setpc_b64 s[14:15]
.LBB2_16848:
	v_mov_b32_e32 v6, 0
	v_cmp_ne_u16_sdwa s[8:9], v3, v6 src0_sel:BYTE_0 src1_sel:DWORD
	s_andn2_b64 s[4:5], s[4:5], exec
	s_and_b64 s[8:9], s[8:9], exec
	s_or_b64 s[4:5], s[4:5], s[8:9]
	s_or_b64 exec, exec, s[6:7]
	s_and_saveexec_b64 s[6:7], s[4:5]
	s_cbranch_execz .LBB2_29927
; %bb.52687:
	s_getpc_b64 s[14:15]
.Lpost_getpc29927:
	s_add_u32 s14, s14, (.LBB2_2511-.Lpost_getpc29927)&4294967295
	s_addc_u32 s15, s15, (.LBB2_2511-.Lpost_getpc29927)>>32
	s_setpc_b64 s[14:15]
.LBB2_29927:
	s_getpc_b64 s[14:15]
.Lpost_getpc18547:
	s_add_u32 s14, s14, (.LBB2_2512-.Lpost_getpc18547)&4294967295
	s_addc_u32 s15, s15, (.LBB2_2512-.Lpost_getpc18547)>>32
	s_setpc_b64 s[14:15]
.LBB2_16849:
	s_movk_i32 s4, 0x80
	v_cmp_eq_u16_e32 vcc, s4, v3
	s_mov_b64 s[4:5], -1
                                        ; implicit-def: $sgpr10
	s_and_saveexec_b64 s[8:9], vcc
; %bb.16850:
	s_mov_b32 s10, 0x7f800001
	s_xor_b64 s[4:5], exec, -1
; %bb.16851:
	s_or_b64 exec, exec, s[8:9]
	s_and_b64 s[4:5], s[4:5], exec
                                        ; implicit-def: $vgpr3
	s_or_saveexec_b64 s[6:7], s[6:7]
	v_mov_b32_e32 v2, s10
	s_xor_b64 exec, exec, s[6:7]
	s_cbranch_execnz .LBB2_16852
; %bb.52689:
	s_getpc_b64 s[14:15]
.Lpost_getpc29928:
	s_add_u32 s14, s14, (.LBB2_2514-.Lpost_getpc29928)&4294967295
	s_addc_u32 s15, s15, (.LBB2_2514-.Lpost_getpc29928)>>32
	s_setpc_b64 s[14:15]
.LBB2_16852:
	v_cmp_ne_u16_e32 vcc, 0, v3
	s_andn2_b64 s[4:5], s[4:5], exec
	s_and_b64 s[8:9], vcc, exec
	v_mov_b32_e32 v2, 0
	s_or_b64 s[4:5], s[4:5], s[8:9]
	s_or_b64 exec, exec, s[6:7]
	s_and_saveexec_b64 s[6:7], s[4:5]
	s_cbranch_execz .LBB2_29929
; %bb.52691:
	s_getpc_b64 s[14:15]
.Lpost_getpc29929:
	s_add_u32 s14, s14, (.LBB2_2515-.Lpost_getpc29929)&4294967295
	s_addc_u32 s15, s15, (.LBB2_2515-.Lpost_getpc29929)>>32
	s_setpc_b64 s[14:15]
.LBB2_29929:
	s_getpc_b64 s[14:15]
.Lpost_getpc18548:
	s_add_u32 s14, s14, (.LBB2_2516-.Lpost_getpc18548)&4294967295
	s_addc_u32 s15, s15, (.LBB2_2516-.Lpost_getpc18548)>>32
	s_setpc_b64 s[14:15]
.LBB2_16853:
	s_movk_i32 s4, 0x80
	v_cmp_eq_u16_e32 vcc, s4, v3
	s_mov_b64 s[4:5], -1
                                        ; implicit-def: $sgpr10
	s_and_saveexec_b64 s[8:9], vcc
; %bb.16854:
	s_mov_b32 s10, 0x7f800001
	s_xor_b64 s[4:5], exec, -1
; %bb.16855:
	s_or_b64 exec, exec, s[8:9]
	s_and_b64 s[4:5], s[4:5], exec
                                        ; implicit-def: $vgpr3
	s_or_saveexec_b64 s[6:7], s[6:7]
	v_mov_b32_e32 v6, s10
	s_xor_b64 exec, exec, s[6:7]
	s_cbranch_execnz .LBB2_16856
; %bb.52693:
	s_getpc_b64 s[14:15]
.Lpost_getpc29930:
	s_add_u32 s14, s14, (.LBB2_2518-.Lpost_getpc29930)&4294967295
	s_addc_u32 s15, s15, (.LBB2_2518-.Lpost_getpc29930)>>32
	s_setpc_b64 s[14:15]
.LBB2_16856:
	v_cmp_ne_u16_e32 vcc, 0, v3
	s_andn2_b64 s[4:5], s[4:5], exec
	s_and_b64 s[8:9], vcc, exec
	v_mov_b32_e32 v6, 0
	s_or_b64 s[4:5], s[4:5], s[8:9]
	s_or_b64 exec, exec, s[6:7]
	s_and_saveexec_b64 s[6:7], s[4:5]
	s_cbranch_execz .LBB2_29931
; %bb.52695:
	s_getpc_b64 s[14:15]
.Lpost_getpc29931:
	s_add_u32 s14, s14, (.LBB2_2519-.Lpost_getpc29931)&4294967295
	s_addc_u32 s15, s15, (.LBB2_2519-.Lpost_getpc29931)>>32
	s_setpc_b64 s[14:15]
.LBB2_29931:
	s_getpc_b64 s[14:15]
.Lpost_getpc18549:
	s_add_u32 s14, s14, (.LBB2_2520-.Lpost_getpc18549)&4294967295
	s_addc_u32 s15, s15, (.LBB2_2520-.Lpost_getpc18549)>>32
	s_setpc_b64 s[14:15]
.LBB2_16857:
	s_movk_i32 s4, 0x80
	v_cmp_eq_u16_sdwa s[12:13], v8, s4 src0_sel:BYTE_3 src1_sel:DWORD
	s_mov_b64 s[4:5], -1
                                        ; implicit-def: $sgpr10
	s_and_saveexec_b64 s[8:9], s[12:13]
; %bb.16858:
	s_mov_b32 s10, 0x7f800001
	s_xor_b64 s[4:5], exec, -1
; %bb.16859:
	s_or_b64 exec, exec, s[8:9]
	s_and_b64 s[4:5], s[4:5], exec
	s_or_saveexec_b64 s[6:7], s[6:7]
	v_mov_b32_e32 v2, s10
	s_xor_b64 exec, exec, s[6:7]
	s_cbranch_execnz .LBB2_16860
; %bb.52697:
	s_getpc_b64 s[14:15]
.Lpost_getpc29932:
	s_add_u32 s14, s14, (.LBB2_2522-.Lpost_getpc29932)&4294967295
	s_addc_u32 s15, s15, (.LBB2_2522-.Lpost_getpc29932)>>32
	s_setpc_b64 s[14:15]
.LBB2_16860:
	v_mov_b32_e32 v2, 0
	v_cmp_ne_u16_sdwa s[8:9], v8, v2 src0_sel:BYTE_3 src1_sel:DWORD
	s_andn2_b64 s[4:5], s[4:5], exec
	s_and_b64 s[8:9], s[8:9], exec
	s_or_b64 s[4:5], s[4:5], s[8:9]
	s_or_b64 exec, exec, s[6:7]
	s_and_saveexec_b64 s[6:7], s[4:5]
	s_cbranch_execz .LBB2_29933
; %bb.52699:
	s_getpc_b64 s[14:15]
.Lpost_getpc29933:
	s_add_u32 s14, s14, (.LBB2_2523-.Lpost_getpc29933)&4294967295
	s_addc_u32 s15, s15, (.LBB2_2523-.Lpost_getpc29933)>>32
	s_setpc_b64 s[14:15]
.LBB2_29933:
	s_getpc_b64 s[14:15]
.Lpost_getpc18550:
	s_add_u32 s14, s14, (.LBB2_2524-.Lpost_getpc18550)&4294967295
	s_addc_u32 s15, s15, (.LBB2_2524-.Lpost_getpc18550)>>32
	s_setpc_b64 s[14:15]
.LBB2_16861:
	s_movk_i32 s4, 0x80
	v_cmp_eq_u16_sdwa s[12:13], v4, s4 src0_sel:BYTE_3 src1_sel:DWORD
	s_mov_b64 s[4:5], -1
                                        ; implicit-def: $sgpr10
	s_and_saveexec_b64 s[8:9], s[12:13]
; %bb.16862:
	s_mov_b32 s10, 0x7f800001
	s_xor_b64 s[4:5], exec, -1
; %bb.16863:
	s_or_b64 exec, exec, s[8:9]
	s_and_b64 s[4:5], s[4:5], exec
	s_or_saveexec_b64 s[6:7], s[6:7]
	v_mov_b32_e32 v3, s10
	s_xor_b64 exec, exec, s[6:7]
	s_cbranch_execnz .LBB2_16864
; %bb.52701:
	s_getpc_b64 s[14:15]
.Lpost_getpc29934:
	s_add_u32 s14, s14, (.LBB2_2526-.Lpost_getpc29934)&4294967295
	s_addc_u32 s15, s15, (.LBB2_2526-.Lpost_getpc29934)>>32
	s_setpc_b64 s[14:15]
.LBB2_16864:
	v_mov_b32_e32 v3, 0
	v_cmp_ne_u16_sdwa s[8:9], v4, v3 src0_sel:BYTE_3 src1_sel:DWORD
	s_andn2_b64 s[4:5], s[4:5], exec
	s_and_b64 s[8:9], s[8:9], exec
	s_or_b64 s[4:5], s[4:5], s[8:9]
	s_or_b64 exec, exec, s[6:7]
	s_and_saveexec_b64 s[6:7], s[4:5]
	s_cbranch_execz .LBB2_29935
; %bb.52703:
	s_getpc_b64 s[14:15]
.Lpost_getpc29935:
	s_add_u32 s14, s14, (.LBB2_2527-.Lpost_getpc29935)&4294967295
	s_addc_u32 s15, s15, (.LBB2_2527-.Lpost_getpc29935)>>32
	s_setpc_b64 s[14:15]
.LBB2_29935:
	s_getpc_b64 s[14:15]
.Lpost_getpc18551:
	s_add_u32 s14, s14, (.LBB2_2528-.Lpost_getpc18551)&4294967295
	s_addc_u32 s15, s15, (.LBB2_2528-.Lpost_getpc18551)>>32
	s_setpc_b64 s[14:15]
.LBB2_16865:
	s_movk_i32 s4, 0x80
	v_cmp_eq_u16_sdwa s[12:13], v9, s4 src0_sel:BYTE_0 src1_sel:DWORD
	s_mov_b64 s[4:5], -1
                                        ; implicit-def: $sgpr10
	s_and_saveexec_b64 s[8:9], s[12:13]
; %bb.16866:
	s_mov_b32 s10, 0x7f800001
	s_xor_b64 s[4:5], exec, -1
; %bb.16867:
	s_or_b64 exec, exec, s[8:9]
	s_and_b64 s[4:5], s[4:5], exec
	s_or_saveexec_b64 s[6:7], s[6:7]
	v_mov_b32_e32 v2, s10
	s_xor_b64 exec, exec, s[6:7]
	s_cbranch_execnz .LBB2_16868
; %bb.52705:
	s_getpc_b64 s[14:15]
.Lpost_getpc29936:
	s_add_u32 s14, s14, (.LBB2_2530-.Lpost_getpc29936)&4294967295
	s_addc_u32 s15, s15, (.LBB2_2530-.Lpost_getpc29936)>>32
	s_setpc_b64 s[14:15]
.LBB2_16868:
	v_mov_b32_e32 v2, 0
	v_cmp_ne_u16_sdwa s[8:9], v9, v2 src0_sel:BYTE_0 src1_sel:DWORD
	s_andn2_b64 s[4:5], s[4:5], exec
	s_and_b64 s[8:9], s[8:9], exec
	s_or_b64 s[4:5], s[4:5], s[8:9]
	s_or_b64 exec, exec, s[6:7]
	s_and_saveexec_b64 s[6:7], s[4:5]
	s_cbranch_execz .LBB2_29937
; %bb.52707:
	s_getpc_b64 s[14:15]
.Lpost_getpc29937:
	s_add_u32 s14, s14, (.LBB2_2531-.Lpost_getpc29937)&4294967295
	s_addc_u32 s15, s15, (.LBB2_2531-.Lpost_getpc29937)>>32
	s_setpc_b64 s[14:15]
.LBB2_29937:
	s_getpc_b64 s[14:15]
.Lpost_getpc18552:
	s_add_u32 s14, s14, (.LBB2_2532-.Lpost_getpc18552)&4294967295
	s_addc_u32 s15, s15, (.LBB2_2532-.Lpost_getpc18552)>>32
	s_setpc_b64 s[14:15]
.LBB2_16869:
	s_movk_i32 s4, 0x80
	v_cmp_eq_u16_sdwa s[12:13], v5, s4 src0_sel:BYTE_0 src1_sel:DWORD
	s_mov_b64 s[4:5], -1
                                        ; implicit-def: $sgpr10
	s_and_saveexec_b64 s[8:9], s[12:13]
; %bb.16870:
	s_mov_b32 s10, 0x7f800001
	s_xor_b64 s[4:5], exec, -1
; %bb.16871:
	s_or_b64 exec, exec, s[8:9]
	s_and_b64 s[4:5], s[4:5], exec
	s_or_saveexec_b64 s[6:7], s[6:7]
	v_mov_b32_e32 v3, s10
	s_xor_b64 exec, exec, s[6:7]
	s_cbranch_execnz .LBB2_16872
; %bb.52709:
	s_getpc_b64 s[14:15]
.Lpost_getpc29938:
	s_add_u32 s14, s14, (.LBB2_2534-.Lpost_getpc29938)&4294967295
	s_addc_u32 s15, s15, (.LBB2_2534-.Lpost_getpc29938)>>32
	s_setpc_b64 s[14:15]
.LBB2_16872:
	v_mov_b32_e32 v3, 0
	v_cmp_ne_u16_sdwa s[8:9], v5, v3 src0_sel:BYTE_0 src1_sel:DWORD
	s_andn2_b64 s[4:5], s[4:5], exec
	s_and_b64 s[8:9], s[8:9], exec
	s_or_b64 s[4:5], s[4:5], s[8:9]
	s_or_b64 exec, exec, s[6:7]
	s_and_saveexec_b64 s[6:7], s[4:5]
	s_cbranch_execz .LBB2_29939
; %bb.52711:
	s_getpc_b64 s[14:15]
.Lpost_getpc29939:
	s_add_u32 s14, s14, (.LBB2_2535-.Lpost_getpc29939)&4294967295
	s_addc_u32 s15, s15, (.LBB2_2535-.Lpost_getpc29939)>>32
	s_setpc_b64 s[14:15]
.LBB2_29939:
	s_getpc_b64 s[14:15]
.Lpost_getpc18553:
	s_add_u32 s14, s14, (.LBB2_2536-.Lpost_getpc18553)&4294967295
	s_addc_u32 s15, s15, (.LBB2_2536-.Lpost_getpc18553)>>32
	s_setpc_b64 s[14:15]
.LBB2_16873:
	s_movk_i32 s4, 0x80
	v_cmp_eq_u16_sdwa s[12:13], v3, s4 src0_sel:BYTE_0 src1_sel:DWORD
	s_mov_b64 s[4:5], -1
                                        ; implicit-def: $sgpr10
	s_and_saveexec_b64 s[8:9], s[12:13]
; %bb.16874:
	s_mov_b32 s10, 0x7f800001
	s_xor_b64 s[4:5], exec, -1
; %bb.16875:
	s_or_b64 exec, exec, s[8:9]
	s_and_b64 s[4:5], s[4:5], exec
	s_or_saveexec_b64 s[6:7], s[6:7]
	v_mov_b32_e32 v2, s10
	s_xor_b64 exec, exec, s[6:7]
	s_cbranch_execnz .LBB2_16876
; %bb.52713:
	s_getpc_b64 s[14:15]
.Lpost_getpc29940:
	s_add_u32 s14, s14, (.LBB2_2538-.Lpost_getpc29940)&4294967295
	s_addc_u32 s15, s15, (.LBB2_2538-.Lpost_getpc29940)>>32
	s_setpc_b64 s[14:15]
.LBB2_16876:
	v_mov_b32_e32 v2, 0
	v_cmp_ne_u16_sdwa s[8:9], v3, v2 src0_sel:BYTE_0 src1_sel:DWORD
	s_andn2_b64 s[4:5], s[4:5], exec
	s_and_b64 s[8:9], s[8:9], exec
	s_or_b64 s[4:5], s[4:5], s[8:9]
	s_or_b64 exec, exec, s[6:7]
	s_and_saveexec_b64 s[6:7], s[4:5]
	s_cbranch_execz .LBB2_29941
; %bb.52715:
	s_getpc_b64 s[14:15]
.Lpost_getpc29941:
	s_add_u32 s14, s14, (.LBB2_2539-.Lpost_getpc29941)&4294967295
	s_addc_u32 s15, s15, (.LBB2_2539-.Lpost_getpc29941)>>32
	s_setpc_b64 s[14:15]
.LBB2_29941:
	s_getpc_b64 s[14:15]
.Lpost_getpc18554:
	s_add_u32 s14, s14, (.LBB2_2540-.Lpost_getpc18554)&4294967295
	s_addc_u32 s15, s15, (.LBB2_2540-.Lpost_getpc18554)>>32
	s_setpc_b64 s[14:15]
.LBB2_16877:
	s_movk_i32 s4, 0x80
	v_cmp_eq_u16_sdwa s[12:13], v3, s4 src0_sel:BYTE_0 src1_sel:DWORD
	s_mov_b64 s[4:5], -1
                                        ; implicit-def: $sgpr10
	s_and_saveexec_b64 s[8:9], s[12:13]
; %bb.16878:
	s_mov_b32 s10, 0x7f800001
	s_xor_b64 s[4:5], exec, -1
; %bb.16879:
	s_or_b64 exec, exec, s[8:9]
	s_and_b64 s[4:5], s[4:5], exec
	s_or_saveexec_b64 s[6:7], s[6:7]
	v_mov_b32_e32 v4, s10
	s_xor_b64 exec, exec, s[6:7]
	s_cbranch_execnz .LBB2_16880
; %bb.52717:
	s_getpc_b64 s[14:15]
.Lpost_getpc29942:
	s_add_u32 s14, s14, (.LBB2_2542-.Lpost_getpc29942)&4294967295
	s_addc_u32 s15, s15, (.LBB2_2542-.Lpost_getpc29942)>>32
	s_setpc_b64 s[14:15]
.LBB2_16880:
	v_mov_b32_e32 v4, 0
	v_cmp_ne_u16_sdwa s[8:9], v3, v4 src0_sel:BYTE_0 src1_sel:DWORD
	s_andn2_b64 s[4:5], s[4:5], exec
	s_and_b64 s[8:9], s[8:9], exec
	s_or_b64 s[4:5], s[4:5], s[8:9]
	s_or_b64 exec, exec, s[6:7]
	s_and_saveexec_b64 s[6:7], s[4:5]
	s_cbranch_execz .LBB2_29943
; %bb.52719:
	s_getpc_b64 s[14:15]
.Lpost_getpc29943:
	s_add_u32 s14, s14, (.LBB2_2543-.Lpost_getpc29943)&4294967295
	s_addc_u32 s15, s15, (.LBB2_2543-.Lpost_getpc29943)>>32
	s_setpc_b64 s[14:15]
.LBB2_29943:
	s_getpc_b64 s[14:15]
.Lpost_getpc18555:
	s_add_u32 s14, s14, (.LBB2_2544-.Lpost_getpc18555)&4294967295
	s_addc_u32 s15, s15, (.LBB2_2544-.Lpost_getpc18555)>>32
	s_setpc_b64 s[14:15]
.LBB2_16881:
	s_movk_i32 s4, 0x80
	v_cmp_eq_u16_e32 vcc, s4, v3
	s_mov_b64 s[4:5], -1
                                        ; implicit-def: $sgpr10
	s_and_saveexec_b64 s[8:9], vcc
; %bb.16882:
	s_mov_b32 s10, 0x7f800001
	s_xor_b64 s[4:5], exec, -1
; %bb.16883:
	s_or_b64 exec, exec, s[8:9]
	s_and_b64 s[4:5], s[4:5], exec
                                        ; implicit-def: $vgpr3
	s_or_saveexec_b64 s[6:7], s[6:7]
	v_mov_b32_e32 v2, s10
	s_xor_b64 exec, exec, s[6:7]
	s_cbranch_execnz .LBB2_16884
; %bb.52721:
	s_getpc_b64 s[14:15]
.Lpost_getpc29944:
	s_add_u32 s14, s14, (.LBB2_2546-.Lpost_getpc29944)&4294967295
	s_addc_u32 s15, s15, (.LBB2_2546-.Lpost_getpc29944)>>32
	s_setpc_b64 s[14:15]
.LBB2_16884:
	v_cmp_ne_u16_e32 vcc, 0, v3
	s_andn2_b64 s[4:5], s[4:5], exec
	s_and_b64 s[8:9], vcc, exec
	v_mov_b32_e32 v2, 0
	s_or_b64 s[4:5], s[4:5], s[8:9]
	s_or_b64 exec, exec, s[6:7]
	s_and_saveexec_b64 s[6:7], s[4:5]
	s_cbranch_execz .LBB2_29945
; %bb.52723:
	s_getpc_b64 s[14:15]
.Lpost_getpc29945:
	s_add_u32 s14, s14, (.LBB2_2547-.Lpost_getpc29945)&4294967295
	s_addc_u32 s15, s15, (.LBB2_2547-.Lpost_getpc29945)>>32
	s_setpc_b64 s[14:15]
.LBB2_29945:
	s_getpc_b64 s[14:15]
.Lpost_getpc18556:
	s_add_u32 s14, s14, (.LBB2_2548-.Lpost_getpc18556)&4294967295
	s_addc_u32 s15, s15, (.LBB2_2548-.Lpost_getpc18556)>>32
	s_setpc_b64 s[14:15]
.LBB2_16885:
	s_movk_i32 s4, 0x80
	v_cmp_eq_u16_e32 vcc, s4, v3
	s_mov_b64 s[4:5], -1
                                        ; implicit-def: $sgpr10
	s_and_saveexec_b64 s[8:9], vcc
; %bb.16886:
	s_mov_b32 s10, 0x7f800001
	s_xor_b64 s[4:5], exec, -1
; %bb.16887:
	s_or_b64 exec, exec, s[8:9]
	s_and_b64 s[4:5], s[4:5], exec
                                        ; implicit-def: $vgpr3
	s_or_saveexec_b64 s[6:7], s[6:7]
	v_mov_b32_e32 v4, s10
	s_xor_b64 exec, exec, s[6:7]
	s_cbranch_execnz .LBB2_16888
; %bb.52725:
	s_getpc_b64 s[14:15]
.Lpost_getpc29946:
	s_add_u32 s14, s14, (.LBB2_2550-.Lpost_getpc29946)&4294967295
	s_addc_u32 s15, s15, (.LBB2_2550-.Lpost_getpc29946)>>32
	s_setpc_b64 s[14:15]
.LBB2_16888:
	v_cmp_ne_u16_e32 vcc, 0, v3
	s_andn2_b64 s[4:5], s[4:5], exec
	s_and_b64 s[8:9], vcc, exec
	v_mov_b32_e32 v4, 0
	s_or_b64 s[4:5], s[4:5], s[8:9]
	s_or_b64 exec, exec, s[6:7]
	s_and_saveexec_b64 s[6:7], s[4:5]
	s_cbranch_execz .LBB2_29947
; %bb.52727:
	s_getpc_b64 s[14:15]
.Lpost_getpc29947:
	s_add_u32 s14, s14, (.LBB2_2551-.Lpost_getpc29947)&4294967295
	s_addc_u32 s15, s15, (.LBB2_2551-.Lpost_getpc29947)>>32
	s_setpc_b64 s[14:15]
.LBB2_29947:
	s_getpc_b64 s[14:15]
.Lpost_getpc18557:
	s_add_u32 s14, s14, (.LBB2_2552-.Lpost_getpc18557)&4294967295
	s_addc_u32 s15, s15, (.LBB2_2552-.Lpost_getpc18557)>>32
	s_setpc_b64 s[14:15]
.LBB2_16889:
	s_movk_i32 s4, 0x80
	v_cmp_eq_u16_sdwa s[12:13], v9, s4 src0_sel:BYTE_3 src1_sel:DWORD
	s_mov_b64 s[4:5], -1
                                        ; implicit-def: $sgpr10
	s_and_saveexec_b64 s[8:9], s[12:13]
; %bb.16890:
	s_mov_b32 s10, 0x7f800001
	s_xor_b64 s[4:5], exec, -1
; %bb.16891:
	s_or_b64 exec, exec, s[8:9]
	s_and_b64 s[4:5], s[4:5], exec
	s_or_saveexec_b64 s[6:7], s[6:7]
	v_mov_b32_e32 v2, s10
	s_xor_b64 exec, exec, s[6:7]
	s_cbranch_execnz .LBB2_16892
; %bb.52729:
	s_getpc_b64 s[14:15]
.Lpost_getpc29948:
	s_add_u32 s14, s14, (.LBB2_2554-.Lpost_getpc29948)&4294967295
	s_addc_u32 s15, s15, (.LBB2_2554-.Lpost_getpc29948)>>32
	s_setpc_b64 s[14:15]
.LBB2_16892:
	v_mov_b32_e32 v2, 0
	v_cmp_ne_u16_sdwa s[8:9], v9, v2 src0_sel:BYTE_3 src1_sel:DWORD
	s_andn2_b64 s[4:5], s[4:5], exec
	s_and_b64 s[8:9], s[8:9], exec
	s_or_b64 s[4:5], s[4:5], s[8:9]
	s_or_b64 exec, exec, s[6:7]
	s_and_saveexec_b64 s[6:7], s[4:5]
	s_cbranch_execz .LBB2_29949
; %bb.52731:
	s_getpc_b64 s[14:15]
.Lpost_getpc29949:
	s_add_u32 s14, s14, (.LBB2_2555-.Lpost_getpc29949)&4294967295
	s_addc_u32 s15, s15, (.LBB2_2555-.Lpost_getpc29949)>>32
	s_setpc_b64 s[14:15]
.LBB2_29949:
	s_getpc_b64 s[14:15]
.Lpost_getpc18558:
	s_add_u32 s14, s14, (.LBB2_2556-.Lpost_getpc18558)&4294967295
	s_addc_u32 s15, s15, (.LBB2_2556-.Lpost_getpc18558)>>32
	s_setpc_b64 s[14:15]
.LBB2_16893:
	s_movk_i32 s4, 0x80
	v_cmp_eq_u16_sdwa s[12:13], v5, s4 src0_sel:BYTE_3 src1_sel:DWORD
	s_mov_b64 s[4:5], -1
                                        ; implicit-def: $sgpr10
	s_and_saveexec_b64 s[8:9], s[12:13]
; %bb.16894:
	s_mov_b32 s10, 0x7f800001
	s_xor_b64 s[4:5], exec, -1
; %bb.16895:
	s_or_b64 exec, exec, s[8:9]
	s_and_b64 s[4:5], s[4:5], exec
	s_or_saveexec_b64 s[6:7], s[6:7]
	v_mov_b32_e32 v3, s10
	s_xor_b64 exec, exec, s[6:7]
	s_cbranch_execnz .LBB2_16896
; %bb.52733:
	s_getpc_b64 s[14:15]
.Lpost_getpc29950:
	s_add_u32 s14, s14, (.LBB2_2558-.Lpost_getpc29950)&4294967295
	s_addc_u32 s15, s15, (.LBB2_2558-.Lpost_getpc29950)>>32
	s_setpc_b64 s[14:15]
.LBB2_16896:
	v_mov_b32_e32 v3, 0
	v_cmp_ne_u16_sdwa s[8:9], v5, v3 src0_sel:BYTE_3 src1_sel:DWORD
	s_andn2_b64 s[4:5], s[4:5], exec
	s_and_b64 s[8:9], s[8:9], exec
	s_or_b64 s[4:5], s[4:5], s[8:9]
	s_or_b64 exec, exec, s[6:7]
	s_and_saveexec_b64 s[6:7], s[4:5]
	s_cbranch_execz .LBB2_29951
; %bb.52735:
	s_getpc_b64 s[14:15]
.Lpost_getpc29951:
	s_add_u32 s14, s14, (.LBB2_2559-.Lpost_getpc29951)&4294967295
	s_addc_u32 s15, s15, (.LBB2_2559-.Lpost_getpc29951)>>32
	s_setpc_b64 s[14:15]
.LBB2_29951:
	s_getpc_b64 s[14:15]
.Lpost_getpc18559:
	s_add_u32 s14, s14, (.LBB2_2560-.Lpost_getpc18559)&4294967295
	s_addc_u32 s15, s15, (.LBB2_2560-.Lpost_getpc18559)>>32
	s_setpc_b64 s[14:15]
.LBB2_16897:
	s_movk_i32 s4, 0x80
	v_cmp_eq_u16_sdwa s[12:13], v6, s4 src0_sel:BYTE_0 src1_sel:DWORD
	s_mov_b64 s[4:5], -1
                                        ; implicit-def: $sgpr10
	s_and_saveexec_b64 s[8:9], s[12:13]
; %bb.16898:
	s_mov_b32 s10, 0x7f800001
	s_xor_b64 s[4:5], exec, -1
; %bb.16899:
	s_or_b64 exec, exec, s[8:9]
	s_and_b64 s[4:5], s[4:5], exec
	s_or_saveexec_b64 s[6:7], s[6:7]
	v_mov_b32_e32 v12, s10
	s_xor_b64 exec, exec, s[6:7]
	s_cbranch_execnz .LBB2_16900
; %bb.52737:
	s_getpc_b64 s[14:15]
.Lpost_getpc29952:
	s_add_u32 s14, s14, (.LBB2_2562-.Lpost_getpc29952)&4294967295
	s_addc_u32 s15, s15, (.LBB2_2562-.Lpost_getpc29952)>>32
	s_setpc_b64 s[14:15]
.LBB2_16900:
	v_mov_b32_e32 v12, 0
	v_cmp_ne_u16_sdwa s[8:9], v6, v12 src0_sel:BYTE_0 src1_sel:DWORD
	s_andn2_b64 s[4:5], s[4:5], exec
	s_and_b64 s[8:9], s[8:9], exec
	s_or_b64 s[4:5], s[4:5], s[8:9]
	s_or_b64 exec, exec, s[6:7]
	s_and_saveexec_b64 s[6:7], s[4:5]
	s_cbranch_execz .LBB2_29953
; %bb.52739:
	s_getpc_b64 s[14:15]
.Lpost_getpc29953:
	s_add_u32 s14, s14, (.LBB2_2563-.Lpost_getpc29953)&4294967295
	s_addc_u32 s15, s15, (.LBB2_2563-.Lpost_getpc29953)>>32
	s_setpc_b64 s[14:15]
.LBB2_29953:
	s_getpc_b64 s[14:15]
.Lpost_getpc18560:
	s_add_u32 s14, s14, (.LBB2_2564-.Lpost_getpc18560)&4294967295
	s_addc_u32 s15, s15, (.LBB2_2564-.Lpost_getpc18560)>>32
	s_setpc_b64 s[14:15]
.LBB2_16901:
	s_movk_i32 s4, 0x80
	v_cmp_eq_u16_sdwa s[12:13], v2, s4 src0_sel:BYTE_0 src1_sel:DWORD
	s_mov_b64 s[4:5], -1
                                        ; implicit-def: $sgpr10
	s_and_saveexec_b64 s[8:9], s[12:13]
; %bb.16902:
	s_mov_b32 s10, 0x7f800001
	s_xor_b64 s[4:5], exec, -1
; %bb.16903:
	s_or_b64 exec, exec, s[8:9]
	s_and_b64 s[4:5], s[4:5], exec
	s_or_saveexec_b64 s[6:7], s[6:7]
	v_mov_b32_e32 v13, s10
	s_xor_b64 exec, exec, s[6:7]
	s_cbranch_execnz .LBB2_16904
; %bb.52741:
	s_getpc_b64 s[14:15]
.Lpost_getpc29954:
	s_add_u32 s14, s14, (.LBB2_2566-.Lpost_getpc29954)&4294967295
	s_addc_u32 s15, s15, (.LBB2_2566-.Lpost_getpc29954)>>32
	s_setpc_b64 s[14:15]
.LBB2_16904:
	v_mov_b32_e32 v13, 0
	v_cmp_ne_u16_sdwa s[8:9], v2, v13 src0_sel:BYTE_0 src1_sel:DWORD
	s_andn2_b64 s[4:5], s[4:5], exec
	s_and_b64 s[8:9], s[8:9], exec
	s_or_b64 s[4:5], s[4:5], s[8:9]
	s_or_b64 exec, exec, s[6:7]
	s_and_saveexec_b64 s[6:7], s[4:5]
	s_cbranch_execz .LBB2_29955
; %bb.52743:
	s_getpc_b64 s[14:15]
.Lpost_getpc29955:
	s_add_u32 s14, s14, (.LBB2_2567-.Lpost_getpc29955)&4294967295
	s_addc_u32 s15, s15, (.LBB2_2567-.Lpost_getpc29955)>>32
	s_setpc_b64 s[14:15]
.LBB2_29955:
	s_getpc_b64 s[14:15]
.Lpost_getpc18561:
	s_add_u32 s14, s14, (.LBB2_2568-.Lpost_getpc18561)&4294967295
	s_addc_u32 s15, s15, (.LBB2_2568-.Lpost_getpc18561)>>32
	s_setpc_b64 s[14:15]
.LBB2_16905:
	s_movk_i32 s4, 0x80
	v_cmp_eq_u16_sdwa s[12:13], v13, s4 src0_sel:BYTE_0 src1_sel:DWORD
	s_mov_b64 s[4:5], -1
                                        ; implicit-def: $sgpr10
	s_and_saveexec_b64 s[8:9], s[12:13]
; %bb.16906:
	s_mov_b32 s10, 0x7f800001
	s_xor_b64 s[4:5], exec, -1
; %bb.16907:
	s_or_b64 exec, exec, s[8:9]
	s_and_b64 s[4:5], s[4:5], exec
	s_or_saveexec_b64 s[6:7], s[6:7]
	v_mov_b32_e32 v12, s10
	s_xor_b64 exec, exec, s[6:7]
	s_cbranch_execnz .LBB2_16908
; %bb.52745:
	s_getpc_b64 s[14:15]
.Lpost_getpc29956:
	s_add_u32 s14, s14, (.LBB2_2570-.Lpost_getpc29956)&4294967295
	s_addc_u32 s15, s15, (.LBB2_2570-.Lpost_getpc29956)>>32
	s_setpc_b64 s[14:15]
.LBB2_16908:
	v_mov_b32_e32 v12, 0
	v_cmp_ne_u16_sdwa s[8:9], v13, v12 src0_sel:BYTE_0 src1_sel:DWORD
	s_andn2_b64 s[4:5], s[4:5], exec
	s_and_b64 s[8:9], s[8:9], exec
	s_or_b64 s[4:5], s[4:5], s[8:9]
	s_or_b64 exec, exec, s[6:7]
	s_and_saveexec_b64 s[6:7], s[4:5]
	s_cbranch_execz .LBB2_29957
; %bb.52747:
	s_getpc_b64 s[14:15]
.Lpost_getpc29957:
	s_add_u32 s14, s14, (.LBB2_2571-.Lpost_getpc29957)&4294967295
	s_addc_u32 s15, s15, (.LBB2_2571-.Lpost_getpc29957)>>32
	s_setpc_b64 s[14:15]
.LBB2_29957:
	s_getpc_b64 s[14:15]
.Lpost_getpc18562:
	s_add_u32 s14, s14, (.LBB2_2572-.Lpost_getpc18562)&4294967295
	s_addc_u32 s15, s15, (.LBB2_2572-.Lpost_getpc18562)>>32
	s_setpc_b64 s[14:15]
.LBB2_16909:
	s_movk_i32 s4, 0x80
	v_cmp_eq_u16_sdwa s[12:13], v13, s4 src0_sel:BYTE_0 src1_sel:DWORD
	s_mov_b64 s[4:5], -1
                                        ; implicit-def: $sgpr10
	s_and_saveexec_b64 s[8:9], s[12:13]
; %bb.16910:
	s_mov_b32 s10, 0x7f800001
	s_xor_b64 s[4:5], exec, -1
; %bb.16911:
	s_or_b64 exec, exec, s[8:9]
	s_and_b64 s[4:5], s[4:5], exec
	s_or_saveexec_b64 s[6:7], s[6:7]
	v_mov_b32_e32 v14, s10
	s_xor_b64 exec, exec, s[6:7]
	s_cbranch_execnz .LBB2_16912
; %bb.52749:
	s_getpc_b64 s[14:15]
.Lpost_getpc29958:
	s_add_u32 s14, s14, (.LBB2_2574-.Lpost_getpc29958)&4294967295
	s_addc_u32 s15, s15, (.LBB2_2574-.Lpost_getpc29958)>>32
	s_setpc_b64 s[14:15]
.LBB2_16912:
	v_mov_b32_e32 v14, 0
	v_cmp_ne_u16_sdwa s[8:9], v13, v14 src0_sel:BYTE_0 src1_sel:DWORD
	s_andn2_b64 s[4:5], s[4:5], exec
	s_and_b64 s[8:9], s[8:9], exec
	s_or_b64 s[4:5], s[4:5], s[8:9]
	s_or_b64 exec, exec, s[6:7]
	s_and_saveexec_b64 s[6:7], s[4:5]
	s_cbranch_execz .LBB2_29959
; %bb.52751:
	s_getpc_b64 s[14:15]
.Lpost_getpc29959:
	s_add_u32 s14, s14, (.LBB2_2575-.Lpost_getpc29959)&4294967295
	s_addc_u32 s15, s15, (.LBB2_2575-.Lpost_getpc29959)>>32
	s_setpc_b64 s[14:15]
.LBB2_29959:
	s_getpc_b64 s[14:15]
.Lpost_getpc18563:
	s_add_u32 s14, s14, (.LBB2_2576-.Lpost_getpc18563)&4294967295
	s_addc_u32 s15, s15, (.LBB2_2576-.Lpost_getpc18563)>>32
	s_setpc_b64 s[14:15]
.LBB2_16913:
	s_movk_i32 s4, 0x80
	v_cmp_eq_u16_e32 vcc, s4, v13
	s_mov_b64 s[4:5], -1
                                        ; implicit-def: $sgpr10
	s_and_saveexec_b64 s[8:9], vcc
; %bb.16914:
	s_mov_b32 s10, 0x7f800001
	s_xor_b64 s[4:5], exec, -1
; %bb.16915:
	s_or_b64 exec, exec, s[8:9]
	s_and_b64 s[4:5], s[4:5], exec
                                        ; implicit-def: $vgpr13
	s_or_saveexec_b64 s[6:7], s[6:7]
	v_mov_b32_e32 v12, s10
	s_xor_b64 exec, exec, s[6:7]
	s_cbranch_execnz .LBB2_16916
; %bb.52753:
	s_getpc_b64 s[14:15]
.Lpost_getpc29960:
	s_add_u32 s14, s14, (.LBB2_2578-.Lpost_getpc29960)&4294967295
	s_addc_u32 s15, s15, (.LBB2_2578-.Lpost_getpc29960)>>32
	s_setpc_b64 s[14:15]
.LBB2_16916:
	v_cmp_ne_u16_e32 vcc, 0, v13
	s_andn2_b64 s[4:5], s[4:5], exec
	s_and_b64 s[8:9], vcc, exec
	v_mov_b32_e32 v12, 0
	s_or_b64 s[4:5], s[4:5], s[8:9]
	s_or_b64 exec, exec, s[6:7]
	s_and_saveexec_b64 s[6:7], s[4:5]
	s_cbranch_execz .LBB2_29961
; %bb.52755:
	s_getpc_b64 s[14:15]
.Lpost_getpc29961:
	s_add_u32 s14, s14, (.LBB2_2579-.Lpost_getpc29961)&4294967295
	s_addc_u32 s15, s15, (.LBB2_2579-.Lpost_getpc29961)>>32
	s_setpc_b64 s[14:15]
.LBB2_29961:
	s_getpc_b64 s[14:15]
.Lpost_getpc18564:
	s_add_u32 s14, s14, (.LBB2_2580-.Lpost_getpc18564)&4294967295
	s_addc_u32 s15, s15, (.LBB2_2580-.Lpost_getpc18564)>>32
	s_setpc_b64 s[14:15]
.LBB2_16917:
	s_movk_i32 s4, 0x80
	v_cmp_eq_u16_e32 vcc, s4, v13
	s_mov_b64 s[4:5], -1
                                        ; implicit-def: $sgpr10
	s_and_saveexec_b64 s[8:9], vcc
; %bb.16918:
	s_mov_b32 s10, 0x7f800001
	s_xor_b64 s[4:5], exec, -1
; %bb.16919:
	s_or_b64 exec, exec, s[8:9]
	s_and_b64 s[4:5], s[4:5], exec
                                        ; implicit-def: $vgpr13
	s_or_saveexec_b64 s[6:7], s[6:7]
	v_mov_b32_e32 v14, s10
	s_xor_b64 exec, exec, s[6:7]
	s_cbranch_execnz .LBB2_16920
; %bb.52757:
	s_getpc_b64 s[14:15]
.Lpost_getpc29962:
	s_add_u32 s14, s14, (.LBB2_2582-.Lpost_getpc29962)&4294967295
	s_addc_u32 s15, s15, (.LBB2_2582-.Lpost_getpc29962)>>32
	s_setpc_b64 s[14:15]
.LBB2_16920:
	v_cmp_ne_u16_e32 vcc, 0, v13
	s_andn2_b64 s[4:5], s[4:5], exec
	s_and_b64 s[8:9], vcc, exec
	v_mov_b32_e32 v14, 0
	s_or_b64 s[4:5], s[4:5], s[8:9]
	s_or_b64 exec, exec, s[6:7]
	s_and_saveexec_b64 s[6:7], s[4:5]
	s_cbranch_execz .LBB2_29963
; %bb.52759:
	s_getpc_b64 s[14:15]
.Lpost_getpc29963:
	s_add_u32 s14, s14, (.LBB2_2583-.Lpost_getpc29963)&4294967295
	s_addc_u32 s15, s15, (.LBB2_2583-.Lpost_getpc29963)>>32
	s_setpc_b64 s[14:15]
.LBB2_29963:
	s_getpc_b64 s[14:15]
.Lpost_getpc18565:
	s_add_u32 s14, s14, (.LBB2_2584-.Lpost_getpc18565)&4294967295
	s_addc_u32 s15, s15, (.LBB2_2584-.Lpost_getpc18565)>>32
	s_setpc_b64 s[14:15]
.LBB2_16921:
	s_movk_i32 s4, 0x80
	v_cmp_eq_u16_sdwa s[12:13], v6, s4 src0_sel:BYTE_3 src1_sel:DWORD
	s_mov_b64 s[4:5], -1
                                        ; implicit-def: $sgpr10
	s_and_saveexec_b64 s[8:9], s[12:13]
; %bb.16922:
	s_mov_b32 s10, 0x7f800001
	s_xor_b64 s[4:5], exec, -1
; %bb.16923:
	s_or_b64 exec, exec, s[8:9]
	s_and_b64 s[4:5], s[4:5], exec
	s_or_saveexec_b64 s[6:7], s[6:7]
	v_mov_b32_e32 v12, s10
	s_xor_b64 exec, exec, s[6:7]
	s_cbranch_execnz .LBB2_16924
; %bb.52761:
	s_getpc_b64 s[14:15]
.Lpost_getpc29964:
	s_add_u32 s14, s14, (.LBB2_2586-.Lpost_getpc29964)&4294967295
	s_addc_u32 s15, s15, (.LBB2_2586-.Lpost_getpc29964)>>32
	s_setpc_b64 s[14:15]
.LBB2_16924:
	v_mov_b32_e32 v12, 0
	v_cmp_ne_u16_sdwa s[8:9], v6, v12 src0_sel:BYTE_3 src1_sel:DWORD
	s_andn2_b64 s[4:5], s[4:5], exec
	s_and_b64 s[8:9], s[8:9], exec
	s_or_b64 s[4:5], s[4:5], s[8:9]
	s_or_b64 exec, exec, s[6:7]
	s_and_saveexec_b64 s[6:7], s[4:5]
	s_cbranch_execz .LBB2_29965
; %bb.52763:
	s_getpc_b64 s[14:15]
.Lpost_getpc29965:
	s_add_u32 s14, s14, (.LBB2_2587-.Lpost_getpc29965)&4294967295
	s_addc_u32 s15, s15, (.LBB2_2587-.Lpost_getpc29965)>>32
	s_setpc_b64 s[14:15]
.LBB2_29965:
	s_getpc_b64 s[14:15]
.Lpost_getpc18566:
	s_add_u32 s14, s14, (.LBB2_2588-.Lpost_getpc18566)&4294967295
	s_addc_u32 s15, s15, (.LBB2_2588-.Lpost_getpc18566)>>32
	s_setpc_b64 s[14:15]
.LBB2_16925:
	s_movk_i32 s4, 0x80
	v_cmp_eq_u16_sdwa s[12:13], v2, s4 src0_sel:BYTE_3 src1_sel:DWORD
	s_mov_b64 s[4:5], -1
                                        ; implicit-def: $sgpr10
	s_and_saveexec_b64 s[8:9], s[12:13]
; %bb.16926:
	s_mov_b32 s10, 0x7f800001
	s_xor_b64 s[4:5], exec, -1
; %bb.16927:
	s_or_b64 exec, exec, s[8:9]
	s_and_b64 s[4:5], s[4:5], exec
	s_or_saveexec_b64 s[6:7], s[6:7]
	v_mov_b32_e32 v6, s10
	s_xor_b64 exec, exec, s[6:7]
	s_cbranch_execnz .LBB2_16928
; %bb.52765:
	s_getpc_b64 s[14:15]
.Lpost_getpc29966:
	s_add_u32 s14, s14, (.LBB2_2590-.Lpost_getpc29966)&4294967295
	s_addc_u32 s15, s15, (.LBB2_2590-.Lpost_getpc29966)>>32
	s_setpc_b64 s[14:15]
.LBB2_16928:
	v_mov_b32_e32 v6, 0
	v_cmp_ne_u16_sdwa s[8:9], v2, v6 src0_sel:BYTE_3 src1_sel:DWORD
	s_andn2_b64 s[4:5], s[4:5], exec
	s_and_b64 s[8:9], s[8:9], exec
	s_or_b64 s[4:5], s[4:5], s[8:9]
	s_or_b64 exec, exec, s[6:7]
	s_and_saveexec_b64 s[6:7], s[4:5]
	s_cbranch_execz .LBB2_29967
; %bb.52767:
	s_getpc_b64 s[14:15]
.Lpost_getpc29967:
	s_add_u32 s14, s14, (.LBB2_2591-.Lpost_getpc29967)&4294967295
	s_addc_u32 s15, s15, (.LBB2_2591-.Lpost_getpc29967)>>32
	s_setpc_b64 s[14:15]
.LBB2_29967:
	s_getpc_b64 s[14:15]
.Lpost_getpc18567:
	s_add_u32 s14, s14, (.LBB2_2592-.Lpost_getpc18567)&4294967295
	s_addc_u32 s15, s15, (.LBB2_2592-.Lpost_getpc18567)>>32
	s_setpc_b64 s[14:15]
.LBB2_16929:
	s_movk_i32 s4, 0x80
	v_cmp_eq_u16_sdwa s[12:13], v7, s4 src0_sel:BYTE_0 src1_sel:DWORD
	s_mov_b64 s[4:5], -1
                                        ; implicit-def: $sgpr10
	s_and_saveexec_b64 s[8:9], s[12:13]
; %bb.16930:
	s_mov_b32 s10, 0x7f800001
	s_xor_b64 s[4:5], exec, -1
; %bb.16931:
	s_or_b64 exec, exec, s[8:9]
	s_and_b64 s[4:5], s[4:5], exec
	s_or_saveexec_b64 s[6:7], s[6:7]
	v_mov_b32_e32 v2, s10
	s_xor_b64 exec, exec, s[6:7]
	s_cbranch_execnz .LBB2_16932
; %bb.52769:
	s_getpc_b64 s[14:15]
.Lpost_getpc29968:
	s_add_u32 s14, s14, (.LBB2_2594-.Lpost_getpc29968)&4294967295
	s_addc_u32 s15, s15, (.LBB2_2594-.Lpost_getpc29968)>>32
	s_setpc_b64 s[14:15]
.LBB2_16932:
	v_mov_b32_e32 v2, 0
	v_cmp_ne_u16_sdwa s[8:9], v7, v2 src0_sel:BYTE_0 src1_sel:DWORD
	s_andn2_b64 s[4:5], s[4:5], exec
	s_and_b64 s[8:9], s[8:9], exec
	s_or_b64 s[4:5], s[4:5], s[8:9]
	s_or_b64 exec, exec, s[6:7]
	s_and_saveexec_b64 s[6:7], s[4:5]
	s_cbranch_execz .LBB2_29969
; %bb.52771:
	s_getpc_b64 s[14:15]
.Lpost_getpc29969:
	s_add_u32 s14, s14, (.LBB2_2595-.Lpost_getpc29969)&4294967295
	s_addc_u32 s15, s15, (.LBB2_2595-.Lpost_getpc29969)>>32
	s_setpc_b64 s[14:15]
.LBB2_29969:
	s_getpc_b64 s[14:15]
.Lpost_getpc18568:
	s_add_u32 s14, s14, (.LBB2_2596-.Lpost_getpc18568)&4294967295
	s_addc_u32 s15, s15, (.LBB2_2596-.Lpost_getpc18568)>>32
	s_setpc_b64 s[14:15]
.LBB2_16933:
	s_movk_i32 s4, 0x80
	v_cmp_eq_u16_sdwa s[12:13], v3, s4 src0_sel:BYTE_0 src1_sel:DWORD
	s_mov_b64 s[4:5], -1
                                        ; implicit-def: $sgpr10
	s_and_saveexec_b64 s[8:9], s[12:13]
; %bb.16934:
	s_mov_b32 s10, 0x7f800001
	s_xor_b64 s[4:5], exec, -1
; %bb.16935:
	s_or_b64 exec, exec, s[8:9]
	s_and_b64 s[4:5], s[4:5], exec
	s_or_saveexec_b64 s[6:7], s[6:7]
	v_mov_b32_e32 v6, s10
	s_xor_b64 exec, exec, s[6:7]
	s_cbranch_execnz .LBB2_16936
; %bb.52773:
	s_getpc_b64 s[14:15]
.Lpost_getpc29970:
	s_add_u32 s14, s14, (.LBB2_2598-.Lpost_getpc29970)&4294967295
	s_addc_u32 s15, s15, (.LBB2_2598-.Lpost_getpc29970)>>32
	s_setpc_b64 s[14:15]
.LBB2_16936:
	v_mov_b32_e32 v6, 0
	v_cmp_ne_u16_sdwa s[8:9], v3, v6 src0_sel:BYTE_0 src1_sel:DWORD
	s_andn2_b64 s[4:5], s[4:5], exec
	s_and_b64 s[8:9], s[8:9], exec
	s_or_b64 s[4:5], s[4:5], s[8:9]
	s_or_b64 exec, exec, s[6:7]
	s_and_saveexec_b64 s[6:7], s[4:5]
	s_cbranch_execz .LBB2_29971
; %bb.52775:
	s_getpc_b64 s[14:15]
.Lpost_getpc29971:
	s_add_u32 s14, s14, (.LBB2_2599-.Lpost_getpc29971)&4294967295
	s_addc_u32 s15, s15, (.LBB2_2599-.Lpost_getpc29971)>>32
	s_setpc_b64 s[14:15]
.LBB2_29971:
	s_getpc_b64 s[14:15]
.Lpost_getpc18569:
	s_add_u32 s14, s14, (.LBB2_2600-.Lpost_getpc18569)&4294967295
	s_addc_u32 s15, s15, (.LBB2_2600-.Lpost_getpc18569)>>32
	s_setpc_b64 s[14:15]
.LBB2_16937:
	s_movk_i32 s4, 0x80
	v_cmp_eq_u16_sdwa s[12:13], v6, s4 src0_sel:BYTE_0 src1_sel:DWORD
	s_mov_b64 s[4:5], -1
                                        ; implicit-def: $sgpr10
	s_and_saveexec_b64 s[8:9], s[12:13]
; %bb.16938:
	s_mov_b32 s10, 0x7f800001
	s_xor_b64 s[4:5], exec, -1
; %bb.16939:
	s_or_b64 exec, exec, s[8:9]
	s_and_b64 s[4:5], s[4:5], exec
	s_or_saveexec_b64 s[6:7], s[6:7]
	v_mov_b32_e32 v2, s10
	s_xor_b64 exec, exec, s[6:7]
	s_cbranch_execnz .LBB2_16940
; %bb.52777:
	s_getpc_b64 s[14:15]
.Lpost_getpc29972:
	s_add_u32 s14, s14, (.LBB2_2602-.Lpost_getpc29972)&4294967295
	s_addc_u32 s15, s15, (.LBB2_2602-.Lpost_getpc29972)>>32
	s_setpc_b64 s[14:15]
.LBB2_16940:
	v_mov_b32_e32 v2, 0
	v_cmp_ne_u16_sdwa s[8:9], v6, v2 src0_sel:BYTE_0 src1_sel:DWORD
	s_andn2_b64 s[4:5], s[4:5], exec
	s_and_b64 s[8:9], s[8:9], exec
	s_or_b64 s[4:5], s[4:5], s[8:9]
	s_or_b64 exec, exec, s[6:7]
	s_and_saveexec_b64 s[6:7], s[4:5]
	s_cbranch_execz .LBB2_29973
; %bb.52779:
	s_getpc_b64 s[14:15]
.Lpost_getpc29973:
	s_add_u32 s14, s14, (.LBB2_2603-.Lpost_getpc29973)&4294967295
	s_addc_u32 s15, s15, (.LBB2_2603-.Lpost_getpc29973)>>32
	s_setpc_b64 s[14:15]
.LBB2_29973:
	s_getpc_b64 s[14:15]
.Lpost_getpc18570:
	s_add_u32 s14, s14, (.LBB2_2604-.Lpost_getpc18570)&4294967295
	s_addc_u32 s15, s15, (.LBB2_2604-.Lpost_getpc18570)>>32
	s_setpc_b64 s[14:15]
.LBB2_16941:
	s_movk_i32 s4, 0x80
	v_cmp_eq_u16_sdwa s[12:13], v6, s4 src0_sel:BYTE_0 src1_sel:DWORD
	s_mov_b64 s[4:5], -1
                                        ; implicit-def: $sgpr10
	s_and_saveexec_b64 s[8:9], s[12:13]
; %bb.16942:
	s_mov_b32 s10, 0x7f800001
	s_xor_b64 s[4:5], exec, -1
; %bb.16943:
	s_or_b64 exec, exec, s[8:9]
	s_and_b64 s[4:5], s[4:5], exec
	s_or_saveexec_b64 s[6:7], s[6:7]
	v_mov_b32_e32 v12, s10
	s_xor_b64 exec, exec, s[6:7]
	s_cbranch_execnz .LBB2_16944
; %bb.52781:
	s_getpc_b64 s[14:15]
.Lpost_getpc29974:
	s_add_u32 s14, s14, (.LBB2_2606-.Lpost_getpc29974)&4294967295
	s_addc_u32 s15, s15, (.LBB2_2606-.Lpost_getpc29974)>>32
	s_setpc_b64 s[14:15]
.LBB2_16944:
	v_mov_b32_e32 v12, 0
	v_cmp_ne_u16_sdwa s[8:9], v6, v12 src0_sel:BYTE_0 src1_sel:DWORD
	s_andn2_b64 s[4:5], s[4:5], exec
	s_and_b64 s[8:9], s[8:9], exec
	s_or_b64 s[4:5], s[4:5], s[8:9]
	s_or_b64 exec, exec, s[6:7]
	s_and_saveexec_b64 s[6:7], s[4:5]
	s_cbranch_execz .LBB2_29975
; %bb.52783:
	s_getpc_b64 s[14:15]
.Lpost_getpc29975:
	s_add_u32 s14, s14, (.LBB2_2607-.Lpost_getpc29975)&4294967295
	s_addc_u32 s15, s15, (.LBB2_2607-.Lpost_getpc29975)>>32
	s_setpc_b64 s[14:15]
.LBB2_29975:
	s_getpc_b64 s[14:15]
.Lpost_getpc18571:
	s_add_u32 s14, s14, (.LBB2_2608-.Lpost_getpc18571)&4294967295
	s_addc_u32 s15, s15, (.LBB2_2608-.Lpost_getpc18571)>>32
	s_setpc_b64 s[14:15]
.LBB2_16945:
	s_movk_i32 s4, 0x80
	v_cmp_eq_u16_e32 vcc, s4, v6
	s_mov_b64 s[4:5], -1
                                        ; implicit-def: $sgpr10
	s_and_saveexec_b64 s[8:9], vcc
; %bb.16946:
	s_mov_b32 s10, 0x7f800001
	s_xor_b64 s[4:5], exec, -1
; %bb.16947:
	s_or_b64 exec, exec, s[8:9]
	s_and_b64 s[4:5], s[4:5], exec
                                        ; implicit-def: $vgpr6
	s_or_saveexec_b64 s[6:7], s[6:7]
	v_mov_b32_e32 v2, s10
	s_xor_b64 exec, exec, s[6:7]
	s_cbranch_execnz .LBB2_16948
; %bb.52785:
	s_getpc_b64 s[14:15]
.Lpost_getpc29976:
	s_add_u32 s14, s14, (.LBB2_2610-.Lpost_getpc29976)&4294967295
	s_addc_u32 s15, s15, (.LBB2_2610-.Lpost_getpc29976)>>32
	s_setpc_b64 s[14:15]
.LBB2_16948:
	v_cmp_ne_u16_e32 vcc, 0, v6
	s_andn2_b64 s[4:5], s[4:5], exec
	s_and_b64 s[8:9], vcc, exec
	v_mov_b32_e32 v2, 0
	s_or_b64 s[4:5], s[4:5], s[8:9]
	s_or_b64 exec, exec, s[6:7]
	s_and_saveexec_b64 s[6:7], s[4:5]
	s_cbranch_execz .LBB2_29977
; %bb.52787:
	s_getpc_b64 s[14:15]
.Lpost_getpc29977:
	s_add_u32 s14, s14, (.LBB2_2611-.Lpost_getpc29977)&4294967295
	s_addc_u32 s15, s15, (.LBB2_2611-.Lpost_getpc29977)>>32
	s_setpc_b64 s[14:15]
.LBB2_29977:
	s_getpc_b64 s[14:15]
.Lpost_getpc18572:
	s_add_u32 s14, s14, (.LBB2_2612-.Lpost_getpc18572)&4294967295
	s_addc_u32 s15, s15, (.LBB2_2612-.Lpost_getpc18572)>>32
	s_setpc_b64 s[14:15]
.LBB2_16949:
	s_movk_i32 s4, 0x80
	v_cmp_eq_u16_e32 vcc, s4, v6
	s_mov_b64 s[4:5], -1
                                        ; implicit-def: $sgpr10
	s_and_saveexec_b64 s[8:9], vcc
; %bb.16950:
	s_mov_b32 s10, 0x7f800001
	s_xor_b64 s[4:5], exec, -1
; %bb.16951:
	s_or_b64 exec, exec, s[8:9]
	s_and_b64 s[4:5], s[4:5], exec
                                        ; implicit-def: $vgpr6
	s_or_saveexec_b64 s[6:7], s[6:7]
	v_mov_b32_e32 v12, s10
	s_xor_b64 exec, exec, s[6:7]
	s_cbranch_execnz .LBB2_16952
; %bb.52789:
	s_getpc_b64 s[14:15]
.Lpost_getpc29978:
	s_add_u32 s14, s14, (.LBB2_2614-.Lpost_getpc29978)&4294967295
	s_addc_u32 s15, s15, (.LBB2_2614-.Lpost_getpc29978)>>32
	s_setpc_b64 s[14:15]
.LBB2_16952:
	v_cmp_ne_u16_e32 vcc, 0, v6
	s_andn2_b64 s[4:5], s[4:5], exec
	s_and_b64 s[8:9], vcc, exec
	v_mov_b32_e32 v12, 0
	s_or_b64 s[4:5], s[4:5], s[8:9]
	s_or_b64 exec, exec, s[6:7]
	s_and_saveexec_b64 s[6:7], s[4:5]
	s_cbranch_execz .LBB2_29979
; %bb.52791:
	s_getpc_b64 s[14:15]
.Lpost_getpc29979:
	s_add_u32 s14, s14, (.LBB2_2615-.Lpost_getpc29979)&4294967295
	s_addc_u32 s15, s15, (.LBB2_2615-.Lpost_getpc29979)>>32
	s_setpc_b64 s[14:15]
.LBB2_29979:
	s_getpc_b64 s[14:15]
.Lpost_getpc18573:
	s_add_u32 s14, s14, (.LBB2_2616-.Lpost_getpc18573)&4294967295
	s_addc_u32 s15, s15, (.LBB2_2616-.Lpost_getpc18573)>>32
	s_setpc_b64 s[14:15]
.LBB2_16953:
	s_movk_i32 s4, 0x80
	v_cmp_eq_u16_sdwa s[12:13], v7, s4 src0_sel:BYTE_3 src1_sel:DWORD
	s_mov_b64 s[4:5], -1
                                        ; implicit-def: $sgpr10
	s_and_saveexec_b64 s[8:9], s[12:13]
; %bb.16954:
	s_mov_b32 s10, 0x7f800001
	s_xor_b64 s[4:5], exec, -1
; %bb.16955:
	s_or_b64 exec, exec, s[8:9]
	s_and_b64 s[4:5], s[4:5], exec
	s_or_saveexec_b64 s[6:7], s[6:7]
	v_mov_b32_e32 v2, s10
	s_xor_b64 exec, exec, s[6:7]
	s_cbranch_execnz .LBB2_16956
; %bb.52793:
	s_getpc_b64 s[14:15]
.Lpost_getpc29980:
	s_add_u32 s14, s14, (.LBB2_2618-.Lpost_getpc29980)&4294967295
	s_addc_u32 s15, s15, (.LBB2_2618-.Lpost_getpc29980)>>32
	s_setpc_b64 s[14:15]
.LBB2_16956:
	v_mov_b32_e32 v2, 0
	v_cmp_ne_u16_sdwa s[8:9], v7, v2 src0_sel:BYTE_3 src1_sel:DWORD
	s_andn2_b64 s[4:5], s[4:5], exec
	s_and_b64 s[8:9], s[8:9], exec
	s_or_b64 s[4:5], s[4:5], s[8:9]
	s_or_b64 exec, exec, s[6:7]
	s_and_saveexec_b64 s[6:7], s[4:5]
	s_cbranch_execz .LBB2_29981
; %bb.52795:
	s_getpc_b64 s[14:15]
.Lpost_getpc29981:
	s_add_u32 s14, s14, (.LBB2_2619-.Lpost_getpc29981)&4294967295
	s_addc_u32 s15, s15, (.LBB2_2619-.Lpost_getpc29981)>>32
	s_setpc_b64 s[14:15]
.LBB2_29981:
	s_getpc_b64 s[14:15]
.Lpost_getpc18574:
	s_add_u32 s14, s14, (.LBB2_2620-.Lpost_getpc18574)&4294967295
	s_addc_u32 s15, s15, (.LBB2_2620-.Lpost_getpc18574)>>32
	s_setpc_b64 s[14:15]
.LBB2_16957:
	s_movk_i32 s4, 0x80
	v_cmp_eq_u16_sdwa s[12:13], v3, s4 src0_sel:BYTE_3 src1_sel:DWORD
	s_mov_b64 s[4:5], -1
                                        ; implicit-def: $sgpr10
	s_and_saveexec_b64 s[8:9], s[12:13]
; %bb.16958:
	s_mov_b32 s10, 0x7f800001
	s_xor_b64 s[4:5], exec, -1
; %bb.16959:
	s_or_b64 exec, exec, s[8:9]
	s_and_b64 s[4:5], s[4:5], exec
	s_or_saveexec_b64 s[6:7], s[6:7]
	v_mov_b32_e32 v6, s10
	s_xor_b64 exec, exec, s[6:7]
	s_cbranch_execnz .LBB2_16960
; %bb.52797:
	s_getpc_b64 s[14:15]
.Lpost_getpc29982:
	s_add_u32 s14, s14, (.LBB2_2622-.Lpost_getpc29982)&4294967295
	s_addc_u32 s15, s15, (.LBB2_2622-.Lpost_getpc29982)>>32
	s_setpc_b64 s[14:15]
.LBB2_16960:
	v_mov_b32_e32 v6, 0
	v_cmp_ne_u16_sdwa s[8:9], v3, v6 src0_sel:BYTE_3 src1_sel:DWORD
	s_andn2_b64 s[4:5], s[4:5], exec
	s_and_b64 s[8:9], s[8:9], exec
	s_or_b64 s[4:5], s[4:5], s[8:9]
	s_or_b64 exec, exec, s[6:7]
	s_and_saveexec_b64 s[6:7], s[4:5]
	s_cbranch_execz .LBB2_29983
; %bb.52799:
	s_getpc_b64 s[14:15]
.Lpost_getpc29983:
	s_add_u32 s14, s14, (.LBB2_2623-.Lpost_getpc29983)&4294967295
	s_addc_u32 s15, s15, (.LBB2_2623-.Lpost_getpc29983)>>32
	s_setpc_b64 s[14:15]
.LBB2_29983:
	s_getpc_b64 s[14:15]
.Lpost_getpc18575:
	s_add_u32 s14, s14, (.LBB2_2624-.Lpost_getpc18575)&4294967295
	s_addc_u32 s15, s15, (.LBB2_2624-.Lpost_getpc18575)>>32
	s_setpc_b64 s[14:15]
.LBB2_16961:
	s_movk_i32 s4, 0x80
	v_cmp_eq_u16_sdwa s[12:13], v8, s4 src0_sel:BYTE_0 src1_sel:DWORD
	s_mov_b64 s[4:5], -1
                                        ; implicit-def: $sgpr10
	s_and_saveexec_b64 s[8:9], s[12:13]
; %bb.16962:
	s_mov_b32 s10, 0x7f800001
	s_xor_b64 s[4:5], exec, -1
; %bb.16963:
	s_or_b64 exec, exec, s[8:9]
	s_and_b64 s[4:5], s[4:5], exec
	s_or_saveexec_b64 s[6:7], s[6:7]
	v_mov_b32_e32 v2, s10
	s_xor_b64 exec, exec, s[6:7]
	s_cbranch_execnz .LBB2_16964
; %bb.52801:
	s_getpc_b64 s[14:15]
.Lpost_getpc29984:
	s_add_u32 s14, s14, (.LBB2_2626-.Lpost_getpc29984)&4294967295
	s_addc_u32 s15, s15, (.LBB2_2626-.Lpost_getpc29984)>>32
	s_setpc_b64 s[14:15]
.LBB2_16964:
	v_mov_b32_e32 v2, 0
	v_cmp_ne_u16_sdwa s[8:9], v8, v2 src0_sel:BYTE_0 src1_sel:DWORD
	s_andn2_b64 s[4:5], s[4:5], exec
	s_and_b64 s[8:9], s[8:9], exec
	s_or_b64 s[4:5], s[4:5], s[8:9]
	s_or_b64 exec, exec, s[6:7]
	s_and_saveexec_b64 s[6:7], s[4:5]
	s_cbranch_execz .LBB2_29985
; %bb.52803:
	s_getpc_b64 s[14:15]
.Lpost_getpc29985:
	s_add_u32 s14, s14, (.LBB2_2627-.Lpost_getpc29985)&4294967295
	s_addc_u32 s15, s15, (.LBB2_2627-.Lpost_getpc29985)>>32
	s_setpc_b64 s[14:15]
.LBB2_29985:
	s_getpc_b64 s[14:15]
.Lpost_getpc18576:
	s_add_u32 s14, s14, (.LBB2_2628-.Lpost_getpc18576)&4294967295
	s_addc_u32 s15, s15, (.LBB2_2628-.Lpost_getpc18576)>>32
	s_setpc_b64 s[14:15]
.LBB2_16965:
	s_movk_i32 s4, 0x80
	v_cmp_eq_u16_sdwa s[12:13], v4, s4 src0_sel:BYTE_0 src1_sel:DWORD
	s_mov_b64 s[4:5], -1
                                        ; implicit-def: $sgpr10
	s_and_saveexec_b64 s[8:9], s[12:13]
; %bb.16966:
	s_mov_b32 s10, 0x7f800001
	s_xor_b64 s[4:5], exec, -1
; %bb.16967:
	s_or_b64 exec, exec, s[8:9]
	s_and_b64 s[4:5], s[4:5], exec
	s_or_saveexec_b64 s[6:7], s[6:7]
	v_mov_b32_e32 v3, s10
	s_xor_b64 exec, exec, s[6:7]
	s_cbranch_execnz .LBB2_16968
; %bb.52805:
	s_getpc_b64 s[14:15]
.Lpost_getpc29986:
	s_add_u32 s14, s14, (.LBB2_2630-.Lpost_getpc29986)&4294967295
	s_addc_u32 s15, s15, (.LBB2_2630-.Lpost_getpc29986)>>32
	s_setpc_b64 s[14:15]
.LBB2_16968:
	v_mov_b32_e32 v3, 0
	v_cmp_ne_u16_sdwa s[8:9], v4, v3 src0_sel:BYTE_0 src1_sel:DWORD
	s_andn2_b64 s[4:5], s[4:5], exec
	s_and_b64 s[8:9], s[8:9], exec
	s_or_b64 s[4:5], s[4:5], s[8:9]
	s_or_b64 exec, exec, s[6:7]
	s_and_saveexec_b64 s[6:7], s[4:5]
	s_cbranch_execz .LBB2_29987
; %bb.52807:
	s_getpc_b64 s[14:15]
.Lpost_getpc29987:
	s_add_u32 s14, s14, (.LBB2_2631-.Lpost_getpc29987)&4294967295
	s_addc_u32 s15, s15, (.LBB2_2631-.Lpost_getpc29987)>>32
	s_setpc_b64 s[14:15]
.LBB2_29987:
	s_getpc_b64 s[14:15]
.Lpost_getpc18577:
	s_add_u32 s14, s14, (.LBB2_2632-.Lpost_getpc18577)&4294967295
	s_addc_u32 s15, s15, (.LBB2_2632-.Lpost_getpc18577)>>32
	s_setpc_b64 s[14:15]
.LBB2_16969:
	s_movk_i32 s4, 0x80
	v_cmp_eq_u16_sdwa s[12:13], v3, s4 src0_sel:BYTE_0 src1_sel:DWORD
	s_mov_b64 s[4:5], -1
                                        ; implicit-def: $sgpr10
	s_and_saveexec_b64 s[8:9], s[12:13]
; %bb.16970:
	s_mov_b32 s10, 0x7f800001
	s_xor_b64 s[4:5], exec, -1
; %bb.16971:
	s_or_b64 exec, exec, s[8:9]
	s_and_b64 s[4:5], s[4:5], exec
	s_or_saveexec_b64 s[6:7], s[6:7]
	v_mov_b32_e32 v2, s10
	s_xor_b64 exec, exec, s[6:7]
	s_cbranch_execnz .LBB2_16972
; %bb.52809:
	s_getpc_b64 s[14:15]
.Lpost_getpc29988:
	s_add_u32 s14, s14, (.LBB2_2634-.Lpost_getpc29988)&4294967295
	s_addc_u32 s15, s15, (.LBB2_2634-.Lpost_getpc29988)>>32
	s_setpc_b64 s[14:15]
.LBB2_16972:
	v_mov_b32_e32 v2, 0
	v_cmp_ne_u16_sdwa s[8:9], v3, v2 src0_sel:BYTE_0 src1_sel:DWORD
	s_andn2_b64 s[4:5], s[4:5], exec
	s_and_b64 s[8:9], s[8:9], exec
	s_or_b64 s[4:5], s[4:5], s[8:9]
	s_or_b64 exec, exec, s[6:7]
	s_and_saveexec_b64 s[6:7], s[4:5]
	s_cbranch_execz .LBB2_29989
; %bb.52811:
	s_getpc_b64 s[14:15]
.Lpost_getpc29989:
	s_add_u32 s14, s14, (.LBB2_2635-.Lpost_getpc29989)&4294967295
	s_addc_u32 s15, s15, (.LBB2_2635-.Lpost_getpc29989)>>32
	s_setpc_b64 s[14:15]
.LBB2_29989:
	s_getpc_b64 s[14:15]
.Lpost_getpc18578:
	s_add_u32 s14, s14, (.LBB2_2636-.Lpost_getpc18578)&4294967295
	s_addc_u32 s15, s15, (.LBB2_2636-.Lpost_getpc18578)>>32
	s_setpc_b64 s[14:15]
.LBB2_16973:
	s_movk_i32 s4, 0x80
	v_cmp_eq_u16_sdwa s[12:13], v3, s4 src0_sel:BYTE_0 src1_sel:DWORD
	s_mov_b64 s[4:5], -1
                                        ; implicit-def: $sgpr10
	s_and_saveexec_b64 s[8:9], s[12:13]
; %bb.16974:
	s_mov_b32 s10, 0x7f800001
	s_xor_b64 s[4:5], exec, -1
; %bb.16975:
	s_or_b64 exec, exec, s[8:9]
	s_and_b64 s[4:5], s[4:5], exec
	s_or_saveexec_b64 s[6:7], s[6:7]
	v_mov_b32_e32 v6, s10
	s_xor_b64 exec, exec, s[6:7]
	s_cbranch_execnz .LBB2_16976
; %bb.52813:
	s_getpc_b64 s[14:15]
.Lpost_getpc29990:
	s_add_u32 s14, s14, (.LBB2_2638-.Lpost_getpc29990)&4294967295
	s_addc_u32 s15, s15, (.LBB2_2638-.Lpost_getpc29990)>>32
	s_setpc_b64 s[14:15]
.LBB2_16976:
	v_mov_b32_e32 v6, 0
	v_cmp_ne_u16_sdwa s[8:9], v3, v6 src0_sel:BYTE_0 src1_sel:DWORD
	s_andn2_b64 s[4:5], s[4:5], exec
	s_and_b64 s[8:9], s[8:9], exec
	s_or_b64 s[4:5], s[4:5], s[8:9]
	s_or_b64 exec, exec, s[6:7]
	s_and_saveexec_b64 s[6:7], s[4:5]
	s_cbranch_execz .LBB2_29991
; %bb.52815:
	s_getpc_b64 s[14:15]
.Lpost_getpc29991:
	s_add_u32 s14, s14, (.LBB2_2639-.Lpost_getpc29991)&4294967295
	s_addc_u32 s15, s15, (.LBB2_2639-.Lpost_getpc29991)>>32
	s_setpc_b64 s[14:15]
.LBB2_29991:
	s_getpc_b64 s[14:15]
.Lpost_getpc18579:
	s_add_u32 s14, s14, (.LBB2_2640-.Lpost_getpc18579)&4294967295
	s_addc_u32 s15, s15, (.LBB2_2640-.Lpost_getpc18579)>>32
	s_setpc_b64 s[14:15]
.LBB2_16977:
	s_movk_i32 s4, 0x80
	v_cmp_eq_u16_e32 vcc, s4, v3
	s_mov_b64 s[4:5], -1
                                        ; implicit-def: $sgpr10
	s_and_saveexec_b64 s[8:9], vcc
; %bb.16978:
	s_mov_b32 s10, 0x7f800001
	s_xor_b64 s[4:5], exec, -1
; %bb.16979:
	s_or_b64 exec, exec, s[8:9]
	s_and_b64 s[4:5], s[4:5], exec
                                        ; implicit-def: $vgpr3
	s_or_saveexec_b64 s[6:7], s[6:7]
	v_mov_b32_e32 v2, s10
	s_xor_b64 exec, exec, s[6:7]
	s_cbranch_execnz .LBB2_16980
; %bb.52817:
	s_getpc_b64 s[14:15]
.Lpost_getpc29992:
	s_add_u32 s14, s14, (.LBB2_2642-.Lpost_getpc29992)&4294967295
	s_addc_u32 s15, s15, (.LBB2_2642-.Lpost_getpc29992)>>32
	s_setpc_b64 s[14:15]
.LBB2_16980:
	v_cmp_ne_u16_e32 vcc, 0, v3
	s_andn2_b64 s[4:5], s[4:5], exec
	s_and_b64 s[8:9], vcc, exec
	v_mov_b32_e32 v2, 0
	s_or_b64 s[4:5], s[4:5], s[8:9]
	s_or_b64 exec, exec, s[6:7]
	s_and_saveexec_b64 s[6:7], s[4:5]
	s_cbranch_execz .LBB2_29993
; %bb.52819:
	s_getpc_b64 s[14:15]
.Lpost_getpc29993:
	s_add_u32 s14, s14, (.LBB2_2643-.Lpost_getpc29993)&4294967295
	s_addc_u32 s15, s15, (.LBB2_2643-.Lpost_getpc29993)>>32
	s_setpc_b64 s[14:15]
.LBB2_29993:
	s_getpc_b64 s[14:15]
.Lpost_getpc18580:
	s_add_u32 s14, s14, (.LBB2_2644-.Lpost_getpc18580)&4294967295
	s_addc_u32 s15, s15, (.LBB2_2644-.Lpost_getpc18580)>>32
	s_setpc_b64 s[14:15]
.LBB2_16981:
	s_movk_i32 s4, 0x80
	v_cmp_eq_u16_e32 vcc, s4, v3
	s_mov_b64 s[4:5], -1
                                        ; implicit-def: $sgpr10
	s_and_saveexec_b64 s[8:9], vcc
; %bb.16982:
	s_mov_b32 s10, 0x7f800001
	s_xor_b64 s[4:5], exec, -1
; %bb.16983:
	s_or_b64 exec, exec, s[8:9]
	s_and_b64 s[4:5], s[4:5], exec
                                        ; implicit-def: $vgpr3
	s_or_saveexec_b64 s[6:7], s[6:7]
	v_mov_b32_e32 v6, s10
	s_xor_b64 exec, exec, s[6:7]
	s_cbranch_execnz .LBB2_16984
; %bb.52821:
	s_getpc_b64 s[14:15]
.Lpost_getpc29994:
	s_add_u32 s14, s14, (.LBB2_2646-.Lpost_getpc29994)&4294967295
	s_addc_u32 s15, s15, (.LBB2_2646-.Lpost_getpc29994)>>32
	s_setpc_b64 s[14:15]
.LBB2_16984:
	v_cmp_ne_u16_e32 vcc, 0, v3
	s_andn2_b64 s[4:5], s[4:5], exec
	s_and_b64 s[8:9], vcc, exec
	v_mov_b32_e32 v6, 0
	s_or_b64 s[4:5], s[4:5], s[8:9]
	s_or_b64 exec, exec, s[6:7]
	s_and_saveexec_b64 s[6:7], s[4:5]
	s_cbranch_execz .LBB2_29995
; %bb.52823:
	s_getpc_b64 s[14:15]
.Lpost_getpc29995:
	s_add_u32 s14, s14, (.LBB2_2647-.Lpost_getpc29995)&4294967295
	s_addc_u32 s15, s15, (.LBB2_2647-.Lpost_getpc29995)>>32
	s_setpc_b64 s[14:15]
.LBB2_29995:
	s_getpc_b64 s[14:15]
.Lpost_getpc18581:
	s_add_u32 s14, s14, (.LBB2_2648-.Lpost_getpc18581)&4294967295
	s_addc_u32 s15, s15, (.LBB2_2648-.Lpost_getpc18581)>>32
	s_setpc_b64 s[14:15]
.LBB2_16985:
	s_movk_i32 s4, 0x80
	v_cmp_eq_u16_sdwa s[12:13], v8, s4 src0_sel:BYTE_3 src1_sel:DWORD
	s_mov_b64 s[4:5], -1
                                        ; implicit-def: $sgpr10
	s_and_saveexec_b64 s[8:9], s[12:13]
; %bb.16986:
	s_mov_b32 s10, 0x7f800001
	s_xor_b64 s[4:5], exec, -1
; %bb.16987:
	s_or_b64 exec, exec, s[8:9]
	s_and_b64 s[4:5], s[4:5], exec
	s_or_saveexec_b64 s[6:7], s[6:7]
	v_mov_b32_e32 v2, s10
	s_xor_b64 exec, exec, s[6:7]
	s_cbranch_execnz .LBB2_16988
; %bb.52825:
	s_getpc_b64 s[14:15]
.Lpost_getpc29996:
	s_add_u32 s14, s14, (.LBB2_2650-.Lpost_getpc29996)&4294967295
	s_addc_u32 s15, s15, (.LBB2_2650-.Lpost_getpc29996)>>32
	s_setpc_b64 s[14:15]
.LBB2_16988:
	v_mov_b32_e32 v2, 0
	v_cmp_ne_u16_sdwa s[8:9], v8, v2 src0_sel:BYTE_3 src1_sel:DWORD
	s_andn2_b64 s[4:5], s[4:5], exec
	s_and_b64 s[8:9], s[8:9], exec
	s_or_b64 s[4:5], s[4:5], s[8:9]
	s_or_b64 exec, exec, s[6:7]
	s_and_saveexec_b64 s[6:7], s[4:5]
	s_cbranch_execz .LBB2_29997
; %bb.52827:
	s_getpc_b64 s[14:15]
.Lpost_getpc29997:
	s_add_u32 s14, s14, (.LBB2_2651-.Lpost_getpc29997)&4294967295
	s_addc_u32 s15, s15, (.LBB2_2651-.Lpost_getpc29997)>>32
	s_setpc_b64 s[14:15]
.LBB2_29997:
	s_getpc_b64 s[14:15]
.Lpost_getpc18582:
	s_add_u32 s14, s14, (.LBB2_2652-.Lpost_getpc18582)&4294967295
	s_addc_u32 s15, s15, (.LBB2_2652-.Lpost_getpc18582)>>32
	s_setpc_b64 s[14:15]
.LBB2_16989:
	s_movk_i32 s4, 0x80
	v_cmp_eq_u16_sdwa s[12:13], v4, s4 src0_sel:BYTE_3 src1_sel:DWORD
	s_mov_b64 s[4:5], -1
                                        ; implicit-def: $sgpr10
	s_and_saveexec_b64 s[8:9], s[12:13]
; %bb.16990:
	s_mov_b32 s10, 0x7f800001
	s_xor_b64 s[4:5], exec, -1
; %bb.16991:
	s_or_b64 exec, exec, s[8:9]
	s_and_b64 s[4:5], s[4:5], exec
	s_or_saveexec_b64 s[6:7], s[6:7]
	v_mov_b32_e32 v3, s10
	s_xor_b64 exec, exec, s[6:7]
	s_cbranch_execnz .LBB2_16992
; %bb.52829:
	s_getpc_b64 s[14:15]
.Lpost_getpc29998:
	s_add_u32 s14, s14, (.LBB2_2654-.Lpost_getpc29998)&4294967295
	s_addc_u32 s15, s15, (.LBB2_2654-.Lpost_getpc29998)>>32
	s_setpc_b64 s[14:15]
.LBB2_16992:
	v_mov_b32_e32 v3, 0
	v_cmp_ne_u16_sdwa s[8:9], v4, v3 src0_sel:BYTE_3 src1_sel:DWORD
	s_andn2_b64 s[4:5], s[4:5], exec
	s_and_b64 s[8:9], s[8:9], exec
	s_or_b64 s[4:5], s[4:5], s[8:9]
	s_or_b64 exec, exec, s[6:7]
	s_and_saveexec_b64 s[6:7], s[4:5]
	s_cbranch_execz .LBB2_29999
; %bb.52831:
	s_getpc_b64 s[14:15]
.Lpost_getpc29999:
	s_add_u32 s14, s14, (.LBB2_2655-.Lpost_getpc29999)&4294967295
	s_addc_u32 s15, s15, (.LBB2_2655-.Lpost_getpc29999)>>32
	s_setpc_b64 s[14:15]
.LBB2_29999:
	s_getpc_b64 s[14:15]
.Lpost_getpc18583:
	s_add_u32 s14, s14, (.LBB2_2656-.Lpost_getpc18583)&4294967295
	s_addc_u32 s15, s15, (.LBB2_2656-.Lpost_getpc18583)>>32
	s_setpc_b64 s[14:15]
.LBB2_16993:
	s_movk_i32 s4, 0x80
	v_cmp_eq_u16_sdwa s[12:13], v9, s4 src0_sel:BYTE_0 src1_sel:DWORD
	s_mov_b64 s[4:5], -1
                                        ; implicit-def: $sgpr10
	s_and_saveexec_b64 s[8:9], s[12:13]
; %bb.16994:
	s_mov_b32 s10, 0x7f800001
	s_xor_b64 s[4:5], exec, -1
; %bb.16995:
	s_or_b64 exec, exec, s[8:9]
	s_and_b64 s[4:5], s[4:5], exec
	s_or_saveexec_b64 s[6:7], s[6:7]
	v_mov_b32_e32 v2, s10
	s_xor_b64 exec, exec, s[6:7]
	s_cbranch_execnz .LBB2_16996
; %bb.52833:
	s_getpc_b64 s[14:15]
.Lpost_getpc30000:
	s_add_u32 s14, s14, (.LBB2_2658-.Lpost_getpc30000)&4294967295
	s_addc_u32 s15, s15, (.LBB2_2658-.Lpost_getpc30000)>>32
	s_setpc_b64 s[14:15]
.LBB2_16996:
	v_mov_b32_e32 v2, 0
	v_cmp_ne_u16_sdwa s[8:9], v9, v2 src0_sel:BYTE_0 src1_sel:DWORD
	s_andn2_b64 s[4:5], s[4:5], exec
	s_and_b64 s[8:9], s[8:9], exec
	s_or_b64 s[4:5], s[4:5], s[8:9]
	s_or_b64 exec, exec, s[6:7]
	s_and_saveexec_b64 s[6:7], s[4:5]
	s_cbranch_execz .LBB2_30001
; %bb.52835:
	s_getpc_b64 s[14:15]
.Lpost_getpc30001:
	s_add_u32 s14, s14, (.LBB2_2659-.Lpost_getpc30001)&4294967295
	s_addc_u32 s15, s15, (.LBB2_2659-.Lpost_getpc30001)>>32
	s_setpc_b64 s[14:15]
.LBB2_30001:
	s_getpc_b64 s[14:15]
.Lpost_getpc18584:
	s_add_u32 s14, s14, (.LBB2_2660-.Lpost_getpc18584)&4294967295
	s_addc_u32 s15, s15, (.LBB2_2660-.Lpost_getpc18584)>>32
	s_setpc_b64 s[14:15]
.LBB2_16997:
	s_movk_i32 s4, 0x80
	v_cmp_eq_u16_sdwa s[12:13], v5, s4 src0_sel:BYTE_0 src1_sel:DWORD
	s_mov_b64 s[4:5], -1
                                        ; implicit-def: $sgpr10
	s_and_saveexec_b64 s[8:9], s[12:13]
; %bb.16998:
	s_mov_b32 s10, 0x7f800001
	s_xor_b64 s[4:5], exec, -1
; %bb.16999:
	s_or_b64 exec, exec, s[8:9]
	s_and_b64 s[4:5], s[4:5], exec
	s_or_saveexec_b64 s[6:7], s[6:7]
	v_mov_b32_e32 v3, s10
	s_xor_b64 exec, exec, s[6:7]
	s_cbranch_execnz .LBB2_17000
; %bb.52837:
	s_getpc_b64 s[14:15]
.Lpost_getpc30002:
	s_add_u32 s14, s14, (.LBB2_2662-.Lpost_getpc30002)&4294967295
	s_addc_u32 s15, s15, (.LBB2_2662-.Lpost_getpc30002)>>32
	s_setpc_b64 s[14:15]
.LBB2_17000:
	v_mov_b32_e32 v3, 0
	v_cmp_ne_u16_sdwa s[8:9], v5, v3 src0_sel:BYTE_0 src1_sel:DWORD
	s_andn2_b64 s[4:5], s[4:5], exec
	s_and_b64 s[8:9], s[8:9], exec
	s_or_b64 s[4:5], s[4:5], s[8:9]
	s_or_b64 exec, exec, s[6:7]
	s_and_saveexec_b64 s[6:7], s[4:5]
	s_cbranch_execz .LBB2_30003
; %bb.52839:
	s_getpc_b64 s[14:15]
.Lpost_getpc30003:
	s_add_u32 s14, s14, (.LBB2_2663-.Lpost_getpc30003)&4294967295
	s_addc_u32 s15, s15, (.LBB2_2663-.Lpost_getpc30003)>>32
	s_setpc_b64 s[14:15]
.LBB2_30003:
	s_getpc_b64 s[14:15]
.Lpost_getpc18585:
	s_add_u32 s14, s14, (.LBB2_2664-.Lpost_getpc18585)&4294967295
	s_addc_u32 s15, s15, (.LBB2_2664-.Lpost_getpc18585)>>32
	s_setpc_b64 s[14:15]
.LBB2_17001:
	s_movk_i32 s4, 0x80
	v_cmp_eq_u16_sdwa s[12:13], v3, s4 src0_sel:BYTE_0 src1_sel:DWORD
	s_mov_b64 s[4:5], -1
                                        ; implicit-def: $sgpr10
	s_and_saveexec_b64 s[8:9], s[12:13]
; %bb.17002:
	s_mov_b32 s10, 0x7f800001
	s_xor_b64 s[4:5], exec, -1
; %bb.17003:
	s_or_b64 exec, exec, s[8:9]
	s_and_b64 s[4:5], s[4:5], exec
	s_or_saveexec_b64 s[6:7], s[6:7]
	v_mov_b32_e32 v2, s10
	s_xor_b64 exec, exec, s[6:7]
	s_cbranch_execnz .LBB2_17004
; %bb.52841:
	s_getpc_b64 s[14:15]
.Lpost_getpc30004:
	s_add_u32 s14, s14, (.LBB2_2666-.Lpost_getpc30004)&4294967295
	s_addc_u32 s15, s15, (.LBB2_2666-.Lpost_getpc30004)>>32
	s_setpc_b64 s[14:15]
.LBB2_17004:
	v_mov_b32_e32 v2, 0
	v_cmp_ne_u16_sdwa s[8:9], v3, v2 src0_sel:BYTE_0 src1_sel:DWORD
	s_andn2_b64 s[4:5], s[4:5], exec
	s_and_b64 s[8:9], s[8:9], exec
	s_or_b64 s[4:5], s[4:5], s[8:9]
	s_or_b64 exec, exec, s[6:7]
	s_and_saveexec_b64 s[6:7], s[4:5]
	s_cbranch_execz .LBB2_30005
; %bb.52843:
	s_getpc_b64 s[14:15]
.Lpost_getpc30005:
	s_add_u32 s14, s14, (.LBB2_2667-.Lpost_getpc30005)&4294967295
	s_addc_u32 s15, s15, (.LBB2_2667-.Lpost_getpc30005)>>32
	s_setpc_b64 s[14:15]
.LBB2_30005:
	s_getpc_b64 s[14:15]
.Lpost_getpc18586:
	s_add_u32 s14, s14, (.LBB2_2668-.Lpost_getpc18586)&4294967295
	s_addc_u32 s15, s15, (.LBB2_2668-.Lpost_getpc18586)>>32
	s_setpc_b64 s[14:15]
.LBB2_17005:
	s_movk_i32 s4, 0x80
	v_cmp_eq_u16_sdwa s[12:13], v3, s4 src0_sel:BYTE_0 src1_sel:DWORD
	s_mov_b64 s[4:5], -1
                                        ; implicit-def: $sgpr10
	s_and_saveexec_b64 s[8:9], s[12:13]
; %bb.17006:
	s_mov_b32 s10, 0x7f800001
	s_xor_b64 s[4:5], exec, -1
; %bb.17007:
	s_or_b64 exec, exec, s[8:9]
	s_and_b64 s[4:5], s[4:5], exec
	s_or_saveexec_b64 s[6:7], s[6:7]
	v_mov_b32_e32 v4, s10
	s_xor_b64 exec, exec, s[6:7]
	s_cbranch_execnz .LBB2_17008
; %bb.52845:
	s_getpc_b64 s[14:15]
.Lpost_getpc30006:
	s_add_u32 s14, s14, (.LBB2_2670-.Lpost_getpc30006)&4294967295
	s_addc_u32 s15, s15, (.LBB2_2670-.Lpost_getpc30006)>>32
	s_setpc_b64 s[14:15]
.LBB2_17008:
	v_mov_b32_e32 v4, 0
	v_cmp_ne_u16_sdwa s[8:9], v3, v4 src0_sel:BYTE_0 src1_sel:DWORD
	s_andn2_b64 s[4:5], s[4:5], exec
	s_and_b64 s[8:9], s[8:9], exec
	s_or_b64 s[4:5], s[4:5], s[8:9]
	s_or_b64 exec, exec, s[6:7]
	s_and_saveexec_b64 s[6:7], s[4:5]
	s_cbranch_execz .LBB2_30007
; %bb.52847:
	s_getpc_b64 s[14:15]
.Lpost_getpc30007:
	s_add_u32 s14, s14, (.LBB2_2671-.Lpost_getpc30007)&4294967295
	s_addc_u32 s15, s15, (.LBB2_2671-.Lpost_getpc30007)>>32
	s_setpc_b64 s[14:15]
.LBB2_30007:
	s_getpc_b64 s[14:15]
.Lpost_getpc18587:
	s_add_u32 s14, s14, (.LBB2_2672-.Lpost_getpc18587)&4294967295
	s_addc_u32 s15, s15, (.LBB2_2672-.Lpost_getpc18587)>>32
	s_setpc_b64 s[14:15]
.LBB2_17009:
	s_movk_i32 s4, 0x80
	v_cmp_eq_u16_e32 vcc, s4, v3
	s_mov_b64 s[4:5], -1
                                        ; implicit-def: $sgpr10
	s_and_saveexec_b64 s[8:9], vcc
; %bb.17010:
	s_mov_b32 s10, 0x7f800001
	s_xor_b64 s[4:5], exec, -1
; %bb.17011:
	s_or_b64 exec, exec, s[8:9]
	s_and_b64 s[4:5], s[4:5], exec
                                        ; implicit-def: $vgpr3
	s_or_saveexec_b64 s[6:7], s[6:7]
	v_mov_b32_e32 v2, s10
	s_xor_b64 exec, exec, s[6:7]
	s_cbranch_execnz .LBB2_17012
; %bb.52849:
	s_getpc_b64 s[14:15]
.Lpost_getpc30008:
	s_add_u32 s14, s14, (.LBB2_2674-.Lpost_getpc30008)&4294967295
	s_addc_u32 s15, s15, (.LBB2_2674-.Lpost_getpc30008)>>32
	s_setpc_b64 s[14:15]
.LBB2_17012:
	v_cmp_ne_u16_e32 vcc, 0, v3
	s_andn2_b64 s[4:5], s[4:5], exec
	s_and_b64 s[8:9], vcc, exec
	v_mov_b32_e32 v2, 0
	s_or_b64 s[4:5], s[4:5], s[8:9]
	s_or_b64 exec, exec, s[6:7]
	s_and_saveexec_b64 s[6:7], s[4:5]
	s_cbranch_execz .LBB2_30009
; %bb.52851:
	s_getpc_b64 s[14:15]
.Lpost_getpc30009:
	s_add_u32 s14, s14, (.LBB2_2675-.Lpost_getpc30009)&4294967295
	s_addc_u32 s15, s15, (.LBB2_2675-.Lpost_getpc30009)>>32
	s_setpc_b64 s[14:15]
.LBB2_30009:
	s_getpc_b64 s[14:15]
.Lpost_getpc18588:
	s_add_u32 s14, s14, (.LBB2_2676-.Lpost_getpc18588)&4294967295
	s_addc_u32 s15, s15, (.LBB2_2676-.Lpost_getpc18588)>>32
	s_setpc_b64 s[14:15]
.LBB2_17013:
	s_movk_i32 s4, 0x80
	v_cmp_eq_u16_e32 vcc, s4, v3
	s_mov_b64 s[4:5], -1
                                        ; implicit-def: $sgpr10
	s_and_saveexec_b64 s[8:9], vcc
; %bb.17014:
	s_mov_b32 s10, 0x7f800001
	s_xor_b64 s[4:5], exec, -1
; %bb.17015:
	s_or_b64 exec, exec, s[8:9]
	s_and_b64 s[4:5], s[4:5], exec
                                        ; implicit-def: $vgpr3
	s_or_saveexec_b64 s[6:7], s[6:7]
	v_mov_b32_e32 v4, s10
	s_xor_b64 exec, exec, s[6:7]
	s_cbranch_execnz .LBB2_17016
; %bb.52853:
	s_getpc_b64 s[14:15]
.Lpost_getpc30010:
	s_add_u32 s14, s14, (.LBB2_2678-.Lpost_getpc30010)&4294967295
	s_addc_u32 s15, s15, (.LBB2_2678-.Lpost_getpc30010)>>32
	s_setpc_b64 s[14:15]
.LBB2_17016:
	v_cmp_ne_u16_e32 vcc, 0, v3
	s_andn2_b64 s[4:5], s[4:5], exec
	s_and_b64 s[8:9], vcc, exec
	v_mov_b32_e32 v4, 0
	s_or_b64 s[4:5], s[4:5], s[8:9]
	s_or_b64 exec, exec, s[6:7]
	s_and_saveexec_b64 s[6:7], s[4:5]
	s_cbranch_execz .LBB2_30011
; %bb.52855:
	s_getpc_b64 s[14:15]
.Lpost_getpc30011:
	s_add_u32 s14, s14, (.LBB2_2679-.Lpost_getpc30011)&4294967295
	s_addc_u32 s15, s15, (.LBB2_2679-.Lpost_getpc30011)>>32
	s_setpc_b64 s[14:15]
.LBB2_30011:
	s_getpc_b64 s[14:15]
.Lpost_getpc18589:
	s_add_u32 s14, s14, (.LBB2_2680-.Lpost_getpc18589)&4294967295
	s_addc_u32 s15, s15, (.LBB2_2680-.Lpost_getpc18589)>>32
	s_setpc_b64 s[14:15]
.LBB2_17017:
	s_movk_i32 s4, 0x80
	v_cmp_eq_u16_sdwa s[12:13], v9, s4 src0_sel:BYTE_3 src1_sel:DWORD
	s_mov_b64 s[4:5], -1
                                        ; implicit-def: $sgpr10
	s_and_saveexec_b64 s[8:9], s[12:13]
; %bb.17018:
	s_mov_b32 s10, 0x7f800001
	s_xor_b64 s[4:5], exec, -1
; %bb.17019:
	s_or_b64 exec, exec, s[8:9]
	s_and_b64 s[4:5], s[4:5], exec
	s_or_saveexec_b64 s[6:7], s[6:7]
	v_mov_b32_e32 v2, s10
	s_xor_b64 exec, exec, s[6:7]
	s_cbranch_execnz .LBB2_17020
; %bb.52857:
	s_getpc_b64 s[14:15]
.Lpost_getpc30012:
	s_add_u32 s14, s14, (.LBB2_2682-.Lpost_getpc30012)&4294967295
	s_addc_u32 s15, s15, (.LBB2_2682-.Lpost_getpc30012)>>32
	s_setpc_b64 s[14:15]
.LBB2_17020:
	v_mov_b32_e32 v2, 0
	v_cmp_ne_u16_sdwa s[8:9], v9, v2 src0_sel:BYTE_3 src1_sel:DWORD
	s_andn2_b64 s[4:5], s[4:5], exec
	s_and_b64 s[8:9], s[8:9], exec
	s_or_b64 s[4:5], s[4:5], s[8:9]
	s_or_b64 exec, exec, s[6:7]
	s_and_saveexec_b64 s[6:7], s[4:5]
	s_cbranch_execz .LBB2_30013
; %bb.52859:
	s_getpc_b64 s[14:15]
.Lpost_getpc30013:
	s_add_u32 s14, s14, (.LBB2_2683-.Lpost_getpc30013)&4294967295
	s_addc_u32 s15, s15, (.LBB2_2683-.Lpost_getpc30013)>>32
	s_setpc_b64 s[14:15]
.LBB2_30013:
	s_getpc_b64 s[14:15]
.Lpost_getpc18590:
	s_add_u32 s14, s14, (.LBB2_2684-.Lpost_getpc18590)&4294967295
	s_addc_u32 s15, s15, (.LBB2_2684-.Lpost_getpc18590)>>32
	s_setpc_b64 s[14:15]
.LBB2_17021:
	s_movk_i32 s4, 0x80
	v_cmp_eq_u16_sdwa s[12:13], v5, s4 src0_sel:BYTE_3 src1_sel:DWORD
	s_mov_b64 s[4:5], -1
                                        ; implicit-def: $sgpr10
	s_and_saveexec_b64 s[8:9], s[12:13]
; %bb.17022:
	s_mov_b32 s10, 0x7f800001
	s_xor_b64 s[4:5], exec, -1
; %bb.17023:
	s_or_b64 exec, exec, s[8:9]
	s_and_b64 s[4:5], s[4:5], exec
	s_or_saveexec_b64 s[6:7], s[6:7]
	v_mov_b32_e32 v3, s10
	s_xor_b64 exec, exec, s[6:7]
	s_cbranch_execnz .LBB2_17024
; %bb.52861:
	s_getpc_b64 s[14:15]
.Lpost_getpc30014:
	s_add_u32 s14, s14, (.LBB2_2686-.Lpost_getpc30014)&4294967295
	s_addc_u32 s15, s15, (.LBB2_2686-.Lpost_getpc30014)>>32
	s_setpc_b64 s[14:15]
.LBB2_17024:
	v_mov_b32_e32 v3, 0
	v_cmp_ne_u16_sdwa s[8:9], v5, v3 src0_sel:BYTE_3 src1_sel:DWORD
	s_andn2_b64 s[4:5], s[4:5], exec
	s_and_b64 s[8:9], s[8:9], exec
	s_or_b64 s[4:5], s[4:5], s[8:9]
	s_or_b64 exec, exec, s[6:7]
	s_and_saveexec_b64 s[6:7], s[4:5]
	s_cbranch_execz .LBB2_30015
; %bb.52863:
	s_getpc_b64 s[14:15]
.Lpost_getpc30015:
	s_add_u32 s14, s14, (.LBB2_2687-.Lpost_getpc30015)&4294967295
	s_addc_u32 s15, s15, (.LBB2_2687-.Lpost_getpc30015)>>32
	s_setpc_b64 s[14:15]
.LBB2_30015:
	s_getpc_b64 s[14:15]
.Lpost_getpc18591:
	s_add_u32 s14, s14, (.LBB2_2688-.Lpost_getpc18591)&4294967295
	s_addc_u32 s15, s15, (.LBB2_2688-.Lpost_getpc18591)>>32
	s_setpc_b64 s[14:15]
.LBB2_17025:
	s_movk_i32 s4, 0x80
	v_cmp_eq_u16_sdwa s[12:13], v6, s4 src0_sel:BYTE_0 src1_sel:DWORD
	s_mov_b64 s[4:5], -1
                                        ; implicit-def: $sgpr10
	s_and_saveexec_b64 s[8:9], s[12:13]
; %bb.17026:
	s_mov_b32 s10, 0x7f800001
	s_xor_b64 s[4:5], exec, -1
; %bb.17027:
	s_or_b64 exec, exec, s[8:9]
	s_and_b64 s[4:5], s[4:5], exec
	s_or_saveexec_b64 s[6:7], s[6:7]
	v_mov_b32_e32 v12, s10
	s_xor_b64 exec, exec, s[6:7]
	s_cbranch_execnz .LBB2_17028
; %bb.52865:
	s_getpc_b64 s[14:15]
.Lpost_getpc30016:
	s_add_u32 s14, s14, (.LBB2_2690-.Lpost_getpc30016)&4294967295
	s_addc_u32 s15, s15, (.LBB2_2690-.Lpost_getpc30016)>>32
	s_setpc_b64 s[14:15]
.LBB2_17028:
	v_mov_b32_e32 v12, 0
	v_cmp_ne_u16_sdwa s[8:9], v6, v12 src0_sel:BYTE_0 src1_sel:DWORD
	s_andn2_b64 s[4:5], s[4:5], exec
	s_and_b64 s[8:9], s[8:9], exec
	s_or_b64 s[4:5], s[4:5], s[8:9]
	s_or_b64 exec, exec, s[6:7]
	s_and_saveexec_b64 s[6:7], s[4:5]
	s_cbranch_execz .LBB2_30017
; %bb.52867:
	s_getpc_b64 s[14:15]
.Lpost_getpc30017:
	s_add_u32 s14, s14, (.LBB2_2691-.Lpost_getpc30017)&4294967295
	s_addc_u32 s15, s15, (.LBB2_2691-.Lpost_getpc30017)>>32
	s_setpc_b64 s[14:15]
.LBB2_30017:
	s_getpc_b64 s[14:15]
.Lpost_getpc18592:
	s_add_u32 s14, s14, (.LBB2_2692-.Lpost_getpc18592)&4294967295
	s_addc_u32 s15, s15, (.LBB2_2692-.Lpost_getpc18592)>>32
	s_setpc_b64 s[14:15]
.LBB2_17029:
	s_movk_i32 s4, 0x80
	v_cmp_eq_u16_sdwa s[12:13], v2, s4 src0_sel:BYTE_0 src1_sel:DWORD
	s_mov_b64 s[4:5], -1
                                        ; implicit-def: $sgpr10
	s_and_saveexec_b64 s[8:9], s[12:13]
; %bb.17030:
	s_mov_b32 s10, 0x7f800001
	s_xor_b64 s[4:5], exec, -1
; %bb.17031:
	s_or_b64 exec, exec, s[8:9]
	s_and_b64 s[4:5], s[4:5], exec
	s_or_saveexec_b64 s[6:7], s[6:7]
	v_mov_b32_e32 v13, s10
	s_xor_b64 exec, exec, s[6:7]
	s_cbranch_execnz .LBB2_17032
; %bb.52869:
	s_getpc_b64 s[14:15]
.Lpost_getpc30018:
	s_add_u32 s14, s14, (.LBB2_2694-.Lpost_getpc30018)&4294967295
	s_addc_u32 s15, s15, (.LBB2_2694-.Lpost_getpc30018)>>32
	s_setpc_b64 s[14:15]
.LBB2_17032:
	v_mov_b32_e32 v13, 0
	v_cmp_ne_u16_sdwa s[8:9], v2, v13 src0_sel:BYTE_0 src1_sel:DWORD
	s_andn2_b64 s[4:5], s[4:5], exec
	s_and_b64 s[8:9], s[8:9], exec
	s_or_b64 s[4:5], s[4:5], s[8:9]
	s_or_b64 exec, exec, s[6:7]
	s_and_saveexec_b64 s[6:7], s[4:5]
	s_cbranch_execz .LBB2_30019
; %bb.52871:
	s_getpc_b64 s[14:15]
.Lpost_getpc30019:
	s_add_u32 s14, s14, (.LBB2_2695-.Lpost_getpc30019)&4294967295
	s_addc_u32 s15, s15, (.LBB2_2695-.Lpost_getpc30019)>>32
	s_setpc_b64 s[14:15]
.LBB2_30019:
	s_getpc_b64 s[14:15]
.Lpost_getpc18593:
	s_add_u32 s14, s14, (.LBB2_2696-.Lpost_getpc18593)&4294967295
	s_addc_u32 s15, s15, (.LBB2_2696-.Lpost_getpc18593)>>32
	s_setpc_b64 s[14:15]
.LBB2_17033:
	s_movk_i32 s4, 0x80
	v_cmp_eq_u16_sdwa s[12:13], v13, s4 src0_sel:BYTE_0 src1_sel:DWORD
	s_mov_b64 s[4:5], -1
                                        ; implicit-def: $sgpr10
	s_and_saveexec_b64 s[8:9], s[12:13]
; %bb.17034:
	s_mov_b32 s10, 0x7f800001
	s_xor_b64 s[4:5], exec, -1
; %bb.17035:
	s_or_b64 exec, exec, s[8:9]
	s_and_b64 s[4:5], s[4:5], exec
	s_or_saveexec_b64 s[6:7], s[6:7]
	v_mov_b32_e32 v12, s10
	s_xor_b64 exec, exec, s[6:7]
	s_cbranch_execnz .LBB2_17036
; %bb.52873:
	s_getpc_b64 s[14:15]
.Lpost_getpc30020:
	s_add_u32 s14, s14, (.LBB2_2698-.Lpost_getpc30020)&4294967295
	s_addc_u32 s15, s15, (.LBB2_2698-.Lpost_getpc30020)>>32
	s_setpc_b64 s[14:15]
.LBB2_17036:
	v_mov_b32_e32 v12, 0
	v_cmp_ne_u16_sdwa s[8:9], v13, v12 src0_sel:BYTE_0 src1_sel:DWORD
	s_andn2_b64 s[4:5], s[4:5], exec
	s_and_b64 s[8:9], s[8:9], exec
	s_or_b64 s[4:5], s[4:5], s[8:9]
	s_or_b64 exec, exec, s[6:7]
	s_and_saveexec_b64 s[6:7], s[4:5]
	s_cbranch_execz .LBB2_30021
; %bb.52875:
	s_getpc_b64 s[14:15]
.Lpost_getpc30021:
	s_add_u32 s14, s14, (.LBB2_2699-.Lpost_getpc30021)&4294967295
	s_addc_u32 s15, s15, (.LBB2_2699-.Lpost_getpc30021)>>32
	s_setpc_b64 s[14:15]
.LBB2_30021:
	s_getpc_b64 s[14:15]
.Lpost_getpc18594:
	s_add_u32 s14, s14, (.LBB2_2700-.Lpost_getpc18594)&4294967295
	s_addc_u32 s15, s15, (.LBB2_2700-.Lpost_getpc18594)>>32
	s_setpc_b64 s[14:15]
.LBB2_17037:
	s_movk_i32 s4, 0x80
	v_cmp_eq_u16_sdwa s[12:13], v13, s4 src0_sel:BYTE_0 src1_sel:DWORD
	s_mov_b64 s[4:5], -1
                                        ; implicit-def: $sgpr10
	s_and_saveexec_b64 s[8:9], s[12:13]
; %bb.17038:
	s_mov_b32 s10, 0x7f800001
	s_xor_b64 s[4:5], exec, -1
; %bb.17039:
	s_or_b64 exec, exec, s[8:9]
	s_and_b64 s[4:5], s[4:5], exec
	s_or_saveexec_b64 s[6:7], s[6:7]
	v_mov_b32_e32 v14, s10
	s_xor_b64 exec, exec, s[6:7]
	s_cbranch_execnz .LBB2_17040
; %bb.52877:
	s_getpc_b64 s[14:15]
.Lpost_getpc30022:
	s_add_u32 s14, s14, (.LBB2_2702-.Lpost_getpc30022)&4294967295
	s_addc_u32 s15, s15, (.LBB2_2702-.Lpost_getpc30022)>>32
	s_setpc_b64 s[14:15]
.LBB2_17040:
	v_mov_b32_e32 v14, 0
	v_cmp_ne_u16_sdwa s[8:9], v13, v14 src0_sel:BYTE_0 src1_sel:DWORD
	s_andn2_b64 s[4:5], s[4:5], exec
	s_and_b64 s[8:9], s[8:9], exec
	s_or_b64 s[4:5], s[4:5], s[8:9]
	s_or_b64 exec, exec, s[6:7]
	s_and_saveexec_b64 s[6:7], s[4:5]
	s_cbranch_execz .LBB2_30023
; %bb.52879:
	s_getpc_b64 s[14:15]
.Lpost_getpc30023:
	s_add_u32 s14, s14, (.LBB2_2703-.Lpost_getpc30023)&4294967295
	s_addc_u32 s15, s15, (.LBB2_2703-.Lpost_getpc30023)>>32
	s_setpc_b64 s[14:15]
.LBB2_30023:
	s_getpc_b64 s[14:15]
.Lpost_getpc18595:
	s_add_u32 s14, s14, (.LBB2_2704-.Lpost_getpc18595)&4294967295
	s_addc_u32 s15, s15, (.LBB2_2704-.Lpost_getpc18595)>>32
	s_setpc_b64 s[14:15]
.LBB2_17041:
	s_movk_i32 s4, 0x80
	v_cmp_eq_u16_e32 vcc, s4, v13
	s_mov_b64 s[4:5], -1
                                        ; implicit-def: $sgpr10
	s_and_saveexec_b64 s[8:9], vcc
; %bb.17042:
	s_mov_b32 s10, 0x7f800001
	s_xor_b64 s[4:5], exec, -1
; %bb.17043:
	s_or_b64 exec, exec, s[8:9]
	s_and_b64 s[4:5], s[4:5], exec
                                        ; implicit-def: $vgpr13
	s_or_saveexec_b64 s[6:7], s[6:7]
	v_mov_b32_e32 v12, s10
	s_xor_b64 exec, exec, s[6:7]
	s_cbranch_execnz .LBB2_17044
; %bb.52881:
	s_getpc_b64 s[14:15]
.Lpost_getpc30024:
	s_add_u32 s14, s14, (.LBB2_2706-.Lpost_getpc30024)&4294967295
	s_addc_u32 s15, s15, (.LBB2_2706-.Lpost_getpc30024)>>32
	s_setpc_b64 s[14:15]
.LBB2_17044:
	v_cmp_ne_u16_e32 vcc, 0, v13
	s_andn2_b64 s[4:5], s[4:5], exec
	s_and_b64 s[8:9], vcc, exec
	v_mov_b32_e32 v12, 0
	s_or_b64 s[4:5], s[4:5], s[8:9]
	s_or_b64 exec, exec, s[6:7]
	s_and_saveexec_b64 s[6:7], s[4:5]
	s_cbranch_execz .LBB2_30025
; %bb.52883:
	s_getpc_b64 s[14:15]
.Lpost_getpc30025:
	s_add_u32 s14, s14, (.LBB2_2707-.Lpost_getpc30025)&4294967295
	s_addc_u32 s15, s15, (.LBB2_2707-.Lpost_getpc30025)>>32
	s_setpc_b64 s[14:15]
.LBB2_30025:
	s_getpc_b64 s[14:15]
.Lpost_getpc18596:
	s_add_u32 s14, s14, (.LBB2_2708-.Lpost_getpc18596)&4294967295
	s_addc_u32 s15, s15, (.LBB2_2708-.Lpost_getpc18596)>>32
	s_setpc_b64 s[14:15]
.LBB2_17045:
	s_movk_i32 s4, 0x80
	v_cmp_eq_u16_e32 vcc, s4, v13
	s_mov_b64 s[4:5], -1
                                        ; implicit-def: $sgpr10
	s_and_saveexec_b64 s[8:9], vcc
; %bb.17046:
	s_mov_b32 s10, 0x7f800001
	s_xor_b64 s[4:5], exec, -1
; %bb.17047:
	s_or_b64 exec, exec, s[8:9]
	s_and_b64 s[4:5], s[4:5], exec
                                        ; implicit-def: $vgpr13
	s_or_saveexec_b64 s[6:7], s[6:7]
	v_mov_b32_e32 v14, s10
	s_xor_b64 exec, exec, s[6:7]
	s_cbranch_execnz .LBB2_17048
; %bb.52885:
	s_getpc_b64 s[14:15]
.Lpost_getpc30026:
	s_add_u32 s14, s14, (.LBB2_2710-.Lpost_getpc30026)&4294967295
	s_addc_u32 s15, s15, (.LBB2_2710-.Lpost_getpc30026)>>32
	s_setpc_b64 s[14:15]
.LBB2_17048:
	v_cmp_ne_u16_e32 vcc, 0, v13
	s_andn2_b64 s[4:5], s[4:5], exec
	s_and_b64 s[8:9], vcc, exec
	v_mov_b32_e32 v14, 0
	s_or_b64 s[4:5], s[4:5], s[8:9]
	s_or_b64 exec, exec, s[6:7]
	s_and_saveexec_b64 s[6:7], s[4:5]
	s_cbranch_execz .LBB2_30027
; %bb.52887:
	s_getpc_b64 s[14:15]
.Lpost_getpc30027:
	s_add_u32 s14, s14, (.LBB2_2711-.Lpost_getpc30027)&4294967295
	s_addc_u32 s15, s15, (.LBB2_2711-.Lpost_getpc30027)>>32
	s_setpc_b64 s[14:15]
.LBB2_30027:
	s_getpc_b64 s[14:15]
.Lpost_getpc18597:
	s_add_u32 s14, s14, (.LBB2_2712-.Lpost_getpc18597)&4294967295
	s_addc_u32 s15, s15, (.LBB2_2712-.Lpost_getpc18597)>>32
	s_setpc_b64 s[14:15]
.LBB2_17049:
	s_movk_i32 s4, 0x80
	v_cmp_eq_u16_sdwa s[12:13], v6, s4 src0_sel:BYTE_3 src1_sel:DWORD
	s_mov_b64 s[4:5], -1
                                        ; implicit-def: $sgpr10
	s_and_saveexec_b64 s[8:9], s[12:13]
; %bb.17050:
	s_mov_b32 s10, 0x7f800001
	s_xor_b64 s[4:5], exec, -1
; %bb.17051:
	s_or_b64 exec, exec, s[8:9]
	s_and_b64 s[4:5], s[4:5], exec
	s_or_saveexec_b64 s[6:7], s[6:7]
	v_mov_b32_e32 v12, s10
	s_xor_b64 exec, exec, s[6:7]
	s_cbranch_execnz .LBB2_17052
; %bb.52889:
	s_getpc_b64 s[14:15]
.Lpost_getpc30028:
	s_add_u32 s14, s14, (.LBB2_2714-.Lpost_getpc30028)&4294967295
	s_addc_u32 s15, s15, (.LBB2_2714-.Lpost_getpc30028)>>32
	s_setpc_b64 s[14:15]
.LBB2_17052:
	v_mov_b32_e32 v12, 0
	v_cmp_ne_u16_sdwa s[8:9], v6, v12 src0_sel:BYTE_3 src1_sel:DWORD
	s_andn2_b64 s[4:5], s[4:5], exec
	s_and_b64 s[8:9], s[8:9], exec
	s_or_b64 s[4:5], s[4:5], s[8:9]
	s_or_b64 exec, exec, s[6:7]
	s_and_saveexec_b64 s[6:7], s[4:5]
	s_cbranch_execz .LBB2_30029
; %bb.52891:
	s_getpc_b64 s[14:15]
.Lpost_getpc30029:
	s_add_u32 s14, s14, (.LBB2_2715-.Lpost_getpc30029)&4294967295
	s_addc_u32 s15, s15, (.LBB2_2715-.Lpost_getpc30029)>>32
	s_setpc_b64 s[14:15]
.LBB2_30029:
	s_getpc_b64 s[14:15]
.Lpost_getpc18598:
	s_add_u32 s14, s14, (.LBB2_2716-.Lpost_getpc18598)&4294967295
	s_addc_u32 s15, s15, (.LBB2_2716-.Lpost_getpc18598)>>32
	s_setpc_b64 s[14:15]
.LBB2_17053:
	s_movk_i32 s4, 0x80
	v_cmp_eq_u16_sdwa s[12:13], v2, s4 src0_sel:BYTE_3 src1_sel:DWORD
	s_mov_b64 s[4:5], -1
                                        ; implicit-def: $sgpr10
	s_and_saveexec_b64 s[8:9], s[12:13]
; %bb.17054:
	s_mov_b32 s10, 0x7f800001
	s_xor_b64 s[4:5], exec, -1
; %bb.17055:
	s_or_b64 exec, exec, s[8:9]
	s_and_b64 s[4:5], s[4:5], exec
	s_or_saveexec_b64 s[6:7], s[6:7]
	v_mov_b32_e32 v6, s10
	s_xor_b64 exec, exec, s[6:7]
	s_cbranch_execnz .LBB2_17056
; %bb.52893:
	s_getpc_b64 s[14:15]
.Lpost_getpc30030:
	s_add_u32 s14, s14, (.LBB2_2718-.Lpost_getpc30030)&4294967295
	s_addc_u32 s15, s15, (.LBB2_2718-.Lpost_getpc30030)>>32
	s_setpc_b64 s[14:15]
.LBB2_17056:
	v_mov_b32_e32 v6, 0
	v_cmp_ne_u16_sdwa s[8:9], v2, v6 src0_sel:BYTE_3 src1_sel:DWORD
	s_andn2_b64 s[4:5], s[4:5], exec
	s_and_b64 s[8:9], s[8:9], exec
	s_or_b64 s[4:5], s[4:5], s[8:9]
	s_or_b64 exec, exec, s[6:7]
	s_and_saveexec_b64 s[6:7], s[4:5]
	s_cbranch_execz .LBB2_30031
; %bb.52895:
	s_getpc_b64 s[14:15]
.Lpost_getpc30031:
	s_add_u32 s14, s14, (.LBB2_2719-.Lpost_getpc30031)&4294967295
	s_addc_u32 s15, s15, (.LBB2_2719-.Lpost_getpc30031)>>32
	s_setpc_b64 s[14:15]
.LBB2_30031:
	s_getpc_b64 s[14:15]
.Lpost_getpc18599:
	s_add_u32 s14, s14, (.LBB2_2720-.Lpost_getpc18599)&4294967295
	s_addc_u32 s15, s15, (.LBB2_2720-.Lpost_getpc18599)>>32
	s_setpc_b64 s[14:15]
.LBB2_17057:
	s_movk_i32 s4, 0x80
	v_cmp_eq_u16_sdwa s[12:13], v7, s4 src0_sel:BYTE_0 src1_sel:DWORD
	s_mov_b64 s[4:5], -1
                                        ; implicit-def: $sgpr10
	s_and_saveexec_b64 s[8:9], s[12:13]
; %bb.17058:
	s_mov_b32 s10, 0x7f800001
	s_xor_b64 s[4:5], exec, -1
; %bb.17059:
	s_or_b64 exec, exec, s[8:9]
	s_and_b64 s[4:5], s[4:5], exec
	s_or_saveexec_b64 s[6:7], s[6:7]
	v_mov_b32_e32 v2, s10
	s_xor_b64 exec, exec, s[6:7]
	s_cbranch_execnz .LBB2_17060
; %bb.52897:
	s_getpc_b64 s[14:15]
.Lpost_getpc30032:
	s_add_u32 s14, s14, (.LBB2_2722-.Lpost_getpc30032)&4294967295
	s_addc_u32 s15, s15, (.LBB2_2722-.Lpost_getpc30032)>>32
	s_setpc_b64 s[14:15]
.LBB2_17060:
	v_mov_b32_e32 v2, 0
	v_cmp_ne_u16_sdwa s[8:9], v7, v2 src0_sel:BYTE_0 src1_sel:DWORD
	s_andn2_b64 s[4:5], s[4:5], exec
	s_and_b64 s[8:9], s[8:9], exec
	s_or_b64 s[4:5], s[4:5], s[8:9]
	s_or_b64 exec, exec, s[6:7]
	s_and_saveexec_b64 s[6:7], s[4:5]
	s_cbranch_execz .LBB2_30033
; %bb.52899:
	s_getpc_b64 s[14:15]
.Lpost_getpc30033:
	s_add_u32 s14, s14, (.LBB2_2723-.Lpost_getpc30033)&4294967295
	s_addc_u32 s15, s15, (.LBB2_2723-.Lpost_getpc30033)>>32
	s_setpc_b64 s[14:15]
.LBB2_30033:
	s_getpc_b64 s[14:15]
.Lpost_getpc18600:
	s_add_u32 s14, s14, (.LBB2_2724-.Lpost_getpc18600)&4294967295
	s_addc_u32 s15, s15, (.LBB2_2724-.Lpost_getpc18600)>>32
	s_setpc_b64 s[14:15]
.LBB2_17061:
	s_movk_i32 s4, 0x80
	v_cmp_eq_u16_sdwa s[12:13], v3, s4 src0_sel:BYTE_0 src1_sel:DWORD
	s_mov_b64 s[4:5], -1
                                        ; implicit-def: $sgpr10
	s_and_saveexec_b64 s[8:9], s[12:13]
; %bb.17062:
	s_mov_b32 s10, 0x7f800001
	s_xor_b64 s[4:5], exec, -1
; %bb.17063:
	s_or_b64 exec, exec, s[8:9]
	s_and_b64 s[4:5], s[4:5], exec
	s_or_saveexec_b64 s[6:7], s[6:7]
	v_mov_b32_e32 v6, s10
	s_xor_b64 exec, exec, s[6:7]
	s_cbranch_execnz .LBB2_17064
; %bb.52901:
	s_getpc_b64 s[14:15]
.Lpost_getpc30034:
	s_add_u32 s14, s14, (.LBB2_2726-.Lpost_getpc30034)&4294967295
	s_addc_u32 s15, s15, (.LBB2_2726-.Lpost_getpc30034)>>32
	s_setpc_b64 s[14:15]
.LBB2_17064:
	v_mov_b32_e32 v6, 0
	v_cmp_ne_u16_sdwa s[8:9], v3, v6 src0_sel:BYTE_0 src1_sel:DWORD
	s_andn2_b64 s[4:5], s[4:5], exec
	s_and_b64 s[8:9], s[8:9], exec
	s_or_b64 s[4:5], s[4:5], s[8:9]
	s_or_b64 exec, exec, s[6:7]
	s_and_saveexec_b64 s[6:7], s[4:5]
	s_cbranch_execz .LBB2_30035
; %bb.52903:
	s_getpc_b64 s[14:15]
.Lpost_getpc30035:
	s_add_u32 s14, s14, (.LBB2_2727-.Lpost_getpc30035)&4294967295
	s_addc_u32 s15, s15, (.LBB2_2727-.Lpost_getpc30035)>>32
	s_setpc_b64 s[14:15]
.LBB2_30035:
	s_getpc_b64 s[14:15]
.Lpost_getpc18601:
	s_add_u32 s14, s14, (.LBB2_2728-.Lpost_getpc18601)&4294967295
	s_addc_u32 s15, s15, (.LBB2_2728-.Lpost_getpc18601)>>32
	s_setpc_b64 s[14:15]
.LBB2_17065:
	s_movk_i32 s4, 0x80
	v_cmp_eq_u16_sdwa s[12:13], v6, s4 src0_sel:BYTE_0 src1_sel:DWORD
	s_mov_b64 s[4:5], -1
                                        ; implicit-def: $sgpr10
	s_and_saveexec_b64 s[8:9], s[12:13]
; %bb.17066:
	s_mov_b32 s10, 0x7f800001
	s_xor_b64 s[4:5], exec, -1
; %bb.17067:
	s_or_b64 exec, exec, s[8:9]
	s_and_b64 s[4:5], s[4:5], exec
	s_or_saveexec_b64 s[6:7], s[6:7]
	v_mov_b32_e32 v2, s10
	s_xor_b64 exec, exec, s[6:7]
	s_cbranch_execnz .LBB2_17068
; %bb.52905:
	s_getpc_b64 s[14:15]
.Lpost_getpc30036:
	s_add_u32 s14, s14, (.LBB2_2730-.Lpost_getpc30036)&4294967295
	s_addc_u32 s15, s15, (.LBB2_2730-.Lpost_getpc30036)>>32
	s_setpc_b64 s[14:15]
.LBB2_17068:
	v_mov_b32_e32 v2, 0
	v_cmp_ne_u16_sdwa s[8:9], v6, v2 src0_sel:BYTE_0 src1_sel:DWORD
	s_andn2_b64 s[4:5], s[4:5], exec
	s_and_b64 s[8:9], s[8:9], exec
	s_or_b64 s[4:5], s[4:5], s[8:9]
	s_or_b64 exec, exec, s[6:7]
	s_and_saveexec_b64 s[6:7], s[4:5]
	s_cbranch_execz .LBB2_30037
; %bb.52907:
	s_getpc_b64 s[14:15]
.Lpost_getpc30037:
	s_add_u32 s14, s14, (.LBB2_2731-.Lpost_getpc30037)&4294967295
	s_addc_u32 s15, s15, (.LBB2_2731-.Lpost_getpc30037)>>32
	s_setpc_b64 s[14:15]
.LBB2_30037:
	s_getpc_b64 s[14:15]
.Lpost_getpc18602:
	s_add_u32 s14, s14, (.LBB2_2732-.Lpost_getpc18602)&4294967295
	s_addc_u32 s15, s15, (.LBB2_2732-.Lpost_getpc18602)>>32
	s_setpc_b64 s[14:15]
.LBB2_17069:
	s_movk_i32 s4, 0x80
	v_cmp_eq_u16_sdwa s[12:13], v6, s4 src0_sel:BYTE_0 src1_sel:DWORD
	s_mov_b64 s[4:5], -1
                                        ; implicit-def: $sgpr10
	s_and_saveexec_b64 s[8:9], s[12:13]
; %bb.17070:
	s_mov_b32 s10, 0x7f800001
	s_xor_b64 s[4:5], exec, -1
; %bb.17071:
	s_or_b64 exec, exec, s[8:9]
	s_and_b64 s[4:5], s[4:5], exec
	s_or_saveexec_b64 s[6:7], s[6:7]
	v_mov_b32_e32 v12, s10
	s_xor_b64 exec, exec, s[6:7]
	s_cbranch_execnz .LBB2_17072
; %bb.52909:
	s_getpc_b64 s[14:15]
.Lpost_getpc30038:
	s_add_u32 s14, s14, (.LBB2_2734-.Lpost_getpc30038)&4294967295
	s_addc_u32 s15, s15, (.LBB2_2734-.Lpost_getpc30038)>>32
	s_setpc_b64 s[14:15]
.LBB2_17072:
	v_mov_b32_e32 v12, 0
	v_cmp_ne_u16_sdwa s[8:9], v6, v12 src0_sel:BYTE_0 src1_sel:DWORD
	s_andn2_b64 s[4:5], s[4:5], exec
	s_and_b64 s[8:9], s[8:9], exec
	s_or_b64 s[4:5], s[4:5], s[8:9]
	s_or_b64 exec, exec, s[6:7]
	s_and_saveexec_b64 s[6:7], s[4:5]
	s_cbranch_execz .LBB2_30039
; %bb.52911:
	s_getpc_b64 s[14:15]
.Lpost_getpc30039:
	s_add_u32 s14, s14, (.LBB2_2735-.Lpost_getpc30039)&4294967295
	s_addc_u32 s15, s15, (.LBB2_2735-.Lpost_getpc30039)>>32
	s_setpc_b64 s[14:15]
.LBB2_30039:
	s_getpc_b64 s[14:15]
.Lpost_getpc18603:
	s_add_u32 s14, s14, (.LBB2_2736-.Lpost_getpc18603)&4294967295
	s_addc_u32 s15, s15, (.LBB2_2736-.Lpost_getpc18603)>>32
	s_setpc_b64 s[14:15]
.LBB2_17073:
	s_movk_i32 s4, 0x80
	v_cmp_eq_u16_e32 vcc, s4, v6
	s_mov_b64 s[4:5], -1
                                        ; implicit-def: $sgpr10
	s_and_saveexec_b64 s[8:9], vcc
; %bb.17074:
	s_mov_b32 s10, 0x7f800001
	s_xor_b64 s[4:5], exec, -1
; %bb.17075:
	s_or_b64 exec, exec, s[8:9]
	s_and_b64 s[4:5], s[4:5], exec
                                        ; implicit-def: $vgpr6
	s_or_saveexec_b64 s[6:7], s[6:7]
	v_mov_b32_e32 v2, s10
	s_xor_b64 exec, exec, s[6:7]
	s_cbranch_execnz .LBB2_17076
; %bb.52913:
	s_getpc_b64 s[14:15]
.Lpost_getpc30040:
	s_add_u32 s14, s14, (.LBB2_2738-.Lpost_getpc30040)&4294967295
	s_addc_u32 s15, s15, (.LBB2_2738-.Lpost_getpc30040)>>32
	s_setpc_b64 s[14:15]
.LBB2_17076:
	v_cmp_ne_u16_e32 vcc, 0, v6
	s_andn2_b64 s[4:5], s[4:5], exec
	s_and_b64 s[8:9], vcc, exec
	v_mov_b32_e32 v2, 0
	s_or_b64 s[4:5], s[4:5], s[8:9]
	s_or_b64 exec, exec, s[6:7]
	s_and_saveexec_b64 s[6:7], s[4:5]
	s_cbranch_execz .LBB2_30041
; %bb.52915:
	s_getpc_b64 s[14:15]
.Lpost_getpc30041:
	s_add_u32 s14, s14, (.LBB2_2739-.Lpost_getpc30041)&4294967295
	s_addc_u32 s15, s15, (.LBB2_2739-.Lpost_getpc30041)>>32
	s_setpc_b64 s[14:15]
.LBB2_30041:
	s_getpc_b64 s[14:15]
.Lpost_getpc18604:
	s_add_u32 s14, s14, (.LBB2_2740-.Lpost_getpc18604)&4294967295
	s_addc_u32 s15, s15, (.LBB2_2740-.Lpost_getpc18604)>>32
	s_setpc_b64 s[14:15]
.LBB2_17077:
	s_movk_i32 s4, 0x80
	v_cmp_eq_u16_e32 vcc, s4, v6
	s_mov_b64 s[4:5], -1
                                        ; implicit-def: $sgpr10
	s_and_saveexec_b64 s[8:9], vcc
; %bb.17078:
	s_mov_b32 s10, 0x7f800001
	s_xor_b64 s[4:5], exec, -1
; %bb.17079:
	s_or_b64 exec, exec, s[8:9]
	s_and_b64 s[4:5], s[4:5], exec
                                        ; implicit-def: $vgpr6
	s_or_saveexec_b64 s[6:7], s[6:7]
	v_mov_b32_e32 v12, s10
	s_xor_b64 exec, exec, s[6:7]
	s_cbranch_execnz .LBB2_17080
; %bb.52917:
	s_getpc_b64 s[14:15]
.Lpost_getpc30042:
	s_add_u32 s14, s14, (.LBB2_2742-.Lpost_getpc30042)&4294967295
	s_addc_u32 s15, s15, (.LBB2_2742-.Lpost_getpc30042)>>32
	s_setpc_b64 s[14:15]
.LBB2_17080:
	v_cmp_ne_u16_e32 vcc, 0, v6
	s_andn2_b64 s[4:5], s[4:5], exec
	s_and_b64 s[8:9], vcc, exec
	v_mov_b32_e32 v12, 0
	s_or_b64 s[4:5], s[4:5], s[8:9]
	s_or_b64 exec, exec, s[6:7]
	s_and_saveexec_b64 s[6:7], s[4:5]
	s_cbranch_execz .LBB2_30043
; %bb.52919:
	s_getpc_b64 s[14:15]
.Lpost_getpc30043:
	s_add_u32 s14, s14, (.LBB2_2743-.Lpost_getpc30043)&4294967295
	s_addc_u32 s15, s15, (.LBB2_2743-.Lpost_getpc30043)>>32
	s_setpc_b64 s[14:15]
.LBB2_30043:
	s_getpc_b64 s[14:15]
.Lpost_getpc18605:
	s_add_u32 s14, s14, (.LBB2_2744-.Lpost_getpc18605)&4294967295
	s_addc_u32 s15, s15, (.LBB2_2744-.Lpost_getpc18605)>>32
	s_setpc_b64 s[14:15]
.LBB2_17081:
	s_movk_i32 s4, 0x80
	v_cmp_eq_u16_sdwa s[12:13], v7, s4 src0_sel:BYTE_3 src1_sel:DWORD
	s_mov_b64 s[4:5], -1
                                        ; implicit-def: $sgpr10
	s_and_saveexec_b64 s[8:9], s[12:13]
; %bb.17082:
	s_mov_b32 s10, 0x7f800001
	s_xor_b64 s[4:5], exec, -1
; %bb.17083:
	s_or_b64 exec, exec, s[8:9]
	s_and_b64 s[4:5], s[4:5], exec
	s_or_saveexec_b64 s[6:7], s[6:7]
	v_mov_b32_e32 v2, s10
	s_xor_b64 exec, exec, s[6:7]
	s_cbranch_execnz .LBB2_17084
; %bb.52921:
	s_getpc_b64 s[14:15]
.Lpost_getpc30044:
	s_add_u32 s14, s14, (.LBB2_2746-.Lpost_getpc30044)&4294967295
	s_addc_u32 s15, s15, (.LBB2_2746-.Lpost_getpc30044)>>32
	s_setpc_b64 s[14:15]
.LBB2_17084:
	v_mov_b32_e32 v2, 0
	v_cmp_ne_u16_sdwa s[8:9], v7, v2 src0_sel:BYTE_3 src1_sel:DWORD
	s_andn2_b64 s[4:5], s[4:5], exec
	s_and_b64 s[8:9], s[8:9], exec
	s_or_b64 s[4:5], s[4:5], s[8:9]
	s_or_b64 exec, exec, s[6:7]
	s_and_saveexec_b64 s[6:7], s[4:5]
	s_cbranch_execz .LBB2_30045
; %bb.52923:
	s_getpc_b64 s[14:15]
.Lpost_getpc30045:
	s_add_u32 s14, s14, (.LBB2_2747-.Lpost_getpc30045)&4294967295
	s_addc_u32 s15, s15, (.LBB2_2747-.Lpost_getpc30045)>>32
	s_setpc_b64 s[14:15]
.LBB2_30045:
	s_getpc_b64 s[14:15]
.Lpost_getpc18606:
	s_add_u32 s14, s14, (.LBB2_2748-.Lpost_getpc18606)&4294967295
	s_addc_u32 s15, s15, (.LBB2_2748-.Lpost_getpc18606)>>32
	s_setpc_b64 s[14:15]
.LBB2_17085:
	s_movk_i32 s4, 0x80
	v_cmp_eq_u16_sdwa s[12:13], v3, s4 src0_sel:BYTE_3 src1_sel:DWORD
	s_mov_b64 s[4:5], -1
                                        ; implicit-def: $sgpr10
	s_and_saveexec_b64 s[8:9], s[12:13]
; %bb.17086:
	s_mov_b32 s10, 0x7f800001
	s_xor_b64 s[4:5], exec, -1
; %bb.17087:
	s_or_b64 exec, exec, s[8:9]
	s_and_b64 s[4:5], s[4:5], exec
	s_or_saveexec_b64 s[6:7], s[6:7]
	v_mov_b32_e32 v6, s10
	s_xor_b64 exec, exec, s[6:7]
	s_cbranch_execnz .LBB2_17088
; %bb.52925:
	s_getpc_b64 s[14:15]
.Lpost_getpc30046:
	s_add_u32 s14, s14, (.LBB2_2750-.Lpost_getpc30046)&4294967295
	s_addc_u32 s15, s15, (.LBB2_2750-.Lpost_getpc30046)>>32
	s_setpc_b64 s[14:15]
.LBB2_17088:
	v_mov_b32_e32 v6, 0
	v_cmp_ne_u16_sdwa s[8:9], v3, v6 src0_sel:BYTE_3 src1_sel:DWORD
	s_andn2_b64 s[4:5], s[4:5], exec
	s_and_b64 s[8:9], s[8:9], exec
	s_or_b64 s[4:5], s[4:5], s[8:9]
	s_or_b64 exec, exec, s[6:7]
	s_and_saveexec_b64 s[6:7], s[4:5]
	s_cbranch_execz .LBB2_30047
; %bb.52927:
	s_getpc_b64 s[14:15]
.Lpost_getpc30047:
	s_add_u32 s14, s14, (.LBB2_2751-.Lpost_getpc30047)&4294967295
	s_addc_u32 s15, s15, (.LBB2_2751-.Lpost_getpc30047)>>32
	s_setpc_b64 s[14:15]
.LBB2_30047:
	s_getpc_b64 s[14:15]
.Lpost_getpc18607:
	s_add_u32 s14, s14, (.LBB2_2752-.Lpost_getpc18607)&4294967295
	s_addc_u32 s15, s15, (.LBB2_2752-.Lpost_getpc18607)>>32
	s_setpc_b64 s[14:15]
.LBB2_17089:
	s_movk_i32 s4, 0x80
	v_cmp_eq_u16_sdwa s[12:13], v8, s4 src0_sel:BYTE_0 src1_sel:DWORD
	s_mov_b64 s[4:5], -1
                                        ; implicit-def: $sgpr10
	s_and_saveexec_b64 s[8:9], s[12:13]
; %bb.17090:
	s_mov_b32 s10, 0x7f800001
	s_xor_b64 s[4:5], exec, -1
; %bb.17091:
	s_or_b64 exec, exec, s[8:9]
	s_and_b64 s[4:5], s[4:5], exec
	s_or_saveexec_b64 s[6:7], s[6:7]
	v_mov_b32_e32 v2, s10
	s_xor_b64 exec, exec, s[6:7]
	s_cbranch_execnz .LBB2_17092
; %bb.52929:
	s_getpc_b64 s[14:15]
.Lpost_getpc30048:
	s_add_u32 s14, s14, (.LBB2_2754-.Lpost_getpc30048)&4294967295
	s_addc_u32 s15, s15, (.LBB2_2754-.Lpost_getpc30048)>>32
	s_setpc_b64 s[14:15]
.LBB2_17092:
	v_mov_b32_e32 v2, 0
	v_cmp_ne_u16_sdwa s[8:9], v8, v2 src0_sel:BYTE_0 src1_sel:DWORD
	s_andn2_b64 s[4:5], s[4:5], exec
	s_and_b64 s[8:9], s[8:9], exec
	s_or_b64 s[4:5], s[4:5], s[8:9]
	s_or_b64 exec, exec, s[6:7]
	s_and_saveexec_b64 s[6:7], s[4:5]
	s_cbranch_execz .LBB2_30049
; %bb.52931:
	s_getpc_b64 s[14:15]
.Lpost_getpc30049:
	s_add_u32 s14, s14, (.LBB2_2755-.Lpost_getpc30049)&4294967295
	s_addc_u32 s15, s15, (.LBB2_2755-.Lpost_getpc30049)>>32
	s_setpc_b64 s[14:15]
.LBB2_30049:
	s_getpc_b64 s[14:15]
.Lpost_getpc18608:
	s_add_u32 s14, s14, (.LBB2_2756-.Lpost_getpc18608)&4294967295
	s_addc_u32 s15, s15, (.LBB2_2756-.Lpost_getpc18608)>>32
	s_setpc_b64 s[14:15]
.LBB2_17093:
	s_movk_i32 s4, 0x80
	v_cmp_eq_u16_sdwa s[12:13], v4, s4 src0_sel:BYTE_0 src1_sel:DWORD
	s_mov_b64 s[4:5], -1
                                        ; implicit-def: $sgpr10
	s_and_saveexec_b64 s[8:9], s[12:13]
; %bb.17094:
	s_mov_b32 s10, 0x7f800001
	s_xor_b64 s[4:5], exec, -1
; %bb.17095:
	s_or_b64 exec, exec, s[8:9]
	s_and_b64 s[4:5], s[4:5], exec
	s_or_saveexec_b64 s[6:7], s[6:7]
	v_mov_b32_e32 v3, s10
	s_xor_b64 exec, exec, s[6:7]
	s_cbranch_execnz .LBB2_17096
; %bb.52933:
	s_getpc_b64 s[14:15]
.Lpost_getpc30050:
	s_add_u32 s14, s14, (.LBB2_2758-.Lpost_getpc30050)&4294967295
	s_addc_u32 s15, s15, (.LBB2_2758-.Lpost_getpc30050)>>32
	s_setpc_b64 s[14:15]
.LBB2_17096:
	v_mov_b32_e32 v3, 0
	v_cmp_ne_u16_sdwa s[8:9], v4, v3 src0_sel:BYTE_0 src1_sel:DWORD
	s_andn2_b64 s[4:5], s[4:5], exec
	s_and_b64 s[8:9], s[8:9], exec
	s_or_b64 s[4:5], s[4:5], s[8:9]
	s_or_b64 exec, exec, s[6:7]
	s_and_saveexec_b64 s[6:7], s[4:5]
	s_cbranch_execz .LBB2_30051
; %bb.52935:
	s_getpc_b64 s[14:15]
.Lpost_getpc30051:
	s_add_u32 s14, s14, (.LBB2_2759-.Lpost_getpc30051)&4294967295
	s_addc_u32 s15, s15, (.LBB2_2759-.Lpost_getpc30051)>>32
	s_setpc_b64 s[14:15]
.LBB2_30051:
	s_getpc_b64 s[14:15]
.Lpost_getpc18609:
	s_add_u32 s14, s14, (.LBB2_2760-.Lpost_getpc18609)&4294967295
	s_addc_u32 s15, s15, (.LBB2_2760-.Lpost_getpc18609)>>32
	s_setpc_b64 s[14:15]
.LBB2_17097:
	s_movk_i32 s4, 0x80
	v_cmp_eq_u16_sdwa s[12:13], v3, s4 src0_sel:BYTE_0 src1_sel:DWORD
	s_mov_b64 s[4:5], -1
                                        ; implicit-def: $sgpr10
	s_and_saveexec_b64 s[8:9], s[12:13]
; %bb.17098:
	s_mov_b32 s10, 0x7f800001
	s_xor_b64 s[4:5], exec, -1
; %bb.17099:
	s_or_b64 exec, exec, s[8:9]
	s_and_b64 s[4:5], s[4:5], exec
	s_or_saveexec_b64 s[6:7], s[6:7]
	v_mov_b32_e32 v2, s10
	s_xor_b64 exec, exec, s[6:7]
	s_cbranch_execnz .LBB2_17100
; %bb.52937:
	s_getpc_b64 s[14:15]
.Lpost_getpc30052:
	s_add_u32 s14, s14, (.LBB2_2762-.Lpost_getpc30052)&4294967295
	s_addc_u32 s15, s15, (.LBB2_2762-.Lpost_getpc30052)>>32
	s_setpc_b64 s[14:15]
.LBB2_17100:
	v_mov_b32_e32 v2, 0
	v_cmp_ne_u16_sdwa s[8:9], v3, v2 src0_sel:BYTE_0 src1_sel:DWORD
	s_andn2_b64 s[4:5], s[4:5], exec
	s_and_b64 s[8:9], s[8:9], exec
	s_or_b64 s[4:5], s[4:5], s[8:9]
	s_or_b64 exec, exec, s[6:7]
	s_and_saveexec_b64 s[6:7], s[4:5]
	s_cbranch_execz .LBB2_30053
; %bb.52939:
	s_getpc_b64 s[14:15]
.Lpost_getpc30053:
	s_add_u32 s14, s14, (.LBB2_2763-.Lpost_getpc30053)&4294967295
	s_addc_u32 s15, s15, (.LBB2_2763-.Lpost_getpc30053)>>32
	s_setpc_b64 s[14:15]
.LBB2_30053:
	s_getpc_b64 s[14:15]
.Lpost_getpc18610:
	s_add_u32 s14, s14, (.LBB2_2764-.Lpost_getpc18610)&4294967295
	s_addc_u32 s15, s15, (.LBB2_2764-.Lpost_getpc18610)>>32
	s_setpc_b64 s[14:15]
.LBB2_17101:
	s_movk_i32 s4, 0x80
	v_cmp_eq_u16_sdwa s[12:13], v3, s4 src0_sel:BYTE_0 src1_sel:DWORD
	s_mov_b64 s[4:5], -1
                                        ; implicit-def: $sgpr10
	s_and_saveexec_b64 s[8:9], s[12:13]
; %bb.17102:
	s_mov_b32 s10, 0x7f800001
	s_xor_b64 s[4:5], exec, -1
; %bb.17103:
	s_or_b64 exec, exec, s[8:9]
	s_and_b64 s[4:5], s[4:5], exec
	s_or_saveexec_b64 s[6:7], s[6:7]
	v_mov_b32_e32 v6, s10
	s_xor_b64 exec, exec, s[6:7]
	s_cbranch_execnz .LBB2_17104
; %bb.52941:
	s_getpc_b64 s[14:15]
.Lpost_getpc30054:
	s_add_u32 s14, s14, (.LBB2_2766-.Lpost_getpc30054)&4294967295
	s_addc_u32 s15, s15, (.LBB2_2766-.Lpost_getpc30054)>>32
	s_setpc_b64 s[14:15]
.LBB2_17104:
	v_mov_b32_e32 v6, 0
	v_cmp_ne_u16_sdwa s[8:9], v3, v6 src0_sel:BYTE_0 src1_sel:DWORD
	s_andn2_b64 s[4:5], s[4:5], exec
	s_and_b64 s[8:9], s[8:9], exec
	s_or_b64 s[4:5], s[4:5], s[8:9]
	s_or_b64 exec, exec, s[6:7]
	s_and_saveexec_b64 s[6:7], s[4:5]
	s_cbranch_execz .LBB2_30055
; %bb.52943:
	s_getpc_b64 s[14:15]
.Lpost_getpc30055:
	s_add_u32 s14, s14, (.LBB2_2767-.Lpost_getpc30055)&4294967295
	s_addc_u32 s15, s15, (.LBB2_2767-.Lpost_getpc30055)>>32
	s_setpc_b64 s[14:15]
.LBB2_30055:
	s_getpc_b64 s[14:15]
.Lpost_getpc18611:
	s_add_u32 s14, s14, (.LBB2_2768-.Lpost_getpc18611)&4294967295
	s_addc_u32 s15, s15, (.LBB2_2768-.Lpost_getpc18611)>>32
	s_setpc_b64 s[14:15]
.LBB2_17105:
	s_movk_i32 s4, 0x80
	v_cmp_eq_u16_e32 vcc, s4, v3
	s_mov_b64 s[4:5], -1
                                        ; implicit-def: $sgpr10
	s_and_saveexec_b64 s[8:9], vcc
; %bb.17106:
	s_mov_b32 s10, 0x7f800001
	s_xor_b64 s[4:5], exec, -1
; %bb.17107:
	s_or_b64 exec, exec, s[8:9]
	s_and_b64 s[4:5], s[4:5], exec
                                        ; implicit-def: $vgpr3
	s_or_saveexec_b64 s[6:7], s[6:7]
	v_mov_b32_e32 v2, s10
	s_xor_b64 exec, exec, s[6:7]
	s_cbranch_execnz .LBB2_17108
; %bb.52945:
	s_getpc_b64 s[14:15]
.Lpost_getpc30056:
	s_add_u32 s14, s14, (.LBB2_2770-.Lpost_getpc30056)&4294967295
	s_addc_u32 s15, s15, (.LBB2_2770-.Lpost_getpc30056)>>32
	s_setpc_b64 s[14:15]
.LBB2_17108:
	v_cmp_ne_u16_e32 vcc, 0, v3
	s_andn2_b64 s[4:5], s[4:5], exec
	s_and_b64 s[8:9], vcc, exec
	v_mov_b32_e32 v2, 0
	s_or_b64 s[4:5], s[4:5], s[8:9]
	s_or_b64 exec, exec, s[6:7]
	s_and_saveexec_b64 s[6:7], s[4:5]
	s_cbranch_execz .LBB2_30057
; %bb.52947:
	s_getpc_b64 s[14:15]
.Lpost_getpc30057:
	s_add_u32 s14, s14, (.LBB2_2771-.Lpost_getpc30057)&4294967295
	s_addc_u32 s15, s15, (.LBB2_2771-.Lpost_getpc30057)>>32
	s_setpc_b64 s[14:15]
.LBB2_30057:
	s_getpc_b64 s[14:15]
.Lpost_getpc18612:
	s_add_u32 s14, s14, (.LBB2_2772-.Lpost_getpc18612)&4294967295
	s_addc_u32 s15, s15, (.LBB2_2772-.Lpost_getpc18612)>>32
	s_setpc_b64 s[14:15]
.LBB2_17109:
	s_movk_i32 s4, 0x80
	v_cmp_eq_u16_e32 vcc, s4, v3
	s_mov_b64 s[4:5], -1
                                        ; implicit-def: $sgpr10
	s_and_saveexec_b64 s[8:9], vcc
; %bb.17110:
	s_mov_b32 s10, 0x7f800001
	s_xor_b64 s[4:5], exec, -1
; %bb.17111:
	s_or_b64 exec, exec, s[8:9]
	s_and_b64 s[4:5], s[4:5], exec
                                        ; implicit-def: $vgpr3
	s_or_saveexec_b64 s[6:7], s[6:7]
	v_mov_b32_e32 v6, s10
	s_xor_b64 exec, exec, s[6:7]
	s_cbranch_execnz .LBB2_17112
; %bb.52949:
	s_getpc_b64 s[14:15]
.Lpost_getpc30058:
	s_add_u32 s14, s14, (.LBB2_2774-.Lpost_getpc30058)&4294967295
	s_addc_u32 s15, s15, (.LBB2_2774-.Lpost_getpc30058)>>32
	s_setpc_b64 s[14:15]
.LBB2_17112:
	v_cmp_ne_u16_e32 vcc, 0, v3
	s_andn2_b64 s[4:5], s[4:5], exec
	s_and_b64 s[8:9], vcc, exec
	v_mov_b32_e32 v6, 0
	s_or_b64 s[4:5], s[4:5], s[8:9]
	s_or_b64 exec, exec, s[6:7]
	s_and_saveexec_b64 s[6:7], s[4:5]
	s_cbranch_execz .LBB2_30059
; %bb.52951:
	s_getpc_b64 s[14:15]
.Lpost_getpc30059:
	s_add_u32 s14, s14, (.LBB2_2775-.Lpost_getpc30059)&4294967295
	s_addc_u32 s15, s15, (.LBB2_2775-.Lpost_getpc30059)>>32
	s_setpc_b64 s[14:15]
.LBB2_30059:
	s_getpc_b64 s[14:15]
.Lpost_getpc18613:
	s_add_u32 s14, s14, (.LBB2_2776-.Lpost_getpc18613)&4294967295
	s_addc_u32 s15, s15, (.LBB2_2776-.Lpost_getpc18613)>>32
	s_setpc_b64 s[14:15]
.LBB2_17113:
	s_movk_i32 s4, 0x80
	v_cmp_eq_u16_sdwa s[12:13], v8, s4 src0_sel:BYTE_3 src1_sel:DWORD
	s_mov_b64 s[4:5], -1
                                        ; implicit-def: $sgpr10
	s_and_saveexec_b64 s[8:9], s[12:13]
; %bb.17114:
	s_mov_b32 s10, 0x7f800001
	s_xor_b64 s[4:5], exec, -1
; %bb.17115:
	s_or_b64 exec, exec, s[8:9]
	s_and_b64 s[4:5], s[4:5], exec
	s_or_saveexec_b64 s[6:7], s[6:7]
	v_mov_b32_e32 v2, s10
	s_xor_b64 exec, exec, s[6:7]
	s_cbranch_execnz .LBB2_17116
; %bb.52953:
	s_getpc_b64 s[14:15]
.Lpost_getpc30060:
	s_add_u32 s14, s14, (.LBB2_2778-.Lpost_getpc30060)&4294967295
	s_addc_u32 s15, s15, (.LBB2_2778-.Lpost_getpc30060)>>32
	s_setpc_b64 s[14:15]
.LBB2_17116:
	v_mov_b32_e32 v2, 0
	v_cmp_ne_u16_sdwa s[8:9], v8, v2 src0_sel:BYTE_3 src1_sel:DWORD
	s_andn2_b64 s[4:5], s[4:5], exec
	s_and_b64 s[8:9], s[8:9], exec
	s_or_b64 s[4:5], s[4:5], s[8:9]
	s_or_b64 exec, exec, s[6:7]
	s_and_saveexec_b64 s[6:7], s[4:5]
	s_cbranch_execz .LBB2_30061
; %bb.52955:
	s_getpc_b64 s[14:15]
.Lpost_getpc30061:
	s_add_u32 s14, s14, (.LBB2_2779-.Lpost_getpc30061)&4294967295
	s_addc_u32 s15, s15, (.LBB2_2779-.Lpost_getpc30061)>>32
	s_setpc_b64 s[14:15]
.LBB2_30061:
	s_getpc_b64 s[14:15]
.Lpost_getpc18614:
	s_add_u32 s14, s14, (.LBB2_2780-.Lpost_getpc18614)&4294967295
	s_addc_u32 s15, s15, (.LBB2_2780-.Lpost_getpc18614)>>32
	s_setpc_b64 s[14:15]
.LBB2_17117:
	s_movk_i32 s4, 0x80
	v_cmp_eq_u16_sdwa s[12:13], v4, s4 src0_sel:BYTE_3 src1_sel:DWORD
	s_mov_b64 s[4:5], -1
                                        ; implicit-def: $sgpr10
	s_and_saveexec_b64 s[8:9], s[12:13]
; %bb.17118:
	s_mov_b32 s10, 0x7f800001
	s_xor_b64 s[4:5], exec, -1
; %bb.17119:
	s_or_b64 exec, exec, s[8:9]
	s_and_b64 s[4:5], s[4:5], exec
	s_or_saveexec_b64 s[6:7], s[6:7]
	v_mov_b32_e32 v3, s10
	s_xor_b64 exec, exec, s[6:7]
	s_cbranch_execnz .LBB2_17120
; %bb.52957:
	s_getpc_b64 s[14:15]
.Lpost_getpc30062:
	s_add_u32 s14, s14, (.LBB2_2782-.Lpost_getpc30062)&4294967295
	s_addc_u32 s15, s15, (.LBB2_2782-.Lpost_getpc30062)>>32
	s_setpc_b64 s[14:15]
.LBB2_17120:
	v_mov_b32_e32 v3, 0
	v_cmp_ne_u16_sdwa s[8:9], v4, v3 src0_sel:BYTE_3 src1_sel:DWORD
	s_andn2_b64 s[4:5], s[4:5], exec
	s_and_b64 s[8:9], s[8:9], exec
	s_or_b64 s[4:5], s[4:5], s[8:9]
	s_or_b64 exec, exec, s[6:7]
	s_and_saveexec_b64 s[6:7], s[4:5]
	s_cbranch_execz .LBB2_30063
; %bb.52959:
	s_getpc_b64 s[14:15]
.Lpost_getpc30063:
	s_add_u32 s14, s14, (.LBB2_2783-.Lpost_getpc30063)&4294967295
	s_addc_u32 s15, s15, (.LBB2_2783-.Lpost_getpc30063)>>32
	s_setpc_b64 s[14:15]
.LBB2_30063:
	s_getpc_b64 s[14:15]
.Lpost_getpc18615:
	s_add_u32 s14, s14, (.LBB2_2784-.Lpost_getpc18615)&4294967295
	s_addc_u32 s15, s15, (.LBB2_2784-.Lpost_getpc18615)>>32
	s_setpc_b64 s[14:15]
.LBB2_17121:
	s_movk_i32 s4, 0x80
	v_cmp_eq_u16_sdwa s[12:13], v9, s4 src0_sel:BYTE_0 src1_sel:DWORD
	s_mov_b64 s[4:5], -1
                                        ; implicit-def: $sgpr10
	s_and_saveexec_b64 s[8:9], s[12:13]
; %bb.17122:
	s_mov_b32 s10, 0x7f800001
	s_xor_b64 s[4:5], exec, -1
; %bb.17123:
	s_or_b64 exec, exec, s[8:9]
	s_and_b64 s[4:5], s[4:5], exec
	s_or_saveexec_b64 s[6:7], s[6:7]
	v_mov_b32_e32 v2, s10
	s_xor_b64 exec, exec, s[6:7]
	s_cbranch_execnz .LBB2_17124
; %bb.52961:
	s_getpc_b64 s[14:15]
.Lpost_getpc30064:
	s_add_u32 s14, s14, (.LBB2_2786-.Lpost_getpc30064)&4294967295
	s_addc_u32 s15, s15, (.LBB2_2786-.Lpost_getpc30064)>>32
	s_setpc_b64 s[14:15]
.LBB2_17124:
	v_mov_b32_e32 v2, 0
	v_cmp_ne_u16_sdwa s[8:9], v9, v2 src0_sel:BYTE_0 src1_sel:DWORD
	s_andn2_b64 s[4:5], s[4:5], exec
	s_and_b64 s[8:9], s[8:9], exec
	s_or_b64 s[4:5], s[4:5], s[8:9]
	s_or_b64 exec, exec, s[6:7]
	s_and_saveexec_b64 s[6:7], s[4:5]
	s_cbranch_execz .LBB2_30065
; %bb.52963:
	s_getpc_b64 s[14:15]
.Lpost_getpc30065:
	s_add_u32 s14, s14, (.LBB2_2787-.Lpost_getpc30065)&4294967295
	s_addc_u32 s15, s15, (.LBB2_2787-.Lpost_getpc30065)>>32
	s_setpc_b64 s[14:15]
.LBB2_30065:
	s_getpc_b64 s[14:15]
.Lpost_getpc18616:
	s_add_u32 s14, s14, (.LBB2_2788-.Lpost_getpc18616)&4294967295
	s_addc_u32 s15, s15, (.LBB2_2788-.Lpost_getpc18616)>>32
	s_setpc_b64 s[14:15]
.LBB2_17125:
	s_movk_i32 s4, 0x80
	v_cmp_eq_u16_sdwa s[12:13], v5, s4 src0_sel:BYTE_0 src1_sel:DWORD
	s_mov_b64 s[4:5], -1
                                        ; implicit-def: $sgpr10
	s_and_saveexec_b64 s[8:9], s[12:13]
; %bb.17126:
	s_mov_b32 s10, 0x7f800001
	s_xor_b64 s[4:5], exec, -1
; %bb.17127:
	s_or_b64 exec, exec, s[8:9]
	s_and_b64 s[4:5], s[4:5], exec
	s_or_saveexec_b64 s[6:7], s[6:7]
	v_mov_b32_e32 v3, s10
	s_xor_b64 exec, exec, s[6:7]
	s_cbranch_execnz .LBB2_17128
; %bb.52965:
	s_getpc_b64 s[14:15]
.Lpost_getpc30066:
	s_add_u32 s14, s14, (.LBB2_2790-.Lpost_getpc30066)&4294967295
	s_addc_u32 s15, s15, (.LBB2_2790-.Lpost_getpc30066)>>32
	s_setpc_b64 s[14:15]
.LBB2_17128:
	v_mov_b32_e32 v3, 0
	v_cmp_ne_u16_sdwa s[8:9], v5, v3 src0_sel:BYTE_0 src1_sel:DWORD
	s_andn2_b64 s[4:5], s[4:5], exec
	s_and_b64 s[8:9], s[8:9], exec
	s_or_b64 s[4:5], s[4:5], s[8:9]
	s_or_b64 exec, exec, s[6:7]
	s_and_saveexec_b64 s[6:7], s[4:5]
	s_cbranch_execz .LBB2_30067
; %bb.52967:
	s_getpc_b64 s[14:15]
.Lpost_getpc30067:
	s_add_u32 s14, s14, (.LBB2_2791-.Lpost_getpc30067)&4294967295
	s_addc_u32 s15, s15, (.LBB2_2791-.Lpost_getpc30067)>>32
	s_setpc_b64 s[14:15]
.LBB2_30067:
	s_getpc_b64 s[14:15]
.Lpost_getpc18617:
	s_add_u32 s14, s14, (.LBB2_2792-.Lpost_getpc18617)&4294967295
	s_addc_u32 s15, s15, (.LBB2_2792-.Lpost_getpc18617)>>32
	s_setpc_b64 s[14:15]
.LBB2_17129:
	s_movk_i32 s4, 0x80
	v_cmp_eq_u16_sdwa s[12:13], v3, s4 src0_sel:BYTE_0 src1_sel:DWORD
	s_mov_b64 s[4:5], -1
                                        ; implicit-def: $sgpr10
	s_and_saveexec_b64 s[8:9], s[12:13]
; %bb.17130:
	s_mov_b32 s10, 0x7f800001
	s_xor_b64 s[4:5], exec, -1
; %bb.17131:
	s_or_b64 exec, exec, s[8:9]
	s_and_b64 s[4:5], s[4:5], exec
	s_or_saveexec_b64 s[6:7], s[6:7]
	v_mov_b32_e32 v2, s10
	s_xor_b64 exec, exec, s[6:7]
	s_cbranch_execnz .LBB2_17132
; %bb.52969:
	s_getpc_b64 s[14:15]
.Lpost_getpc30068:
	s_add_u32 s14, s14, (.LBB2_2794-.Lpost_getpc30068)&4294967295
	s_addc_u32 s15, s15, (.LBB2_2794-.Lpost_getpc30068)>>32
	s_setpc_b64 s[14:15]
.LBB2_17132:
	v_mov_b32_e32 v2, 0
	v_cmp_ne_u16_sdwa s[8:9], v3, v2 src0_sel:BYTE_0 src1_sel:DWORD
	s_andn2_b64 s[4:5], s[4:5], exec
	s_and_b64 s[8:9], s[8:9], exec
	s_or_b64 s[4:5], s[4:5], s[8:9]
	s_or_b64 exec, exec, s[6:7]
	s_and_saveexec_b64 s[6:7], s[4:5]
	s_cbranch_execz .LBB2_30069
; %bb.52971:
	s_getpc_b64 s[14:15]
.Lpost_getpc30069:
	s_add_u32 s14, s14, (.LBB2_2795-.Lpost_getpc30069)&4294967295
	s_addc_u32 s15, s15, (.LBB2_2795-.Lpost_getpc30069)>>32
	s_setpc_b64 s[14:15]
.LBB2_30069:
	s_getpc_b64 s[14:15]
.Lpost_getpc18618:
	s_add_u32 s14, s14, (.LBB2_2796-.Lpost_getpc18618)&4294967295
	s_addc_u32 s15, s15, (.LBB2_2796-.Lpost_getpc18618)>>32
	s_setpc_b64 s[14:15]
.LBB2_17133:
	s_movk_i32 s4, 0x80
	v_cmp_eq_u16_sdwa s[12:13], v3, s4 src0_sel:BYTE_0 src1_sel:DWORD
	s_mov_b64 s[4:5], -1
                                        ; implicit-def: $sgpr10
	s_and_saveexec_b64 s[8:9], s[12:13]
; %bb.17134:
	s_mov_b32 s10, 0x7f800001
	s_xor_b64 s[4:5], exec, -1
; %bb.17135:
	s_or_b64 exec, exec, s[8:9]
	s_and_b64 s[4:5], s[4:5], exec
	s_or_saveexec_b64 s[6:7], s[6:7]
	v_mov_b32_e32 v4, s10
	s_xor_b64 exec, exec, s[6:7]
	s_cbranch_execnz .LBB2_17136
; %bb.52973:
	s_getpc_b64 s[14:15]
.Lpost_getpc30070:
	s_add_u32 s14, s14, (.LBB2_2798-.Lpost_getpc30070)&4294967295
	s_addc_u32 s15, s15, (.LBB2_2798-.Lpost_getpc30070)>>32
	s_setpc_b64 s[14:15]
.LBB2_17136:
	v_mov_b32_e32 v4, 0
	v_cmp_ne_u16_sdwa s[8:9], v3, v4 src0_sel:BYTE_0 src1_sel:DWORD
	s_andn2_b64 s[4:5], s[4:5], exec
	s_and_b64 s[8:9], s[8:9], exec
	s_or_b64 s[4:5], s[4:5], s[8:9]
	s_or_b64 exec, exec, s[6:7]
	s_and_saveexec_b64 s[6:7], s[4:5]
	s_cbranch_execz .LBB2_30071
; %bb.52975:
	s_getpc_b64 s[14:15]
.Lpost_getpc30071:
	s_add_u32 s14, s14, (.LBB2_2799-.Lpost_getpc30071)&4294967295
	s_addc_u32 s15, s15, (.LBB2_2799-.Lpost_getpc30071)>>32
	s_setpc_b64 s[14:15]
.LBB2_30071:
	s_getpc_b64 s[14:15]
.Lpost_getpc18619:
	s_add_u32 s14, s14, (.LBB2_2800-.Lpost_getpc18619)&4294967295
	s_addc_u32 s15, s15, (.LBB2_2800-.Lpost_getpc18619)>>32
	s_setpc_b64 s[14:15]
.LBB2_17137:
	s_movk_i32 s4, 0x80
	v_cmp_eq_u16_e32 vcc, s4, v3
	s_mov_b64 s[4:5], -1
                                        ; implicit-def: $sgpr10
	s_and_saveexec_b64 s[8:9], vcc
; %bb.17138:
	s_mov_b32 s10, 0x7f800001
	s_xor_b64 s[4:5], exec, -1
; %bb.17139:
	s_or_b64 exec, exec, s[8:9]
	s_and_b64 s[4:5], s[4:5], exec
                                        ; implicit-def: $vgpr3
	s_or_saveexec_b64 s[6:7], s[6:7]
	v_mov_b32_e32 v2, s10
	s_xor_b64 exec, exec, s[6:7]
	s_cbranch_execnz .LBB2_17140
; %bb.52977:
	s_getpc_b64 s[14:15]
.Lpost_getpc30072:
	s_add_u32 s14, s14, (.LBB2_2802-.Lpost_getpc30072)&4294967295
	s_addc_u32 s15, s15, (.LBB2_2802-.Lpost_getpc30072)>>32
	s_setpc_b64 s[14:15]
.LBB2_17140:
	v_cmp_ne_u16_e32 vcc, 0, v3
	s_andn2_b64 s[4:5], s[4:5], exec
	s_and_b64 s[8:9], vcc, exec
	v_mov_b32_e32 v2, 0
	s_or_b64 s[4:5], s[4:5], s[8:9]
	s_or_b64 exec, exec, s[6:7]
	s_and_saveexec_b64 s[6:7], s[4:5]
	s_cbranch_execz .LBB2_30073
; %bb.52979:
	s_getpc_b64 s[14:15]
.Lpost_getpc30073:
	s_add_u32 s14, s14, (.LBB2_2803-.Lpost_getpc30073)&4294967295
	s_addc_u32 s15, s15, (.LBB2_2803-.Lpost_getpc30073)>>32
	s_setpc_b64 s[14:15]
.LBB2_30073:
	s_getpc_b64 s[14:15]
.Lpost_getpc18620:
	s_add_u32 s14, s14, (.LBB2_2804-.Lpost_getpc18620)&4294967295
	s_addc_u32 s15, s15, (.LBB2_2804-.Lpost_getpc18620)>>32
	s_setpc_b64 s[14:15]
.LBB2_17141:
	s_movk_i32 s4, 0x80
	v_cmp_eq_u16_e32 vcc, s4, v3
	s_mov_b64 s[4:5], -1
                                        ; implicit-def: $sgpr10
	s_and_saveexec_b64 s[8:9], vcc
; %bb.17142:
	s_mov_b32 s10, 0x7f800001
	s_xor_b64 s[4:5], exec, -1
; %bb.17143:
	s_or_b64 exec, exec, s[8:9]
	s_and_b64 s[4:5], s[4:5], exec
                                        ; implicit-def: $vgpr3
	s_or_saveexec_b64 s[6:7], s[6:7]
	v_mov_b32_e32 v4, s10
	s_xor_b64 exec, exec, s[6:7]
	s_cbranch_execnz .LBB2_17144
; %bb.52981:
	s_getpc_b64 s[14:15]
.Lpost_getpc30074:
	s_add_u32 s14, s14, (.LBB2_2806-.Lpost_getpc30074)&4294967295
	s_addc_u32 s15, s15, (.LBB2_2806-.Lpost_getpc30074)>>32
	s_setpc_b64 s[14:15]
.LBB2_17144:
	v_cmp_ne_u16_e32 vcc, 0, v3
	s_andn2_b64 s[4:5], s[4:5], exec
	s_and_b64 s[8:9], vcc, exec
	v_mov_b32_e32 v4, 0
	s_or_b64 s[4:5], s[4:5], s[8:9]
	s_or_b64 exec, exec, s[6:7]
	s_and_saveexec_b64 s[6:7], s[4:5]
	s_cbranch_execz .LBB2_30075
; %bb.52983:
	s_getpc_b64 s[14:15]
.Lpost_getpc30075:
	s_add_u32 s14, s14, (.LBB2_2807-.Lpost_getpc30075)&4294967295
	s_addc_u32 s15, s15, (.LBB2_2807-.Lpost_getpc30075)>>32
	s_setpc_b64 s[14:15]
.LBB2_30075:
	s_getpc_b64 s[14:15]
.Lpost_getpc18621:
	s_add_u32 s14, s14, (.LBB2_2808-.Lpost_getpc18621)&4294967295
	s_addc_u32 s15, s15, (.LBB2_2808-.Lpost_getpc18621)>>32
	s_setpc_b64 s[14:15]
.LBB2_17145:
	s_movk_i32 s4, 0x80
	v_cmp_eq_u16_sdwa s[12:13], v9, s4 src0_sel:BYTE_3 src1_sel:DWORD
	s_mov_b64 s[4:5], -1
                                        ; implicit-def: $sgpr10
	s_and_saveexec_b64 s[8:9], s[12:13]
; %bb.17146:
	s_mov_b32 s10, 0x7f800001
	s_xor_b64 s[4:5], exec, -1
; %bb.17147:
	s_or_b64 exec, exec, s[8:9]
	s_and_b64 s[4:5], s[4:5], exec
	s_or_saveexec_b64 s[6:7], s[6:7]
	v_mov_b32_e32 v2, s10
	s_xor_b64 exec, exec, s[6:7]
	s_cbranch_execnz .LBB2_17148
; %bb.52985:
	s_getpc_b64 s[14:15]
.Lpost_getpc30076:
	s_add_u32 s14, s14, (.LBB2_2810-.Lpost_getpc30076)&4294967295
	s_addc_u32 s15, s15, (.LBB2_2810-.Lpost_getpc30076)>>32
	s_setpc_b64 s[14:15]
.LBB2_17148:
	v_mov_b32_e32 v2, 0
	v_cmp_ne_u16_sdwa s[8:9], v9, v2 src0_sel:BYTE_3 src1_sel:DWORD
	s_andn2_b64 s[4:5], s[4:5], exec
	s_and_b64 s[8:9], s[8:9], exec
	s_or_b64 s[4:5], s[4:5], s[8:9]
	s_or_b64 exec, exec, s[6:7]
	s_and_saveexec_b64 s[6:7], s[4:5]
	s_cbranch_execz .LBB2_30077
; %bb.52987:
	s_getpc_b64 s[14:15]
.Lpost_getpc30077:
	s_add_u32 s14, s14, (.LBB2_2811-.Lpost_getpc30077)&4294967295
	s_addc_u32 s15, s15, (.LBB2_2811-.Lpost_getpc30077)>>32
	s_setpc_b64 s[14:15]
.LBB2_30077:
	s_getpc_b64 s[14:15]
.Lpost_getpc18622:
	s_add_u32 s14, s14, (.LBB2_2812-.Lpost_getpc18622)&4294967295
	s_addc_u32 s15, s15, (.LBB2_2812-.Lpost_getpc18622)>>32
	s_setpc_b64 s[14:15]
.LBB2_17149:
	s_movk_i32 s4, 0x80
	v_cmp_eq_u16_sdwa s[12:13], v5, s4 src0_sel:BYTE_3 src1_sel:DWORD
	s_mov_b64 s[4:5], -1
                                        ; implicit-def: $sgpr10
	s_and_saveexec_b64 s[8:9], s[12:13]
; %bb.17150:
	s_mov_b32 s10, 0x7f800001
	s_xor_b64 s[4:5], exec, -1
; %bb.17151:
	s_or_b64 exec, exec, s[8:9]
	s_and_b64 s[4:5], s[4:5], exec
	s_or_saveexec_b64 s[6:7], s[6:7]
	v_mov_b32_e32 v3, s10
	s_xor_b64 exec, exec, s[6:7]
	s_cbranch_execnz .LBB2_17152
; %bb.52989:
	s_getpc_b64 s[14:15]
.Lpost_getpc30078:
	s_add_u32 s14, s14, (.LBB2_2814-.Lpost_getpc30078)&4294967295
	s_addc_u32 s15, s15, (.LBB2_2814-.Lpost_getpc30078)>>32
	s_setpc_b64 s[14:15]
.LBB2_17152:
	v_mov_b32_e32 v3, 0
	v_cmp_ne_u16_sdwa s[8:9], v5, v3 src0_sel:BYTE_3 src1_sel:DWORD
	s_andn2_b64 s[4:5], s[4:5], exec
	s_and_b64 s[8:9], s[8:9], exec
	s_or_b64 s[4:5], s[4:5], s[8:9]
	s_or_b64 exec, exec, s[6:7]
	s_and_saveexec_b64 s[6:7], s[4:5]
	s_cbranch_execz .LBB2_30079
; %bb.52991:
	s_getpc_b64 s[14:15]
.Lpost_getpc30079:
	s_add_u32 s14, s14, (.LBB2_2815-.Lpost_getpc30079)&4294967295
	s_addc_u32 s15, s15, (.LBB2_2815-.Lpost_getpc30079)>>32
	s_setpc_b64 s[14:15]
.LBB2_30079:
	s_getpc_b64 s[14:15]
.Lpost_getpc18623:
	s_add_u32 s14, s14, (.LBB2_2816-.Lpost_getpc18623)&4294967295
	s_addc_u32 s15, s15, (.LBB2_2816-.Lpost_getpc18623)>>32
	s_setpc_b64 s[14:15]
.LBB2_17153:
	s_movk_i32 s4, 0x80
	v_cmp_eq_u16_sdwa s[12:13], v6, s4 src0_sel:BYTE_0 src1_sel:DWORD
	s_mov_b64 s[4:5], -1
                                        ; implicit-def: $sgpr10
	s_and_saveexec_b64 s[8:9], s[12:13]
; %bb.17154:
	s_mov_b32 s10, 0x7f800001
	s_xor_b64 s[4:5], exec, -1
; %bb.17155:
	s_or_b64 exec, exec, s[8:9]
	s_and_b64 s[4:5], s[4:5], exec
	s_or_saveexec_b64 s[6:7], s[6:7]
	v_mov_b32_e32 v12, s10
	s_xor_b64 exec, exec, s[6:7]
	s_cbranch_execnz .LBB2_17156
; %bb.52993:
	s_getpc_b64 s[14:15]
.Lpost_getpc30080:
	s_add_u32 s14, s14, (.LBB2_2818-.Lpost_getpc30080)&4294967295
	s_addc_u32 s15, s15, (.LBB2_2818-.Lpost_getpc30080)>>32
	s_setpc_b64 s[14:15]
.LBB2_17156:
	v_mov_b32_e32 v12, 0
	v_cmp_ne_u16_sdwa s[8:9], v6, v12 src0_sel:BYTE_0 src1_sel:DWORD
	s_andn2_b64 s[4:5], s[4:5], exec
	s_and_b64 s[8:9], s[8:9], exec
	s_or_b64 s[4:5], s[4:5], s[8:9]
	s_or_b64 exec, exec, s[6:7]
	s_and_saveexec_b64 s[6:7], s[4:5]
	s_cbranch_execz .LBB2_30081
; %bb.52995:
	s_getpc_b64 s[14:15]
.Lpost_getpc30081:
	s_add_u32 s14, s14, (.LBB2_2819-.Lpost_getpc30081)&4294967295
	s_addc_u32 s15, s15, (.LBB2_2819-.Lpost_getpc30081)>>32
	s_setpc_b64 s[14:15]
.LBB2_30081:
	s_getpc_b64 s[14:15]
.Lpost_getpc18624:
	s_add_u32 s14, s14, (.LBB2_2820-.Lpost_getpc18624)&4294967295
	s_addc_u32 s15, s15, (.LBB2_2820-.Lpost_getpc18624)>>32
	s_setpc_b64 s[14:15]
.LBB2_17157:
	s_movk_i32 s4, 0x80
	v_cmp_eq_u16_sdwa s[12:13], v2, s4 src0_sel:BYTE_0 src1_sel:DWORD
	s_mov_b64 s[4:5], -1
                                        ; implicit-def: $sgpr10
	s_and_saveexec_b64 s[8:9], s[12:13]
; %bb.17158:
	s_mov_b32 s10, 0x7f800001
	s_xor_b64 s[4:5], exec, -1
; %bb.17159:
	s_or_b64 exec, exec, s[8:9]
	s_and_b64 s[4:5], s[4:5], exec
	s_or_saveexec_b64 s[6:7], s[6:7]
	v_mov_b32_e32 v13, s10
	s_xor_b64 exec, exec, s[6:7]
	s_cbranch_execnz .LBB2_17160
; %bb.52997:
	s_getpc_b64 s[14:15]
.Lpost_getpc30082:
	s_add_u32 s14, s14, (.LBB2_2822-.Lpost_getpc30082)&4294967295
	s_addc_u32 s15, s15, (.LBB2_2822-.Lpost_getpc30082)>>32
	s_setpc_b64 s[14:15]
.LBB2_17160:
	v_mov_b32_e32 v13, 0
	v_cmp_ne_u16_sdwa s[8:9], v2, v13 src0_sel:BYTE_0 src1_sel:DWORD
	s_andn2_b64 s[4:5], s[4:5], exec
	s_and_b64 s[8:9], s[8:9], exec
	s_or_b64 s[4:5], s[4:5], s[8:9]
	s_or_b64 exec, exec, s[6:7]
	s_and_saveexec_b64 s[6:7], s[4:5]
	s_cbranch_execz .LBB2_30083
; %bb.52999:
	s_getpc_b64 s[14:15]
.Lpost_getpc30083:
	s_add_u32 s14, s14, (.LBB2_2823-.Lpost_getpc30083)&4294967295
	s_addc_u32 s15, s15, (.LBB2_2823-.Lpost_getpc30083)>>32
	s_setpc_b64 s[14:15]
.LBB2_30083:
	s_getpc_b64 s[14:15]
.Lpost_getpc18625:
	s_add_u32 s14, s14, (.LBB2_2824-.Lpost_getpc18625)&4294967295
	s_addc_u32 s15, s15, (.LBB2_2824-.Lpost_getpc18625)>>32
	s_setpc_b64 s[14:15]
.LBB2_17161:
	s_movk_i32 s4, 0x80
	v_cmp_eq_u16_sdwa s[12:13], v13, s4 src0_sel:BYTE_0 src1_sel:DWORD
	s_mov_b64 s[4:5], -1
                                        ; implicit-def: $sgpr10
	s_and_saveexec_b64 s[8:9], s[12:13]
; %bb.17162:
	s_mov_b32 s10, 0x7f800001
	s_xor_b64 s[4:5], exec, -1
; %bb.17163:
	s_or_b64 exec, exec, s[8:9]
	s_and_b64 s[4:5], s[4:5], exec
	s_or_saveexec_b64 s[6:7], s[6:7]
	v_mov_b32_e32 v12, s10
	s_xor_b64 exec, exec, s[6:7]
	s_cbranch_execnz .LBB2_17164
; %bb.53001:
	s_getpc_b64 s[14:15]
.Lpost_getpc30084:
	s_add_u32 s14, s14, (.LBB2_2826-.Lpost_getpc30084)&4294967295
	s_addc_u32 s15, s15, (.LBB2_2826-.Lpost_getpc30084)>>32
	s_setpc_b64 s[14:15]
.LBB2_17164:
	v_mov_b32_e32 v12, 0
	v_cmp_ne_u16_sdwa s[8:9], v13, v12 src0_sel:BYTE_0 src1_sel:DWORD
	s_andn2_b64 s[4:5], s[4:5], exec
	s_and_b64 s[8:9], s[8:9], exec
	s_or_b64 s[4:5], s[4:5], s[8:9]
	s_or_b64 exec, exec, s[6:7]
	s_and_saveexec_b64 s[6:7], s[4:5]
	s_cbranch_execz .LBB2_30085
; %bb.53003:
	s_getpc_b64 s[14:15]
.Lpost_getpc30085:
	s_add_u32 s14, s14, (.LBB2_2827-.Lpost_getpc30085)&4294967295
	s_addc_u32 s15, s15, (.LBB2_2827-.Lpost_getpc30085)>>32
	s_setpc_b64 s[14:15]
.LBB2_30085:
	s_getpc_b64 s[14:15]
.Lpost_getpc18626:
	s_add_u32 s14, s14, (.LBB2_2828-.Lpost_getpc18626)&4294967295
	s_addc_u32 s15, s15, (.LBB2_2828-.Lpost_getpc18626)>>32
	s_setpc_b64 s[14:15]
.LBB2_17165:
	s_movk_i32 s4, 0x80
	v_cmp_eq_u16_sdwa s[12:13], v13, s4 src0_sel:BYTE_0 src1_sel:DWORD
	s_mov_b64 s[4:5], -1
                                        ; implicit-def: $sgpr10
	s_and_saveexec_b64 s[8:9], s[12:13]
; %bb.17166:
	s_mov_b32 s10, 0x7f800001
	s_xor_b64 s[4:5], exec, -1
; %bb.17167:
	s_or_b64 exec, exec, s[8:9]
	s_and_b64 s[4:5], s[4:5], exec
	s_or_saveexec_b64 s[6:7], s[6:7]
	v_mov_b32_e32 v14, s10
	s_xor_b64 exec, exec, s[6:7]
	s_cbranch_execnz .LBB2_17168
; %bb.53005:
	s_getpc_b64 s[14:15]
.Lpost_getpc30086:
	s_add_u32 s14, s14, (.LBB2_2830-.Lpost_getpc30086)&4294967295
	s_addc_u32 s15, s15, (.LBB2_2830-.Lpost_getpc30086)>>32
	s_setpc_b64 s[14:15]
.LBB2_17168:
	v_mov_b32_e32 v14, 0
	v_cmp_ne_u16_sdwa s[8:9], v13, v14 src0_sel:BYTE_0 src1_sel:DWORD
	s_andn2_b64 s[4:5], s[4:5], exec
	s_and_b64 s[8:9], s[8:9], exec
	s_or_b64 s[4:5], s[4:5], s[8:9]
	s_or_b64 exec, exec, s[6:7]
	s_and_saveexec_b64 s[6:7], s[4:5]
	s_cbranch_execz .LBB2_30087
; %bb.53007:
	s_getpc_b64 s[14:15]
.Lpost_getpc30087:
	s_add_u32 s14, s14, (.LBB2_2831-.Lpost_getpc30087)&4294967295
	s_addc_u32 s15, s15, (.LBB2_2831-.Lpost_getpc30087)>>32
	s_setpc_b64 s[14:15]
.LBB2_30087:
	s_getpc_b64 s[14:15]
.Lpost_getpc18627:
	s_add_u32 s14, s14, (.LBB2_2832-.Lpost_getpc18627)&4294967295
	s_addc_u32 s15, s15, (.LBB2_2832-.Lpost_getpc18627)>>32
	s_setpc_b64 s[14:15]
.LBB2_17169:
	s_movk_i32 s4, 0x80
	v_cmp_eq_u16_e32 vcc, s4, v13
	s_mov_b64 s[4:5], -1
                                        ; implicit-def: $sgpr10
	s_and_saveexec_b64 s[8:9], vcc
; %bb.17170:
	s_mov_b32 s10, 0x7f800001
	s_xor_b64 s[4:5], exec, -1
; %bb.17171:
	s_or_b64 exec, exec, s[8:9]
	s_and_b64 s[4:5], s[4:5], exec
                                        ; implicit-def: $vgpr13
	s_or_saveexec_b64 s[6:7], s[6:7]
	v_mov_b32_e32 v12, s10
	s_xor_b64 exec, exec, s[6:7]
	s_cbranch_execnz .LBB2_17172
; %bb.53009:
	s_getpc_b64 s[14:15]
.Lpost_getpc30088:
	s_add_u32 s14, s14, (.LBB2_2834-.Lpost_getpc30088)&4294967295
	s_addc_u32 s15, s15, (.LBB2_2834-.Lpost_getpc30088)>>32
	s_setpc_b64 s[14:15]
.LBB2_17172:
	v_cmp_ne_u16_e32 vcc, 0, v13
	s_andn2_b64 s[4:5], s[4:5], exec
	s_and_b64 s[8:9], vcc, exec
	v_mov_b32_e32 v12, 0
	s_or_b64 s[4:5], s[4:5], s[8:9]
	s_or_b64 exec, exec, s[6:7]
	s_and_saveexec_b64 s[6:7], s[4:5]
	s_cbranch_execz .LBB2_30089
; %bb.53011:
	s_getpc_b64 s[14:15]
.Lpost_getpc30089:
	s_add_u32 s14, s14, (.LBB2_2835-.Lpost_getpc30089)&4294967295
	s_addc_u32 s15, s15, (.LBB2_2835-.Lpost_getpc30089)>>32
	s_setpc_b64 s[14:15]
.LBB2_30089:
	s_getpc_b64 s[14:15]
.Lpost_getpc18628:
	s_add_u32 s14, s14, (.LBB2_2836-.Lpost_getpc18628)&4294967295
	s_addc_u32 s15, s15, (.LBB2_2836-.Lpost_getpc18628)>>32
	s_setpc_b64 s[14:15]
.LBB2_17173:
	s_movk_i32 s4, 0x80
	v_cmp_eq_u16_e32 vcc, s4, v13
	s_mov_b64 s[4:5], -1
                                        ; implicit-def: $sgpr10
	s_and_saveexec_b64 s[8:9], vcc
; %bb.17174:
	s_mov_b32 s10, 0x7f800001
	s_xor_b64 s[4:5], exec, -1
; %bb.17175:
	s_or_b64 exec, exec, s[8:9]
	s_and_b64 s[4:5], s[4:5], exec
                                        ; implicit-def: $vgpr13
	s_or_saveexec_b64 s[6:7], s[6:7]
	v_mov_b32_e32 v14, s10
	s_xor_b64 exec, exec, s[6:7]
	s_cbranch_execnz .LBB2_17176
; %bb.53013:
	s_getpc_b64 s[14:15]
.Lpost_getpc30090:
	s_add_u32 s14, s14, (.LBB2_2838-.Lpost_getpc30090)&4294967295
	s_addc_u32 s15, s15, (.LBB2_2838-.Lpost_getpc30090)>>32
	s_setpc_b64 s[14:15]
.LBB2_17176:
	v_cmp_ne_u16_e32 vcc, 0, v13
	s_andn2_b64 s[4:5], s[4:5], exec
	s_and_b64 s[8:9], vcc, exec
	v_mov_b32_e32 v14, 0
	s_or_b64 s[4:5], s[4:5], s[8:9]
	s_or_b64 exec, exec, s[6:7]
	s_and_saveexec_b64 s[6:7], s[4:5]
	s_cbranch_execz .LBB2_30091
; %bb.53015:
	s_getpc_b64 s[14:15]
.Lpost_getpc30091:
	s_add_u32 s14, s14, (.LBB2_2839-.Lpost_getpc30091)&4294967295
	s_addc_u32 s15, s15, (.LBB2_2839-.Lpost_getpc30091)>>32
	s_setpc_b64 s[14:15]
.LBB2_30091:
	s_getpc_b64 s[14:15]
.Lpost_getpc18629:
	s_add_u32 s14, s14, (.LBB2_2840-.Lpost_getpc18629)&4294967295
	s_addc_u32 s15, s15, (.LBB2_2840-.Lpost_getpc18629)>>32
	s_setpc_b64 s[14:15]
.LBB2_17177:
	s_movk_i32 s4, 0x80
	v_cmp_eq_u16_sdwa s[12:13], v6, s4 src0_sel:BYTE_3 src1_sel:DWORD
	s_mov_b64 s[4:5], -1
                                        ; implicit-def: $sgpr10
	s_and_saveexec_b64 s[8:9], s[12:13]
; %bb.17178:
	s_mov_b32 s10, 0x7f800001
	s_xor_b64 s[4:5], exec, -1
; %bb.17179:
	s_or_b64 exec, exec, s[8:9]
	s_and_b64 s[4:5], s[4:5], exec
	s_or_saveexec_b64 s[6:7], s[6:7]
	v_mov_b32_e32 v12, s10
	s_xor_b64 exec, exec, s[6:7]
	s_cbranch_execnz .LBB2_17180
; %bb.53017:
	s_getpc_b64 s[14:15]
.Lpost_getpc30092:
	s_add_u32 s14, s14, (.LBB2_2842-.Lpost_getpc30092)&4294967295
	s_addc_u32 s15, s15, (.LBB2_2842-.Lpost_getpc30092)>>32
	s_setpc_b64 s[14:15]
.LBB2_17180:
	v_mov_b32_e32 v12, 0
	v_cmp_ne_u16_sdwa s[8:9], v6, v12 src0_sel:BYTE_3 src1_sel:DWORD
	s_andn2_b64 s[4:5], s[4:5], exec
	s_and_b64 s[8:9], s[8:9], exec
	s_or_b64 s[4:5], s[4:5], s[8:9]
	s_or_b64 exec, exec, s[6:7]
	s_and_saveexec_b64 s[6:7], s[4:5]
	s_cbranch_execz .LBB2_30093
; %bb.53019:
	s_getpc_b64 s[14:15]
.Lpost_getpc30093:
	s_add_u32 s14, s14, (.LBB2_2843-.Lpost_getpc30093)&4294967295
	s_addc_u32 s15, s15, (.LBB2_2843-.Lpost_getpc30093)>>32
	s_setpc_b64 s[14:15]
.LBB2_30093:
	s_getpc_b64 s[14:15]
.Lpost_getpc18630:
	s_add_u32 s14, s14, (.LBB2_2844-.Lpost_getpc18630)&4294967295
	s_addc_u32 s15, s15, (.LBB2_2844-.Lpost_getpc18630)>>32
	s_setpc_b64 s[14:15]
.LBB2_17181:
	s_movk_i32 s4, 0x80
	v_cmp_eq_u16_sdwa s[12:13], v2, s4 src0_sel:BYTE_3 src1_sel:DWORD
	s_mov_b64 s[4:5], -1
                                        ; implicit-def: $sgpr10
	s_and_saveexec_b64 s[8:9], s[12:13]
; %bb.17182:
	s_mov_b32 s10, 0x7f800001
	s_xor_b64 s[4:5], exec, -1
; %bb.17183:
	s_or_b64 exec, exec, s[8:9]
	s_and_b64 s[4:5], s[4:5], exec
	s_or_saveexec_b64 s[6:7], s[6:7]
	v_mov_b32_e32 v6, s10
	s_xor_b64 exec, exec, s[6:7]
	s_cbranch_execnz .LBB2_17184
; %bb.53021:
	s_getpc_b64 s[14:15]
.Lpost_getpc30094:
	s_add_u32 s14, s14, (.LBB2_2846-.Lpost_getpc30094)&4294967295
	s_addc_u32 s15, s15, (.LBB2_2846-.Lpost_getpc30094)>>32
	s_setpc_b64 s[14:15]
.LBB2_17184:
	v_mov_b32_e32 v6, 0
	v_cmp_ne_u16_sdwa s[8:9], v2, v6 src0_sel:BYTE_3 src1_sel:DWORD
	s_andn2_b64 s[4:5], s[4:5], exec
	s_and_b64 s[8:9], s[8:9], exec
	s_or_b64 s[4:5], s[4:5], s[8:9]
	s_or_b64 exec, exec, s[6:7]
	s_and_saveexec_b64 s[6:7], s[4:5]
	s_cbranch_execz .LBB2_30095
; %bb.53023:
	s_getpc_b64 s[14:15]
.Lpost_getpc30095:
	s_add_u32 s14, s14, (.LBB2_2847-.Lpost_getpc30095)&4294967295
	s_addc_u32 s15, s15, (.LBB2_2847-.Lpost_getpc30095)>>32
	s_setpc_b64 s[14:15]
.LBB2_30095:
	s_getpc_b64 s[14:15]
.Lpost_getpc18631:
	s_add_u32 s14, s14, (.LBB2_2848-.Lpost_getpc18631)&4294967295
	s_addc_u32 s15, s15, (.LBB2_2848-.Lpost_getpc18631)>>32
	s_setpc_b64 s[14:15]
.LBB2_17185:
	s_movk_i32 s4, 0x80
	v_cmp_eq_u16_sdwa s[12:13], v7, s4 src0_sel:BYTE_0 src1_sel:DWORD
	s_mov_b64 s[4:5], -1
                                        ; implicit-def: $sgpr10
	s_and_saveexec_b64 s[8:9], s[12:13]
; %bb.17186:
	s_mov_b32 s10, 0x7f800001
	s_xor_b64 s[4:5], exec, -1
; %bb.17187:
	s_or_b64 exec, exec, s[8:9]
	s_and_b64 s[4:5], s[4:5], exec
	s_or_saveexec_b64 s[6:7], s[6:7]
	v_mov_b32_e32 v2, s10
	s_xor_b64 exec, exec, s[6:7]
	s_cbranch_execnz .LBB2_17188
; %bb.53025:
	s_getpc_b64 s[14:15]
.Lpost_getpc30096:
	s_add_u32 s14, s14, (.LBB2_2850-.Lpost_getpc30096)&4294967295
	s_addc_u32 s15, s15, (.LBB2_2850-.Lpost_getpc30096)>>32
	s_setpc_b64 s[14:15]
.LBB2_17188:
	v_mov_b32_e32 v2, 0
	v_cmp_ne_u16_sdwa s[8:9], v7, v2 src0_sel:BYTE_0 src1_sel:DWORD
	s_andn2_b64 s[4:5], s[4:5], exec
	s_and_b64 s[8:9], s[8:9], exec
	s_or_b64 s[4:5], s[4:5], s[8:9]
	s_or_b64 exec, exec, s[6:7]
	s_and_saveexec_b64 s[6:7], s[4:5]
	s_cbranch_execz .LBB2_30097
; %bb.53027:
	s_getpc_b64 s[14:15]
.Lpost_getpc30097:
	s_add_u32 s14, s14, (.LBB2_2851-.Lpost_getpc30097)&4294967295
	s_addc_u32 s15, s15, (.LBB2_2851-.Lpost_getpc30097)>>32
	s_setpc_b64 s[14:15]
.LBB2_30097:
	s_getpc_b64 s[14:15]
.Lpost_getpc18632:
	s_add_u32 s14, s14, (.LBB2_2852-.Lpost_getpc18632)&4294967295
	s_addc_u32 s15, s15, (.LBB2_2852-.Lpost_getpc18632)>>32
	s_setpc_b64 s[14:15]
.LBB2_17189:
	s_movk_i32 s4, 0x80
	v_cmp_eq_u16_sdwa s[12:13], v3, s4 src0_sel:BYTE_0 src1_sel:DWORD
	s_mov_b64 s[4:5], -1
                                        ; implicit-def: $sgpr10
	s_and_saveexec_b64 s[8:9], s[12:13]
; %bb.17190:
	s_mov_b32 s10, 0x7f800001
	s_xor_b64 s[4:5], exec, -1
; %bb.17191:
	s_or_b64 exec, exec, s[8:9]
	s_and_b64 s[4:5], s[4:5], exec
	s_or_saveexec_b64 s[6:7], s[6:7]
	v_mov_b32_e32 v6, s10
	s_xor_b64 exec, exec, s[6:7]
	s_cbranch_execnz .LBB2_17192
; %bb.53029:
	s_getpc_b64 s[14:15]
.Lpost_getpc30098:
	s_add_u32 s14, s14, (.LBB2_2854-.Lpost_getpc30098)&4294967295
	s_addc_u32 s15, s15, (.LBB2_2854-.Lpost_getpc30098)>>32
	s_setpc_b64 s[14:15]
.LBB2_17192:
	v_mov_b32_e32 v6, 0
	v_cmp_ne_u16_sdwa s[8:9], v3, v6 src0_sel:BYTE_0 src1_sel:DWORD
	s_andn2_b64 s[4:5], s[4:5], exec
	s_and_b64 s[8:9], s[8:9], exec
	s_or_b64 s[4:5], s[4:5], s[8:9]
	s_or_b64 exec, exec, s[6:7]
	s_and_saveexec_b64 s[6:7], s[4:5]
	s_cbranch_execz .LBB2_30099
; %bb.53031:
	s_getpc_b64 s[14:15]
.Lpost_getpc30099:
	s_add_u32 s14, s14, (.LBB2_2855-.Lpost_getpc30099)&4294967295
	s_addc_u32 s15, s15, (.LBB2_2855-.Lpost_getpc30099)>>32
	s_setpc_b64 s[14:15]
.LBB2_30099:
	s_getpc_b64 s[14:15]
.Lpost_getpc18633:
	s_add_u32 s14, s14, (.LBB2_2856-.Lpost_getpc18633)&4294967295
	s_addc_u32 s15, s15, (.LBB2_2856-.Lpost_getpc18633)>>32
	s_setpc_b64 s[14:15]
.LBB2_17193:
	s_movk_i32 s4, 0x80
	v_cmp_eq_u16_sdwa s[12:13], v6, s4 src0_sel:BYTE_0 src1_sel:DWORD
	s_mov_b64 s[4:5], -1
                                        ; implicit-def: $sgpr10
	s_and_saveexec_b64 s[8:9], s[12:13]
; %bb.17194:
	s_mov_b32 s10, 0x7f800001
	s_xor_b64 s[4:5], exec, -1
; %bb.17195:
	s_or_b64 exec, exec, s[8:9]
	s_and_b64 s[4:5], s[4:5], exec
	s_or_saveexec_b64 s[6:7], s[6:7]
	v_mov_b32_e32 v2, s10
	s_xor_b64 exec, exec, s[6:7]
	s_cbranch_execnz .LBB2_17196
; %bb.53033:
	s_getpc_b64 s[14:15]
.Lpost_getpc30100:
	s_add_u32 s14, s14, (.LBB2_2858-.Lpost_getpc30100)&4294967295
	s_addc_u32 s15, s15, (.LBB2_2858-.Lpost_getpc30100)>>32
	s_setpc_b64 s[14:15]
.LBB2_17196:
	v_mov_b32_e32 v2, 0
	v_cmp_ne_u16_sdwa s[8:9], v6, v2 src0_sel:BYTE_0 src1_sel:DWORD
	s_andn2_b64 s[4:5], s[4:5], exec
	s_and_b64 s[8:9], s[8:9], exec
	s_or_b64 s[4:5], s[4:5], s[8:9]
	s_or_b64 exec, exec, s[6:7]
	s_and_saveexec_b64 s[6:7], s[4:5]
	s_cbranch_execz .LBB2_30101
; %bb.53035:
	s_getpc_b64 s[14:15]
.Lpost_getpc30101:
	s_add_u32 s14, s14, (.LBB2_2859-.Lpost_getpc30101)&4294967295
	s_addc_u32 s15, s15, (.LBB2_2859-.Lpost_getpc30101)>>32
	s_setpc_b64 s[14:15]
.LBB2_30101:
	s_getpc_b64 s[14:15]
.Lpost_getpc18634:
	s_add_u32 s14, s14, (.LBB2_2860-.Lpost_getpc18634)&4294967295
	s_addc_u32 s15, s15, (.LBB2_2860-.Lpost_getpc18634)>>32
	s_setpc_b64 s[14:15]
.LBB2_17197:
	s_movk_i32 s4, 0x80
	v_cmp_eq_u16_sdwa s[12:13], v6, s4 src0_sel:BYTE_0 src1_sel:DWORD
	s_mov_b64 s[4:5], -1
                                        ; implicit-def: $sgpr10
	s_and_saveexec_b64 s[8:9], s[12:13]
; %bb.17198:
	s_mov_b32 s10, 0x7f800001
	s_xor_b64 s[4:5], exec, -1
; %bb.17199:
	s_or_b64 exec, exec, s[8:9]
	s_and_b64 s[4:5], s[4:5], exec
	s_or_saveexec_b64 s[6:7], s[6:7]
	v_mov_b32_e32 v12, s10
	s_xor_b64 exec, exec, s[6:7]
	s_cbranch_execnz .LBB2_17200
; %bb.53037:
	s_getpc_b64 s[14:15]
.Lpost_getpc30102:
	s_add_u32 s14, s14, (.LBB2_2862-.Lpost_getpc30102)&4294967295
	s_addc_u32 s15, s15, (.LBB2_2862-.Lpost_getpc30102)>>32
	s_setpc_b64 s[14:15]
.LBB2_17200:
	v_mov_b32_e32 v12, 0
	v_cmp_ne_u16_sdwa s[8:9], v6, v12 src0_sel:BYTE_0 src1_sel:DWORD
	s_andn2_b64 s[4:5], s[4:5], exec
	s_and_b64 s[8:9], s[8:9], exec
	s_or_b64 s[4:5], s[4:5], s[8:9]
	s_or_b64 exec, exec, s[6:7]
	s_and_saveexec_b64 s[6:7], s[4:5]
	s_cbranch_execz .LBB2_30103
; %bb.53039:
	s_getpc_b64 s[14:15]
.Lpost_getpc30103:
	s_add_u32 s14, s14, (.LBB2_2863-.Lpost_getpc30103)&4294967295
	s_addc_u32 s15, s15, (.LBB2_2863-.Lpost_getpc30103)>>32
	s_setpc_b64 s[14:15]
.LBB2_30103:
	s_getpc_b64 s[14:15]
.Lpost_getpc18635:
	s_add_u32 s14, s14, (.LBB2_2864-.Lpost_getpc18635)&4294967295
	s_addc_u32 s15, s15, (.LBB2_2864-.Lpost_getpc18635)>>32
	s_setpc_b64 s[14:15]
.LBB2_17201:
	s_movk_i32 s4, 0x80
	v_cmp_eq_u16_e32 vcc, s4, v6
	s_mov_b64 s[4:5], -1
                                        ; implicit-def: $sgpr10
	s_and_saveexec_b64 s[8:9], vcc
; %bb.17202:
	s_mov_b32 s10, 0x7f800001
	s_xor_b64 s[4:5], exec, -1
; %bb.17203:
	s_or_b64 exec, exec, s[8:9]
	s_and_b64 s[4:5], s[4:5], exec
                                        ; implicit-def: $vgpr6
	s_or_saveexec_b64 s[6:7], s[6:7]
	v_mov_b32_e32 v2, s10
	s_xor_b64 exec, exec, s[6:7]
	s_cbranch_execnz .LBB2_17204
; %bb.53041:
	s_getpc_b64 s[14:15]
.Lpost_getpc30104:
	s_add_u32 s14, s14, (.LBB2_2866-.Lpost_getpc30104)&4294967295
	s_addc_u32 s15, s15, (.LBB2_2866-.Lpost_getpc30104)>>32
	s_setpc_b64 s[14:15]
.LBB2_17204:
	v_cmp_ne_u16_e32 vcc, 0, v6
	s_andn2_b64 s[4:5], s[4:5], exec
	s_and_b64 s[8:9], vcc, exec
	v_mov_b32_e32 v2, 0
	s_or_b64 s[4:5], s[4:5], s[8:9]
	s_or_b64 exec, exec, s[6:7]
	s_and_saveexec_b64 s[6:7], s[4:5]
	s_cbranch_execz .LBB2_30105
; %bb.53043:
	s_getpc_b64 s[14:15]
.Lpost_getpc30105:
	s_add_u32 s14, s14, (.LBB2_2867-.Lpost_getpc30105)&4294967295
	s_addc_u32 s15, s15, (.LBB2_2867-.Lpost_getpc30105)>>32
	s_setpc_b64 s[14:15]
.LBB2_30105:
	s_getpc_b64 s[14:15]
.Lpost_getpc18636:
	s_add_u32 s14, s14, (.LBB2_2868-.Lpost_getpc18636)&4294967295
	s_addc_u32 s15, s15, (.LBB2_2868-.Lpost_getpc18636)>>32
	s_setpc_b64 s[14:15]
.LBB2_17205:
	s_movk_i32 s4, 0x80
	v_cmp_eq_u16_e32 vcc, s4, v6
	s_mov_b64 s[4:5], -1
                                        ; implicit-def: $sgpr10
	s_and_saveexec_b64 s[8:9], vcc
; %bb.17206:
	s_mov_b32 s10, 0x7f800001
	s_xor_b64 s[4:5], exec, -1
; %bb.17207:
	s_or_b64 exec, exec, s[8:9]
	s_and_b64 s[4:5], s[4:5], exec
                                        ; implicit-def: $vgpr6
	s_or_saveexec_b64 s[6:7], s[6:7]
	v_mov_b32_e32 v12, s10
	s_xor_b64 exec, exec, s[6:7]
	s_cbranch_execnz .LBB2_17208
; %bb.53045:
	s_getpc_b64 s[14:15]
.Lpost_getpc30106:
	s_add_u32 s14, s14, (.LBB2_2870-.Lpost_getpc30106)&4294967295
	s_addc_u32 s15, s15, (.LBB2_2870-.Lpost_getpc30106)>>32
	s_setpc_b64 s[14:15]
.LBB2_17208:
	v_cmp_ne_u16_e32 vcc, 0, v6
	s_andn2_b64 s[4:5], s[4:5], exec
	s_and_b64 s[8:9], vcc, exec
	v_mov_b32_e32 v12, 0
	s_or_b64 s[4:5], s[4:5], s[8:9]
	s_or_b64 exec, exec, s[6:7]
	s_and_saveexec_b64 s[6:7], s[4:5]
	s_cbranch_execz .LBB2_30107
; %bb.53047:
	s_getpc_b64 s[14:15]
.Lpost_getpc30107:
	s_add_u32 s14, s14, (.LBB2_2871-.Lpost_getpc30107)&4294967295
	s_addc_u32 s15, s15, (.LBB2_2871-.Lpost_getpc30107)>>32
	s_setpc_b64 s[14:15]
.LBB2_30107:
	s_getpc_b64 s[14:15]
.Lpost_getpc18637:
	s_add_u32 s14, s14, (.LBB2_2872-.Lpost_getpc18637)&4294967295
	s_addc_u32 s15, s15, (.LBB2_2872-.Lpost_getpc18637)>>32
	s_setpc_b64 s[14:15]
.LBB2_17209:
	s_movk_i32 s4, 0x80
	v_cmp_eq_u16_sdwa s[12:13], v7, s4 src0_sel:BYTE_3 src1_sel:DWORD
	s_mov_b64 s[4:5], -1
                                        ; implicit-def: $sgpr10
	s_and_saveexec_b64 s[8:9], s[12:13]
; %bb.17210:
	s_mov_b32 s10, 0x7f800001
	s_xor_b64 s[4:5], exec, -1
; %bb.17211:
	s_or_b64 exec, exec, s[8:9]
	s_and_b64 s[4:5], s[4:5], exec
	s_or_saveexec_b64 s[6:7], s[6:7]
	v_mov_b32_e32 v2, s10
	s_xor_b64 exec, exec, s[6:7]
	s_cbranch_execnz .LBB2_17212
; %bb.53049:
	s_getpc_b64 s[14:15]
.Lpost_getpc30108:
	s_add_u32 s14, s14, (.LBB2_2874-.Lpost_getpc30108)&4294967295
	s_addc_u32 s15, s15, (.LBB2_2874-.Lpost_getpc30108)>>32
	s_setpc_b64 s[14:15]
.LBB2_17212:
	v_mov_b32_e32 v2, 0
	v_cmp_ne_u16_sdwa s[8:9], v7, v2 src0_sel:BYTE_3 src1_sel:DWORD
	s_andn2_b64 s[4:5], s[4:5], exec
	s_and_b64 s[8:9], s[8:9], exec
	s_or_b64 s[4:5], s[4:5], s[8:9]
	s_or_b64 exec, exec, s[6:7]
	s_and_saveexec_b64 s[6:7], s[4:5]
	s_cbranch_execz .LBB2_30109
; %bb.53051:
	s_getpc_b64 s[14:15]
.Lpost_getpc30109:
	s_add_u32 s14, s14, (.LBB2_2875-.Lpost_getpc30109)&4294967295
	s_addc_u32 s15, s15, (.LBB2_2875-.Lpost_getpc30109)>>32
	s_setpc_b64 s[14:15]
.LBB2_30109:
	s_getpc_b64 s[14:15]
.Lpost_getpc18638:
	s_add_u32 s14, s14, (.LBB2_2876-.Lpost_getpc18638)&4294967295
	s_addc_u32 s15, s15, (.LBB2_2876-.Lpost_getpc18638)>>32
	s_setpc_b64 s[14:15]
.LBB2_17213:
	s_movk_i32 s4, 0x80
	v_cmp_eq_u16_sdwa s[12:13], v3, s4 src0_sel:BYTE_3 src1_sel:DWORD
	s_mov_b64 s[4:5], -1
                                        ; implicit-def: $sgpr10
	s_and_saveexec_b64 s[8:9], s[12:13]
; %bb.17214:
	s_mov_b32 s10, 0x7f800001
	s_xor_b64 s[4:5], exec, -1
; %bb.17215:
	s_or_b64 exec, exec, s[8:9]
	s_and_b64 s[4:5], s[4:5], exec
	s_or_saveexec_b64 s[6:7], s[6:7]
	v_mov_b32_e32 v6, s10
	s_xor_b64 exec, exec, s[6:7]
	s_cbranch_execnz .LBB2_17216
; %bb.53053:
	s_getpc_b64 s[14:15]
.Lpost_getpc30110:
	s_add_u32 s14, s14, (.LBB2_2878-.Lpost_getpc30110)&4294967295
	s_addc_u32 s15, s15, (.LBB2_2878-.Lpost_getpc30110)>>32
	s_setpc_b64 s[14:15]
.LBB2_17216:
	v_mov_b32_e32 v6, 0
	v_cmp_ne_u16_sdwa s[8:9], v3, v6 src0_sel:BYTE_3 src1_sel:DWORD
	s_andn2_b64 s[4:5], s[4:5], exec
	s_and_b64 s[8:9], s[8:9], exec
	s_or_b64 s[4:5], s[4:5], s[8:9]
	s_or_b64 exec, exec, s[6:7]
	s_and_saveexec_b64 s[6:7], s[4:5]
	s_cbranch_execz .LBB2_30111
; %bb.53055:
	s_getpc_b64 s[14:15]
.Lpost_getpc30111:
	s_add_u32 s14, s14, (.LBB2_2879-.Lpost_getpc30111)&4294967295
	s_addc_u32 s15, s15, (.LBB2_2879-.Lpost_getpc30111)>>32
	s_setpc_b64 s[14:15]
.LBB2_30111:
	s_getpc_b64 s[14:15]
.Lpost_getpc18639:
	s_add_u32 s14, s14, (.LBB2_2880-.Lpost_getpc18639)&4294967295
	s_addc_u32 s15, s15, (.LBB2_2880-.Lpost_getpc18639)>>32
	s_setpc_b64 s[14:15]
.LBB2_17217:
	s_movk_i32 s4, 0x80
	v_cmp_eq_u16_sdwa s[12:13], v8, s4 src0_sel:BYTE_0 src1_sel:DWORD
	s_mov_b64 s[4:5], -1
                                        ; implicit-def: $sgpr10
	s_and_saveexec_b64 s[8:9], s[12:13]
; %bb.17218:
	s_mov_b32 s10, 0x7f800001
	s_xor_b64 s[4:5], exec, -1
; %bb.17219:
	s_or_b64 exec, exec, s[8:9]
	s_and_b64 s[4:5], s[4:5], exec
	s_or_saveexec_b64 s[6:7], s[6:7]
	v_mov_b32_e32 v2, s10
	s_xor_b64 exec, exec, s[6:7]
	s_cbranch_execnz .LBB2_17220
; %bb.53057:
	s_getpc_b64 s[14:15]
.Lpost_getpc30112:
	s_add_u32 s14, s14, (.LBB2_2882-.Lpost_getpc30112)&4294967295
	s_addc_u32 s15, s15, (.LBB2_2882-.Lpost_getpc30112)>>32
	s_setpc_b64 s[14:15]
.LBB2_17220:
	v_mov_b32_e32 v2, 0
	v_cmp_ne_u16_sdwa s[8:9], v8, v2 src0_sel:BYTE_0 src1_sel:DWORD
	s_andn2_b64 s[4:5], s[4:5], exec
	s_and_b64 s[8:9], s[8:9], exec
	s_or_b64 s[4:5], s[4:5], s[8:9]
	s_or_b64 exec, exec, s[6:7]
	s_and_saveexec_b64 s[6:7], s[4:5]
	s_cbranch_execz .LBB2_30113
; %bb.53059:
	s_getpc_b64 s[14:15]
.Lpost_getpc30113:
	s_add_u32 s14, s14, (.LBB2_2883-.Lpost_getpc30113)&4294967295
	s_addc_u32 s15, s15, (.LBB2_2883-.Lpost_getpc30113)>>32
	s_setpc_b64 s[14:15]
.LBB2_30113:
	s_getpc_b64 s[14:15]
.Lpost_getpc18640:
	s_add_u32 s14, s14, (.LBB2_2884-.Lpost_getpc18640)&4294967295
	s_addc_u32 s15, s15, (.LBB2_2884-.Lpost_getpc18640)>>32
	s_setpc_b64 s[14:15]
.LBB2_17221:
	s_movk_i32 s4, 0x80
	v_cmp_eq_u16_sdwa s[12:13], v4, s4 src0_sel:BYTE_0 src1_sel:DWORD
	s_mov_b64 s[4:5], -1
                                        ; implicit-def: $sgpr10
	s_and_saveexec_b64 s[8:9], s[12:13]
; %bb.17222:
	s_mov_b32 s10, 0x7f800001
	s_xor_b64 s[4:5], exec, -1
; %bb.17223:
	s_or_b64 exec, exec, s[8:9]
	s_and_b64 s[4:5], s[4:5], exec
	s_or_saveexec_b64 s[6:7], s[6:7]
	v_mov_b32_e32 v3, s10
	s_xor_b64 exec, exec, s[6:7]
	s_cbranch_execnz .LBB2_17224
; %bb.53061:
	s_getpc_b64 s[14:15]
.Lpost_getpc30114:
	s_add_u32 s14, s14, (.LBB2_2886-.Lpost_getpc30114)&4294967295
	s_addc_u32 s15, s15, (.LBB2_2886-.Lpost_getpc30114)>>32
	s_setpc_b64 s[14:15]
.LBB2_17224:
	v_mov_b32_e32 v3, 0
	v_cmp_ne_u16_sdwa s[8:9], v4, v3 src0_sel:BYTE_0 src1_sel:DWORD
	s_andn2_b64 s[4:5], s[4:5], exec
	s_and_b64 s[8:9], s[8:9], exec
	s_or_b64 s[4:5], s[4:5], s[8:9]
	s_or_b64 exec, exec, s[6:7]
	s_and_saveexec_b64 s[6:7], s[4:5]
	s_cbranch_execz .LBB2_30115
; %bb.53063:
	s_getpc_b64 s[14:15]
.Lpost_getpc30115:
	s_add_u32 s14, s14, (.LBB2_2887-.Lpost_getpc30115)&4294967295
	s_addc_u32 s15, s15, (.LBB2_2887-.Lpost_getpc30115)>>32
	s_setpc_b64 s[14:15]
.LBB2_30115:
	s_getpc_b64 s[14:15]
.Lpost_getpc18641:
	s_add_u32 s14, s14, (.LBB2_2888-.Lpost_getpc18641)&4294967295
	s_addc_u32 s15, s15, (.LBB2_2888-.Lpost_getpc18641)>>32
	s_setpc_b64 s[14:15]
.LBB2_17225:
	s_movk_i32 s4, 0x80
	v_cmp_eq_u16_sdwa s[12:13], v3, s4 src0_sel:BYTE_0 src1_sel:DWORD
	s_mov_b64 s[4:5], -1
                                        ; implicit-def: $sgpr10
	s_and_saveexec_b64 s[8:9], s[12:13]
; %bb.17226:
	s_mov_b32 s10, 0x7f800001
	s_xor_b64 s[4:5], exec, -1
; %bb.17227:
	s_or_b64 exec, exec, s[8:9]
	s_and_b64 s[4:5], s[4:5], exec
	s_or_saveexec_b64 s[6:7], s[6:7]
	v_mov_b32_e32 v2, s10
	s_xor_b64 exec, exec, s[6:7]
	s_cbranch_execnz .LBB2_17228
; %bb.53065:
	s_getpc_b64 s[14:15]
.Lpost_getpc30116:
	s_add_u32 s14, s14, (.LBB2_2890-.Lpost_getpc30116)&4294967295
	s_addc_u32 s15, s15, (.LBB2_2890-.Lpost_getpc30116)>>32
	s_setpc_b64 s[14:15]
.LBB2_17228:
	v_mov_b32_e32 v2, 0
	v_cmp_ne_u16_sdwa s[8:9], v3, v2 src0_sel:BYTE_0 src1_sel:DWORD
	s_andn2_b64 s[4:5], s[4:5], exec
	s_and_b64 s[8:9], s[8:9], exec
	s_or_b64 s[4:5], s[4:5], s[8:9]
	s_or_b64 exec, exec, s[6:7]
	s_and_saveexec_b64 s[6:7], s[4:5]
	s_cbranch_execz .LBB2_30117
; %bb.53067:
	s_getpc_b64 s[14:15]
.Lpost_getpc30117:
	s_add_u32 s14, s14, (.LBB2_2891-.Lpost_getpc30117)&4294967295
	s_addc_u32 s15, s15, (.LBB2_2891-.Lpost_getpc30117)>>32
	s_setpc_b64 s[14:15]
.LBB2_30117:
	s_getpc_b64 s[14:15]
.Lpost_getpc18642:
	s_add_u32 s14, s14, (.LBB2_2892-.Lpost_getpc18642)&4294967295
	s_addc_u32 s15, s15, (.LBB2_2892-.Lpost_getpc18642)>>32
	s_setpc_b64 s[14:15]
.LBB2_17229:
	s_movk_i32 s4, 0x80
	v_cmp_eq_u16_sdwa s[12:13], v3, s4 src0_sel:BYTE_0 src1_sel:DWORD
	s_mov_b64 s[4:5], -1
                                        ; implicit-def: $sgpr10
	s_and_saveexec_b64 s[8:9], s[12:13]
; %bb.17230:
	s_mov_b32 s10, 0x7f800001
	s_xor_b64 s[4:5], exec, -1
; %bb.17231:
	s_or_b64 exec, exec, s[8:9]
	s_and_b64 s[4:5], s[4:5], exec
	s_or_saveexec_b64 s[6:7], s[6:7]
	v_mov_b32_e32 v6, s10
	s_xor_b64 exec, exec, s[6:7]
	s_cbranch_execnz .LBB2_17232
; %bb.53069:
	s_getpc_b64 s[14:15]
.Lpost_getpc30118:
	s_add_u32 s14, s14, (.LBB2_2894-.Lpost_getpc30118)&4294967295
	s_addc_u32 s15, s15, (.LBB2_2894-.Lpost_getpc30118)>>32
	s_setpc_b64 s[14:15]
.LBB2_17232:
	v_mov_b32_e32 v6, 0
	v_cmp_ne_u16_sdwa s[8:9], v3, v6 src0_sel:BYTE_0 src1_sel:DWORD
	s_andn2_b64 s[4:5], s[4:5], exec
	s_and_b64 s[8:9], s[8:9], exec
	s_or_b64 s[4:5], s[4:5], s[8:9]
	s_or_b64 exec, exec, s[6:7]
	s_and_saveexec_b64 s[6:7], s[4:5]
	s_cbranch_execz .LBB2_30119
; %bb.53071:
	s_getpc_b64 s[14:15]
.Lpost_getpc30119:
	s_add_u32 s14, s14, (.LBB2_2895-.Lpost_getpc30119)&4294967295
	s_addc_u32 s15, s15, (.LBB2_2895-.Lpost_getpc30119)>>32
	s_setpc_b64 s[14:15]
.LBB2_30119:
	s_getpc_b64 s[14:15]
.Lpost_getpc18643:
	s_add_u32 s14, s14, (.LBB2_2896-.Lpost_getpc18643)&4294967295
	s_addc_u32 s15, s15, (.LBB2_2896-.Lpost_getpc18643)>>32
	s_setpc_b64 s[14:15]
.LBB2_17233:
	s_movk_i32 s4, 0x80
	v_cmp_eq_u16_e32 vcc, s4, v3
	s_mov_b64 s[4:5], -1
                                        ; implicit-def: $sgpr10
	s_and_saveexec_b64 s[8:9], vcc
; %bb.17234:
	s_mov_b32 s10, 0x7f800001
	s_xor_b64 s[4:5], exec, -1
; %bb.17235:
	s_or_b64 exec, exec, s[8:9]
	s_and_b64 s[4:5], s[4:5], exec
                                        ; implicit-def: $vgpr3
	s_or_saveexec_b64 s[6:7], s[6:7]
	v_mov_b32_e32 v2, s10
	s_xor_b64 exec, exec, s[6:7]
	s_cbranch_execnz .LBB2_17236
; %bb.53073:
	s_getpc_b64 s[14:15]
.Lpost_getpc30120:
	s_add_u32 s14, s14, (.LBB2_2898-.Lpost_getpc30120)&4294967295
	s_addc_u32 s15, s15, (.LBB2_2898-.Lpost_getpc30120)>>32
	s_setpc_b64 s[14:15]
.LBB2_17236:
	v_cmp_ne_u16_e32 vcc, 0, v3
	s_andn2_b64 s[4:5], s[4:5], exec
	s_and_b64 s[8:9], vcc, exec
	v_mov_b32_e32 v2, 0
	s_or_b64 s[4:5], s[4:5], s[8:9]
	s_or_b64 exec, exec, s[6:7]
	s_and_saveexec_b64 s[6:7], s[4:5]
	s_cbranch_execz .LBB2_30121
; %bb.53075:
	s_getpc_b64 s[14:15]
.Lpost_getpc30121:
	s_add_u32 s14, s14, (.LBB2_2899-.Lpost_getpc30121)&4294967295
	s_addc_u32 s15, s15, (.LBB2_2899-.Lpost_getpc30121)>>32
	s_setpc_b64 s[14:15]
.LBB2_30121:
	s_getpc_b64 s[14:15]
.Lpost_getpc18644:
	s_add_u32 s14, s14, (.LBB2_2900-.Lpost_getpc18644)&4294967295
	s_addc_u32 s15, s15, (.LBB2_2900-.Lpost_getpc18644)>>32
	s_setpc_b64 s[14:15]
.LBB2_17237:
	s_movk_i32 s4, 0x80
	v_cmp_eq_u16_e32 vcc, s4, v3
	s_mov_b64 s[4:5], -1
                                        ; implicit-def: $sgpr10
	s_and_saveexec_b64 s[8:9], vcc
; %bb.17238:
	s_mov_b32 s10, 0x7f800001
	s_xor_b64 s[4:5], exec, -1
; %bb.17239:
	s_or_b64 exec, exec, s[8:9]
	s_and_b64 s[4:5], s[4:5], exec
                                        ; implicit-def: $vgpr3
	s_or_saveexec_b64 s[6:7], s[6:7]
	v_mov_b32_e32 v6, s10
	s_xor_b64 exec, exec, s[6:7]
	s_cbranch_execnz .LBB2_17240
; %bb.53077:
	s_getpc_b64 s[14:15]
.Lpost_getpc30122:
	s_add_u32 s14, s14, (.LBB2_2902-.Lpost_getpc30122)&4294967295
	s_addc_u32 s15, s15, (.LBB2_2902-.Lpost_getpc30122)>>32
	s_setpc_b64 s[14:15]
.LBB2_17240:
	v_cmp_ne_u16_e32 vcc, 0, v3
	s_andn2_b64 s[4:5], s[4:5], exec
	s_and_b64 s[8:9], vcc, exec
	v_mov_b32_e32 v6, 0
	s_or_b64 s[4:5], s[4:5], s[8:9]
	s_or_b64 exec, exec, s[6:7]
	s_and_saveexec_b64 s[6:7], s[4:5]
	s_cbranch_execz .LBB2_30123
; %bb.53079:
	s_getpc_b64 s[14:15]
.Lpost_getpc30123:
	s_add_u32 s14, s14, (.LBB2_2903-.Lpost_getpc30123)&4294967295
	s_addc_u32 s15, s15, (.LBB2_2903-.Lpost_getpc30123)>>32
	s_setpc_b64 s[14:15]
.LBB2_30123:
	s_getpc_b64 s[14:15]
.Lpost_getpc18645:
	s_add_u32 s14, s14, (.LBB2_2904-.Lpost_getpc18645)&4294967295
	s_addc_u32 s15, s15, (.LBB2_2904-.Lpost_getpc18645)>>32
	s_setpc_b64 s[14:15]
.LBB2_17241:
	s_movk_i32 s4, 0x80
	v_cmp_eq_u16_sdwa s[12:13], v8, s4 src0_sel:BYTE_3 src1_sel:DWORD
	s_mov_b64 s[4:5], -1
                                        ; implicit-def: $sgpr10
	s_and_saveexec_b64 s[8:9], s[12:13]
; %bb.17242:
	s_mov_b32 s10, 0x7f800001
	s_xor_b64 s[4:5], exec, -1
; %bb.17243:
	s_or_b64 exec, exec, s[8:9]
	s_and_b64 s[4:5], s[4:5], exec
	s_or_saveexec_b64 s[6:7], s[6:7]
	v_mov_b32_e32 v2, s10
	s_xor_b64 exec, exec, s[6:7]
	s_cbranch_execnz .LBB2_17244
; %bb.53081:
	s_getpc_b64 s[14:15]
.Lpost_getpc30124:
	s_add_u32 s14, s14, (.LBB2_2906-.Lpost_getpc30124)&4294967295
	s_addc_u32 s15, s15, (.LBB2_2906-.Lpost_getpc30124)>>32
	s_setpc_b64 s[14:15]
.LBB2_17244:
	v_mov_b32_e32 v2, 0
	v_cmp_ne_u16_sdwa s[8:9], v8, v2 src0_sel:BYTE_3 src1_sel:DWORD
	s_andn2_b64 s[4:5], s[4:5], exec
	s_and_b64 s[8:9], s[8:9], exec
	s_or_b64 s[4:5], s[4:5], s[8:9]
	s_or_b64 exec, exec, s[6:7]
	s_and_saveexec_b64 s[6:7], s[4:5]
	s_cbranch_execz .LBB2_30125
; %bb.53083:
	s_getpc_b64 s[14:15]
.Lpost_getpc30125:
	s_add_u32 s14, s14, (.LBB2_2907-.Lpost_getpc30125)&4294967295
	s_addc_u32 s15, s15, (.LBB2_2907-.Lpost_getpc30125)>>32
	s_setpc_b64 s[14:15]
.LBB2_30125:
	s_getpc_b64 s[14:15]
.Lpost_getpc18646:
	s_add_u32 s14, s14, (.LBB2_2908-.Lpost_getpc18646)&4294967295
	s_addc_u32 s15, s15, (.LBB2_2908-.Lpost_getpc18646)>>32
	s_setpc_b64 s[14:15]
.LBB2_17245:
	s_movk_i32 s4, 0x80
	v_cmp_eq_u16_sdwa s[12:13], v4, s4 src0_sel:BYTE_3 src1_sel:DWORD
	s_mov_b64 s[4:5], -1
                                        ; implicit-def: $sgpr10
	s_and_saveexec_b64 s[8:9], s[12:13]
; %bb.17246:
	s_mov_b32 s10, 0x7f800001
	s_xor_b64 s[4:5], exec, -1
; %bb.17247:
	s_or_b64 exec, exec, s[8:9]
	s_and_b64 s[4:5], s[4:5], exec
	s_or_saveexec_b64 s[6:7], s[6:7]
	v_mov_b32_e32 v3, s10
	s_xor_b64 exec, exec, s[6:7]
	s_cbranch_execnz .LBB2_17248
; %bb.53085:
	s_getpc_b64 s[14:15]
.Lpost_getpc30126:
	s_add_u32 s14, s14, (.LBB2_2910-.Lpost_getpc30126)&4294967295
	s_addc_u32 s15, s15, (.LBB2_2910-.Lpost_getpc30126)>>32
	s_setpc_b64 s[14:15]
.LBB2_17248:
	v_mov_b32_e32 v3, 0
	v_cmp_ne_u16_sdwa s[8:9], v4, v3 src0_sel:BYTE_3 src1_sel:DWORD
	s_andn2_b64 s[4:5], s[4:5], exec
	s_and_b64 s[8:9], s[8:9], exec
	s_or_b64 s[4:5], s[4:5], s[8:9]
	s_or_b64 exec, exec, s[6:7]
	s_and_saveexec_b64 s[6:7], s[4:5]
	s_cbranch_execz .LBB2_30127
; %bb.53087:
	s_getpc_b64 s[14:15]
.Lpost_getpc30127:
	s_add_u32 s14, s14, (.LBB2_2911-.Lpost_getpc30127)&4294967295
	s_addc_u32 s15, s15, (.LBB2_2911-.Lpost_getpc30127)>>32
	s_setpc_b64 s[14:15]
.LBB2_30127:
	s_getpc_b64 s[14:15]
.Lpost_getpc18647:
	s_add_u32 s14, s14, (.LBB2_2912-.Lpost_getpc18647)&4294967295
	s_addc_u32 s15, s15, (.LBB2_2912-.Lpost_getpc18647)>>32
	s_setpc_b64 s[14:15]
.LBB2_17249:
	s_movk_i32 s4, 0x80
	v_cmp_eq_u16_sdwa s[12:13], v9, s4 src0_sel:BYTE_0 src1_sel:DWORD
	s_mov_b64 s[4:5], -1
                                        ; implicit-def: $sgpr10
	s_and_saveexec_b64 s[8:9], s[12:13]
; %bb.17250:
	s_mov_b32 s10, 0x7f800001
	s_xor_b64 s[4:5], exec, -1
; %bb.17251:
	s_or_b64 exec, exec, s[8:9]
	s_and_b64 s[4:5], s[4:5], exec
	s_or_saveexec_b64 s[6:7], s[6:7]
	v_mov_b32_e32 v2, s10
	s_xor_b64 exec, exec, s[6:7]
	s_cbranch_execnz .LBB2_17252
; %bb.53089:
	s_getpc_b64 s[14:15]
.Lpost_getpc30128:
	s_add_u32 s14, s14, (.LBB2_2914-.Lpost_getpc30128)&4294967295
	s_addc_u32 s15, s15, (.LBB2_2914-.Lpost_getpc30128)>>32
	s_setpc_b64 s[14:15]
.LBB2_17252:
	v_mov_b32_e32 v2, 0
	v_cmp_ne_u16_sdwa s[8:9], v9, v2 src0_sel:BYTE_0 src1_sel:DWORD
	s_andn2_b64 s[4:5], s[4:5], exec
	s_and_b64 s[8:9], s[8:9], exec
	s_or_b64 s[4:5], s[4:5], s[8:9]
	s_or_b64 exec, exec, s[6:7]
	s_and_saveexec_b64 s[6:7], s[4:5]
	s_cbranch_execz .LBB2_30129
; %bb.53091:
	s_getpc_b64 s[14:15]
.Lpost_getpc30129:
	s_add_u32 s14, s14, (.LBB2_2915-.Lpost_getpc30129)&4294967295
	s_addc_u32 s15, s15, (.LBB2_2915-.Lpost_getpc30129)>>32
	s_setpc_b64 s[14:15]
.LBB2_30129:
	s_getpc_b64 s[14:15]
.Lpost_getpc18648:
	s_add_u32 s14, s14, (.LBB2_2916-.Lpost_getpc18648)&4294967295
	s_addc_u32 s15, s15, (.LBB2_2916-.Lpost_getpc18648)>>32
	s_setpc_b64 s[14:15]
.LBB2_17253:
	s_movk_i32 s4, 0x80
	v_cmp_eq_u16_sdwa s[12:13], v5, s4 src0_sel:BYTE_0 src1_sel:DWORD
	s_mov_b64 s[4:5], -1
                                        ; implicit-def: $sgpr10
	s_and_saveexec_b64 s[8:9], s[12:13]
; %bb.17254:
	s_mov_b32 s10, 0x7f800001
	s_xor_b64 s[4:5], exec, -1
; %bb.17255:
	s_or_b64 exec, exec, s[8:9]
	s_and_b64 s[4:5], s[4:5], exec
	s_or_saveexec_b64 s[6:7], s[6:7]
	v_mov_b32_e32 v3, s10
	s_xor_b64 exec, exec, s[6:7]
	s_cbranch_execnz .LBB2_17256
; %bb.53093:
	s_getpc_b64 s[14:15]
.Lpost_getpc30130:
	s_add_u32 s14, s14, (.LBB2_2918-.Lpost_getpc30130)&4294967295
	s_addc_u32 s15, s15, (.LBB2_2918-.Lpost_getpc30130)>>32
	s_setpc_b64 s[14:15]
.LBB2_17256:
	v_mov_b32_e32 v3, 0
	v_cmp_ne_u16_sdwa s[8:9], v5, v3 src0_sel:BYTE_0 src1_sel:DWORD
	s_andn2_b64 s[4:5], s[4:5], exec
	s_and_b64 s[8:9], s[8:9], exec
	s_or_b64 s[4:5], s[4:5], s[8:9]
	s_or_b64 exec, exec, s[6:7]
	s_and_saveexec_b64 s[6:7], s[4:5]
	s_cbranch_execz .LBB2_30131
; %bb.53095:
	s_getpc_b64 s[14:15]
.Lpost_getpc30131:
	s_add_u32 s14, s14, (.LBB2_2919-.Lpost_getpc30131)&4294967295
	s_addc_u32 s15, s15, (.LBB2_2919-.Lpost_getpc30131)>>32
	s_setpc_b64 s[14:15]
.LBB2_30131:
	s_getpc_b64 s[14:15]
.Lpost_getpc18649:
	s_add_u32 s14, s14, (.LBB2_2920-.Lpost_getpc18649)&4294967295
	s_addc_u32 s15, s15, (.LBB2_2920-.Lpost_getpc18649)>>32
	s_setpc_b64 s[14:15]
.LBB2_17257:
	s_movk_i32 s4, 0x80
	v_cmp_eq_u16_sdwa s[12:13], v3, s4 src0_sel:BYTE_0 src1_sel:DWORD
	s_mov_b64 s[4:5], -1
                                        ; implicit-def: $sgpr10
	s_and_saveexec_b64 s[8:9], s[12:13]
; %bb.17258:
	s_mov_b32 s10, 0x7f800001
	s_xor_b64 s[4:5], exec, -1
; %bb.17259:
	s_or_b64 exec, exec, s[8:9]
	s_and_b64 s[4:5], s[4:5], exec
	s_or_saveexec_b64 s[6:7], s[6:7]
	v_mov_b32_e32 v2, s10
	s_xor_b64 exec, exec, s[6:7]
	s_cbranch_execnz .LBB2_17260
; %bb.53097:
	s_getpc_b64 s[14:15]
.Lpost_getpc30132:
	s_add_u32 s14, s14, (.LBB2_2922-.Lpost_getpc30132)&4294967295
	s_addc_u32 s15, s15, (.LBB2_2922-.Lpost_getpc30132)>>32
	s_setpc_b64 s[14:15]
.LBB2_17260:
	v_mov_b32_e32 v2, 0
	v_cmp_ne_u16_sdwa s[8:9], v3, v2 src0_sel:BYTE_0 src1_sel:DWORD
	s_andn2_b64 s[4:5], s[4:5], exec
	s_and_b64 s[8:9], s[8:9], exec
	s_or_b64 s[4:5], s[4:5], s[8:9]
	s_or_b64 exec, exec, s[6:7]
	s_and_saveexec_b64 s[6:7], s[4:5]
	s_cbranch_execz .LBB2_30133
; %bb.53099:
	s_getpc_b64 s[14:15]
.Lpost_getpc30133:
	s_add_u32 s14, s14, (.LBB2_2923-.Lpost_getpc30133)&4294967295
	s_addc_u32 s15, s15, (.LBB2_2923-.Lpost_getpc30133)>>32
	s_setpc_b64 s[14:15]
.LBB2_30133:
	s_getpc_b64 s[14:15]
.Lpost_getpc18650:
	s_add_u32 s14, s14, (.LBB2_2924-.Lpost_getpc18650)&4294967295
	s_addc_u32 s15, s15, (.LBB2_2924-.Lpost_getpc18650)>>32
	s_setpc_b64 s[14:15]
.LBB2_17261:
	s_movk_i32 s4, 0x80
	v_cmp_eq_u16_sdwa s[12:13], v3, s4 src0_sel:BYTE_0 src1_sel:DWORD
	s_mov_b64 s[4:5], -1
                                        ; implicit-def: $sgpr10
	s_and_saveexec_b64 s[8:9], s[12:13]
; %bb.17262:
	s_mov_b32 s10, 0x7f800001
	s_xor_b64 s[4:5], exec, -1
; %bb.17263:
	s_or_b64 exec, exec, s[8:9]
	s_and_b64 s[4:5], s[4:5], exec
	s_or_saveexec_b64 s[6:7], s[6:7]
	v_mov_b32_e32 v4, s10
	s_xor_b64 exec, exec, s[6:7]
	s_cbranch_execnz .LBB2_17264
; %bb.53101:
	s_getpc_b64 s[14:15]
.Lpost_getpc30134:
	s_add_u32 s14, s14, (.LBB2_2926-.Lpost_getpc30134)&4294967295
	s_addc_u32 s15, s15, (.LBB2_2926-.Lpost_getpc30134)>>32
	s_setpc_b64 s[14:15]
.LBB2_17264:
	v_mov_b32_e32 v4, 0
	v_cmp_ne_u16_sdwa s[8:9], v3, v4 src0_sel:BYTE_0 src1_sel:DWORD
	s_andn2_b64 s[4:5], s[4:5], exec
	s_and_b64 s[8:9], s[8:9], exec
	s_or_b64 s[4:5], s[4:5], s[8:9]
	s_or_b64 exec, exec, s[6:7]
	s_and_saveexec_b64 s[6:7], s[4:5]
	s_cbranch_execz .LBB2_30135
; %bb.53103:
	s_getpc_b64 s[14:15]
.Lpost_getpc30135:
	s_add_u32 s14, s14, (.LBB2_2927-.Lpost_getpc30135)&4294967295
	s_addc_u32 s15, s15, (.LBB2_2927-.Lpost_getpc30135)>>32
	s_setpc_b64 s[14:15]
.LBB2_30135:
	s_getpc_b64 s[14:15]
.Lpost_getpc18651:
	s_add_u32 s14, s14, (.LBB2_2928-.Lpost_getpc18651)&4294967295
	s_addc_u32 s15, s15, (.LBB2_2928-.Lpost_getpc18651)>>32
	s_setpc_b64 s[14:15]
.LBB2_17265:
	s_movk_i32 s4, 0x80
	v_cmp_eq_u16_e32 vcc, s4, v3
	s_mov_b64 s[4:5], -1
                                        ; implicit-def: $sgpr10
	s_and_saveexec_b64 s[8:9], vcc
; %bb.17266:
	s_mov_b32 s10, 0x7f800001
	s_xor_b64 s[4:5], exec, -1
; %bb.17267:
	s_or_b64 exec, exec, s[8:9]
	s_and_b64 s[4:5], s[4:5], exec
                                        ; implicit-def: $vgpr3
	s_or_saveexec_b64 s[6:7], s[6:7]
	v_mov_b32_e32 v2, s10
	s_xor_b64 exec, exec, s[6:7]
	s_cbranch_execnz .LBB2_17268
; %bb.53105:
	s_getpc_b64 s[14:15]
.Lpost_getpc30136:
	s_add_u32 s14, s14, (.LBB2_2930-.Lpost_getpc30136)&4294967295
	s_addc_u32 s15, s15, (.LBB2_2930-.Lpost_getpc30136)>>32
	s_setpc_b64 s[14:15]
.LBB2_17268:
	v_cmp_ne_u16_e32 vcc, 0, v3
	s_andn2_b64 s[4:5], s[4:5], exec
	s_and_b64 s[8:9], vcc, exec
	v_mov_b32_e32 v2, 0
	s_or_b64 s[4:5], s[4:5], s[8:9]
	s_or_b64 exec, exec, s[6:7]
	s_and_saveexec_b64 s[6:7], s[4:5]
	s_cbranch_execz .LBB2_30137
; %bb.53107:
	s_getpc_b64 s[14:15]
.Lpost_getpc30137:
	s_add_u32 s14, s14, (.LBB2_2931-.Lpost_getpc30137)&4294967295
	s_addc_u32 s15, s15, (.LBB2_2931-.Lpost_getpc30137)>>32
	s_setpc_b64 s[14:15]
.LBB2_30137:
	s_getpc_b64 s[14:15]
.Lpost_getpc18652:
	s_add_u32 s14, s14, (.LBB2_2932-.Lpost_getpc18652)&4294967295
	s_addc_u32 s15, s15, (.LBB2_2932-.Lpost_getpc18652)>>32
	s_setpc_b64 s[14:15]
.LBB2_17269:
	s_movk_i32 s4, 0x80
	v_cmp_eq_u16_e32 vcc, s4, v3
	s_mov_b64 s[4:5], -1
                                        ; implicit-def: $sgpr10
	s_and_saveexec_b64 s[8:9], vcc
; %bb.17270:
	s_mov_b32 s10, 0x7f800001
	s_xor_b64 s[4:5], exec, -1
; %bb.17271:
	s_or_b64 exec, exec, s[8:9]
	s_and_b64 s[4:5], s[4:5], exec
                                        ; implicit-def: $vgpr3
	s_or_saveexec_b64 s[6:7], s[6:7]
	v_mov_b32_e32 v4, s10
	s_xor_b64 exec, exec, s[6:7]
	s_cbranch_execnz .LBB2_17272
; %bb.53109:
	s_getpc_b64 s[14:15]
.Lpost_getpc30138:
	s_add_u32 s14, s14, (.LBB2_2934-.Lpost_getpc30138)&4294967295
	s_addc_u32 s15, s15, (.LBB2_2934-.Lpost_getpc30138)>>32
	s_setpc_b64 s[14:15]
.LBB2_17272:
	v_cmp_ne_u16_e32 vcc, 0, v3
	s_andn2_b64 s[4:5], s[4:5], exec
	s_and_b64 s[8:9], vcc, exec
	v_mov_b32_e32 v4, 0
	s_or_b64 s[4:5], s[4:5], s[8:9]
	s_or_b64 exec, exec, s[6:7]
	s_and_saveexec_b64 s[6:7], s[4:5]
	s_cbranch_execz .LBB2_30139
; %bb.53111:
	s_getpc_b64 s[14:15]
.Lpost_getpc30139:
	s_add_u32 s14, s14, (.LBB2_2935-.Lpost_getpc30139)&4294967295
	s_addc_u32 s15, s15, (.LBB2_2935-.Lpost_getpc30139)>>32
	s_setpc_b64 s[14:15]
.LBB2_30139:
	s_getpc_b64 s[14:15]
.Lpost_getpc18653:
	s_add_u32 s14, s14, (.LBB2_2936-.Lpost_getpc18653)&4294967295
	s_addc_u32 s15, s15, (.LBB2_2936-.Lpost_getpc18653)>>32
	s_setpc_b64 s[14:15]
.LBB2_17273:
	s_movk_i32 s4, 0x80
	v_cmp_eq_u16_sdwa s[12:13], v9, s4 src0_sel:BYTE_3 src1_sel:DWORD
	s_mov_b64 s[4:5], -1
                                        ; implicit-def: $sgpr10
	s_and_saveexec_b64 s[8:9], s[12:13]
; %bb.17274:
	s_mov_b32 s10, 0x7f800001
	s_xor_b64 s[4:5], exec, -1
; %bb.17275:
	s_or_b64 exec, exec, s[8:9]
	s_and_b64 s[4:5], s[4:5], exec
	s_or_saveexec_b64 s[6:7], s[6:7]
	v_mov_b32_e32 v2, s10
	s_xor_b64 exec, exec, s[6:7]
	s_cbranch_execnz .LBB2_17276
; %bb.53113:
	s_getpc_b64 s[14:15]
.Lpost_getpc30140:
	s_add_u32 s14, s14, (.LBB2_2938-.Lpost_getpc30140)&4294967295
	s_addc_u32 s15, s15, (.LBB2_2938-.Lpost_getpc30140)>>32
	s_setpc_b64 s[14:15]
.LBB2_17276:
	v_mov_b32_e32 v2, 0
	v_cmp_ne_u16_sdwa s[8:9], v9, v2 src0_sel:BYTE_3 src1_sel:DWORD
	s_andn2_b64 s[4:5], s[4:5], exec
	s_and_b64 s[8:9], s[8:9], exec
	s_or_b64 s[4:5], s[4:5], s[8:9]
	s_or_b64 exec, exec, s[6:7]
	s_and_saveexec_b64 s[6:7], s[4:5]
	s_cbranch_execz .LBB2_30141
; %bb.53115:
	s_getpc_b64 s[14:15]
.Lpost_getpc30141:
	s_add_u32 s14, s14, (.LBB2_2939-.Lpost_getpc30141)&4294967295
	s_addc_u32 s15, s15, (.LBB2_2939-.Lpost_getpc30141)>>32
	s_setpc_b64 s[14:15]
.LBB2_30141:
	s_getpc_b64 s[14:15]
.Lpost_getpc18654:
	s_add_u32 s14, s14, (.LBB2_2940-.Lpost_getpc18654)&4294967295
	s_addc_u32 s15, s15, (.LBB2_2940-.Lpost_getpc18654)>>32
	s_setpc_b64 s[14:15]
.LBB2_17277:
	s_movk_i32 s4, 0x80
	v_cmp_eq_u16_sdwa s[12:13], v5, s4 src0_sel:BYTE_3 src1_sel:DWORD
	s_mov_b64 s[4:5], -1
                                        ; implicit-def: $sgpr10
	s_and_saveexec_b64 s[8:9], s[12:13]
; %bb.17278:
	s_mov_b32 s10, 0x7f800001
	s_xor_b64 s[4:5], exec, -1
; %bb.17279:
	s_or_b64 exec, exec, s[8:9]
	s_and_b64 s[4:5], s[4:5], exec
	s_or_saveexec_b64 s[6:7], s[6:7]
	v_mov_b32_e32 v3, s10
	s_xor_b64 exec, exec, s[6:7]
	s_cbranch_execnz .LBB2_17280
; %bb.53117:
	s_getpc_b64 s[14:15]
.Lpost_getpc30142:
	s_add_u32 s14, s14, (.LBB2_2942-.Lpost_getpc30142)&4294967295
	s_addc_u32 s15, s15, (.LBB2_2942-.Lpost_getpc30142)>>32
	s_setpc_b64 s[14:15]
.LBB2_17280:
	v_mov_b32_e32 v3, 0
	v_cmp_ne_u16_sdwa s[8:9], v5, v3 src0_sel:BYTE_3 src1_sel:DWORD
	s_andn2_b64 s[4:5], s[4:5], exec
	s_and_b64 s[8:9], s[8:9], exec
	s_or_b64 s[4:5], s[4:5], s[8:9]
	s_or_b64 exec, exec, s[6:7]
	s_and_saveexec_b64 s[6:7], s[4:5]
	s_cbranch_execz .LBB2_30143
; %bb.53119:
	s_getpc_b64 s[14:15]
.Lpost_getpc30143:
	s_add_u32 s14, s14, (.LBB2_2943-.Lpost_getpc30143)&4294967295
	s_addc_u32 s15, s15, (.LBB2_2943-.Lpost_getpc30143)>>32
	s_setpc_b64 s[14:15]
.LBB2_30143:
	s_getpc_b64 s[14:15]
.Lpost_getpc18655:
	s_add_u32 s14, s14, (.LBB2_2944-.Lpost_getpc18655)&4294967295
	s_addc_u32 s15, s15, (.LBB2_2944-.Lpost_getpc18655)>>32
	s_setpc_b64 s[14:15]
.LBB2_17281:
	s_movk_i32 s4, 0x80
	v_cmp_eq_u16_sdwa s[12:13], v6, s4 src0_sel:BYTE_0 src1_sel:DWORD
	s_mov_b64 s[4:5], -1
                                        ; implicit-def: $sgpr10
	s_and_saveexec_b64 s[8:9], s[12:13]
; %bb.17282:
	s_mov_b32 s10, 0x7f800001
	s_xor_b64 s[4:5], exec, -1
; %bb.17283:
	s_or_b64 exec, exec, s[8:9]
	s_and_b64 s[4:5], s[4:5], exec
	s_or_saveexec_b64 s[6:7], s[6:7]
	v_mov_b32_e32 v12, s10
	s_xor_b64 exec, exec, s[6:7]
	s_cbranch_execnz .LBB2_17284
; %bb.53121:
	s_getpc_b64 s[14:15]
.Lpost_getpc30144:
	s_add_u32 s14, s14, (.LBB2_2946-.Lpost_getpc30144)&4294967295
	s_addc_u32 s15, s15, (.LBB2_2946-.Lpost_getpc30144)>>32
	s_setpc_b64 s[14:15]
.LBB2_17284:
	v_mov_b32_e32 v12, 0
	v_cmp_ne_u16_sdwa s[8:9], v6, v12 src0_sel:BYTE_0 src1_sel:DWORD
	s_andn2_b64 s[4:5], s[4:5], exec
	s_and_b64 s[8:9], s[8:9], exec
	s_or_b64 s[4:5], s[4:5], s[8:9]
	s_or_b64 exec, exec, s[6:7]
	s_and_saveexec_b64 s[6:7], s[4:5]
	s_cbranch_execz .LBB2_30145
; %bb.53123:
	s_getpc_b64 s[14:15]
.Lpost_getpc30145:
	s_add_u32 s14, s14, (.LBB2_2947-.Lpost_getpc30145)&4294967295
	s_addc_u32 s15, s15, (.LBB2_2947-.Lpost_getpc30145)>>32
	s_setpc_b64 s[14:15]
.LBB2_30145:
	s_getpc_b64 s[14:15]
.Lpost_getpc18656:
	s_add_u32 s14, s14, (.LBB2_2948-.Lpost_getpc18656)&4294967295
	s_addc_u32 s15, s15, (.LBB2_2948-.Lpost_getpc18656)>>32
	s_setpc_b64 s[14:15]
.LBB2_17285:
	s_movk_i32 s4, 0x80
	v_cmp_eq_u16_sdwa s[12:13], v2, s4 src0_sel:BYTE_0 src1_sel:DWORD
	s_mov_b64 s[4:5], -1
                                        ; implicit-def: $sgpr10
	s_and_saveexec_b64 s[8:9], s[12:13]
; %bb.17286:
	s_mov_b32 s10, 0x7f800001
	s_xor_b64 s[4:5], exec, -1
; %bb.17287:
	s_or_b64 exec, exec, s[8:9]
	s_and_b64 s[4:5], s[4:5], exec
	s_or_saveexec_b64 s[6:7], s[6:7]
	v_mov_b32_e32 v13, s10
	s_xor_b64 exec, exec, s[6:7]
	s_cbranch_execnz .LBB2_17288
; %bb.53125:
	s_getpc_b64 s[14:15]
.Lpost_getpc30146:
	s_add_u32 s14, s14, (.LBB2_2950-.Lpost_getpc30146)&4294967295
	s_addc_u32 s15, s15, (.LBB2_2950-.Lpost_getpc30146)>>32
	s_setpc_b64 s[14:15]
.LBB2_17288:
	v_mov_b32_e32 v13, 0
	v_cmp_ne_u16_sdwa s[8:9], v2, v13 src0_sel:BYTE_0 src1_sel:DWORD
	s_andn2_b64 s[4:5], s[4:5], exec
	s_and_b64 s[8:9], s[8:9], exec
	s_or_b64 s[4:5], s[4:5], s[8:9]
	s_or_b64 exec, exec, s[6:7]
	s_and_saveexec_b64 s[6:7], s[4:5]
	s_cbranch_execz .LBB2_30147
; %bb.53127:
	s_getpc_b64 s[14:15]
.Lpost_getpc30147:
	s_add_u32 s14, s14, (.LBB2_2951-.Lpost_getpc30147)&4294967295
	s_addc_u32 s15, s15, (.LBB2_2951-.Lpost_getpc30147)>>32
	s_setpc_b64 s[14:15]
.LBB2_30147:
	s_getpc_b64 s[14:15]
.Lpost_getpc18657:
	s_add_u32 s14, s14, (.LBB2_2952-.Lpost_getpc18657)&4294967295
	s_addc_u32 s15, s15, (.LBB2_2952-.Lpost_getpc18657)>>32
	s_setpc_b64 s[14:15]
.LBB2_17289:
	s_movk_i32 s4, 0x80
	v_cmp_eq_u16_sdwa s[12:13], v13, s4 src0_sel:BYTE_0 src1_sel:DWORD
	s_mov_b64 s[4:5], -1
                                        ; implicit-def: $sgpr10
	s_and_saveexec_b64 s[8:9], s[12:13]
; %bb.17290:
	s_mov_b32 s10, 0x7f800001
	s_xor_b64 s[4:5], exec, -1
; %bb.17291:
	s_or_b64 exec, exec, s[8:9]
	s_and_b64 s[4:5], s[4:5], exec
	s_or_saveexec_b64 s[6:7], s[6:7]
	v_mov_b32_e32 v12, s10
	s_xor_b64 exec, exec, s[6:7]
	s_cbranch_execnz .LBB2_17292
; %bb.53129:
	s_getpc_b64 s[14:15]
.Lpost_getpc30148:
	s_add_u32 s14, s14, (.LBB2_2954-.Lpost_getpc30148)&4294967295
	s_addc_u32 s15, s15, (.LBB2_2954-.Lpost_getpc30148)>>32
	s_setpc_b64 s[14:15]
.LBB2_17292:
	v_mov_b32_e32 v12, 0
	v_cmp_ne_u16_sdwa s[8:9], v13, v12 src0_sel:BYTE_0 src1_sel:DWORD
	s_andn2_b64 s[4:5], s[4:5], exec
	s_and_b64 s[8:9], s[8:9], exec
	s_or_b64 s[4:5], s[4:5], s[8:9]
	s_or_b64 exec, exec, s[6:7]
	s_and_saveexec_b64 s[6:7], s[4:5]
	s_cbranch_execz .LBB2_30149
; %bb.53131:
	s_getpc_b64 s[14:15]
.Lpost_getpc30149:
	s_add_u32 s14, s14, (.LBB2_2955-.Lpost_getpc30149)&4294967295
	s_addc_u32 s15, s15, (.LBB2_2955-.Lpost_getpc30149)>>32
	s_setpc_b64 s[14:15]
.LBB2_30149:
	s_getpc_b64 s[14:15]
.Lpost_getpc18658:
	s_add_u32 s14, s14, (.LBB2_2956-.Lpost_getpc18658)&4294967295
	s_addc_u32 s15, s15, (.LBB2_2956-.Lpost_getpc18658)>>32
	s_setpc_b64 s[14:15]
.LBB2_17293:
	s_movk_i32 s4, 0x80
	v_cmp_eq_u16_sdwa s[12:13], v13, s4 src0_sel:BYTE_0 src1_sel:DWORD
	s_mov_b64 s[4:5], -1
                                        ; implicit-def: $sgpr10
	s_and_saveexec_b64 s[8:9], s[12:13]
; %bb.17294:
	s_mov_b32 s10, 0x7f800001
	s_xor_b64 s[4:5], exec, -1
; %bb.17295:
	s_or_b64 exec, exec, s[8:9]
	s_and_b64 s[4:5], s[4:5], exec
	s_or_saveexec_b64 s[6:7], s[6:7]
	v_mov_b32_e32 v14, s10
	s_xor_b64 exec, exec, s[6:7]
	s_cbranch_execnz .LBB2_17296
; %bb.53133:
	s_getpc_b64 s[14:15]
.Lpost_getpc30150:
	s_add_u32 s14, s14, (.LBB2_2958-.Lpost_getpc30150)&4294967295
	s_addc_u32 s15, s15, (.LBB2_2958-.Lpost_getpc30150)>>32
	s_setpc_b64 s[14:15]
.LBB2_17296:
	v_mov_b32_e32 v14, 0
	v_cmp_ne_u16_sdwa s[8:9], v13, v14 src0_sel:BYTE_0 src1_sel:DWORD
	s_andn2_b64 s[4:5], s[4:5], exec
	s_and_b64 s[8:9], s[8:9], exec
	s_or_b64 s[4:5], s[4:5], s[8:9]
	s_or_b64 exec, exec, s[6:7]
	s_and_saveexec_b64 s[6:7], s[4:5]
	s_cbranch_execz .LBB2_30151
; %bb.53135:
	s_getpc_b64 s[14:15]
.Lpost_getpc30151:
	s_add_u32 s14, s14, (.LBB2_2959-.Lpost_getpc30151)&4294967295
	s_addc_u32 s15, s15, (.LBB2_2959-.Lpost_getpc30151)>>32
	s_setpc_b64 s[14:15]
.LBB2_30151:
	s_getpc_b64 s[14:15]
.Lpost_getpc18659:
	s_add_u32 s14, s14, (.LBB2_2960-.Lpost_getpc18659)&4294967295
	s_addc_u32 s15, s15, (.LBB2_2960-.Lpost_getpc18659)>>32
	s_setpc_b64 s[14:15]
.LBB2_17297:
	s_movk_i32 s4, 0x80
	v_cmp_eq_u16_e32 vcc, s4, v13
	s_mov_b64 s[4:5], -1
                                        ; implicit-def: $sgpr10
	s_and_saveexec_b64 s[8:9], vcc
; %bb.17298:
	s_mov_b32 s10, 0x7f800001
	s_xor_b64 s[4:5], exec, -1
; %bb.17299:
	s_or_b64 exec, exec, s[8:9]
	s_and_b64 s[4:5], s[4:5], exec
                                        ; implicit-def: $vgpr13
	s_or_saveexec_b64 s[6:7], s[6:7]
	v_mov_b32_e32 v12, s10
	s_xor_b64 exec, exec, s[6:7]
	s_cbranch_execnz .LBB2_17300
; %bb.53137:
	s_getpc_b64 s[14:15]
.Lpost_getpc30152:
	s_add_u32 s14, s14, (.LBB2_2962-.Lpost_getpc30152)&4294967295
	s_addc_u32 s15, s15, (.LBB2_2962-.Lpost_getpc30152)>>32
	s_setpc_b64 s[14:15]
.LBB2_17300:
	v_cmp_ne_u16_e32 vcc, 0, v13
	s_andn2_b64 s[4:5], s[4:5], exec
	s_and_b64 s[8:9], vcc, exec
	v_mov_b32_e32 v12, 0
	s_or_b64 s[4:5], s[4:5], s[8:9]
	s_or_b64 exec, exec, s[6:7]
	s_and_saveexec_b64 s[6:7], s[4:5]
	s_cbranch_execz .LBB2_30153
; %bb.53139:
	s_getpc_b64 s[14:15]
.Lpost_getpc30153:
	s_add_u32 s14, s14, (.LBB2_2963-.Lpost_getpc30153)&4294967295
	s_addc_u32 s15, s15, (.LBB2_2963-.Lpost_getpc30153)>>32
	s_setpc_b64 s[14:15]
.LBB2_30153:
	s_getpc_b64 s[14:15]
.Lpost_getpc18660:
	s_add_u32 s14, s14, (.LBB2_2964-.Lpost_getpc18660)&4294967295
	s_addc_u32 s15, s15, (.LBB2_2964-.Lpost_getpc18660)>>32
	s_setpc_b64 s[14:15]
.LBB2_17301:
	s_movk_i32 s4, 0x80
	v_cmp_eq_u16_e32 vcc, s4, v13
	s_mov_b64 s[4:5], -1
                                        ; implicit-def: $sgpr10
	s_and_saveexec_b64 s[8:9], vcc
; %bb.17302:
	s_mov_b32 s10, 0x7f800001
	s_xor_b64 s[4:5], exec, -1
; %bb.17303:
	s_or_b64 exec, exec, s[8:9]
	s_and_b64 s[4:5], s[4:5], exec
                                        ; implicit-def: $vgpr13
	s_or_saveexec_b64 s[6:7], s[6:7]
	v_mov_b32_e32 v14, s10
	s_xor_b64 exec, exec, s[6:7]
	s_cbranch_execnz .LBB2_17304
; %bb.53141:
	s_getpc_b64 s[14:15]
.Lpost_getpc30154:
	s_add_u32 s14, s14, (.LBB2_2966-.Lpost_getpc30154)&4294967295
	s_addc_u32 s15, s15, (.LBB2_2966-.Lpost_getpc30154)>>32
	s_setpc_b64 s[14:15]
.LBB2_17304:
	v_cmp_ne_u16_e32 vcc, 0, v13
	s_andn2_b64 s[4:5], s[4:5], exec
	s_and_b64 s[8:9], vcc, exec
	v_mov_b32_e32 v14, 0
	s_or_b64 s[4:5], s[4:5], s[8:9]
	s_or_b64 exec, exec, s[6:7]
	s_and_saveexec_b64 s[6:7], s[4:5]
	s_cbranch_execz .LBB2_30155
; %bb.53143:
	s_getpc_b64 s[14:15]
.Lpost_getpc30155:
	s_add_u32 s14, s14, (.LBB2_2967-.Lpost_getpc30155)&4294967295
	s_addc_u32 s15, s15, (.LBB2_2967-.Lpost_getpc30155)>>32
	s_setpc_b64 s[14:15]
.LBB2_30155:
	s_getpc_b64 s[14:15]
.Lpost_getpc18661:
	s_add_u32 s14, s14, (.LBB2_2968-.Lpost_getpc18661)&4294967295
	s_addc_u32 s15, s15, (.LBB2_2968-.Lpost_getpc18661)>>32
	s_setpc_b64 s[14:15]
.LBB2_17305:
	s_movk_i32 s4, 0x80
	v_cmp_eq_u16_sdwa s[12:13], v6, s4 src0_sel:BYTE_3 src1_sel:DWORD
	s_mov_b64 s[4:5], -1
                                        ; implicit-def: $sgpr10
	s_and_saveexec_b64 s[8:9], s[12:13]
; %bb.17306:
	s_mov_b32 s10, 0x7f800001
	s_xor_b64 s[4:5], exec, -1
; %bb.17307:
	s_or_b64 exec, exec, s[8:9]
	s_and_b64 s[4:5], s[4:5], exec
	s_or_saveexec_b64 s[6:7], s[6:7]
	v_mov_b32_e32 v12, s10
	s_xor_b64 exec, exec, s[6:7]
	s_cbranch_execnz .LBB2_17308
; %bb.53145:
	s_getpc_b64 s[14:15]
.Lpost_getpc30156:
	s_add_u32 s14, s14, (.LBB2_2970-.Lpost_getpc30156)&4294967295
	s_addc_u32 s15, s15, (.LBB2_2970-.Lpost_getpc30156)>>32
	s_setpc_b64 s[14:15]
.LBB2_17308:
	v_mov_b32_e32 v12, 0
	v_cmp_ne_u16_sdwa s[8:9], v6, v12 src0_sel:BYTE_3 src1_sel:DWORD
	s_andn2_b64 s[4:5], s[4:5], exec
	s_and_b64 s[8:9], s[8:9], exec
	s_or_b64 s[4:5], s[4:5], s[8:9]
	s_or_b64 exec, exec, s[6:7]
	s_and_saveexec_b64 s[6:7], s[4:5]
	s_cbranch_execz .LBB2_30157
; %bb.53147:
	s_getpc_b64 s[14:15]
.Lpost_getpc30157:
	s_add_u32 s14, s14, (.LBB2_2971-.Lpost_getpc30157)&4294967295
	s_addc_u32 s15, s15, (.LBB2_2971-.Lpost_getpc30157)>>32
	s_setpc_b64 s[14:15]
.LBB2_30157:
	s_getpc_b64 s[14:15]
.Lpost_getpc18662:
	s_add_u32 s14, s14, (.LBB2_2972-.Lpost_getpc18662)&4294967295
	s_addc_u32 s15, s15, (.LBB2_2972-.Lpost_getpc18662)>>32
	s_setpc_b64 s[14:15]
.LBB2_17309:
	s_movk_i32 s4, 0x80
	v_cmp_eq_u16_sdwa s[12:13], v2, s4 src0_sel:BYTE_3 src1_sel:DWORD
	s_mov_b64 s[4:5], -1
                                        ; implicit-def: $sgpr10
	s_and_saveexec_b64 s[8:9], s[12:13]
; %bb.17310:
	s_mov_b32 s10, 0x7f800001
	s_xor_b64 s[4:5], exec, -1
; %bb.17311:
	s_or_b64 exec, exec, s[8:9]
	s_and_b64 s[4:5], s[4:5], exec
	s_or_saveexec_b64 s[6:7], s[6:7]
	v_mov_b32_e32 v6, s10
	s_xor_b64 exec, exec, s[6:7]
	s_cbranch_execnz .LBB2_17312
; %bb.53149:
	s_getpc_b64 s[14:15]
.Lpost_getpc30158:
	s_add_u32 s14, s14, (.LBB2_2974-.Lpost_getpc30158)&4294967295
	s_addc_u32 s15, s15, (.LBB2_2974-.Lpost_getpc30158)>>32
	s_setpc_b64 s[14:15]
.LBB2_17312:
	v_mov_b32_e32 v6, 0
	v_cmp_ne_u16_sdwa s[8:9], v2, v6 src0_sel:BYTE_3 src1_sel:DWORD
	s_andn2_b64 s[4:5], s[4:5], exec
	s_and_b64 s[8:9], s[8:9], exec
	s_or_b64 s[4:5], s[4:5], s[8:9]
	s_or_b64 exec, exec, s[6:7]
	s_and_saveexec_b64 s[6:7], s[4:5]
	s_cbranch_execz .LBB2_30159
; %bb.53151:
	s_getpc_b64 s[14:15]
.Lpost_getpc30159:
	s_add_u32 s14, s14, (.LBB2_2975-.Lpost_getpc30159)&4294967295
	s_addc_u32 s15, s15, (.LBB2_2975-.Lpost_getpc30159)>>32
	s_setpc_b64 s[14:15]
.LBB2_30159:
	s_getpc_b64 s[14:15]
.Lpost_getpc18663:
	s_add_u32 s14, s14, (.LBB2_2976-.Lpost_getpc18663)&4294967295
	s_addc_u32 s15, s15, (.LBB2_2976-.Lpost_getpc18663)>>32
	s_setpc_b64 s[14:15]
.LBB2_17313:
	s_movk_i32 s4, 0x80
	v_cmp_eq_u16_sdwa s[12:13], v7, s4 src0_sel:BYTE_0 src1_sel:DWORD
	s_mov_b64 s[4:5], -1
                                        ; implicit-def: $sgpr10
	s_and_saveexec_b64 s[8:9], s[12:13]
; %bb.17314:
	s_mov_b32 s10, 0x7f800001
	s_xor_b64 s[4:5], exec, -1
; %bb.17315:
	s_or_b64 exec, exec, s[8:9]
	s_and_b64 s[4:5], s[4:5], exec
	s_or_saveexec_b64 s[6:7], s[6:7]
	v_mov_b32_e32 v2, s10
	s_xor_b64 exec, exec, s[6:7]
	s_cbranch_execnz .LBB2_17316
; %bb.53153:
	s_getpc_b64 s[14:15]
.Lpost_getpc30160:
	s_add_u32 s14, s14, (.LBB2_2978-.Lpost_getpc30160)&4294967295
	s_addc_u32 s15, s15, (.LBB2_2978-.Lpost_getpc30160)>>32
	s_setpc_b64 s[14:15]
.LBB2_17316:
	v_mov_b32_e32 v2, 0
	v_cmp_ne_u16_sdwa s[8:9], v7, v2 src0_sel:BYTE_0 src1_sel:DWORD
	s_andn2_b64 s[4:5], s[4:5], exec
	s_and_b64 s[8:9], s[8:9], exec
	s_or_b64 s[4:5], s[4:5], s[8:9]
	s_or_b64 exec, exec, s[6:7]
	s_and_saveexec_b64 s[6:7], s[4:5]
	s_cbranch_execz .LBB2_30161
; %bb.53155:
	s_getpc_b64 s[14:15]
.Lpost_getpc30161:
	s_add_u32 s14, s14, (.LBB2_2979-.Lpost_getpc30161)&4294967295
	s_addc_u32 s15, s15, (.LBB2_2979-.Lpost_getpc30161)>>32
	s_setpc_b64 s[14:15]
.LBB2_30161:
	s_getpc_b64 s[14:15]
.Lpost_getpc18664:
	s_add_u32 s14, s14, (.LBB2_2980-.Lpost_getpc18664)&4294967295
	s_addc_u32 s15, s15, (.LBB2_2980-.Lpost_getpc18664)>>32
	s_setpc_b64 s[14:15]
.LBB2_17317:
	s_movk_i32 s4, 0x80
	v_cmp_eq_u16_sdwa s[12:13], v3, s4 src0_sel:BYTE_0 src1_sel:DWORD
	s_mov_b64 s[4:5], -1
                                        ; implicit-def: $sgpr10
	s_and_saveexec_b64 s[8:9], s[12:13]
; %bb.17318:
	s_mov_b32 s10, 0x7f800001
	s_xor_b64 s[4:5], exec, -1
; %bb.17319:
	s_or_b64 exec, exec, s[8:9]
	s_and_b64 s[4:5], s[4:5], exec
	s_or_saveexec_b64 s[6:7], s[6:7]
	v_mov_b32_e32 v6, s10
	s_xor_b64 exec, exec, s[6:7]
	s_cbranch_execnz .LBB2_17320
; %bb.53157:
	s_getpc_b64 s[14:15]
.Lpost_getpc30162:
	s_add_u32 s14, s14, (.LBB2_2982-.Lpost_getpc30162)&4294967295
	s_addc_u32 s15, s15, (.LBB2_2982-.Lpost_getpc30162)>>32
	s_setpc_b64 s[14:15]
.LBB2_17320:
	v_mov_b32_e32 v6, 0
	v_cmp_ne_u16_sdwa s[8:9], v3, v6 src0_sel:BYTE_0 src1_sel:DWORD
	s_andn2_b64 s[4:5], s[4:5], exec
	s_and_b64 s[8:9], s[8:9], exec
	s_or_b64 s[4:5], s[4:5], s[8:9]
	s_or_b64 exec, exec, s[6:7]
	s_and_saveexec_b64 s[6:7], s[4:5]
	s_cbranch_execz .LBB2_30163
; %bb.53159:
	s_getpc_b64 s[14:15]
.Lpost_getpc30163:
	s_add_u32 s14, s14, (.LBB2_2983-.Lpost_getpc30163)&4294967295
	s_addc_u32 s15, s15, (.LBB2_2983-.Lpost_getpc30163)>>32
	s_setpc_b64 s[14:15]
.LBB2_30163:
	s_getpc_b64 s[14:15]
.Lpost_getpc18665:
	s_add_u32 s14, s14, (.LBB2_2984-.Lpost_getpc18665)&4294967295
	s_addc_u32 s15, s15, (.LBB2_2984-.Lpost_getpc18665)>>32
	s_setpc_b64 s[14:15]
.LBB2_17321:
	s_movk_i32 s4, 0x80
	v_cmp_eq_u16_sdwa s[12:13], v6, s4 src0_sel:BYTE_0 src1_sel:DWORD
	s_mov_b64 s[4:5], -1
                                        ; implicit-def: $sgpr10
	s_and_saveexec_b64 s[8:9], s[12:13]
; %bb.17322:
	s_mov_b32 s10, 0x7f800001
	s_xor_b64 s[4:5], exec, -1
; %bb.17323:
	s_or_b64 exec, exec, s[8:9]
	s_and_b64 s[4:5], s[4:5], exec
	s_or_saveexec_b64 s[6:7], s[6:7]
	v_mov_b32_e32 v2, s10
	s_xor_b64 exec, exec, s[6:7]
	s_cbranch_execnz .LBB2_17324
; %bb.53161:
	s_getpc_b64 s[14:15]
.Lpost_getpc30164:
	s_add_u32 s14, s14, (.LBB2_2986-.Lpost_getpc30164)&4294967295
	s_addc_u32 s15, s15, (.LBB2_2986-.Lpost_getpc30164)>>32
	s_setpc_b64 s[14:15]
.LBB2_17324:
	v_mov_b32_e32 v2, 0
	v_cmp_ne_u16_sdwa s[8:9], v6, v2 src0_sel:BYTE_0 src1_sel:DWORD
	s_andn2_b64 s[4:5], s[4:5], exec
	s_and_b64 s[8:9], s[8:9], exec
	s_or_b64 s[4:5], s[4:5], s[8:9]
	s_or_b64 exec, exec, s[6:7]
	s_and_saveexec_b64 s[6:7], s[4:5]
	s_cbranch_execz .LBB2_30165
; %bb.53163:
	s_getpc_b64 s[14:15]
.Lpost_getpc30165:
	s_add_u32 s14, s14, (.LBB2_2987-.Lpost_getpc30165)&4294967295
	s_addc_u32 s15, s15, (.LBB2_2987-.Lpost_getpc30165)>>32
	s_setpc_b64 s[14:15]
.LBB2_30165:
	s_getpc_b64 s[14:15]
.Lpost_getpc18666:
	s_add_u32 s14, s14, (.LBB2_2988-.Lpost_getpc18666)&4294967295
	s_addc_u32 s15, s15, (.LBB2_2988-.Lpost_getpc18666)>>32
	s_setpc_b64 s[14:15]
.LBB2_17325:
	s_movk_i32 s4, 0x80
	v_cmp_eq_u16_sdwa s[12:13], v6, s4 src0_sel:BYTE_0 src1_sel:DWORD
	s_mov_b64 s[4:5], -1
                                        ; implicit-def: $sgpr10
	s_and_saveexec_b64 s[8:9], s[12:13]
; %bb.17326:
	s_mov_b32 s10, 0x7f800001
	s_xor_b64 s[4:5], exec, -1
; %bb.17327:
	s_or_b64 exec, exec, s[8:9]
	s_and_b64 s[4:5], s[4:5], exec
	s_or_saveexec_b64 s[6:7], s[6:7]
	v_mov_b32_e32 v12, s10
	s_xor_b64 exec, exec, s[6:7]
	s_cbranch_execnz .LBB2_17328
; %bb.53165:
	s_getpc_b64 s[14:15]
.Lpost_getpc30166:
	s_add_u32 s14, s14, (.LBB2_2990-.Lpost_getpc30166)&4294967295
	s_addc_u32 s15, s15, (.LBB2_2990-.Lpost_getpc30166)>>32
	s_setpc_b64 s[14:15]
.LBB2_17328:
	v_mov_b32_e32 v12, 0
	v_cmp_ne_u16_sdwa s[8:9], v6, v12 src0_sel:BYTE_0 src1_sel:DWORD
	s_andn2_b64 s[4:5], s[4:5], exec
	s_and_b64 s[8:9], s[8:9], exec
	s_or_b64 s[4:5], s[4:5], s[8:9]
	s_or_b64 exec, exec, s[6:7]
	s_and_saveexec_b64 s[6:7], s[4:5]
	s_cbranch_execz .LBB2_30167
; %bb.53167:
	s_getpc_b64 s[14:15]
.Lpost_getpc30167:
	s_add_u32 s14, s14, (.LBB2_2991-.Lpost_getpc30167)&4294967295
	s_addc_u32 s15, s15, (.LBB2_2991-.Lpost_getpc30167)>>32
	s_setpc_b64 s[14:15]
.LBB2_30167:
	s_getpc_b64 s[14:15]
.Lpost_getpc18667:
	s_add_u32 s14, s14, (.LBB2_2992-.Lpost_getpc18667)&4294967295
	s_addc_u32 s15, s15, (.LBB2_2992-.Lpost_getpc18667)>>32
	s_setpc_b64 s[14:15]
.LBB2_17329:
	s_movk_i32 s4, 0x80
	v_cmp_eq_u16_e32 vcc, s4, v6
	s_mov_b64 s[4:5], -1
                                        ; implicit-def: $sgpr10
	s_and_saveexec_b64 s[8:9], vcc
; %bb.17330:
	s_mov_b32 s10, 0x7f800001
	s_xor_b64 s[4:5], exec, -1
; %bb.17331:
	s_or_b64 exec, exec, s[8:9]
	s_and_b64 s[4:5], s[4:5], exec
                                        ; implicit-def: $vgpr6
	s_or_saveexec_b64 s[6:7], s[6:7]
	v_mov_b32_e32 v2, s10
	s_xor_b64 exec, exec, s[6:7]
	s_cbranch_execnz .LBB2_17332
; %bb.53169:
	s_getpc_b64 s[14:15]
.Lpost_getpc30168:
	s_add_u32 s14, s14, (.LBB2_2994-.Lpost_getpc30168)&4294967295
	s_addc_u32 s15, s15, (.LBB2_2994-.Lpost_getpc30168)>>32
	s_setpc_b64 s[14:15]
.LBB2_17332:
	v_cmp_ne_u16_e32 vcc, 0, v6
	s_andn2_b64 s[4:5], s[4:5], exec
	s_and_b64 s[8:9], vcc, exec
	v_mov_b32_e32 v2, 0
	s_or_b64 s[4:5], s[4:5], s[8:9]
	s_or_b64 exec, exec, s[6:7]
	s_and_saveexec_b64 s[6:7], s[4:5]
	s_cbranch_execz .LBB2_30169
; %bb.53171:
	s_getpc_b64 s[14:15]
.Lpost_getpc30169:
	s_add_u32 s14, s14, (.LBB2_2995-.Lpost_getpc30169)&4294967295
	s_addc_u32 s15, s15, (.LBB2_2995-.Lpost_getpc30169)>>32
	s_setpc_b64 s[14:15]
.LBB2_30169:
	s_getpc_b64 s[14:15]
.Lpost_getpc18668:
	s_add_u32 s14, s14, (.LBB2_2996-.Lpost_getpc18668)&4294967295
	s_addc_u32 s15, s15, (.LBB2_2996-.Lpost_getpc18668)>>32
	s_setpc_b64 s[14:15]
.LBB2_17333:
	s_movk_i32 s4, 0x80
	v_cmp_eq_u16_e32 vcc, s4, v6
	s_mov_b64 s[4:5], -1
                                        ; implicit-def: $sgpr10
	s_and_saveexec_b64 s[8:9], vcc
; %bb.17334:
	s_mov_b32 s10, 0x7f800001
	s_xor_b64 s[4:5], exec, -1
; %bb.17335:
	s_or_b64 exec, exec, s[8:9]
	s_and_b64 s[4:5], s[4:5], exec
                                        ; implicit-def: $vgpr6
	s_or_saveexec_b64 s[6:7], s[6:7]
	v_mov_b32_e32 v12, s10
	s_xor_b64 exec, exec, s[6:7]
	s_cbranch_execnz .LBB2_17336
; %bb.53173:
	s_getpc_b64 s[14:15]
.Lpost_getpc30170:
	s_add_u32 s14, s14, (.LBB2_2998-.Lpost_getpc30170)&4294967295
	s_addc_u32 s15, s15, (.LBB2_2998-.Lpost_getpc30170)>>32
	s_setpc_b64 s[14:15]
.LBB2_17336:
	v_cmp_ne_u16_e32 vcc, 0, v6
	s_andn2_b64 s[4:5], s[4:5], exec
	s_and_b64 s[8:9], vcc, exec
	v_mov_b32_e32 v12, 0
	s_or_b64 s[4:5], s[4:5], s[8:9]
	s_or_b64 exec, exec, s[6:7]
	s_and_saveexec_b64 s[6:7], s[4:5]
	s_cbranch_execz .LBB2_30171
; %bb.53175:
	s_getpc_b64 s[14:15]
.Lpost_getpc30171:
	s_add_u32 s14, s14, (.LBB2_2999-.Lpost_getpc30171)&4294967295
	s_addc_u32 s15, s15, (.LBB2_2999-.Lpost_getpc30171)>>32
	s_setpc_b64 s[14:15]
.LBB2_30171:
	s_getpc_b64 s[14:15]
.Lpost_getpc18669:
	s_add_u32 s14, s14, (.LBB2_3000-.Lpost_getpc18669)&4294967295
	s_addc_u32 s15, s15, (.LBB2_3000-.Lpost_getpc18669)>>32
	s_setpc_b64 s[14:15]
.LBB2_17337:
	s_movk_i32 s4, 0x80
	v_cmp_eq_u16_sdwa s[12:13], v7, s4 src0_sel:BYTE_3 src1_sel:DWORD
	s_mov_b64 s[4:5], -1
                                        ; implicit-def: $sgpr10
	s_and_saveexec_b64 s[8:9], s[12:13]
; %bb.17338:
	s_mov_b32 s10, 0x7f800001
	s_xor_b64 s[4:5], exec, -1
; %bb.17339:
	s_or_b64 exec, exec, s[8:9]
	s_and_b64 s[4:5], s[4:5], exec
	s_or_saveexec_b64 s[6:7], s[6:7]
	v_mov_b32_e32 v2, s10
	s_xor_b64 exec, exec, s[6:7]
	s_cbranch_execnz .LBB2_17340
; %bb.53177:
	s_getpc_b64 s[14:15]
.Lpost_getpc30172:
	s_add_u32 s14, s14, (.LBB2_3002-.Lpost_getpc30172)&4294967295
	s_addc_u32 s15, s15, (.LBB2_3002-.Lpost_getpc30172)>>32
	s_setpc_b64 s[14:15]
.LBB2_17340:
	v_mov_b32_e32 v2, 0
	v_cmp_ne_u16_sdwa s[8:9], v7, v2 src0_sel:BYTE_3 src1_sel:DWORD
	s_andn2_b64 s[4:5], s[4:5], exec
	s_and_b64 s[8:9], s[8:9], exec
	s_or_b64 s[4:5], s[4:5], s[8:9]
	s_or_b64 exec, exec, s[6:7]
	s_and_saveexec_b64 s[6:7], s[4:5]
	s_cbranch_execz .LBB2_30173
; %bb.53179:
	s_getpc_b64 s[14:15]
.Lpost_getpc30173:
	s_add_u32 s14, s14, (.LBB2_3003-.Lpost_getpc30173)&4294967295
	s_addc_u32 s15, s15, (.LBB2_3003-.Lpost_getpc30173)>>32
	s_setpc_b64 s[14:15]
.LBB2_30173:
	s_getpc_b64 s[14:15]
.Lpost_getpc18670:
	s_add_u32 s14, s14, (.LBB2_3004-.Lpost_getpc18670)&4294967295
	s_addc_u32 s15, s15, (.LBB2_3004-.Lpost_getpc18670)>>32
	s_setpc_b64 s[14:15]
.LBB2_17341:
	s_movk_i32 s4, 0x80
	v_cmp_eq_u16_sdwa s[12:13], v3, s4 src0_sel:BYTE_3 src1_sel:DWORD
	s_mov_b64 s[4:5], -1
                                        ; implicit-def: $sgpr10
	s_and_saveexec_b64 s[8:9], s[12:13]
; %bb.17342:
	s_mov_b32 s10, 0x7f800001
	s_xor_b64 s[4:5], exec, -1
; %bb.17343:
	s_or_b64 exec, exec, s[8:9]
	s_and_b64 s[4:5], s[4:5], exec
	s_or_saveexec_b64 s[6:7], s[6:7]
	v_mov_b32_e32 v6, s10
	s_xor_b64 exec, exec, s[6:7]
	s_cbranch_execnz .LBB2_17344
; %bb.53181:
	s_getpc_b64 s[14:15]
.Lpost_getpc30174:
	s_add_u32 s14, s14, (.LBB2_3006-.Lpost_getpc30174)&4294967295
	s_addc_u32 s15, s15, (.LBB2_3006-.Lpost_getpc30174)>>32
	s_setpc_b64 s[14:15]
.LBB2_17344:
	v_mov_b32_e32 v6, 0
	v_cmp_ne_u16_sdwa s[8:9], v3, v6 src0_sel:BYTE_3 src1_sel:DWORD
	s_andn2_b64 s[4:5], s[4:5], exec
	s_and_b64 s[8:9], s[8:9], exec
	s_or_b64 s[4:5], s[4:5], s[8:9]
	s_or_b64 exec, exec, s[6:7]
	s_and_saveexec_b64 s[6:7], s[4:5]
	s_cbranch_execz .LBB2_30175
; %bb.53183:
	s_getpc_b64 s[14:15]
.Lpost_getpc30175:
	s_add_u32 s14, s14, (.LBB2_3007-.Lpost_getpc30175)&4294967295
	s_addc_u32 s15, s15, (.LBB2_3007-.Lpost_getpc30175)>>32
	s_setpc_b64 s[14:15]
.LBB2_30175:
	s_getpc_b64 s[14:15]
.Lpost_getpc18671:
	s_add_u32 s14, s14, (.LBB2_3008-.Lpost_getpc18671)&4294967295
	s_addc_u32 s15, s15, (.LBB2_3008-.Lpost_getpc18671)>>32
	s_setpc_b64 s[14:15]
.LBB2_17345:
	s_movk_i32 s4, 0x80
	v_cmp_eq_u16_sdwa s[12:13], v8, s4 src0_sel:BYTE_0 src1_sel:DWORD
	s_mov_b64 s[4:5], -1
                                        ; implicit-def: $sgpr10
	s_and_saveexec_b64 s[8:9], s[12:13]
; %bb.17346:
	s_mov_b32 s10, 0x7f800001
	s_xor_b64 s[4:5], exec, -1
; %bb.17347:
	s_or_b64 exec, exec, s[8:9]
	s_and_b64 s[4:5], s[4:5], exec
	s_or_saveexec_b64 s[6:7], s[6:7]
	v_mov_b32_e32 v2, s10
	s_xor_b64 exec, exec, s[6:7]
	s_cbranch_execnz .LBB2_17348
; %bb.53185:
	s_getpc_b64 s[14:15]
.Lpost_getpc30176:
	s_add_u32 s14, s14, (.LBB2_3010-.Lpost_getpc30176)&4294967295
	s_addc_u32 s15, s15, (.LBB2_3010-.Lpost_getpc30176)>>32
	s_setpc_b64 s[14:15]
.LBB2_17348:
	v_mov_b32_e32 v2, 0
	v_cmp_ne_u16_sdwa s[8:9], v8, v2 src0_sel:BYTE_0 src1_sel:DWORD
	s_andn2_b64 s[4:5], s[4:5], exec
	s_and_b64 s[8:9], s[8:9], exec
	s_or_b64 s[4:5], s[4:5], s[8:9]
	s_or_b64 exec, exec, s[6:7]
	s_and_saveexec_b64 s[6:7], s[4:5]
	s_cbranch_execz .LBB2_30177
; %bb.53187:
	s_getpc_b64 s[14:15]
.Lpost_getpc30177:
	s_add_u32 s14, s14, (.LBB2_3011-.Lpost_getpc30177)&4294967295
	s_addc_u32 s15, s15, (.LBB2_3011-.Lpost_getpc30177)>>32
	s_setpc_b64 s[14:15]
.LBB2_30177:
	s_getpc_b64 s[14:15]
.Lpost_getpc18672:
	s_add_u32 s14, s14, (.LBB2_3012-.Lpost_getpc18672)&4294967295
	s_addc_u32 s15, s15, (.LBB2_3012-.Lpost_getpc18672)>>32
	s_setpc_b64 s[14:15]
.LBB2_17349:
	s_movk_i32 s4, 0x80
	v_cmp_eq_u16_sdwa s[12:13], v4, s4 src0_sel:BYTE_0 src1_sel:DWORD
	s_mov_b64 s[4:5], -1
                                        ; implicit-def: $sgpr10
	s_and_saveexec_b64 s[8:9], s[12:13]
; %bb.17350:
	s_mov_b32 s10, 0x7f800001
	s_xor_b64 s[4:5], exec, -1
; %bb.17351:
	s_or_b64 exec, exec, s[8:9]
	s_and_b64 s[4:5], s[4:5], exec
	s_or_saveexec_b64 s[6:7], s[6:7]
	v_mov_b32_e32 v3, s10
	s_xor_b64 exec, exec, s[6:7]
	s_cbranch_execnz .LBB2_17352
; %bb.53189:
	s_getpc_b64 s[14:15]
.Lpost_getpc30178:
	s_add_u32 s14, s14, (.LBB2_3014-.Lpost_getpc30178)&4294967295
	s_addc_u32 s15, s15, (.LBB2_3014-.Lpost_getpc30178)>>32
	s_setpc_b64 s[14:15]
.LBB2_17352:
	v_mov_b32_e32 v3, 0
	v_cmp_ne_u16_sdwa s[8:9], v4, v3 src0_sel:BYTE_0 src1_sel:DWORD
	s_andn2_b64 s[4:5], s[4:5], exec
	s_and_b64 s[8:9], s[8:9], exec
	s_or_b64 s[4:5], s[4:5], s[8:9]
	s_or_b64 exec, exec, s[6:7]
	s_and_saveexec_b64 s[6:7], s[4:5]
	s_cbranch_execz .LBB2_30179
; %bb.53191:
	s_getpc_b64 s[14:15]
.Lpost_getpc30179:
	s_add_u32 s14, s14, (.LBB2_3015-.Lpost_getpc30179)&4294967295
	s_addc_u32 s15, s15, (.LBB2_3015-.Lpost_getpc30179)>>32
	s_setpc_b64 s[14:15]
.LBB2_30179:
	s_getpc_b64 s[14:15]
.Lpost_getpc18673:
	s_add_u32 s14, s14, (.LBB2_3016-.Lpost_getpc18673)&4294967295
	s_addc_u32 s15, s15, (.LBB2_3016-.Lpost_getpc18673)>>32
	s_setpc_b64 s[14:15]
.LBB2_17353:
	s_movk_i32 s4, 0x80
	v_cmp_eq_u16_sdwa s[12:13], v3, s4 src0_sel:BYTE_0 src1_sel:DWORD
	s_mov_b64 s[4:5], -1
                                        ; implicit-def: $sgpr10
	s_and_saveexec_b64 s[8:9], s[12:13]
; %bb.17354:
	s_mov_b32 s10, 0x7f800001
	s_xor_b64 s[4:5], exec, -1
; %bb.17355:
	s_or_b64 exec, exec, s[8:9]
	s_and_b64 s[4:5], s[4:5], exec
	s_or_saveexec_b64 s[6:7], s[6:7]
	v_mov_b32_e32 v2, s10
	s_xor_b64 exec, exec, s[6:7]
	s_cbranch_execnz .LBB2_17356
; %bb.53193:
	s_getpc_b64 s[14:15]
.Lpost_getpc30180:
	s_add_u32 s14, s14, (.LBB2_3018-.Lpost_getpc30180)&4294967295
	s_addc_u32 s15, s15, (.LBB2_3018-.Lpost_getpc30180)>>32
	s_setpc_b64 s[14:15]
.LBB2_17356:
	v_mov_b32_e32 v2, 0
	v_cmp_ne_u16_sdwa s[8:9], v3, v2 src0_sel:BYTE_0 src1_sel:DWORD
	s_andn2_b64 s[4:5], s[4:5], exec
	s_and_b64 s[8:9], s[8:9], exec
	s_or_b64 s[4:5], s[4:5], s[8:9]
	s_or_b64 exec, exec, s[6:7]
	s_and_saveexec_b64 s[6:7], s[4:5]
	s_cbranch_execz .LBB2_30181
; %bb.53195:
	s_getpc_b64 s[14:15]
.Lpost_getpc30181:
	s_add_u32 s14, s14, (.LBB2_3019-.Lpost_getpc30181)&4294967295
	s_addc_u32 s15, s15, (.LBB2_3019-.Lpost_getpc30181)>>32
	s_setpc_b64 s[14:15]
.LBB2_30181:
	s_getpc_b64 s[14:15]
.Lpost_getpc18674:
	s_add_u32 s14, s14, (.LBB2_3020-.Lpost_getpc18674)&4294967295
	s_addc_u32 s15, s15, (.LBB2_3020-.Lpost_getpc18674)>>32
	s_setpc_b64 s[14:15]
.LBB2_17357:
	s_movk_i32 s4, 0x80
	v_cmp_eq_u16_sdwa s[12:13], v3, s4 src0_sel:BYTE_0 src1_sel:DWORD
	s_mov_b64 s[4:5], -1
                                        ; implicit-def: $sgpr10
	s_and_saveexec_b64 s[8:9], s[12:13]
; %bb.17358:
	s_mov_b32 s10, 0x7f800001
	s_xor_b64 s[4:5], exec, -1
; %bb.17359:
	s_or_b64 exec, exec, s[8:9]
	s_and_b64 s[4:5], s[4:5], exec
	s_or_saveexec_b64 s[6:7], s[6:7]
	v_mov_b32_e32 v6, s10
	s_xor_b64 exec, exec, s[6:7]
	s_cbranch_execnz .LBB2_17360
; %bb.53197:
	s_getpc_b64 s[14:15]
.Lpost_getpc30182:
	s_add_u32 s14, s14, (.LBB2_3022-.Lpost_getpc30182)&4294967295
	s_addc_u32 s15, s15, (.LBB2_3022-.Lpost_getpc30182)>>32
	s_setpc_b64 s[14:15]
.LBB2_17360:
	v_mov_b32_e32 v6, 0
	v_cmp_ne_u16_sdwa s[8:9], v3, v6 src0_sel:BYTE_0 src1_sel:DWORD
	s_andn2_b64 s[4:5], s[4:5], exec
	s_and_b64 s[8:9], s[8:9], exec
	s_or_b64 s[4:5], s[4:5], s[8:9]
	s_or_b64 exec, exec, s[6:7]
	s_and_saveexec_b64 s[6:7], s[4:5]
	s_cbranch_execz .LBB2_30183
; %bb.53199:
	s_getpc_b64 s[14:15]
.Lpost_getpc30183:
	s_add_u32 s14, s14, (.LBB2_3023-.Lpost_getpc30183)&4294967295
	s_addc_u32 s15, s15, (.LBB2_3023-.Lpost_getpc30183)>>32
	s_setpc_b64 s[14:15]
.LBB2_30183:
	s_getpc_b64 s[14:15]
.Lpost_getpc18675:
	s_add_u32 s14, s14, (.LBB2_3024-.Lpost_getpc18675)&4294967295
	s_addc_u32 s15, s15, (.LBB2_3024-.Lpost_getpc18675)>>32
	s_setpc_b64 s[14:15]
.LBB2_17361:
	s_movk_i32 s4, 0x80
	v_cmp_eq_u16_e32 vcc, s4, v3
	s_mov_b64 s[4:5], -1
                                        ; implicit-def: $sgpr10
	s_and_saveexec_b64 s[8:9], vcc
; %bb.17362:
	s_mov_b32 s10, 0x7f800001
	s_xor_b64 s[4:5], exec, -1
; %bb.17363:
	s_or_b64 exec, exec, s[8:9]
	s_and_b64 s[4:5], s[4:5], exec
                                        ; implicit-def: $vgpr3
	s_or_saveexec_b64 s[6:7], s[6:7]
	v_mov_b32_e32 v2, s10
	s_xor_b64 exec, exec, s[6:7]
	s_cbranch_execnz .LBB2_17364
; %bb.53201:
	s_getpc_b64 s[14:15]
.Lpost_getpc30184:
	s_add_u32 s14, s14, (.LBB2_3026-.Lpost_getpc30184)&4294967295
	s_addc_u32 s15, s15, (.LBB2_3026-.Lpost_getpc30184)>>32
	s_setpc_b64 s[14:15]
.LBB2_17364:
	v_cmp_ne_u16_e32 vcc, 0, v3
	s_andn2_b64 s[4:5], s[4:5], exec
	s_and_b64 s[8:9], vcc, exec
	v_mov_b32_e32 v2, 0
	s_or_b64 s[4:5], s[4:5], s[8:9]
	s_or_b64 exec, exec, s[6:7]
	s_and_saveexec_b64 s[6:7], s[4:5]
	s_cbranch_execz .LBB2_30185
; %bb.53203:
	s_getpc_b64 s[14:15]
.Lpost_getpc30185:
	s_add_u32 s14, s14, (.LBB2_3027-.Lpost_getpc30185)&4294967295
	s_addc_u32 s15, s15, (.LBB2_3027-.Lpost_getpc30185)>>32
	s_setpc_b64 s[14:15]
.LBB2_30185:
	s_getpc_b64 s[14:15]
.Lpost_getpc18676:
	s_add_u32 s14, s14, (.LBB2_3028-.Lpost_getpc18676)&4294967295
	s_addc_u32 s15, s15, (.LBB2_3028-.Lpost_getpc18676)>>32
	s_setpc_b64 s[14:15]
.LBB2_17365:
	s_movk_i32 s4, 0x80
	v_cmp_eq_u16_e32 vcc, s4, v3
	s_mov_b64 s[4:5], -1
                                        ; implicit-def: $sgpr10
	s_and_saveexec_b64 s[8:9], vcc
; %bb.17366:
	s_mov_b32 s10, 0x7f800001
	s_xor_b64 s[4:5], exec, -1
; %bb.17367:
	s_or_b64 exec, exec, s[8:9]
	s_and_b64 s[4:5], s[4:5], exec
                                        ; implicit-def: $vgpr3
	s_or_saveexec_b64 s[6:7], s[6:7]
	v_mov_b32_e32 v6, s10
	s_xor_b64 exec, exec, s[6:7]
	s_cbranch_execnz .LBB2_17368
; %bb.53205:
	s_getpc_b64 s[14:15]
.Lpost_getpc30186:
	s_add_u32 s14, s14, (.LBB2_3030-.Lpost_getpc30186)&4294967295
	s_addc_u32 s15, s15, (.LBB2_3030-.Lpost_getpc30186)>>32
	s_setpc_b64 s[14:15]
.LBB2_17368:
	v_cmp_ne_u16_e32 vcc, 0, v3
	s_andn2_b64 s[4:5], s[4:5], exec
	s_and_b64 s[8:9], vcc, exec
	v_mov_b32_e32 v6, 0
	s_or_b64 s[4:5], s[4:5], s[8:9]
	s_or_b64 exec, exec, s[6:7]
	s_and_saveexec_b64 s[6:7], s[4:5]
	s_cbranch_execz .LBB2_30187
; %bb.53207:
	s_getpc_b64 s[14:15]
.Lpost_getpc30187:
	s_add_u32 s14, s14, (.LBB2_3031-.Lpost_getpc30187)&4294967295
	s_addc_u32 s15, s15, (.LBB2_3031-.Lpost_getpc30187)>>32
	s_setpc_b64 s[14:15]
.LBB2_30187:
	s_getpc_b64 s[14:15]
.Lpost_getpc18677:
	s_add_u32 s14, s14, (.LBB2_3032-.Lpost_getpc18677)&4294967295
	s_addc_u32 s15, s15, (.LBB2_3032-.Lpost_getpc18677)>>32
	s_setpc_b64 s[14:15]
.LBB2_17369:
	s_movk_i32 s4, 0x80
	v_cmp_eq_u16_sdwa s[12:13], v8, s4 src0_sel:BYTE_3 src1_sel:DWORD
	s_mov_b64 s[4:5], -1
                                        ; implicit-def: $sgpr10
	s_and_saveexec_b64 s[8:9], s[12:13]
; %bb.17370:
	s_mov_b32 s10, 0x7f800001
	s_xor_b64 s[4:5], exec, -1
; %bb.17371:
	s_or_b64 exec, exec, s[8:9]
	s_and_b64 s[4:5], s[4:5], exec
	s_or_saveexec_b64 s[6:7], s[6:7]
	v_mov_b32_e32 v2, s10
	s_xor_b64 exec, exec, s[6:7]
	s_cbranch_execnz .LBB2_17372
; %bb.53209:
	s_getpc_b64 s[14:15]
.Lpost_getpc30188:
	s_add_u32 s14, s14, (.LBB2_3034-.Lpost_getpc30188)&4294967295
	s_addc_u32 s15, s15, (.LBB2_3034-.Lpost_getpc30188)>>32
	s_setpc_b64 s[14:15]
.LBB2_17372:
	v_mov_b32_e32 v2, 0
	v_cmp_ne_u16_sdwa s[8:9], v8, v2 src0_sel:BYTE_3 src1_sel:DWORD
	s_andn2_b64 s[4:5], s[4:5], exec
	s_and_b64 s[8:9], s[8:9], exec
	s_or_b64 s[4:5], s[4:5], s[8:9]
	s_or_b64 exec, exec, s[6:7]
	s_and_saveexec_b64 s[6:7], s[4:5]
	s_cbranch_execz .LBB2_30189
; %bb.53211:
	s_getpc_b64 s[14:15]
.Lpost_getpc30189:
	s_add_u32 s14, s14, (.LBB2_3035-.Lpost_getpc30189)&4294967295
	s_addc_u32 s15, s15, (.LBB2_3035-.Lpost_getpc30189)>>32
	s_setpc_b64 s[14:15]
.LBB2_30189:
	s_getpc_b64 s[14:15]
.Lpost_getpc18678:
	s_add_u32 s14, s14, (.LBB2_3036-.Lpost_getpc18678)&4294967295
	s_addc_u32 s15, s15, (.LBB2_3036-.Lpost_getpc18678)>>32
	s_setpc_b64 s[14:15]
.LBB2_17373:
	s_movk_i32 s4, 0x80
	v_cmp_eq_u16_sdwa s[12:13], v4, s4 src0_sel:BYTE_3 src1_sel:DWORD
	s_mov_b64 s[4:5], -1
                                        ; implicit-def: $sgpr10
	s_and_saveexec_b64 s[8:9], s[12:13]
; %bb.17374:
	s_mov_b32 s10, 0x7f800001
	s_xor_b64 s[4:5], exec, -1
; %bb.17375:
	s_or_b64 exec, exec, s[8:9]
	s_and_b64 s[4:5], s[4:5], exec
	s_or_saveexec_b64 s[6:7], s[6:7]
	v_mov_b32_e32 v3, s10
	s_xor_b64 exec, exec, s[6:7]
	s_cbranch_execnz .LBB2_17376
; %bb.53213:
	s_getpc_b64 s[14:15]
.Lpost_getpc30190:
	s_add_u32 s14, s14, (.LBB2_3038-.Lpost_getpc30190)&4294967295
	s_addc_u32 s15, s15, (.LBB2_3038-.Lpost_getpc30190)>>32
	s_setpc_b64 s[14:15]
.LBB2_17376:
	v_mov_b32_e32 v3, 0
	v_cmp_ne_u16_sdwa s[8:9], v4, v3 src0_sel:BYTE_3 src1_sel:DWORD
	s_andn2_b64 s[4:5], s[4:5], exec
	s_and_b64 s[8:9], s[8:9], exec
	s_or_b64 s[4:5], s[4:5], s[8:9]
	s_or_b64 exec, exec, s[6:7]
	s_and_saveexec_b64 s[6:7], s[4:5]
	s_cbranch_execz .LBB2_30191
; %bb.53215:
	s_getpc_b64 s[14:15]
.Lpost_getpc30191:
	s_add_u32 s14, s14, (.LBB2_3039-.Lpost_getpc30191)&4294967295
	s_addc_u32 s15, s15, (.LBB2_3039-.Lpost_getpc30191)>>32
	s_setpc_b64 s[14:15]
.LBB2_30191:
	s_getpc_b64 s[14:15]
.Lpost_getpc18679:
	s_add_u32 s14, s14, (.LBB2_3040-.Lpost_getpc18679)&4294967295
	s_addc_u32 s15, s15, (.LBB2_3040-.Lpost_getpc18679)>>32
	s_setpc_b64 s[14:15]
.LBB2_17377:
	s_movk_i32 s4, 0x80
	v_cmp_eq_u16_sdwa s[12:13], v9, s4 src0_sel:BYTE_0 src1_sel:DWORD
	s_mov_b64 s[4:5], -1
                                        ; implicit-def: $sgpr10
	s_and_saveexec_b64 s[8:9], s[12:13]
; %bb.17378:
	s_mov_b32 s10, 0x7f800001
	s_xor_b64 s[4:5], exec, -1
; %bb.17379:
	s_or_b64 exec, exec, s[8:9]
	s_and_b64 s[4:5], s[4:5], exec
	s_or_saveexec_b64 s[6:7], s[6:7]
	v_mov_b32_e32 v2, s10
	s_xor_b64 exec, exec, s[6:7]
	s_cbranch_execnz .LBB2_17380
; %bb.53217:
	s_getpc_b64 s[14:15]
.Lpost_getpc30192:
	s_add_u32 s14, s14, (.LBB2_3042-.Lpost_getpc30192)&4294967295
	s_addc_u32 s15, s15, (.LBB2_3042-.Lpost_getpc30192)>>32
	s_setpc_b64 s[14:15]
.LBB2_17380:
	v_mov_b32_e32 v2, 0
	v_cmp_ne_u16_sdwa s[8:9], v9, v2 src0_sel:BYTE_0 src1_sel:DWORD
	s_andn2_b64 s[4:5], s[4:5], exec
	s_and_b64 s[8:9], s[8:9], exec
	s_or_b64 s[4:5], s[4:5], s[8:9]
	s_or_b64 exec, exec, s[6:7]
	s_and_saveexec_b64 s[6:7], s[4:5]
	s_cbranch_execz .LBB2_30193
; %bb.53219:
	s_getpc_b64 s[14:15]
.Lpost_getpc30193:
	s_add_u32 s14, s14, (.LBB2_3043-.Lpost_getpc30193)&4294967295
	s_addc_u32 s15, s15, (.LBB2_3043-.Lpost_getpc30193)>>32
	s_setpc_b64 s[14:15]
.LBB2_30193:
	s_getpc_b64 s[14:15]
.Lpost_getpc18680:
	s_add_u32 s14, s14, (.LBB2_3044-.Lpost_getpc18680)&4294967295
	s_addc_u32 s15, s15, (.LBB2_3044-.Lpost_getpc18680)>>32
	s_setpc_b64 s[14:15]
.LBB2_17381:
	s_movk_i32 s4, 0x80
	v_cmp_eq_u16_sdwa s[12:13], v5, s4 src0_sel:BYTE_0 src1_sel:DWORD
	s_mov_b64 s[4:5], -1
                                        ; implicit-def: $sgpr10
	s_and_saveexec_b64 s[8:9], s[12:13]
; %bb.17382:
	s_mov_b32 s10, 0x7f800001
	s_xor_b64 s[4:5], exec, -1
; %bb.17383:
	s_or_b64 exec, exec, s[8:9]
	s_and_b64 s[4:5], s[4:5], exec
	s_or_saveexec_b64 s[6:7], s[6:7]
	v_mov_b32_e32 v3, s10
	s_xor_b64 exec, exec, s[6:7]
	s_cbranch_execnz .LBB2_17384
; %bb.53221:
	s_getpc_b64 s[14:15]
.Lpost_getpc30194:
	s_add_u32 s14, s14, (.LBB2_3046-.Lpost_getpc30194)&4294967295
	s_addc_u32 s15, s15, (.LBB2_3046-.Lpost_getpc30194)>>32
	s_setpc_b64 s[14:15]
.LBB2_17384:
	v_mov_b32_e32 v3, 0
	v_cmp_ne_u16_sdwa s[8:9], v5, v3 src0_sel:BYTE_0 src1_sel:DWORD
	s_andn2_b64 s[4:5], s[4:5], exec
	s_and_b64 s[8:9], s[8:9], exec
	s_or_b64 s[4:5], s[4:5], s[8:9]
	s_or_b64 exec, exec, s[6:7]
	s_and_saveexec_b64 s[6:7], s[4:5]
	s_cbranch_execz .LBB2_30195
; %bb.53223:
	s_getpc_b64 s[14:15]
.Lpost_getpc30195:
	s_add_u32 s14, s14, (.LBB2_3047-.Lpost_getpc30195)&4294967295
	s_addc_u32 s15, s15, (.LBB2_3047-.Lpost_getpc30195)>>32
	s_setpc_b64 s[14:15]
.LBB2_30195:
	s_getpc_b64 s[14:15]
.Lpost_getpc18681:
	s_add_u32 s14, s14, (.LBB2_3048-.Lpost_getpc18681)&4294967295
	s_addc_u32 s15, s15, (.LBB2_3048-.Lpost_getpc18681)>>32
	s_setpc_b64 s[14:15]
.LBB2_17385:
	s_movk_i32 s4, 0x80
	v_cmp_eq_u16_sdwa s[12:13], v3, s4 src0_sel:BYTE_0 src1_sel:DWORD
	s_mov_b64 s[4:5], -1
                                        ; implicit-def: $sgpr10
	s_and_saveexec_b64 s[8:9], s[12:13]
; %bb.17386:
	s_mov_b32 s10, 0x7f800001
	s_xor_b64 s[4:5], exec, -1
; %bb.17387:
	s_or_b64 exec, exec, s[8:9]
	s_and_b64 s[4:5], s[4:5], exec
	s_or_saveexec_b64 s[6:7], s[6:7]
	v_mov_b32_e32 v2, s10
	s_xor_b64 exec, exec, s[6:7]
	s_cbranch_execnz .LBB2_17388
; %bb.53225:
	s_getpc_b64 s[14:15]
.Lpost_getpc30196:
	s_add_u32 s14, s14, (.LBB2_3050-.Lpost_getpc30196)&4294967295
	s_addc_u32 s15, s15, (.LBB2_3050-.Lpost_getpc30196)>>32
	s_setpc_b64 s[14:15]
.LBB2_17388:
	v_mov_b32_e32 v2, 0
	v_cmp_ne_u16_sdwa s[8:9], v3, v2 src0_sel:BYTE_0 src1_sel:DWORD
	s_andn2_b64 s[4:5], s[4:5], exec
	s_and_b64 s[8:9], s[8:9], exec
	s_or_b64 s[4:5], s[4:5], s[8:9]
	s_or_b64 exec, exec, s[6:7]
	s_and_saveexec_b64 s[6:7], s[4:5]
	s_cbranch_execz .LBB2_30197
; %bb.53227:
	s_getpc_b64 s[14:15]
.Lpost_getpc30197:
	s_add_u32 s14, s14, (.LBB2_3051-.Lpost_getpc30197)&4294967295
	s_addc_u32 s15, s15, (.LBB2_3051-.Lpost_getpc30197)>>32
	s_setpc_b64 s[14:15]
.LBB2_30197:
	s_getpc_b64 s[14:15]
.Lpost_getpc18682:
	s_add_u32 s14, s14, (.LBB2_3052-.Lpost_getpc18682)&4294967295
	s_addc_u32 s15, s15, (.LBB2_3052-.Lpost_getpc18682)>>32
	s_setpc_b64 s[14:15]
.LBB2_17389:
	s_movk_i32 s4, 0x80
	v_cmp_eq_u16_sdwa s[12:13], v3, s4 src0_sel:BYTE_0 src1_sel:DWORD
	s_mov_b64 s[4:5], -1
                                        ; implicit-def: $sgpr10
	s_and_saveexec_b64 s[8:9], s[12:13]
; %bb.17390:
	s_mov_b32 s10, 0x7f800001
	s_xor_b64 s[4:5], exec, -1
; %bb.17391:
	s_or_b64 exec, exec, s[8:9]
	s_and_b64 s[4:5], s[4:5], exec
	s_or_saveexec_b64 s[6:7], s[6:7]
	v_mov_b32_e32 v4, s10
	s_xor_b64 exec, exec, s[6:7]
	s_cbranch_execnz .LBB2_17392
; %bb.53229:
	s_getpc_b64 s[14:15]
.Lpost_getpc30198:
	s_add_u32 s14, s14, (.LBB2_3054-.Lpost_getpc30198)&4294967295
	s_addc_u32 s15, s15, (.LBB2_3054-.Lpost_getpc30198)>>32
	s_setpc_b64 s[14:15]
.LBB2_17392:
	v_mov_b32_e32 v4, 0
	v_cmp_ne_u16_sdwa s[8:9], v3, v4 src0_sel:BYTE_0 src1_sel:DWORD
	s_andn2_b64 s[4:5], s[4:5], exec
	s_and_b64 s[8:9], s[8:9], exec
	s_or_b64 s[4:5], s[4:5], s[8:9]
	s_or_b64 exec, exec, s[6:7]
	s_and_saveexec_b64 s[6:7], s[4:5]
	s_cbranch_execz .LBB2_30199
; %bb.53231:
	s_getpc_b64 s[14:15]
.Lpost_getpc30199:
	s_add_u32 s14, s14, (.LBB2_3055-.Lpost_getpc30199)&4294967295
	s_addc_u32 s15, s15, (.LBB2_3055-.Lpost_getpc30199)>>32
	s_setpc_b64 s[14:15]
.LBB2_30199:
	s_getpc_b64 s[14:15]
.Lpost_getpc18683:
	s_add_u32 s14, s14, (.LBB2_3056-.Lpost_getpc18683)&4294967295
	s_addc_u32 s15, s15, (.LBB2_3056-.Lpost_getpc18683)>>32
	s_setpc_b64 s[14:15]
.LBB2_17393:
	s_movk_i32 s4, 0x80
	v_cmp_eq_u16_e32 vcc, s4, v3
	s_mov_b64 s[4:5], -1
                                        ; implicit-def: $sgpr10
	s_and_saveexec_b64 s[8:9], vcc
; %bb.17394:
	s_mov_b32 s10, 0x7f800001
	s_xor_b64 s[4:5], exec, -1
; %bb.17395:
	s_or_b64 exec, exec, s[8:9]
	s_and_b64 s[4:5], s[4:5], exec
                                        ; implicit-def: $vgpr3
	s_or_saveexec_b64 s[6:7], s[6:7]
	v_mov_b32_e32 v2, s10
	s_xor_b64 exec, exec, s[6:7]
	s_cbranch_execnz .LBB2_17396
; %bb.53233:
	s_getpc_b64 s[14:15]
.Lpost_getpc30200:
	s_add_u32 s14, s14, (.LBB2_3058-.Lpost_getpc30200)&4294967295
	s_addc_u32 s15, s15, (.LBB2_3058-.Lpost_getpc30200)>>32
	s_setpc_b64 s[14:15]
.LBB2_17396:
	v_cmp_ne_u16_e32 vcc, 0, v3
	s_andn2_b64 s[4:5], s[4:5], exec
	s_and_b64 s[8:9], vcc, exec
	v_mov_b32_e32 v2, 0
	s_or_b64 s[4:5], s[4:5], s[8:9]
	s_or_b64 exec, exec, s[6:7]
	s_and_saveexec_b64 s[6:7], s[4:5]
	s_cbranch_execz .LBB2_30201
; %bb.53235:
	s_getpc_b64 s[14:15]
.Lpost_getpc30201:
	s_add_u32 s14, s14, (.LBB2_3059-.Lpost_getpc30201)&4294967295
	s_addc_u32 s15, s15, (.LBB2_3059-.Lpost_getpc30201)>>32
	s_setpc_b64 s[14:15]
.LBB2_30201:
	s_getpc_b64 s[14:15]
.Lpost_getpc18684:
	s_add_u32 s14, s14, (.LBB2_3060-.Lpost_getpc18684)&4294967295
	s_addc_u32 s15, s15, (.LBB2_3060-.Lpost_getpc18684)>>32
	s_setpc_b64 s[14:15]
.LBB2_17397:
	s_movk_i32 s4, 0x80
	v_cmp_eq_u16_e32 vcc, s4, v3
	s_mov_b64 s[4:5], -1
                                        ; implicit-def: $sgpr10
	s_and_saveexec_b64 s[8:9], vcc
; %bb.17398:
	s_mov_b32 s10, 0x7f800001
	s_xor_b64 s[4:5], exec, -1
; %bb.17399:
	s_or_b64 exec, exec, s[8:9]
	s_and_b64 s[4:5], s[4:5], exec
                                        ; implicit-def: $vgpr3
	s_or_saveexec_b64 s[6:7], s[6:7]
	v_mov_b32_e32 v4, s10
	s_xor_b64 exec, exec, s[6:7]
	s_cbranch_execnz .LBB2_17400
; %bb.53237:
	s_getpc_b64 s[14:15]
.Lpost_getpc30202:
	s_add_u32 s14, s14, (.LBB2_3062-.Lpost_getpc30202)&4294967295
	s_addc_u32 s15, s15, (.LBB2_3062-.Lpost_getpc30202)>>32
	s_setpc_b64 s[14:15]
.LBB2_17400:
	v_cmp_ne_u16_e32 vcc, 0, v3
	s_andn2_b64 s[4:5], s[4:5], exec
	s_and_b64 s[8:9], vcc, exec
	v_mov_b32_e32 v4, 0
	s_or_b64 s[4:5], s[4:5], s[8:9]
	s_or_b64 exec, exec, s[6:7]
	s_and_saveexec_b64 s[6:7], s[4:5]
	s_cbranch_execz .LBB2_30203
; %bb.53239:
	s_getpc_b64 s[14:15]
.Lpost_getpc30203:
	s_add_u32 s14, s14, (.LBB2_3063-.Lpost_getpc30203)&4294967295
	s_addc_u32 s15, s15, (.LBB2_3063-.Lpost_getpc30203)>>32
	s_setpc_b64 s[14:15]
.LBB2_30203:
	s_getpc_b64 s[14:15]
.Lpost_getpc18685:
	s_add_u32 s14, s14, (.LBB2_3064-.Lpost_getpc18685)&4294967295
	s_addc_u32 s15, s15, (.LBB2_3064-.Lpost_getpc18685)>>32
	s_setpc_b64 s[14:15]
.LBB2_17401:
	s_movk_i32 s4, 0x80
	v_cmp_eq_u16_sdwa s[12:13], v9, s4 src0_sel:BYTE_3 src1_sel:DWORD
	s_mov_b64 s[4:5], -1
                                        ; implicit-def: $sgpr10
	s_and_saveexec_b64 s[8:9], s[12:13]
; %bb.17402:
	s_mov_b32 s10, 0x7f800001
	s_xor_b64 s[4:5], exec, -1
; %bb.17403:
	s_or_b64 exec, exec, s[8:9]
	s_and_b64 s[4:5], s[4:5], exec
	s_or_saveexec_b64 s[6:7], s[6:7]
	v_mov_b32_e32 v2, s10
	s_xor_b64 exec, exec, s[6:7]
	s_cbranch_execnz .LBB2_17404
; %bb.53241:
	s_getpc_b64 s[14:15]
.Lpost_getpc30204:
	s_add_u32 s14, s14, (.LBB2_3066-.Lpost_getpc30204)&4294967295
	s_addc_u32 s15, s15, (.LBB2_3066-.Lpost_getpc30204)>>32
	s_setpc_b64 s[14:15]
.LBB2_17404:
	v_mov_b32_e32 v2, 0
	v_cmp_ne_u16_sdwa s[8:9], v9, v2 src0_sel:BYTE_3 src1_sel:DWORD
	s_andn2_b64 s[4:5], s[4:5], exec
	s_and_b64 s[8:9], s[8:9], exec
	s_or_b64 s[4:5], s[4:5], s[8:9]
	s_or_b64 exec, exec, s[6:7]
	s_and_saveexec_b64 s[6:7], s[4:5]
	s_cbranch_execz .LBB2_30205
; %bb.53243:
	s_getpc_b64 s[14:15]
.Lpost_getpc30205:
	s_add_u32 s14, s14, (.LBB2_3067-.Lpost_getpc30205)&4294967295
	s_addc_u32 s15, s15, (.LBB2_3067-.Lpost_getpc30205)>>32
	s_setpc_b64 s[14:15]
.LBB2_30205:
	s_getpc_b64 s[14:15]
.Lpost_getpc18686:
	s_add_u32 s14, s14, (.LBB2_3068-.Lpost_getpc18686)&4294967295
	s_addc_u32 s15, s15, (.LBB2_3068-.Lpost_getpc18686)>>32
	s_setpc_b64 s[14:15]
.LBB2_17405:
	s_movk_i32 s4, 0x80
	v_cmp_eq_u16_sdwa s[12:13], v5, s4 src0_sel:BYTE_3 src1_sel:DWORD
	s_mov_b64 s[4:5], -1
                                        ; implicit-def: $sgpr10
	s_and_saveexec_b64 s[8:9], s[12:13]
; %bb.17406:
	s_mov_b32 s10, 0x7f800001
	s_xor_b64 s[4:5], exec, -1
; %bb.17407:
	s_or_b64 exec, exec, s[8:9]
	s_and_b64 s[4:5], s[4:5], exec
	s_or_saveexec_b64 s[6:7], s[6:7]
	v_mov_b32_e32 v3, s10
	s_xor_b64 exec, exec, s[6:7]
	s_cbranch_execnz .LBB2_17408
; %bb.53245:
	s_getpc_b64 s[14:15]
.Lpost_getpc30206:
	s_add_u32 s14, s14, (.LBB2_3070-.Lpost_getpc30206)&4294967295
	s_addc_u32 s15, s15, (.LBB2_3070-.Lpost_getpc30206)>>32
	s_setpc_b64 s[14:15]
.LBB2_17408:
	v_mov_b32_e32 v3, 0
	v_cmp_ne_u16_sdwa s[8:9], v5, v3 src0_sel:BYTE_3 src1_sel:DWORD
	s_andn2_b64 s[4:5], s[4:5], exec
	s_and_b64 s[8:9], s[8:9], exec
	s_or_b64 s[4:5], s[4:5], s[8:9]
	s_or_b64 exec, exec, s[6:7]
	s_and_saveexec_b64 s[6:7], s[4:5]
	s_cbranch_execz .LBB2_30207
; %bb.53247:
	s_getpc_b64 s[14:15]
.Lpost_getpc30207:
	s_add_u32 s14, s14, (.LBB2_3071-.Lpost_getpc30207)&4294967295
	s_addc_u32 s15, s15, (.LBB2_3071-.Lpost_getpc30207)>>32
	s_setpc_b64 s[14:15]
.LBB2_30207:
	s_getpc_b64 s[14:15]
.Lpost_getpc18687:
	s_add_u32 s14, s14, (.LBB2_3072-.Lpost_getpc18687)&4294967295
	s_addc_u32 s15, s15, (.LBB2_3072-.Lpost_getpc18687)>>32
	s_setpc_b64 s[14:15]
.LBB2_17409:
	s_movk_i32 s4, 0x80
	v_cmp_eq_u16_sdwa s[12:13], v6, s4 src0_sel:BYTE_0 src1_sel:DWORD
	s_mov_b64 s[4:5], -1
                                        ; implicit-def: $sgpr10
	s_and_saveexec_b64 s[8:9], s[12:13]
; %bb.17410:
	s_mov_b32 s10, 0x7f800001
	s_xor_b64 s[4:5], exec, -1
; %bb.17411:
	s_or_b64 exec, exec, s[8:9]
	s_and_b64 s[4:5], s[4:5], exec
	s_or_saveexec_b64 s[6:7], s[6:7]
	v_mov_b32_e32 v12, s10
	s_xor_b64 exec, exec, s[6:7]
	s_cbranch_execnz .LBB2_17412
; %bb.53249:
	s_getpc_b64 s[14:15]
.Lpost_getpc30208:
	s_add_u32 s14, s14, (.LBB2_3074-.Lpost_getpc30208)&4294967295
	s_addc_u32 s15, s15, (.LBB2_3074-.Lpost_getpc30208)>>32
	s_setpc_b64 s[14:15]
.LBB2_17412:
	v_mov_b32_e32 v12, 0
	v_cmp_ne_u16_sdwa s[8:9], v6, v12 src0_sel:BYTE_0 src1_sel:DWORD
	s_andn2_b64 s[4:5], s[4:5], exec
	s_and_b64 s[8:9], s[8:9], exec
	s_or_b64 s[4:5], s[4:5], s[8:9]
	s_or_b64 exec, exec, s[6:7]
	s_and_saveexec_b64 s[6:7], s[4:5]
	s_cbranch_execz .LBB2_30209
; %bb.53251:
	s_getpc_b64 s[14:15]
.Lpost_getpc30209:
	s_add_u32 s14, s14, (.LBB2_3075-.Lpost_getpc30209)&4294967295
	s_addc_u32 s15, s15, (.LBB2_3075-.Lpost_getpc30209)>>32
	s_setpc_b64 s[14:15]
.LBB2_30209:
	s_getpc_b64 s[14:15]
.Lpost_getpc18688:
	s_add_u32 s14, s14, (.LBB2_3076-.Lpost_getpc18688)&4294967295
	s_addc_u32 s15, s15, (.LBB2_3076-.Lpost_getpc18688)>>32
	s_setpc_b64 s[14:15]
.LBB2_17413:
	s_movk_i32 s4, 0x80
	v_cmp_eq_u16_sdwa s[12:13], v2, s4 src0_sel:BYTE_0 src1_sel:DWORD
	s_mov_b64 s[4:5], -1
                                        ; implicit-def: $sgpr10
	s_and_saveexec_b64 s[8:9], s[12:13]
; %bb.17414:
	s_mov_b32 s10, 0x7f800001
	s_xor_b64 s[4:5], exec, -1
; %bb.17415:
	s_or_b64 exec, exec, s[8:9]
	s_and_b64 s[4:5], s[4:5], exec
	s_or_saveexec_b64 s[6:7], s[6:7]
	v_mov_b32_e32 v13, s10
	s_xor_b64 exec, exec, s[6:7]
	s_cbranch_execnz .LBB2_17416
; %bb.53253:
	s_getpc_b64 s[14:15]
.Lpost_getpc30210:
	s_add_u32 s14, s14, (.LBB2_3078-.Lpost_getpc30210)&4294967295
	s_addc_u32 s15, s15, (.LBB2_3078-.Lpost_getpc30210)>>32
	s_setpc_b64 s[14:15]
.LBB2_17416:
	v_mov_b32_e32 v13, 0
	v_cmp_ne_u16_sdwa s[8:9], v2, v13 src0_sel:BYTE_0 src1_sel:DWORD
	s_andn2_b64 s[4:5], s[4:5], exec
	s_and_b64 s[8:9], s[8:9], exec
	s_or_b64 s[4:5], s[4:5], s[8:9]
	s_or_b64 exec, exec, s[6:7]
	s_and_saveexec_b64 s[6:7], s[4:5]
	s_cbranch_execz .LBB2_30211
; %bb.53255:
	s_getpc_b64 s[14:15]
.Lpost_getpc30211:
	s_add_u32 s14, s14, (.LBB2_3079-.Lpost_getpc30211)&4294967295
	s_addc_u32 s15, s15, (.LBB2_3079-.Lpost_getpc30211)>>32
	s_setpc_b64 s[14:15]
.LBB2_30211:
	s_getpc_b64 s[14:15]
.Lpost_getpc18689:
	s_add_u32 s14, s14, (.LBB2_3080-.Lpost_getpc18689)&4294967295
	s_addc_u32 s15, s15, (.LBB2_3080-.Lpost_getpc18689)>>32
	s_setpc_b64 s[14:15]
.LBB2_17417:
	s_movk_i32 s4, 0x80
	v_cmp_eq_u16_sdwa s[12:13], v13, s4 src0_sel:BYTE_0 src1_sel:DWORD
	s_mov_b64 s[4:5], -1
                                        ; implicit-def: $sgpr10
	s_and_saveexec_b64 s[8:9], s[12:13]
; %bb.17418:
	s_mov_b32 s10, 0x7f800001
	s_xor_b64 s[4:5], exec, -1
; %bb.17419:
	s_or_b64 exec, exec, s[8:9]
	s_and_b64 s[4:5], s[4:5], exec
	s_or_saveexec_b64 s[6:7], s[6:7]
	v_mov_b32_e32 v12, s10
	s_xor_b64 exec, exec, s[6:7]
	s_cbranch_execnz .LBB2_17420
; %bb.53257:
	s_getpc_b64 s[14:15]
.Lpost_getpc30212:
	s_add_u32 s14, s14, (.LBB2_3082-.Lpost_getpc30212)&4294967295
	s_addc_u32 s15, s15, (.LBB2_3082-.Lpost_getpc30212)>>32
	s_setpc_b64 s[14:15]
.LBB2_17420:
	v_mov_b32_e32 v12, 0
	v_cmp_ne_u16_sdwa s[8:9], v13, v12 src0_sel:BYTE_0 src1_sel:DWORD
	s_andn2_b64 s[4:5], s[4:5], exec
	s_and_b64 s[8:9], s[8:9], exec
	s_or_b64 s[4:5], s[4:5], s[8:9]
	s_or_b64 exec, exec, s[6:7]
	s_and_saveexec_b64 s[6:7], s[4:5]
	s_cbranch_execz .LBB2_30213
; %bb.53259:
	s_getpc_b64 s[14:15]
.Lpost_getpc30213:
	s_add_u32 s14, s14, (.LBB2_3083-.Lpost_getpc30213)&4294967295
	s_addc_u32 s15, s15, (.LBB2_3083-.Lpost_getpc30213)>>32
	s_setpc_b64 s[14:15]
.LBB2_30213:
	s_getpc_b64 s[14:15]
.Lpost_getpc18690:
	s_add_u32 s14, s14, (.LBB2_3084-.Lpost_getpc18690)&4294967295
	s_addc_u32 s15, s15, (.LBB2_3084-.Lpost_getpc18690)>>32
	s_setpc_b64 s[14:15]
.LBB2_17421:
	s_movk_i32 s4, 0x80
	v_cmp_eq_u16_sdwa s[12:13], v13, s4 src0_sel:BYTE_0 src1_sel:DWORD
	s_mov_b64 s[4:5], -1
                                        ; implicit-def: $sgpr10
	s_and_saveexec_b64 s[8:9], s[12:13]
; %bb.17422:
	s_mov_b32 s10, 0x7f800001
	s_xor_b64 s[4:5], exec, -1
; %bb.17423:
	s_or_b64 exec, exec, s[8:9]
	s_and_b64 s[4:5], s[4:5], exec
	s_or_saveexec_b64 s[6:7], s[6:7]
	v_mov_b32_e32 v14, s10
	s_xor_b64 exec, exec, s[6:7]
	s_cbranch_execnz .LBB2_17424
; %bb.53261:
	s_getpc_b64 s[14:15]
.Lpost_getpc30214:
	s_add_u32 s14, s14, (.LBB2_3086-.Lpost_getpc30214)&4294967295
	s_addc_u32 s15, s15, (.LBB2_3086-.Lpost_getpc30214)>>32
	s_setpc_b64 s[14:15]
.LBB2_17424:
	v_mov_b32_e32 v14, 0
	v_cmp_ne_u16_sdwa s[8:9], v13, v14 src0_sel:BYTE_0 src1_sel:DWORD
	s_andn2_b64 s[4:5], s[4:5], exec
	s_and_b64 s[8:9], s[8:9], exec
	s_or_b64 s[4:5], s[4:5], s[8:9]
	s_or_b64 exec, exec, s[6:7]
	s_and_saveexec_b64 s[6:7], s[4:5]
	s_cbranch_execz .LBB2_30215
; %bb.53263:
	s_getpc_b64 s[14:15]
.Lpost_getpc30215:
	s_add_u32 s14, s14, (.LBB2_3087-.Lpost_getpc30215)&4294967295
	s_addc_u32 s15, s15, (.LBB2_3087-.Lpost_getpc30215)>>32
	s_setpc_b64 s[14:15]
.LBB2_30215:
	s_getpc_b64 s[14:15]
.Lpost_getpc18691:
	s_add_u32 s14, s14, (.LBB2_3088-.Lpost_getpc18691)&4294967295
	s_addc_u32 s15, s15, (.LBB2_3088-.Lpost_getpc18691)>>32
	s_setpc_b64 s[14:15]
.LBB2_17425:
	s_movk_i32 s4, 0x80
	v_cmp_eq_u16_e32 vcc, s4, v13
	s_mov_b64 s[4:5], -1
                                        ; implicit-def: $sgpr10
	s_and_saveexec_b64 s[8:9], vcc
; %bb.17426:
	s_mov_b32 s10, 0x7f800001
	s_xor_b64 s[4:5], exec, -1
; %bb.17427:
	s_or_b64 exec, exec, s[8:9]
	s_and_b64 s[4:5], s[4:5], exec
                                        ; implicit-def: $vgpr13
	s_or_saveexec_b64 s[6:7], s[6:7]
	v_mov_b32_e32 v12, s10
	s_xor_b64 exec, exec, s[6:7]
	s_cbranch_execnz .LBB2_17428
; %bb.53265:
	s_getpc_b64 s[14:15]
.Lpost_getpc30216:
	s_add_u32 s14, s14, (.LBB2_3090-.Lpost_getpc30216)&4294967295
	s_addc_u32 s15, s15, (.LBB2_3090-.Lpost_getpc30216)>>32
	s_setpc_b64 s[14:15]
.LBB2_17428:
	v_cmp_ne_u16_e32 vcc, 0, v13
	s_andn2_b64 s[4:5], s[4:5], exec
	s_and_b64 s[8:9], vcc, exec
	v_mov_b32_e32 v12, 0
	s_or_b64 s[4:5], s[4:5], s[8:9]
	s_or_b64 exec, exec, s[6:7]
	s_and_saveexec_b64 s[6:7], s[4:5]
	s_cbranch_execz .LBB2_30217
; %bb.53267:
	s_getpc_b64 s[14:15]
.Lpost_getpc30217:
	s_add_u32 s14, s14, (.LBB2_3091-.Lpost_getpc30217)&4294967295
	s_addc_u32 s15, s15, (.LBB2_3091-.Lpost_getpc30217)>>32
	s_setpc_b64 s[14:15]
.LBB2_30217:
	s_getpc_b64 s[14:15]
.Lpost_getpc18692:
	s_add_u32 s14, s14, (.LBB2_3092-.Lpost_getpc18692)&4294967295
	s_addc_u32 s15, s15, (.LBB2_3092-.Lpost_getpc18692)>>32
	s_setpc_b64 s[14:15]
.LBB2_17429:
	s_movk_i32 s4, 0x80
	v_cmp_eq_u16_e32 vcc, s4, v13
	s_mov_b64 s[4:5], -1
                                        ; implicit-def: $sgpr10
	s_and_saveexec_b64 s[8:9], vcc
; %bb.17430:
	s_mov_b32 s10, 0x7f800001
	s_xor_b64 s[4:5], exec, -1
; %bb.17431:
	s_or_b64 exec, exec, s[8:9]
	s_and_b64 s[4:5], s[4:5], exec
                                        ; implicit-def: $vgpr13
	s_or_saveexec_b64 s[6:7], s[6:7]
	v_mov_b32_e32 v14, s10
	s_xor_b64 exec, exec, s[6:7]
	s_cbranch_execnz .LBB2_17432
; %bb.53269:
	s_getpc_b64 s[14:15]
.Lpost_getpc30218:
	s_add_u32 s14, s14, (.LBB2_3094-.Lpost_getpc30218)&4294967295
	s_addc_u32 s15, s15, (.LBB2_3094-.Lpost_getpc30218)>>32
	s_setpc_b64 s[14:15]
.LBB2_17432:
	v_cmp_ne_u16_e32 vcc, 0, v13
	s_andn2_b64 s[4:5], s[4:5], exec
	s_and_b64 s[8:9], vcc, exec
	v_mov_b32_e32 v14, 0
	s_or_b64 s[4:5], s[4:5], s[8:9]
	s_or_b64 exec, exec, s[6:7]
	s_and_saveexec_b64 s[6:7], s[4:5]
	s_cbranch_execz .LBB2_30219
; %bb.53271:
	s_getpc_b64 s[14:15]
.Lpost_getpc30219:
	s_add_u32 s14, s14, (.LBB2_3095-.Lpost_getpc30219)&4294967295
	s_addc_u32 s15, s15, (.LBB2_3095-.Lpost_getpc30219)>>32
	s_setpc_b64 s[14:15]
.LBB2_30219:
	s_getpc_b64 s[14:15]
.Lpost_getpc18693:
	s_add_u32 s14, s14, (.LBB2_3096-.Lpost_getpc18693)&4294967295
	s_addc_u32 s15, s15, (.LBB2_3096-.Lpost_getpc18693)>>32
	s_setpc_b64 s[14:15]
.LBB2_17433:
	s_movk_i32 s4, 0x80
	v_cmp_eq_u16_sdwa s[12:13], v6, s4 src0_sel:BYTE_3 src1_sel:DWORD
	s_mov_b64 s[4:5], -1
                                        ; implicit-def: $sgpr10
	s_and_saveexec_b64 s[8:9], s[12:13]
; %bb.17434:
	s_mov_b32 s10, 0x7f800001
	s_xor_b64 s[4:5], exec, -1
; %bb.17435:
	s_or_b64 exec, exec, s[8:9]
	s_and_b64 s[4:5], s[4:5], exec
	s_or_saveexec_b64 s[6:7], s[6:7]
	v_mov_b32_e32 v12, s10
	s_xor_b64 exec, exec, s[6:7]
	s_cbranch_execnz .LBB2_17436
; %bb.53273:
	s_getpc_b64 s[14:15]
.Lpost_getpc30220:
	s_add_u32 s14, s14, (.LBB2_3098-.Lpost_getpc30220)&4294967295
	s_addc_u32 s15, s15, (.LBB2_3098-.Lpost_getpc30220)>>32
	s_setpc_b64 s[14:15]
.LBB2_17436:
	v_mov_b32_e32 v12, 0
	v_cmp_ne_u16_sdwa s[8:9], v6, v12 src0_sel:BYTE_3 src1_sel:DWORD
	s_andn2_b64 s[4:5], s[4:5], exec
	s_and_b64 s[8:9], s[8:9], exec
	s_or_b64 s[4:5], s[4:5], s[8:9]
	s_or_b64 exec, exec, s[6:7]
	s_and_saveexec_b64 s[6:7], s[4:5]
	s_cbranch_execz .LBB2_30221
; %bb.53275:
	s_getpc_b64 s[14:15]
.Lpost_getpc30221:
	s_add_u32 s14, s14, (.LBB2_3099-.Lpost_getpc30221)&4294967295
	s_addc_u32 s15, s15, (.LBB2_3099-.Lpost_getpc30221)>>32
	s_setpc_b64 s[14:15]
.LBB2_30221:
	s_getpc_b64 s[14:15]
.Lpost_getpc18694:
	s_add_u32 s14, s14, (.LBB2_3100-.Lpost_getpc18694)&4294967295
	s_addc_u32 s15, s15, (.LBB2_3100-.Lpost_getpc18694)>>32
	s_setpc_b64 s[14:15]
.LBB2_17437:
	s_movk_i32 s4, 0x80
	v_cmp_eq_u16_sdwa s[12:13], v2, s4 src0_sel:BYTE_3 src1_sel:DWORD
	s_mov_b64 s[4:5], -1
                                        ; implicit-def: $sgpr10
	s_and_saveexec_b64 s[8:9], s[12:13]
; %bb.17438:
	s_mov_b32 s10, 0x7f800001
	s_xor_b64 s[4:5], exec, -1
; %bb.17439:
	s_or_b64 exec, exec, s[8:9]
	s_and_b64 s[4:5], s[4:5], exec
	s_or_saveexec_b64 s[6:7], s[6:7]
	v_mov_b32_e32 v6, s10
	s_xor_b64 exec, exec, s[6:7]
	s_cbranch_execnz .LBB2_17440
; %bb.53277:
	s_getpc_b64 s[14:15]
.Lpost_getpc30222:
	s_add_u32 s14, s14, (.LBB2_3102-.Lpost_getpc30222)&4294967295
	s_addc_u32 s15, s15, (.LBB2_3102-.Lpost_getpc30222)>>32
	s_setpc_b64 s[14:15]
.LBB2_17440:
	v_mov_b32_e32 v6, 0
	v_cmp_ne_u16_sdwa s[8:9], v2, v6 src0_sel:BYTE_3 src1_sel:DWORD
	s_andn2_b64 s[4:5], s[4:5], exec
	s_and_b64 s[8:9], s[8:9], exec
	s_or_b64 s[4:5], s[4:5], s[8:9]
	s_or_b64 exec, exec, s[6:7]
	s_and_saveexec_b64 s[6:7], s[4:5]
	s_cbranch_execz .LBB2_30223
; %bb.53279:
	s_getpc_b64 s[14:15]
.Lpost_getpc30223:
	s_add_u32 s14, s14, (.LBB2_3103-.Lpost_getpc30223)&4294967295
	s_addc_u32 s15, s15, (.LBB2_3103-.Lpost_getpc30223)>>32
	s_setpc_b64 s[14:15]
.LBB2_30223:
	s_getpc_b64 s[14:15]
.Lpost_getpc18695:
	s_add_u32 s14, s14, (.LBB2_3104-.Lpost_getpc18695)&4294967295
	s_addc_u32 s15, s15, (.LBB2_3104-.Lpost_getpc18695)>>32
	s_setpc_b64 s[14:15]
.LBB2_17441:
	s_movk_i32 s4, 0x80
	v_cmp_eq_u16_sdwa s[12:13], v7, s4 src0_sel:BYTE_0 src1_sel:DWORD
	s_mov_b64 s[4:5], -1
                                        ; implicit-def: $sgpr10
	s_and_saveexec_b64 s[8:9], s[12:13]
; %bb.17442:
	s_mov_b32 s10, 0x7f800001
	s_xor_b64 s[4:5], exec, -1
; %bb.17443:
	s_or_b64 exec, exec, s[8:9]
	s_and_b64 s[4:5], s[4:5], exec
	s_or_saveexec_b64 s[6:7], s[6:7]
	v_mov_b32_e32 v2, s10
	s_xor_b64 exec, exec, s[6:7]
	s_cbranch_execnz .LBB2_17444
; %bb.53281:
	s_getpc_b64 s[14:15]
.Lpost_getpc30224:
	s_add_u32 s14, s14, (.LBB2_3106-.Lpost_getpc30224)&4294967295
	s_addc_u32 s15, s15, (.LBB2_3106-.Lpost_getpc30224)>>32
	s_setpc_b64 s[14:15]
.LBB2_17444:
	v_mov_b32_e32 v2, 0
	v_cmp_ne_u16_sdwa s[8:9], v7, v2 src0_sel:BYTE_0 src1_sel:DWORD
	s_andn2_b64 s[4:5], s[4:5], exec
	s_and_b64 s[8:9], s[8:9], exec
	s_or_b64 s[4:5], s[4:5], s[8:9]
	s_or_b64 exec, exec, s[6:7]
	s_and_saveexec_b64 s[6:7], s[4:5]
	s_cbranch_execz .LBB2_30225
; %bb.53283:
	s_getpc_b64 s[14:15]
.Lpost_getpc30225:
	s_add_u32 s14, s14, (.LBB2_3107-.Lpost_getpc30225)&4294967295
	s_addc_u32 s15, s15, (.LBB2_3107-.Lpost_getpc30225)>>32
	s_setpc_b64 s[14:15]
.LBB2_30225:
	s_getpc_b64 s[14:15]
.Lpost_getpc18696:
	s_add_u32 s14, s14, (.LBB2_3108-.Lpost_getpc18696)&4294967295
	s_addc_u32 s15, s15, (.LBB2_3108-.Lpost_getpc18696)>>32
	s_setpc_b64 s[14:15]
.LBB2_17445:
	s_movk_i32 s4, 0x80
	v_cmp_eq_u16_sdwa s[12:13], v3, s4 src0_sel:BYTE_0 src1_sel:DWORD
	s_mov_b64 s[4:5], -1
                                        ; implicit-def: $sgpr10
	s_and_saveexec_b64 s[8:9], s[12:13]
; %bb.17446:
	s_mov_b32 s10, 0x7f800001
	s_xor_b64 s[4:5], exec, -1
; %bb.17447:
	s_or_b64 exec, exec, s[8:9]
	s_and_b64 s[4:5], s[4:5], exec
	s_or_saveexec_b64 s[6:7], s[6:7]
	v_mov_b32_e32 v6, s10
	s_xor_b64 exec, exec, s[6:7]
	s_cbranch_execnz .LBB2_17448
; %bb.53285:
	s_getpc_b64 s[14:15]
.Lpost_getpc30226:
	s_add_u32 s14, s14, (.LBB2_3110-.Lpost_getpc30226)&4294967295
	s_addc_u32 s15, s15, (.LBB2_3110-.Lpost_getpc30226)>>32
	s_setpc_b64 s[14:15]
.LBB2_17448:
	v_mov_b32_e32 v6, 0
	v_cmp_ne_u16_sdwa s[8:9], v3, v6 src0_sel:BYTE_0 src1_sel:DWORD
	s_andn2_b64 s[4:5], s[4:5], exec
	s_and_b64 s[8:9], s[8:9], exec
	s_or_b64 s[4:5], s[4:5], s[8:9]
	s_or_b64 exec, exec, s[6:7]
	s_and_saveexec_b64 s[6:7], s[4:5]
	s_cbranch_execz .LBB2_30227
; %bb.53287:
	s_getpc_b64 s[14:15]
.Lpost_getpc30227:
	s_add_u32 s14, s14, (.LBB2_3111-.Lpost_getpc30227)&4294967295
	s_addc_u32 s15, s15, (.LBB2_3111-.Lpost_getpc30227)>>32
	s_setpc_b64 s[14:15]
.LBB2_30227:
	s_getpc_b64 s[14:15]
.Lpost_getpc18697:
	s_add_u32 s14, s14, (.LBB2_3112-.Lpost_getpc18697)&4294967295
	s_addc_u32 s15, s15, (.LBB2_3112-.Lpost_getpc18697)>>32
	s_setpc_b64 s[14:15]
.LBB2_17449:
	s_movk_i32 s4, 0x80
	v_cmp_eq_u16_sdwa s[12:13], v6, s4 src0_sel:BYTE_0 src1_sel:DWORD
	s_mov_b64 s[4:5], -1
                                        ; implicit-def: $sgpr10
	s_and_saveexec_b64 s[8:9], s[12:13]
; %bb.17450:
	s_mov_b32 s10, 0x7f800001
	s_xor_b64 s[4:5], exec, -1
; %bb.17451:
	s_or_b64 exec, exec, s[8:9]
	s_and_b64 s[4:5], s[4:5], exec
	s_or_saveexec_b64 s[6:7], s[6:7]
	v_mov_b32_e32 v2, s10
	s_xor_b64 exec, exec, s[6:7]
	s_cbranch_execnz .LBB2_17452
; %bb.53289:
	s_getpc_b64 s[14:15]
.Lpost_getpc30228:
	s_add_u32 s14, s14, (.LBB2_3114-.Lpost_getpc30228)&4294967295
	s_addc_u32 s15, s15, (.LBB2_3114-.Lpost_getpc30228)>>32
	s_setpc_b64 s[14:15]
.LBB2_17452:
	v_mov_b32_e32 v2, 0
	v_cmp_ne_u16_sdwa s[8:9], v6, v2 src0_sel:BYTE_0 src1_sel:DWORD
	s_andn2_b64 s[4:5], s[4:5], exec
	s_and_b64 s[8:9], s[8:9], exec
	s_or_b64 s[4:5], s[4:5], s[8:9]
	s_or_b64 exec, exec, s[6:7]
	s_and_saveexec_b64 s[6:7], s[4:5]
	s_cbranch_execz .LBB2_30229
; %bb.53291:
	s_getpc_b64 s[14:15]
.Lpost_getpc30229:
	s_add_u32 s14, s14, (.LBB2_3115-.Lpost_getpc30229)&4294967295
	s_addc_u32 s15, s15, (.LBB2_3115-.Lpost_getpc30229)>>32
	s_setpc_b64 s[14:15]
.LBB2_30229:
	s_getpc_b64 s[14:15]
.Lpost_getpc18698:
	s_add_u32 s14, s14, (.LBB2_3116-.Lpost_getpc18698)&4294967295
	s_addc_u32 s15, s15, (.LBB2_3116-.Lpost_getpc18698)>>32
	s_setpc_b64 s[14:15]
.LBB2_17453:
	s_movk_i32 s4, 0x80
	v_cmp_eq_u16_sdwa s[12:13], v6, s4 src0_sel:BYTE_0 src1_sel:DWORD
	s_mov_b64 s[4:5], -1
                                        ; implicit-def: $sgpr10
	s_and_saveexec_b64 s[8:9], s[12:13]
; %bb.17454:
	s_mov_b32 s10, 0x7f800001
	s_xor_b64 s[4:5], exec, -1
; %bb.17455:
	s_or_b64 exec, exec, s[8:9]
	s_and_b64 s[4:5], s[4:5], exec
	s_or_saveexec_b64 s[6:7], s[6:7]
	v_mov_b32_e32 v12, s10
	s_xor_b64 exec, exec, s[6:7]
	s_cbranch_execnz .LBB2_17456
; %bb.53293:
	s_getpc_b64 s[14:15]
.Lpost_getpc30230:
	s_add_u32 s14, s14, (.LBB2_3118-.Lpost_getpc30230)&4294967295
	s_addc_u32 s15, s15, (.LBB2_3118-.Lpost_getpc30230)>>32
	s_setpc_b64 s[14:15]
.LBB2_17456:
	v_mov_b32_e32 v12, 0
	v_cmp_ne_u16_sdwa s[8:9], v6, v12 src0_sel:BYTE_0 src1_sel:DWORD
	s_andn2_b64 s[4:5], s[4:5], exec
	s_and_b64 s[8:9], s[8:9], exec
	s_or_b64 s[4:5], s[4:5], s[8:9]
	s_or_b64 exec, exec, s[6:7]
	s_and_saveexec_b64 s[6:7], s[4:5]
	s_cbranch_execz .LBB2_30231
; %bb.53295:
	s_getpc_b64 s[14:15]
.Lpost_getpc30231:
	s_add_u32 s14, s14, (.LBB2_3119-.Lpost_getpc30231)&4294967295
	s_addc_u32 s15, s15, (.LBB2_3119-.Lpost_getpc30231)>>32
	s_setpc_b64 s[14:15]
.LBB2_30231:
	s_getpc_b64 s[14:15]
.Lpost_getpc18699:
	s_add_u32 s14, s14, (.LBB2_3120-.Lpost_getpc18699)&4294967295
	s_addc_u32 s15, s15, (.LBB2_3120-.Lpost_getpc18699)>>32
	s_setpc_b64 s[14:15]
.LBB2_17457:
	s_movk_i32 s4, 0x80
	v_cmp_eq_u16_e32 vcc, s4, v6
	s_mov_b64 s[4:5], -1
                                        ; implicit-def: $sgpr10
	s_and_saveexec_b64 s[8:9], vcc
; %bb.17458:
	s_mov_b32 s10, 0x7f800001
	s_xor_b64 s[4:5], exec, -1
; %bb.17459:
	s_or_b64 exec, exec, s[8:9]
	s_and_b64 s[4:5], s[4:5], exec
                                        ; implicit-def: $vgpr6
	s_or_saveexec_b64 s[6:7], s[6:7]
	v_mov_b32_e32 v2, s10
	s_xor_b64 exec, exec, s[6:7]
	s_cbranch_execnz .LBB2_17460
; %bb.53297:
	s_getpc_b64 s[14:15]
.Lpost_getpc30232:
	s_add_u32 s14, s14, (.LBB2_3122-.Lpost_getpc30232)&4294967295
	s_addc_u32 s15, s15, (.LBB2_3122-.Lpost_getpc30232)>>32
	s_setpc_b64 s[14:15]
.LBB2_17460:
	v_cmp_ne_u16_e32 vcc, 0, v6
	s_andn2_b64 s[4:5], s[4:5], exec
	s_and_b64 s[8:9], vcc, exec
	v_mov_b32_e32 v2, 0
	s_or_b64 s[4:5], s[4:5], s[8:9]
	s_or_b64 exec, exec, s[6:7]
	s_and_saveexec_b64 s[6:7], s[4:5]
	s_cbranch_execz .LBB2_30233
; %bb.53299:
	s_getpc_b64 s[14:15]
.Lpost_getpc30233:
	s_add_u32 s14, s14, (.LBB2_3123-.Lpost_getpc30233)&4294967295
	s_addc_u32 s15, s15, (.LBB2_3123-.Lpost_getpc30233)>>32
	s_setpc_b64 s[14:15]
.LBB2_30233:
	s_getpc_b64 s[14:15]
.Lpost_getpc18700:
	s_add_u32 s14, s14, (.LBB2_3124-.Lpost_getpc18700)&4294967295
	s_addc_u32 s15, s15, (.LBB2_3124-.Lpost_getpc18700)>>32
	s_setpc_b64 s[14:15]
.LBB2_17461:
	s_movk_i32 s4, 0x80
	v_cmp_eq_u16_e32 vcc, s4, v6
	s_mov_b64 s[4:5], -1
                                        ; implicit-def: $sgpr10
	s_and_saveexec_b64 s[8:9], vcc
; %bb.17462:
	s_mov_b32 s10, 0x7f800001
	s_xor_b64 s[4:5], exec, -1
; %bb.17463:
	s_or_b64 exec, exec, s[8:9]
	s_and_b64 s[4:5], s[4:5], exec
                                        ; implicit-def: $vgpr6
	s_or_saveexec_b64 s[6:7], s[6:7]
	v_mov_b32_e32 v12, s10
	s_xor_b64 exec, exec, s[6:7]
	s_cbranch_execnz .LBB2_17464
; %bb.53301:
	s_getpc_b64 s[14:15]
.Lpost_getpc30234:
	s_add_u32 s14, s14, (.LBB2_3126-.Lpost_getpc30234)&4294967295
	s_addc_u32 s15, s15, (.LBB2_3126-.Lpost_getpc30234)>>32
	s_setpc_b64 s[14:15]
.LBB2_17464:
	v_cmp_ne_u16_e32 vcc, 0, v6
	s_andn2_b64 s[4:5], s[4:5], exec
	s_and_b64 s[8:9], vcc, exec
	v_mov_b32_e32 v12, 0
	s_or_b64 s[4:5], s[4:5], s[8:9]
	s_or_b64 exec, exec, s[6:7]
	s_and_saveexec_b64 s[6:7], s[4:5]
	s_cbranch_execz .LBB2_30235
; %bb.53303:
	s_getpc_b64 s[14:15]
.Lpost_getpc30235:
	s_add_u32 s14, s14, (.LBB2_3127-.Lpost_getpc30235)&4294967295
	s_addc_u32 s15, s15, (.LBB2_3127-.Lpost_getpc30235)>>32
	s_setpc_b64 s[14:15]
.LBB2_30235:
	s_getpc_b64 s[14:15]
.Lpost_getpc18701:
	s_add_u32 s14, s14, (.LBB2_3128-.Lpost_getpc18701)&4294967295
	s_addc_u32 s15, s15, (.LBB2_3128-.Lpost_getpc18701)>>32
	s_setpc_b64 s[14:15]
.LBB2_17465:
	s_movk_i32 s4, 0x80
	v_cmp_eq_u16_sdwa s[12:13], v7, s4 src0_sel:BYTE_3 src1_sel:DWORD
	s_mov_b64 s[4:5], -1
                                        ; implicit-def: $sgpr10
	s_and_saveexec_b64 s[8:9], s[12:13]
; %bb.17466:
	s_mov_b32 s10, 0x7f800001
	s_xor_b64 s[4:5], exec, -1
; %bb.17467:
	s_or_b64 exec, exec, s[8:9]
	s_and_b64 s[4:5], s[4:5], exec
	s_or_saveexec_b64 s[6:7], s[6:7]
	v_mov_b32_e32 v2, s10
	s_xor_b64 exec, exec, s[6:7]
	s_cbranch_execnz .LBB2_17468
; %bb.53305:
	s_getpc_b64 s[14:15]
.Lpost_getpc30236:
	s_add_u32 s14, s14, (.LBB2_3130-.Lpost_getpc30236)&4294967295
	s_addc_u32 s15, s15, (.LBB2_3130-.Lpost_getpc30236)>>32
	s_setpc_b64 s[14:15]
.LBB2_17468:
	v_mov_b32_e32 v2, 0
	v_cmp_ne_u16_sdwa s[8:9], v7, v2 src0_sel:BYTE_3 src1_sel:DWORD
	s_andn2_b64 s[4:5], s[4:5], exec
	s_and_b64 s[8:9], s[8:9], exec
	s_or_b64 s[4:5], s[4:5], s[8:9]
	s_or_b64 exec, exec, s[6:7]
	s_and_saveexec_b64 s[6:7], s[4:5]
	s_cbranch_execz .LBB2_30237
; %bb.53307:
	s_getpc_b64 s[14:15]
.Lpost_getpc30237:
	s_add_u32 s14, s14, (.LBB2_3131-.Lpost_getpc30237)&4294967295
	s_addc_u32 s15, s15, (.LBB2_3131-.Lpost_getpc30237)>>32
	s_setpc_b64 s[14:15]
.LBB2_30237:
	s_getpc_b64 s[14:15]
.Lpost_getpc18702:
	s_add_u32 s14, s14, (.LBB2_3132-.Lpost_getpc18702)&4294967295
	s_addc_u32 s15, s15, (.LBB2_3132-.Lpost_getpc18702)>>32
	s_setpc_b64 s[14:15]
.LBB2_17469:
	s_movk_i32 s4, 0x80
	v_cmp_eq_u16_sdwa s[12:13], v3, s4 src0_sel:BYTE_3 src1_sel:DWORD
	s_mov_b64 s[4:5], -1
                                        ; implicit-def: $sgpr10
	s_and_saveexec_b64 s[8:9], s[12:13]
; %bb.17470:
	s_mov_b32 s10, 0x7f800001
	s_xor_b64 s[4:5], exec, -1
; %bb.17471:
	s_or_b64 exec, exec, s[8:9]
	s_and_b64 s[4:5], s[4:5], exec
	s_or_saveexec_b64 s[6:7], s[6:7]
	v_mov_b32_e32 v6, s10
	s_xor_b64 exec, exec, s[6:7]
	s_cbranch_execnz .LBB2_17472
; %bb.53309:
	s_getpc_b64 s[14:15]
.Lpost_getpc30238:
	s_add_u32 s14, s14, (.LBB2_3134-.Lpost_getpc30238)&4294967295
	s_addc_u32 s15, s15, (.LBB2_3134-.Lpost_getpc30238)>>32
	s_setpc_b64 s[14:15]
.LBB2_17472:
	v_mov_b32_e32 v6, 0
	v_cmp_ne_u16_sdwa s[8:9], v3, v6 src0_sel:BYTE_3 src1_sel:DWORD
	s_andn2_b64 s[4:5], s[4:5], exec
	s_and_b64 s[8:9], s[8:9], exec
	s_or_b64 s[4:5], s[4:5], s[8:9]
	s_or_b64 exec, exec, s[6:7]
	s_and_saveexec_b64 s[6:7], s[4:5]
	s_cbranch_execz .LBB2_30239
; %bb.53311:
	s_getpc_b64 s[14:15]
.Lpost_getpc30239:
	s_add_u32 s14, s14, (.LBB2_3135-.Lpost_getpc30239)&4294967295
	s_addc_u32 s15, s15, (.LBB2_3135-.Lpost_getpc30239)>>32
	s_setpc_b64 s[14:15]
.LBB2_30239:
	s_getpc_b64 s[14:15]
.Lpost_getpc18703:
	s_add_u32 s14, s14, (.LBB2_3136-.Lpost_getpc18703)&4294967295
	s_addc_u32 s15, s15, (.LBB2_3136-.Lpost_getpc18703)>>32
	s_setpc_b64 s[14:15]
.LBB2_17473:
	s_movk_i32 s4, 0x80
	v_cmp_eq_u16_sdwa s[12:13], v8, s4 src0_sel:BYTE_0 src1_sel:DWORD
	s_mov_b64 s[4:5], -1
                                        ; implicit-def: $sgpr10
	s_and_saveexec_b64 s[8:9], s[12:13]
; %bb.17474:
	s_mov_b32 s10, 0x7f800001
	s_xor_b64 s[4:5], exec, -1
; %bb.17475:
	s_or_b64 exec, exec, s[8:9]
	s_and_b64 s[4:5], s[4:5], exec
	s_or_saveexec_b64 s[6:7], s[6:7]
	v_mov_b32_e32 v2, s10
	s_xor_b64 exec, exec, s[6:7]
	s_cbranch_execnz .LBB2_17476
; %bb.53313:
	s_getpc_b64 s[14:15]
.Lpost_getpc30240:
	s_add_u32 s14, s14, (.LBB2_3138-.Lpost_getpc30240)&4294967295
	s_addc_u32 s15, s15, (.LBB2_3138-.Lpost_getpc30240)>>32
	s_setpc_b64 s[14:15]
.LBB2_17476:
	v_mov_b32_e32 v2, 0
	v_cmp_ne_u16_sdwa s[8:9], v8, v2 src0_sel:BYTE_0 src1_sel:DWORD
	s_andn2_b64 s[4:5], s[4:5], exec
	s_and_b64 s[8:9], s[8:9], exec
	s_or_b64 s[4:5], s[4:5], s[8:9]
	s_or_b64 exec, exec, s[6:7]
	s_and_saveexec_b64 s[6:7], s[4:5]
	s_cbranch_execz .LBB2_30241
; %bb.53315:
	s_getpc_b64 s[14:15]
.Lpost_getpc30241:
	s_add_u32 s14, s14, (.LBB2_3139-.Lpost_getpc30241)&4294967295
	s_addc_u32 s15, s15, (.LBB2_3139-.Lpost_getpc30241)>>32
	s_setpc_b64 s[14:15]
.LBB2_30241:
	s_getpc_b64 s[14:15]
.Lpost_getpc18704:
	s_add_u32 s14, s14, (.LBB2_3140-.Lpost_getpc18704)&4294967295
	s_addc_u32 s15, s15, (.LBB2_3140-.Lpost_getpc18704)>>32
	s_setpc_b64 s[14:15]
.LBB2_17477:
	s_movk_i32 s4, 0x80
	v_cmp_eq_u16_sdwa s[12:13], v4, s4 src0_sel:BYTE_0 src1_sel:DWORD
	s_mov_b64 s[4:5], -1
                                        ; implicit-def: $sgpr10
	s_and_saveexec_b64 s[8:9], s[12:13]
; %bb.17478:
	s_mov_b32 s10, 0x7f800001
	s_xor_b64 s[4:5], exec, -1
; %bb.17479:
	s_or_b64 exec, exec, s[8:9]
	s_and_b64 s[4:5], s[4:5], exec
	s_or_saveexec_b64 s[6:7], s[6:7]
	v_mov_b32_e32 v3, s10
	s_xor_b64 exec, exec, s[6:7]
	s_cbranch_execnz .LBB2_17480
; %bb.53317:
	s_getpc_b64 s[14:15]
.Lpost_getpc30242:
	s_add_u32 s14, s14, (.LBB2_3142-.Lpost_getpc30242)&4294967295
	s_addc_u32 s15, s15, (.LBB2_3142-.Lpost_getpc30242)>>32
	s_setpc_b64 s[14:15]
.LBB2_17480:
	v_mov_b32_e32 v3, 0
	v_cmp_ne_u16_sdwa s[8:9], v4, v3 src0_sel:BYTE_0 src1_sel:DWORD
	s_andn2_b64 s[4:5], s[4:5], exec
	s_and_b64 s[8:9], s[8:9], exec
	s_or_b64 s[4:5], s[4:5], s[8:9]
	s_or_b64 exec, exec, s[6:7]
	s_and_saveexec_b64 s[6:7], s[4:5]
	s_cbranch_execz .LBB2_30243
; %bb.53319:
	s_getpc_b64 s[14:15]
.Lpost_getpc30243:
	s_add_u32 s14, s14, (.LBB2_3143-.Lpost_getpc30243)&4294967295
	s_addc_u32 s15, s15, (.LBB2_3143-.Lpost_getpc30243)>>32
	s_setpc_b64 s[14:15]
.LBB2_30243:
	s_getpc_b64 s[14:15]
.Lpost_getpc18705:
	s_add_u32 s14, s14, (.LBB2_3144-.Lpost_getpc18705)&4294967295
	s_addc_u32 s15, s15, (.LBB2_3144-.Lpost_getpc18705)>>32
	s_setpc_b64 s[14:15]
.LBB2_17481:
	s_movk_i32 s4, 0x80
	v_cmp_eq_u16_sdwa s[12:13], v3, s4 src0_sel:BYTE_0 src1_sel:DWORD
	s_mov_b64 s[4:5], -1
                                        ; implicit-def: $sgpr10
	s_and_saveexec_b64 s[8:9], s[12:13]
; %bb.17482:
	s_mov_b32 s10, 0x7f800001
	s_xor_b64 s[4:5], exec, -1
; %bb.17483:
	s_or_b64 exec, exec, s[8:9]
	s_and_b64 s[4:5], s[4:5], exec
	s_or_saveexec_b64 s[6:7], s[6:7]
	v_mov_b32_e32 v2, s10
	s_xor_b64 exec, exec, s[6:7]
	s_cbranch_execnz .LBB2_17484
; %bb.53321:
	s_getpc_b64 s[14:15]
.Lpost_getpc30244:
	s_add_u32 s14, s14, (.LBB2_3146-.Lpost_getpc30244)&4294967295
	s_addc_u32 s15, s15, (.LBB2_3146-.Lpost_getpc30244)>>32
	s_setpc_b64 s[14:15]
.LBB2_17484:
	v_mov_b32_e32 v2, 0
	v_cmp_ne_u16_sdwa s[8:9], v3, v2 src0_sel:BYTE_0 src1_sel:DWORD
	s_andn2_b64 s[4:5], s[4:5], exec
	s_and_b64 s[8:9], s[8:9], exec
	s_or_b64 s[4:5], s[4:5], s[8:9]
	s_or_b64 exec, exec, s[6:7]
	s_and_saveexec_b64 s[6:7], s[4:5]
	s_cbranch_execz .LBB2_30245
; %bb.53323:
	s_getpc_b64 s[14:15]
.Lpost_getpc30245:
	s_add_u32 s14, s14, (.LBB2_3147-.Lpost_getpc30245)&4294967295
	s_addc_u32 s15, s15, (.LBB2_3147-.Lpost_getpc30245)>>32
	s_setpc_b64 s[14:15]
.LBB2_30245:
	s_getpc_b64 s[14:15]
.Lpost_getpc18706:
	s_add_u32 s14, s14, (.LBB2_3148-.Lpost_getpc18706)&4294967295
	s_addc_u32 s15, s15, (.LBB2_3148-.Lpost_getpc18706)>>32
	s_setpc_b64 s[14:15]
.LBB2_17485:
	s_movk_i32 s4, 0x80
	v_cmp_eq_u16_sdwa s[12:13], v3, s4 src0_sel:BYTE_0 src1_sel:DWORD
	s_mov_b64 s[4:5], -1
                                        ; implicit-def: $sgpr10
	s_and_saveexec_b64 s[8:9], s[12:13]
; %bb.17486:
	s_mov_b32 s10, 0x7f800001
	s_xor_b64 s[4:5], exec, -1
; %bb.17487:
	s_or_b64 exec, exec, s[8:9]
	s_and_b64 s[4:5], s[4:5], exec
	s_or_saveexec_b64 s[6:7], s[6:7]
	v_mov_b32_e32 v6, s10
	s_xor_b64 exec, exec, s[6:7]
	s_cbranch_execnz .LBB2_17488
; %bb.53325:
	s_getpc_b64 s[14:15]
.Lpost_getpc30246:
	s_add_u32 s14, s14, (.LBB2_3150-.Lpost_getpc30246)&4294967295
	s_addc_u32 s15, s15, (.LBB2_3150-.Lpost_getpc30246)>>32
	s_setpc_b64 s[14:15]
.LBB2_17488:
	v_mov_b32_e32 v6, 0
	v_cmp_ne_u16_sdwa s[8:9], v3, v6 src0_sel:BYTE_0 src1_sel:DWORD
	s_andn2_b64 s[4:5], s[4:5], exec
	s_and_b64 s[8:9], s[8:9], exec
	s_or_b64 s[4:5], s[4:5], s[8:9]
	s_or_b64 exec, exec, s[6:7]
	s_and_saveexec_b64 s[6:7], s[4:5]
	s_cbranch_execz .LBB2_30247
; %bb.53327:
	s_getpc_b64 s[14:15]
.Lpost_getpc30247:
	s_add_u32 s14, s14, (.LBB2_3151-.Lpost_getpc30247)&4294967295
	s_addc_u32 s15, s15, (.LBB2_3151-.Lpost_getpc30247)>>32
	s_setpc_b64 s[14:15]
.LBB2_30247:
	s_getpc_b64 s[14:15]
.Lpost_getpc18707:
	s_add_u32 s14, s14, (.LBB2_3152-.Lpost_getpc18707)&4294967295
	s_addc_u32 s15, s15, (.LBB2_3152-.Lpost_getpc18707)>>32
	s_setpc_b64 s[14:15]
.LBB2_17489:
	s_movk_i32 s4, 0x80
	v_cmp_eq_u16_e32 vcc, s4, v3
	s_mov_b64 s[4:5], -1
                                        ; implicit-def: $sgpr10
	s_and_saveexec_b64 s[8:9], vcc
; %bb.17490:
	s_mov_b32 s10, 0x7f800001
	s_xor_b64 s[4:5], exec, -1
; %bb.17491:
	s_or_b64 exec, exec, s[8:9]
	s_and_b64 s[4:5], s[4:5], exec
                                        ; implicit-def: $vgpr3
	s_or_saveexec_b64 s[6:7], s[6:7]
	v_mov_b32_e32 v2, s10
	s_xor_b64 exec, exec, s[6:7]
	s_cbranch_execnz .LBB2_17492
; %bb.53329:
	s_getpc_b64 s[14:15]
.Lpost_getpc30248:
	s_add_u32 s14, s14, (.LBB2_3154-.Lpost_getpc30248)&4294967295
	s_addc_u32 s15, s15, (.LBB2_3154-.Lpost_getpc30248)>>32
	s_setpc_b64 s[14:15]
.LBB2_17492:
	v_cmp_ne_u16_e32 vcc, 0, v3
	s_andn2_b64 s[4:5], s[4:5], exec
	s_and_b64 s[8:9], vcc, exec
	v_mov_b32_e32 v2, 0
	s_or_b64 s[4:5], s[4:5], s[8:9]
	s_or_b64 exec, exec, s[6:7]
	s_and_saveexec_b64 s[6:7], s[4:5]
	s_cbranch_execz .LBB2_30249
; %bb.53331:
	s_getpc_b64 s[14:15]
.Lpost_getpc30249:
	s_add_u32 s14, s14, (.LBB2_3155-.Lpost_getpc30249)&4294967295
	s_addc_u32 s15, s15, (.LBB2_3155-.Lpost_getpc30249)>>32
	s_setpc_b64 s[14:15]
.LBB2_30249:
	s_getpc_b64 s[14:15]
.Lpost_getpc18708:
	s_add_u32 s14, s14, (.LBB2_3156-.Lpost_getpc18708)&4294967295
	s_addc_u32 s15, s15, (.LBB2_3156-.Lpost_getpc18708)>>32
	s_setpc_b64 s[14:15]
.LBB2_17493:
	s_movk_i32 s4, 0x80
	v_cmp_eq_u16_e32 vcc, s4, v3
	s_mov_b64 s[4:5], -1
                                        ; implicit-def: $sgpr10
	s_and_saveexec_b64 s[8:9], vcc
; %bb.17494:
	s_mov_b32 s10, 0x7f800001
	s_xor_b64 s[4:5], exec, -1
; %bb.17495:
	s_or_b64 exec, exec, s[8:9]
	s_and_b64 s[4:5], s[4:5], exec
                                        ; implicit-def: $vgpr3
	s_or_saveexec_b64 s[6:7], s[6:7]
	v_mov_b32_e32 v6, s10
	s_xor_b64 exec, exec, s[6:7]
	s_cbranch_execnz .LBB2_17496
; %bb.53333:
	s_getpc_b64 s[14:15]
.Lpost_getpc30250:
	s_add_u32 s14, s14, (.LBB2_3158-.Lpost_getpc30250)&4294967295
	s_addc_u32 s15, s15, (.LBB2_3158-.Lpost_getpc30250)>>32
	s_setpc_b64 s[14:15]
.LBB2_17496:
	v_cmp_ne_u16_e32 vcc, 0, v3
	s_andn2_b64 s[4:5], s[4:5], exec
	s_and_b64 s[8:9], vcc, exec
	v_mov_b32_e32 v6, 0
	s_or_b64 s[4:5], s[4:5], s[8:9]
	s_or_b64 exec, exec, s[6:7]
	s_and_saveexec_b64 s[6:7], s[4:5]
	s_cbranch_execz .LBB2_30251
; %bb.53335:
	s_getpc_b64 s[14:15]
.Lpost_getpc30251:
	s_add_u32 s14, s14, (.LBB2_3159-.Lpost_getpc30251)&4294967295
	s_addc_u32 s15, s15, (.LBB2_3159-.Lpost_getpc30251)>>32
	s_setpc_b64 s[14:15]
.LBB2_30251:
	s_getpc_b64 s[14:15]
.Lpost_getpc18709:
	s_add_u32 s14, s14, (.LBB2_3160-.Lpost_getpc18709)&4294967295
	s_addc_u32 s15, s15, (.LBB2_3160-.Lpost_getpc18709)>>32
	s_setpc_b64 s[14:15]
.LBB2_17497:
	s_movk_i32 s4, 0x80
	v_cmp_eq_u16_sdwa s[12:13], v8, s4 src0_sel:BYTE_3 src1_sel:DWORD
	s_mov_b64 s[4:5], -1
                                        ; implicit-def: $sgpr10
	s_and_saveexec_b64 s[8:9], s[12:13]
; %bb.17498:
	s_mov_b32 s10, 0x7f800001
	s_xor_b64 s[4:5], exec, -1
; %bb.17499:
	s_or_b64 exec, exec, s[8:9]
	s_and_b64 s[4:5], s[4:5], exec
	s_or_saveexec_b64 s[6:7], s[6:7]
	v_mov_b32_e32 v2, s10
	s_xor_b64 exec, exec, s[6:7]
	s_cbranch_execnz .LBB2_17500
; %bb.53337:
	s_getpc_b64 s[14:15]
.Lpost_getpc30252:
	s_add_u32 s14, s14, (.LBB2_3162-.Lpost_getpc30252)&4294967295
	s_addc_u32 s15, s15, (.LBB2_3162-.Lpost_getpc30252)>>32
	s_setpc_b64 s[14:15]
.LBB2_17500:
	v_mov_b32_e32 v2, 0
	v_cmp_ne_u16_sdwa s[8:9], v8, v2 src0_sel:BYTE_3 src1_sel:DWORD
	s_andn2_b64 s[4:5], s[4:5], exec
	s_and_b64 s[8:9], s[8:9], exec
	s_or_b64 s[4:5], s[4:5], s[8:9]
	s_or_b64 exec, exec, s[6:7]
	s_and_saveexec_b64 s[6:7], s[4:5]
	s_cbranch_execz .LBB2_30253
; %bb.53339:
	s_getpc_b64 s[14:15]
.Lpost_getpc30253:
	s_add_u32 s14, s14, (.LBB2_3163-.Lpost_getpc30253)&4294967295
	s_addc_u32 s15, s15, (.LBB2_3163-.Lpost_getpc30253)>>32
	s_setpc_b64 s[14:15]
.LBB2_30253:
	s_getpc_b64 s[14:15]
.Lpost_getpc18710:
	s_add_u32 s14, s14, (.LBB2_3164-.Lpost_getpc18710)&4294967295
	s_addc_u32 s15, s15, (.LBB2_3164-.Lpost_getpc18710)>>32
	s_setpc_b64 s[14:15]
.LBB2_17501:
	s_movk_i32 s4, 0x80
	v_cmp_eq_u16_sdwa s[12:13], v4, s4 src0_sel:BYTE_3 src1_sel:DWORD
	s_mov_b64 s[4:5], -1
                                        ; implicit-def: $sgpr10
	s_and_saveexec_b64 s[8:9], s[12:13]
; %bb.17502:
	s_mov_b32 s10, 0x7f800001
	s_xor_b64 s[4:5], exec, -1
; %bb.17503:
	s_or_b64 exec, exec, s[8:9]
	s_and_b64 s[4:5], s[4:5], exec
	s_or_saveexec_b64 s[6:7], s[6:7]
	v_mov_b32_e32 v3, s10
	s_xor_b64 exec, exec, s[6:7]
	s_cbranch_execnz .LBB2_17504
; %bb.53341:
	s_getpc_b64 s[14:15]
.Lpost_getpc30254:
	s_add_u32 s14, s14, (.LBB2_3166-.Lpost_getpc30254)&4294967295
	s_addc_u32 s15, s15, (.LBB2_3166-.Lpost_getpc30254)>>32
	s_setpc_b64 s[14:15]
.LBB2_17504:
	v_mov_b32_e32 v3, 0
	v_cmp_ne_u16_sdwa s[8:9], v4, v3 src0_sel:BYTE_3 src1_sel:DWORD
	s_andn2_b64 s[4:5], s[4:5], exec
	s_and_b64 s[8:9], s[8:9], exec
	s_or_b64 s[4:5], s[4:5], s[8:9]
	s_or_b64 exec, exec, s[6:7]
	s_and_saveexec_b64 s[6:7], s[4:5]
	s_cbranch_execz .LBB2_30255
; %bb.53343:
	s_getpc_b64 s[14:15]
.Lpost_getpc30255:
	s_add_u32 s14, s14, (.LBB2_3167-.Lpost_getpc30255)&4294967295
	s_addc_u32 s15, s15, (.LBB2_3167-.Lpost_getpc30255)>>32
	s_setpc_b64 s[14:15]
.LBB2_30255:
	s_getpc_b64 s[14:15]
.Lpost_getpc18711:
	s_add_u32 s14, s14, (.LBB2_3168-.Lpost_getpc18711)&4294967295
	s_addc_u32 s15, s15, (.LBB2_3168-.Lpost_getpc18711)>>32
	s_setpc_b64 s[14:15]
.LBB2_17505:
	s_movk_i32 s4, 0x80
	v_cmp_eq_u16_sdwa s[12:13], v9, s4 src0_sel:BYTE_0 src1_sel:DWORD
	s_mov_b64 s[4:5], -1
                                        ; implicit-def: $sgpr10
	s_and_saveexec_b64 s[8:9], s[12:13]
; %bb.17506:
	s_mov_b32 s10, 0x7f800001
	s_xor_b64 s[4:5], exec, -1
; %bb.17507:
	s_or_b64 exec, exec, s[8:9]
	s_and_b64 s[4:5], s[4:5], exec
	s_or_saveexec_b64 s[6:7], s[6:7]
	v_mov_b32_e32 v2, s10
	s_xor_b64 exec, exec, s[6:7]
	s_cbranch_execnz .LBB2_17508
; %bb.53345:
	s_getpc_b64 s[14:15]
.Lpost_getpc30256:
	s_add_u32 s14, s14, (.LBB2_3170-.Lpost_getpc30256)&4294967295
	s_addc_u32 s15, s15, (.LBB2_3170-.Lpost_getpc30256)>>32
	s_setpc_b64 s[14:15]
.LBB2_17508:
	v_mov_b32_e32 v2, 0
	v_cmp_ne_u16_sdwa s[8:9], v9, v2 src0_sel:BYTE_0 src1_sel:DWORD
	s_andn2_b64 s[4:5], s[4:5], exec
	s_and_b64 s[8:9], s[8:9], exec
	s_or_b64 s[4:5], s[4:5], s[8:9]
	s_or_b64 exec, exec, s[6:7]
	s_and_saveexec_b64 s[6:7], s[4:5]
	s_cbranch_execz .LBB2_30257
; %bb.53347:
	s_getpc_b64 s[14:15]
.Lpost_getpc30257:
	s_add_u32 s14, s14, (.LBB2_3171-.Lpost_getpc30257)&4294967295
	s_addc_u32 s15, s15, (.LBB2_3171-.Lpost_getpc30257)>>32
	s_setpc_b64 s[14:15]
.LBB2_30257:
	s_getpc_b64 s[14:15]
.Lpost_getpc18712:
	s_add_u32 s14, s14, (.LBB2_3172-.Lpost_getpc18712)&4294967295
	s_addc_u32 s15, s15, (.LBB2_3172-.Lpost_getpc18712)>>32
	s_setpc_b64 s[14:15]
.LBB2_17509:
	s_movk_i32 s4, 0x80
	v_cmp_eq_u16_sdwa s[12:13], v5, s4 src0_sel:BYTE_0 src1_sel:DWORD
	s_mov_b64 s[4:5], -1
                                        ; implicit-def: $sgpr10
	s_and_saveexec_b64 s[8:9], s[12:13]
; %bb.17510:
	s_mov_b32 s10, 0x7f800001
	s_xor_b64 s[4:5], exec, -1
; %bb.17511:
	s_or_b64 exec, exec, s[8:9]
	s_and_b64 s[4:5], s[4:5], exec
	s_or_saveexec_b64 s[6:7], s[6:7]
	v_mov_b32_e32 v3, s10
	s_xor_b64 exec, exec, s[6:7]
	s_cbranch_execnz .LBB2_17512
; %bb.53349:
	s_getpc_b64 s[14:15]
.Lpost_getpc30258:
	s_add_u32 s14, s14, (.LBB2_3174-.Lpost_getpc30258)&4294967295
	s_addc_u32 s15, s15, (.LBB2_3174-.Lpost_getpc30258)>>32
	s_setpc_b64 s[14:15]
.LBB2_17512:
	v_mov_b32_e32 v3, 0
	v_cmp_ne_u16_sdwa s[8:9], v5, v3 src0_sel:BYTE_0 src1_sel:DWORD
	s_andn2_b64 s[4:5], s[4:5], exec
	s_and_b64 s[8:9], s[8:9], exec
	s_or_b64 s[4:5], s[4:5], s[8:9]
	s_or_b64 exec, exec, s[6:7]
	s_and_saveexec_b64 s[6:7], s[4:5]
	s_cbranch_execz .LBB2_30259
; %bb.53351:
	s_getpc_b64 s[14:15]
.Lpost_getpc30259:
	s_add_u32 s14, s14, (.LBB2_3175-.Lpost_getpc30259)&4294967295
	s_addc_u32 s15, s15, (.LBB2_3175-.Lpost_getpc30259)>>32
	s_setpc_b64 s[14:15]
.LBB2_30259:
	s_getpc_b64 s[14:15]
.Lpost_getpc18713:
	s_add_u32 s14, s14, (.LBB2_3176-.Lpost_getpc18713)&4294967295
	s_addc_u32 s15, s15, (.LBB2_3176-.Lpost_getpc18713)>>32
	s_setpc_b64 s[14:15]
.LBB2_17513:
	s_movk_i32 s4, 0x80
	v_cmp_eq_u16_sdwa s[12:13], v3, s4 src0_sel:BYTE_0 src1_sel:DWORD
	s_mov_b64 s[4:5], -1
                                        ; implicit-def: $sgpr10
	s_and_saveexec_b64 s[8:9], s[12:13]
; %bb.17514:
	s_mov_b32 s10, 0x7f800001
	s_xor_b64 s[4:5], exec, -1
; %bb.17515:
	s_or_b64 exec, exec, s[8:9]
	s_and_b64 s[4:5], s[4:5], exec
	s_or_saveexec_b64 s[6:7], s[6:7]
	v_mov_b32_e32 v2, s10
	s_xor_b64 exec, exec, s[6:7]
	s_cbranch_execnz .LBB2_17516
; %bb.53353:
	s_getpc_b64 s[14:15]
.Lpost_getpc30260:
	s_add_u32 s14, s14, (.LBB2_3178-.Lpost_getpc30260)&4294967295
	s_addc_u32 s15, s15, (.LBB2_3178-.Lpost_getpc30260)>>32
	s_setpc_b64 s[14:15]
.LBB2_17516:
	v_mov_b32_e32 v2, 0
	v_cmp_ne_u16_sdwa s[8:9], v3, v2 src0_sel:BYTE_0 src1_sel:DWORD
	s_andn2_b64 s[4:5], s[4:5], exec
	s_and_b64 s[8:9], s[8:9], exec
	s_or_b64 s[4:5], s[4:5], s[8:9]
	s_or_b64 exec, exec, s[6:7]
	s_and_saveexec_b64 s[6:7], s[4:5]
	s_cbranch_execz .LBB2_30261
; %bb.53355:
	s_getpc_b64 s[14:15]
.Lpost_getpc30261:
	s_add_u32 s14, s14, (.LBB2_3179-.Lpost_getpc30261)&4294967295
	s_addc_u32 s15, s15, (.LBB2_3179-.Lpost_getpc30261)>>32
	s_setpc_b64 s[14:15]
.LBB2_30261:
	s_getpc_b64 s[14:15]
.Lpost_getpc18714:
	s_add_u32 s14, s14, (.LBB2_3180-.Lpost_getpc18714)&4294967295
	s_addc_u32 s15, s15, (.LBB2_3180-.Lpost_getpc18714)>>32
	s_setpc_b64 s[14:15]
.LBB2_17517:
	s_movk_i32 s4, 0x80
	v_cmp_eq_u16_sdwa s[12:13], v3, s4 src0_sel:BYTE_0 src1_sel:DWORD
	s_mov_b64 s[4:5], -1
                                        ; implicit-def: $sgpr10
	s_and_saveexec_b64 s[8:9], s[12:13]
; %bb.17518:
	s_mov_b32 s10, 0x7f800001
	s_xor_b64 s[4:5], exec, -1
; %bb.17519:
	s_or_b64 exec, exec, s[8:9]
	s_and_b64 s[4:5], s[4:5], exec
	s_or_saveexec_b64 s[6:7], s[6:7]
	v_mov_b32_e32 v4, s10
	s_xor_b64 exec, exec, s[6:7]
	s_cbranch_execnz .LBB2_17520
; %bb.53357:
	s_getpc_b64 s[14:15]
.Lpost_getpc30262:
	s_add_u32 s14, s14, (.LBB2_3182-.Lpost_getpc30262)&4294967295
	s_addc_u32 s15, s15, (.LBB2_3182-.Lpost_getpc30262)>>32
	s_setpc_b64 s[14:15]
.LBB2_17520:
	v_mov_b32_e32 v4, 0
	v_cmp_ne_u16_sdwa s[8:9], v3, v4 src0_sel:BYTE_0 src1_sel:DWORD
	s_andn2_b64 s[4:5], s[4:5], exec
	s_and_b64 s[8:9], s[8:9], exec
	s_or_b64 s[4:5], s[4:5], s[8:9]
	s_or_b64 exec, exec, s[6:7]
	s_and_saveexec_b64 s[6:7], s[4:5]
	s_cbranch_execz .LBB2_30263
; %bb.53359:
	s_getpc_b64 s[14:15]
.Lpost_getpc30263:
	s_add_u32 s14, s14, (.LBB2_3183-.Lpost_getpc30263)&4294967295
	s_addc_u32 s15, s15, (.LBB2_3183-.Lpost_getpc30263)>>32
	s_setpc_b64 s[14:15]
.LBB2_30263:
	s_getpc_b64 s[14:15]
.Lpost_getpc18715:
	s_add_u32 s14, s14, (.LBB2_3184-.Lpost_getpc18715)&4294967295
	s_addc_u32 s15, s15, (.LBB2_3184-.Lpost_getpc18715)>>32
	s_setpc_b64 s[14:15]
.LBB2_17521:
	s_movk_i32 s4, 0x80
	v_cmp_eq_u16_e32 vcc, s4, v3
	s_mov_b64 s[4:5], -1
                                        ; implicit-def: $sgpr10
	s_and_saveexec_b64 s[8:9], vcc
; %bb.17522:
	s_mov_b32 s10, 0x7f800001
	s_xor_b64 s[4:5], exec, -1
; %bb.17523:
	s_or_b64 exec, exec, s[8:9]
	s_and_b64 s[4:5], s[4:5], exec
                                        ; implicit-def: $vgpr3
	s_or_saveexec_b64 s[6:7], s[6:7]
	v_mov_b32_e32 v2, s10
	s_xor_b64 exec, exec, s[6:7]
	s_cbranch_execnz .LBB2_17524
; %bb.53361:
	s_getpc_b64 s[14:15]
.Lpost_getpc30264:
	s_add_u32 s14, s14, (.LBB2_3186-.Lpost_getpc30264)&4294967295
	s_addc_u32 s15, s15, (.LBB2_3186-.Lpost_getpc30264)>>32
	s_setpc_b64 s[14:15]
.LBB2_17524:
	v_cmp_ne_u16_e32 vcc, 0, v3
	s_andn2_b64 s[4:5], s[4:5], exec
	s_and_b64 s[8:9], vcc, exec
	v_mov_b32_e32 v2, 0
	s_or_b64 s[4:5], s[4:5], s[8:9]
	s_or_b64 exec, exec, s[6:7]
	s_and_saveexec_b64 s[6:7], s[4:5]
	s_cbranch_execz .LBB2_30265
; %bb.53363:
	s_getpc_b64 s[14:15]
.Lpost_getpc30265:
	s_add_u32 s14, s14, (.LBB2_3187-.Lpost_getpc30265)&4294967295
	s_addc_u32 s15, s15, (.LBB2_3187-.Lpost_getpc30265)>>32
	s_setpc_b64 s[14:15]
.LBB2_30265:
	s_getpc_b64 s[14:15]
.Lpost_getpc18716:
	s_add_u32 s14, s14, (.LBB2_3188-.Lpost_getpc18716)&4294967295
	s_addc_u32 s15, s15, (.LBB2_3188-.Lpost_getpc18716)>>32
	s_setpc_b64 s[14:15]
.LBB2_17525:
	s_movk_i32 s4, 0x80
	v_cmp_eq_u16_e32 vcc, s4, v3
	s_mov_b64 s[4:5], -1
                                        ; implicit-def: $sgpr10
	s_and_saveexec_b64 s[8:9], vcc
; %bb.17526:
	s_mov_b32 s10, 0x7f800001
	s_xor_b64 s[4:5], exec, -1
; %bb.17527:
	s_or_b64 exec, exec, s[8:9]
	s_and_b64 s[4:5], s[4:5], exec
                                        ; implicit-def: $vgpr3
	s_or_saveexec_b64 s[6:7], s[6:7]
	v_mov_b32_e32 v4, s10
	s_xor_b64 exec, exec, s[6:7]
	s_cbranch_execnz .LBB2_17528
; %bb.53365:
	s_getpc_b64 s[14:15]
.Lpost_getpc30266:
	s_add_u32 s14, s14, (.LBB2_3190-.Lpost_getpc30266)&4294967295
	s_addc_u32 s15, s15, (.LBB2_3190-.Lpost_getpc30266)>>32
	s_setpc_b64 s[14:15]
.LBB2_17528:
	v_cmp_ne_u16_e32 vcc, 0, v3
	s_andn2_b64 s[4:5], s[4:5], exec
	s_and_b64 s[8:9], vcc, exec
	v_mov_b32_e32 v4, 0
	s_or_b64 s[4:5], s[4:5], s[8:9]
	s_or_b64 exec, exec, s[6:7]
	s_and_saveexec_b64 s[6:7], s[4:5]
	s_cbranch_execz .LBB2_30267
; %bb.53367:
	s_getpc_b64 s[14:15]
.Lpost_getpc30267:
	s_add_u32 s14, s14, (.LBB2_3191-.Lpost_getpc30267)&4294967295
	s_addc_u32 s15, s15, (.LBB2_3191-.Lpost_getpc30267)>>32
	s_setpc_b64 s[14:15]
.LBB2_30267:
	s_getpc_b64 s[14:15]
.Lpost_getpc18717:
	s_add_u32 s14, s14, (.LBB2_3192-.Lpost_getpc18717)&4294967295
	s_addc_u32 s15, s15, (.LBB2_3192-.Lpost_getpc18717)>>32
	s_setpc_b64 s[14:15]
.LBB2_17529:
	s_movk_i32 s4, 0x80
	v_cmp_eq_u16_sdwa s[12:13], v9, s4 src0_sel:BYTE_3 src1_sel:DWORD
	s_mov_b64 s[4:5], -1
                                        ; implicit-def: $sgpr10
	s_and_saveexec_b64 s[8:9], s[12:13]
; %bb.17530:
	s_mov_b32 s10, 0x7f800001
	s_xor_b64 s[4:5], exec, -1
; %bb.17531:
	s_or_b64 exec, exec, s[8:9]
	s_and_b64 s[4:5], s[4:5], exec
	s_or_saveexec_b64 s[6:7], s[6:7]
	v_mov_b32_e32 v2, s10
	s_xor_b64 exec, exec, s[6:7]
	s_cbranch_execnz .LBB2_17532
; %bb.53369:
	s_getpc_b64 s[14:15]
.Lpost_getpc30268:
	s_add_u32 s14, s14, (.LBB2_3194-.Lpost_getpc30268)&4294967295
	s_addc_u32 s15, s15, (.LBB2_3194-.Lpost_getpc30268)>>32
	s_setpc_b64 s[14:15]
.LBB2_17532:
	v_mov_b32_e32 v2, 0
	v_cmp_ne_u16_sdwa s[8:9], v9, v2 src0_sel:BYTE_3 src1_sel:DWORD
	s_andn2_b64 s[4:5], s[4:5], exec
	s_and_b64 s[8:9], s[8:9], exec
	s_or_b64 s[4:5], s[4:5], s[8:9]
	s_or_b64 exec, exec, s[6:7]
	s_and_saveexec_b64 s[6:7], s[4:5]
	s_cbranch_execz .LBB2_30269
; %bb.53371:
	s_getpc_b64 s[14:15]
.Lpost_getpc30269:
	s_add_u32 s14, s14, (.LBB2_3195-.Lpost_getpc30269)&4294967295
	s_addc_u32 s15, s15, (.LBB2_3195-.Lpost_getpc30269)>>32
	s_setpc_b64 s[14:15]
.LBB2_30269:
	s_getpc_b64 s[14:15]
.Lpost_getpc18718:
	s_add_u32 s14, s14, (.LBB2_3196-.Lpost_getpc18718)&4294967295
	s_addc_u32 s15, s15, (.LBB2_3196-.Lpost_getpc18718)>>32
	s_setpc_b64 s[14:15]
.LBB2_17533:
	s_movk_i32 s4, 0x80
	v_cmp_eq_u16_sdwa s[12:13], v5, s4 src0_sel:BYTE_3 src1_sel:DWORD
	s_mov_b64 s[4:5], -1
                                        ; implicit-def: $sgpr10
	s_and_saveexec_b64 s[8:9], s[12:13]
; %bb.17534:
	s_mov_b32 s10, 0x7f800001
	s_xor_b64 s[4:5], exec, -1
; %bb.17535:
	s_or_b64 exec, exec, s[8:9]
	s_and_b64 s[4:5], s[4:5], exec
	s_or_saveexec_b64 s[6:7], s[6:7]
	v_mov_b32_e32 v3, s10
	s_xor_b64 exec, exec, s[6:7]
	s_cbranch_execnz .LBB2_17536
; %bb.53373:
	s_getpc_b64 s[14:15]
.Lpost_getpc30270:
	s_add_u32 s14, s14, (.LBB2_3198-.Lpost_getpc30270)&4294967295
	s_addc_u32 s15, s15, (.LBB2_3198-.Lpost_getpc30270)>>32
	s_setpc_b64 s[14:15]
.LBB2_17536:
	v_mov_b32_e32 v3, 0
	v_cmp_ne_u16_sdwa s[8:9], v5, v3 src0_sel:BYTE_3 src1_sel:DWORD
	s_andn2_b64 s[4:5], s[4:5], exec
	s_and_b64 s[8:9], s[8:9], exec
	s_or_b64 s[4:5], s[4:5], s[8:9]
	s_or_b64 exec, exec, s[6:7]
	s_and_saveexec_b64 s[6:7], s[4:5]
	s_cbranch_execz .LBB2_30271
; %bb.53375:
	s_getpc_b64 s[14:15]
.Lpost_getpc30271:
	s_add_u32 s14, s14, (.LBB2_3199-.Lpost_getpc30271)&4294967295
	s_addc_u32 s15, s15, (.LBB2_3199-.Lpost_getpc30271)>>32
	s_setpc_b64 s[14:15]
.LBB2_30271:
	s_getpc_b64 s[14:15]
.Lpost_getpc18719:
	s_add_u32 s14, s14, (.LBB2_3200-.Lpost_getpc18719)&4294967295
	s_addc_u32 s15, s15, (.LBB2_3200-.Lpost_getpc18719)>>32
	s_setpc_b64 s[14:15]
.LBB2_17537:
	s_movk_i32 s4, 0x80
	v_cmp_eq_u16_sdwa s[12:13], v6, s4 src0_sel:BYTE_0 src1_sel:DWORD
	s_mov_b64 s[4:5], -1
                                        ; implicit-def: $sgpr10
	s_and_saveexec_b64 s[8:9], s[12:13]
; %bb.17538:
	s_mov_b32 s10, 0x7f800001
	s_xor_b64 s[4:5], exec, -1
; %bb.17539:
	s_or_b64 exec, exec, s[8:9]
	s_and_b64 s[4:5], s[4:5], exec
	s_or_saveexec_b64 s[6:7], s[6:7]
	v_mov_b32_e32 v12, s10
	s_xor_b64 exec, exec, s[6:7]
	s_cbranch_execnz .LBB2_17540
; %bb.53377:
	s_getpc_b64 s[14:15]
.Lpost_getpc30272:
	s_add_u32 s14, s14, (.LBB2_3202-.Lpost_getpc30272)&4294967295
	s_addc_u32 s15, s15, (.LBB2_3202-.Lpost_getpc30272)>>32
	s_setpc_b64 s[14:15]
.LBB2_17540:
	v_mov_b32_e32 v12, 0
	v_cmp_ne_u16_sdwa s[8:9], v6, v12 src0_sel:BYTE_0 src1_sel:DWORD
	s_andn2_b64 s[4:5], s[4:5], exec
	s_and_b64 s[8:9], s[8:9], exec
	s_or_b64 s[4:5], s[4:5], s[8:9]
	s_or_b64 exec, exec, s[6:7]
	s_and_saveexec_b64 s[6:7], s[4:5]
	s_cbranch_execz .LBB2_30273
; %bb.53379:
	s_getpc_b64 s[14:15]
.Lpost_getpc30273:
	s_add_u32 s14, s14, (.LBB2_3203-.Lpost_getpc30273)&4294967295
	s_addc_u32 s15, s15, (.LBB2_3203-.Lpost_getpc30273)>>32
	s_setpc_b64 s[14:15]
.LBB2_30273:
	s_getpc_b64 s[14:15]
.Lpost_getpc18720:
	s_add_u32 s14, s14, (.LBB2_3204-.Lpost_getpc18720)&4294967295
	s_addc_u32 s15, s15, (.LBB2_3204-.Lpost_getpc18720)>>32
	s_setpc_b64 s[14:15]
.LBB2_17541:
	s_movk_i32 s4, 0x80
	v_cmp_eq_u16_sdwa s[12:13], v2, s4 src0_sel:BYTE_0 src1_sel:DWORD
	s_mov_b64 s[4:5], -1
                                        ; implicit-def: $sgpr10
	s_and_saveexec_b64 s[8:9], s[12:13]
; %bb.17542:
	s_mov_b32 s10, 0x7f800001
	s_xor_b64 s[4:5], exec, -1
; %bb.17543:
	s_or_b64 exec, exec, s[8:9]
	s_and_b64 s[4:5], s[4:5], exec
	s_or_saveexec_b64 s[6:7], s[6:7]
	v_mov_b32_e32 v13, s10
	s_xor_b64 exec, exec, s[6:7]
	s_cbranch_execnz .LBB2_17544
; %bb.53381:
	s_getpc_b64 s[14:15]
.Lpost_getpc30274:
	s_add_u32 s14, s14, (.LBB2_3206-.Lpost_getpc30274)&4294967295
	s_addc_u32 s15, s15, (.LBB2_3206-.Lpost_getpc30274)>>32
	s_setpc_b64 s[14:15]
.LBB2_17544:
	v_mov_b32_e32 v13, 0
	v_cmp_ne_u16_sdwa s[8:9], v2, v13 src0_sel:BYTE_0 src1_sel:DWORD
	s_andn2_b64 s[4:5], s[4:5], exec
	s_and_b64 s[8:9], s[8:9], exec
	s_or_b64 s[4:5], s[4:5], s[8:9]
	s_or_b64 exec, exec, s[6:7]
	s_and_saveexec_b64 s[6:7], s[4:5]
	s_cbranch_execz .LBB2_30275
; %bb.53383:
	s_getpc_b64 s[14:15]
.Lpost_getpc30275:
	s_add_u32 s14, s14, (.LBB2_3207-.Lpost_getpc30275)&4294967295
	s_addc_u32 s15, s15, (.LBB2_3207-.Lpost_getpc30275)>>32
	s_setpc_b64 s[14:15]
.LBB2_30275:
	s_getpc_b64 s[14:15]
.Lpost_getpc18721:
	s_add_u32 s14, s14, (.LBB2_3208-.Lpost_getpc18721)&4294967295
	s_addc_u32 s15, s15, (.LBB2_3208-.Lpost_getpc18721)>>32
	s_setpc_b64 s[14:15]
.LBB2_17545:
	s_movk_i32 s4, 0x80
	v_cmp_eq_u16_sdwa s[12:13], v13, s4 src0_sel:BYTE_0 src1_sel:DWORD
	s_mov_b64 s[4:5], -1
                                        ; implicit-def: $sgpr10
	s_and_saveexec_b64 s[8:9], s[12:13]
; %bb.17546:
	s_mov_b32 s10, 0x7f800001
	s_xor_b64 s[4:5], exec, -1
; %bb.17547:
	s_or_b64 exec, exec, s[8:9]
	s_and_b64 s[4:5], s[4:5], exec
	s_or_saveexec_b64 s[6:7], s[6:7]
	v_mov_b32_e32 v12, s10
	s_xor_b64 exec, exec, s[6:7]
	s_cbranch_execnz .LBB2_17548
; %bb.53385:
	s_getpc_b64 s[14:15]
.Lpost_getpc30276:
	s_add_u32 s14, s14, (.LBB2_3210-.Lpost_getpc30276)&4294967295
	s_addc_u32 s15, s15, (.LBB2_3210-.Lpost_getpc30276)>>32
	s_setpc_b64 s[14:15]
.LBB2_17548:
	v_mov_b32_e32 v12, 0
	v_cmp_ne_u16_sdwa s[8:9], v13, v12 src0_sel:BYTE_0 src1_sel:DWORD
	s_andn2_b64 s[4:5], s[4:5], exec
	s_and_b64 s[8:9], s[8:9], exec
	s_or_b64 s[4:5], s[4:5], s[8:9]
	s_or_b64 exec, exec, s[6:7]
	s_and_saveexec_b64 s[6:7], s[4:5]
	s_cbranch_execz .LBB2_30277
; %bb.53387:
	s_getpc_b64 s[14:15]
.Lpost_getpc30277:
	s_add_u32 s14, s14, (.LBB2_3211-.Lpost_getpc30277)&4294967295
	s_addc_u32 s15, s15, (.LBB2_3211-.Lpost_getpc30277)>>32
	s_setpc_b64 s[14:15]
.LBB2_30277:
	s_getpc_b64 s[14:15]
.Lpost_getpc18722:
	s_add_u32 s14, s14, (.LBB2_3212-.Lpost_getpc18722)&4294967295
	s_addc_u32 s15, s15, (.LBB2_3212-.Lpost_getpc18722)>>32
	s_setpc_b64 s[14:15]
.LBB2_17549:
	s_movk_i32 s4, 0x80
	v_cmp_eq_u16_sdwa s[12:13], v13, s4 src0_sel:BYTE_0 src1_sel:DWORD
	s_mov_b64 s[4:5], -1
                                        ; implicit-def: $sgpr10
	s_and_saveexec_b64 s[8:9], s[12:13]
; %bb.17550:
	s_mov_b32 s10, 0x7f800001
	s_xor_b64 s[4:5], exec, -1
; %bb.17551:
	s_or_b64 exec, exec, s[8:9]
	s_and_b64 s[4:5], s[4:5], exec
	s_or_saveexec_b64 s[6:7], s[6:7]
	v_mov_b32_e32 v14, s10
	s_xor_b64 exec, exec, s[6:7]
	s_cbranch_execnz .LBB2_17552
; %bb.53389:
	s_getpc_b64 s[14:15]
.Lpost_getpc30278:
	s_add_u32 s14, s14, (.LBB2_3214-.Lpost_getpc30278)&4294967295
	s_addc_u32 s15, s15, (.LBB2_3214-.Lpost_getpc30278)>>32
	s_setpc_b64 s[14:15]
.LBB2_17552:
	v_mov_b32_e32 v14, 0
	v_cmp_ne_u16_sdwa s[8:9], v13, v14 src0_sel:BYTE_0 src1_sel:DWORD
	s_andn2_b64 s[4:5], s[4:5], exec
	s_and_b64 s[8:9], s[8:9], exec
	s_or_b64 s[4:5], s[4:5], s[8:9]
	s_or_b64 exec, exec, s[6:7]
	s_and_saveexec_b64 s[6:7], s[4:5]
	s_cbranch_execz .LBB2_30279
; %bb.53391:
	s_getpc_b64 s[14:15]
.Lpost_getpc30279:
	s_add_u32 s14, s14, (.LBB2_3215-.Lpost_getpc30279)&4294967295
	s_addc_u32 s15, s15, (.LBB2_3215-.Lpost_getpc30279)>>32
	s_setpc_b64 s[14:15]
.LBB2_30279:
	s_getpc_b64 s[14:15]
.Lpost_getpc18723:
	s_add_u32 s14, s14, (.LBB2_3216-.Lpost_getpc18723)&4294967295
	s_addc_u32 s15, s15, (.LBB2_3216-.Lpost_getpc18723)>>32
	s_setpc_b64 s[14:15]
.LBB2_17553:
	s_movk_i32 s4, 0x80
	v_cmp_eq_u16_e32 vcc, s4, v13
	s_mov_b64 s[4:5], -1
                                        ; implicit-def: $sgpr10
	s_and_saveexec_b64 s[8:9], vcc
; %bb.17554:
	s_mov_b32 s10, 0x7f800001
	s_xor_b64 s[4:5], exec, -1
; %bb.17555:
	s_or_b64 exec, exec, s[8:9]
	s_and_b64 s[4:5], s[4:5], exec
                                        ; implicit-def: $vgpr13
	s_or_saveexec_b64 s[6:7], s[6:7]
	v_mov_b32_e32 v12, s10
	s_xor_b64 exec, exec, s[6:7]
	s_cbranch_execnz .LBB2_17556
; %bb.53393:
	s_getpc_b64 s[14:15]
.Lpost_getpc30280:
	s_add_u32 s14, s14, (.LBB2_3218-.Lpost_getpc30280)&4294967295
	s_addc_u32 s15, s15, (.LBB2_3218-.Lpost_getpc30280)>>32
	s_setpc_b64 s[14:15]
.LBB2_17556:
	v_cmp_ne_u16_e32 vcc, 0, v13
	s_andn2_b64 s[4:5], s[4:5], exec
	s_and_b64 s[8:9], vcc, exec
	v_mov_b32_e32 v12, 0
	s_or_b64 s[4:5], s[4:5], s[8:9]
	s_or_b64 exec, exec, s[6:7]
	s_and_saveexec_b64 s[6:7], s[4:5]
	s_cbranch_execz .LBB2_30281
; %bb.53395:
	s_getpc_b64 s[14:15]
.Lpost_getpc30281:
	s_add_u32 s14, s14, (.LBB2_3219-.Lpost_getpc30281)&4294967295
	s_addc_u32 s15, s15, (.LBB2_3219-.Lpost_getpc30281)>>32
	s_setpc_b64 s[14:15]
.LBB2_30281:
	s_getpc_b64 s[14:15]
.Lpost_getpc18724:
	s_add_u32 s14, s14, (.LBB2_3220-.Lpost_getpc18724)&4294967295
	s_addc_u32 s15, s15, (.LBB2_3220-.Lpost_getpc18724)>>32
	s_setpc_b64 s[14:15]
.LBB2_17557:
	s_movk_i32 s4, 0x80
	v_cmp_eq_u16_e32 vcc, s4, v13
	s_mov_b64 s[4:5], -1
                                        ; implicit-def: $sgpr10
	s_and_saveexec_b64 s[8:9], vcc
; %bb.17558:
	s_mov_b32 s10, 0x7f800001
	s_xor_b64 s[4:5], exec, -1
; %bb.17559:
	s_or_b64 exec, exec, s[8:9]
	s_and_b64 s[4:5], s[4:5], exec
                                        ; implicit-def: $vgpr13
	s_or_saveexec_b64 s[6:7], s[6:7]
	v_mov_b32_e32 v14, s10
	s_xor_b64 exec, exec, s[6:7]
	s_cbranch_execnz .LBB2_17560
; %bb.53397:
	s_getpc_b64 s[14:15]
.Lpost_getpc30282:
	s_add_u32 s14, s14, (.LBB2_3222-.Lpost_getpc30282)&4294967295
	s_addc_u32 s15, s15, (.LBB2_3222-.Lpost_getpc30282)>>32
	s_setpc_b64 s[14:15]
.LBB2_17560:
	v_cmp_ne_u16_e32 vcc, 0, v13
	s_andn2_b64 s[4:5], s[4:5], exec
	s_and_b64 s[8:9], vcc, exec
	v_mov_b32_e32 v14, 0
	s_or_b64 s[4:5], s[4:5], s[8:9]
	s_or_b64 exec, exec, s[6:7]
	s_and_saveexec_b64 s[6:7], s[4:5]
	s_cbranch_execz .LBB2_30283
; %bb.53399:
	s_getpc_b64 s[14:15]
.Lpost_getpc30283:
	s_add_u32 s14, s14, (.LBB2_3223-.Lpost_getpc30283)&4294967295
	s_addc_u32 s15, s15, (.LBB2_3223-.Lpost_getpc30283)>>32
	s_setpc_b64 s[14:15]
.LBB2_30283:
	s_getpc_b64 s[14:15]
.Lpost_getpc18725:
	s_add_u32 s14, s14, (.LBB2_3224-.Lpost_getpc18725)&4294967295
	s_addc_u32 s15, s15, (.LBB2_3224-.Lpost_getpc18725)>>32
	s_setpc_b64 s[14:15]
.LBB2_17561:
	s_movk_i32 s4, 0x80
	v_cmp_eq_u16_sdwa s[12:13], v6, s4 src0_sel:BYTE_3 src1_sel:DWORD
	s_mov_b64 s[4:5], -1
                                        ; implicit-def: $sgpr10
	s_and_saveexec_b64 s[8:9], s[12:13]
; %bb.17562:
	s_mov_b32 s10, 0x7f800001
	s_xor_b64 s[4:5], exec, -1
; %bb.17563:
	s_or_b64 exec, exec, s[8:9]
	s_and_b64 s[4:5], s[4:5], exec
	s_or_saveexec_b64 s[6:7], s[6:7]
	v_mov_b32_e32 v12, s10
	s_xor_b64 exec, exec, s[6:7]
	s_cbranch_execnz .LBB2_17564
; %bb.53401:
	s_getpc_b64 s[14:15]
.Lpost_getpc30284:
	s_add_u32 s14, s14, (.LBB2_3226-.Lpost_getpc30284)&4294967295
	s_addc_u32 s15, s15, (.LBB2_3226-.Lpost_getpc30284)>>32
	s_setpc_b64 s[14:15]
.LBB2_17564:
	v_mov_b32_e32 v12, 0
	v_cmp_ne_u16_sdwa s[8:9], v6, v12 src0_sel:BYTE_3 src1_sel:DWORD
	s_andn2_b64 s[4:5], s[4:5], exec
	s_and_b64 s[8:9], s[8:9], exec
	s_or_b64 s[4:5], s[4:5], s[8:9]
	s_or_b64 exec, exec, s[6:7]
	s_and_saveexec_b64 s[6:7], s[4:5]
	s_cbranch_execz .LBB2_30285
; %bb.53403:
	s_getpc_b64 s[14:15]
.Lpost_getpc30285:
	s_add_u32 s14, s14, (.LBB2_3227-.Lpost_getpc30285)&4294967295
	s_addc_u32 s15, s15, (.LBB2_3227-.Lpost_getpc30285)>>32
	s_setpc_b64 s[14:15]
.LBB2_30285:
	s_getpc_b64 s[14:15]
.Lpost_getpc18726:
	s_add_u32 s14, s14, (.LBB2_3228-.Lpost_getpc18726)&4294967295
	s_addc_u32 s15, s15, (.LBB2_3228-.Lpost_getpc18726)>>32
	s_setpc_b64 s[14:15]
.LBB2_17565:
	s_movk_i32 s4, 0x80
	v_cmp_eq_u16_sdwa s[12:13], v2, s4 src0_sel:BYTE_3 src1_sel:DWORD
	s_mov_b64 s[4:5], -1
                                        ; implicit-def: $sgpr10
	s_and_saveexec_b64 s[8:9], s[12:13]
; %bb.17566:
	s_mov_b32 s10, 0x7f800001
	s_xor_b64 s[4:5], exec, -1
; %bb.17567:
	s_or_b64 exec, exec, s[8:9]
	s_and_b64 s[4:5], s[4:5], exec
	s_or_saveexec_b64 s[6:7], s[6:7]
	v_mov_b32_e32 v6, s10
	s_xor_b64 exec, exec, s[6:7]
	s_cbranch_execnz .LBB2_17568
; %bb.53405:
	s_getpc_b64 s[14:15]
.Lpost_getpc30286:
	s_add_u32 s14, s14, (.LBB2_3230-.Lpost_getpc30286)&4294967295
	s_addc_u32 s15, s15, (.LBB2_3230-.Lpost_getpc30286)>>32
	s_setpc_b64 s[14:15]
.LBB2_17568:
	v_mov_b32_e32 v6, 0
	v_cmp_ne_u16_sdwa s[8:9], v2, v6 src0_sel:BYTE_3 src1_sel:DWORD
	s_andn2_b64 s[4:5], s[4:5], exec
	s_and_b64 s[8:9], s[8:9], exec
	s_or_b64 s[4:5], s[4:5], s[8:9]
	s_or_b64 exec, exec, s[6:7]
	s_and_saveexec_b64 s[6:7], s[4:5]
	s_cbranch_execz .LBB2_30287
; %bb.53407:
	s_getpc_b64 s[14:15]
.Lpost_getpc30287:
	s_add_u32 s14, s14, (.LBB2_3231-.Lpost_getpc30287)&4294967295
	s_addc_u32 s15, s15, (.LBB2_3231-.Lpost_getpc30287)>>32
	s_setpc_b64 s[14:15]
.LBB2_30287:
	s_getpc_b64 s[14:15]
.Lpost_getpc18727:
	s_add_u32 s14, s14, (.LBB2_3232-.Lpost_getpc18727)&4294967295
	s_addc_u32 s15, s15, (.LBB2_3232-.Lpost_getpc18727)>>32
	s_setpc_b64 s[14:15]
.LBB2_17569:
	s_movk_i32 s4, 0x80
	v_cmp_eq_u16_sdwa s[12:13], v7, s4 src0_sel:BYTE_0 src1_sel:DWORD
	s_mov_b64 s[4:5], -1
                                        ; implicit-def: $sgpr10
	s_and_saveexec_b64 s[8:9], s[12:13]
; %bb.17570:
	s_mov_b32 s10, 0x7f800001
	s_xor_b64 s[4:5], exec, -1
; %bb.17571:
	s_or_b64 exec, exec, s[8:9]
	s_and_b64 s[4:5], s[4:5], exec
	s_or_saveexec_b64 s[6:7], s[6:7]
	v_mov_b32_e32 v2, s10
	s_xor_b64 exec, exec, s[6:7]
	s_cbranch_execnz .LBB2_17572
; %bb.53409:
	s_getpc_b64 s[14:15]
.Lpost_getpc30288:
	s_add_u32 s14, s14, (.LBB2_3234-.Lpost_getpc30288)&4294967295
	s_addc_u32 s15, s15, (.LBB2_3234-.Lpost_getpc30288)>>32
	s_setpc_b64 s[14:15]
.LBB2_17572:
	v_mov_b32_e32 v2, 0
	v_cmp_ne_u16_sdwa s[8:9], v7, v2 src0_sel:BYTE_0 src1_sel:DWORD
	s_andn2_b64 s[4:5], s[4:5], exec
	s_and_b64 s[8:9], s[8:9], exec
	s_or_b64 s[4:5], s[4:5], s[8:9]
	s_or_b64 exec, exec, s[6:7]
	s_and_saveexec_b64 s[6:7], s[4:5]
	s_cbranch_execz .LBB2_30289
; %bb.53411:
	s_getpc_b64 s[14:15]
.Lpost_getpc30289:
	s_add_u32 s14, s14, (.LBB2_3235-.Lpost_getpc30289)&4294967295
	s_addc_u32 s15, s15, (.LBB2_3235-.Lpost_getpc30289)>>32
	s_setpc_b64 s[14:15]
.LBB2_30289:
	s_getpc_b64 s[14:15]
.Lpost_getpc18728:
	s_add_u32 s14, s14, (.LBB2_3236-.Lpost_getpc18728)&4294967295
	s_addc_u32 s15, s15, (.LBB2_3236-.Lpost_getpc18728)>>32
	s_setpc_b64 s[14:15]
.LBB2_17573:
	s_movk_i32 s4, 0x80
	v_cmp_eq_u16_sdwa s[12:13], v3, s4 src0_sel:BYTE_0 src1_sel:DWORD
	s_mov_b64 s[4:5], -1
                                        ; implicit-def: $sgpr10
	s_and_saveexec_b64 s[8:9], s[12:13]
; %bb.17574:
	s_mov_b32 s10, 0x7f800001
	s_xor_b64 s[4:5], exec, -1
; %bb.17575:
	s_or_b64 exec, exec, s[8:9]
	s_and_b64 s[4:5], s[4:5], exec
	s_or_saveexec_b64 s[6:7], s[6:7]
	v_mov_b32_e32 v6, s10
	s_xor_b64 exec, exec, s[6:7]
	s_cbranch_execnz .LBB2_17576
; %bb.53413:
	s_getpc_b64 s[14:15]
.Lpost_getpc30290:
	s_add_u32 s14, s14, (.LBB2_3238-.Lpost_getpc30290)&4294967295
	s_addc_u32 s15, s15, (.LBB2_3238-.Lpost_getpc30290)>>32
	s_setpc_b64 s[14:15]
.LBB2_17576:
	v_mov_b32_e32 v6, 0
	v_cmp_ne_u16_sdwa s[8:9], v3, v6 src0_sel:BYTE_0 src1_sel:DWORD
	s_andn2_b64 s[4:5], s[4:5], exec
	s_and_b64 s[8:9], s[8:9], exec
	s_or_b64 s[4:5], s[4:5], s[8:9]
	s_or_b64 exec, exec, s[6:7]
	s_and_saveexec_b64 s[6:7], s[4:5]
	s_cbranch_execz .LBB2_30291
; %bb.53415:
	s_getpc_b64 s[14:15]
.Lpost_getpc30291:
	s_add_u32 s14, s14, (.LBB2_3239-.Lpost_getpc30291)&4294967295
	s_addc_u32 s15, s15, (.LBB2_3239-.Lpost_getpc30291)>>32
	s_setpc_b64 s[14:15]
.LBB2_30291:
	s_getpc_b64 s[14:15]
.Lpost_getpc18729:
	s_add_u32 s14, s14, (.LBB2_3240-.Lpost_getpc18729)&4294967295
	s_addc_u32 s15, s15, (.LBB2_3240-.Lpost_getpc18729)>>32
	s_setpc_b64 s[14:15]
.LBB2_17577:
	s_movk_i32 s4, 0x80
	v_cmp_eq_u16_sdwa s[12:13], v6, s4 src0_sel:BYTE_0 src1_sel:DWORD
	s_mov_b64 s[4:5], -1
                                        ; implicit-def: $sgpr10
	s_and_saveexec_b64 s[8:9], s[12:13]
; %bb.17578:
	s_mov_b32 s10, 0x7f800001
	s_xor_b64 s[4:5], exec, -1
; %bb.17579:
	s_or_b64 exec, exec, s[8:9]
	s_and_b64 s[4:5], s[4:5], exec
	s_or_saveexec_b64 s[6:7], s[6:7]
	v_mov_b32_e32 v2, s10
	s_xor_b64 exec, exec, s[6:7]
	s_cbranch_execnz .LBB2_17580
; %bb.53417:
	s_getpc_b64 s[14:15]
.Lpost_getpc30292:
	s_add_u32 s14, s14, (.LBB2_3242-.Lpost_getpc30292)&4294967295
	s_addc_u32 s15, s15, (.LBB2_3242-.Lpost_getpc30292)>>32
	s_setpc_b64 s[14:15]
.LBB2_17580:
	v_mov_b32_e32 v2, 0
	v_cmp_ne_u16_sdwa s[8:9], v6, v2 src0_sel:BYTE_0 src1_sel:DWORD
	s_andn2_b64 s[4:5], s[4:5], exec
	s_and_b64 s[8:9], s[8:9], exec
	s_or_b64 s[4:5], s[4:5], s[8:9]
	s_or_b64 exec, exec, s[6:7]
	s_and_saveexec_b64 s[6:7], s[4:5]
	s_cbranch_execz .LBB2_30293
; %bb.53419:
	s_getpc_b64 s[14:15]
.Lpost_getpc30293:
	s_add_u32 s14, s14, (.LBB2_3243-.Lpost_getpc30293)&4294967295
	s_addc_u32 s15, s15, (.LBB2_3243-.Lpost_getpc30293)>>32
	s_setpc_b64 s[14:15]
.LBB2_30293:
	s_getpc_b64 s[14:15]
.Lpost_getpc18730:
	s_add_u32 s14, s14, (.LBB2_3244-.Lpost_getpc18730)&4294967295
	s_addc_u32 s15, s15, (.LBB2_3244-.Lpost_getpc18730)>>32
	s_setpc_b64 s[14:15]
.LBB2_17581:
	s_movk_i32 s4, 0x80
	v_cmp_eq_u16_sdwa s[12:13], v6, s4 src0_sel:BYTE_0 src1_sel:DWORD
	s_mov_b64 s[4:5], -1
                                        ; implicit-def: $sgpr10
	s_and_saveexec_b64 s[8:9], s[12:13]
; %bb.17582:
	s_mov_b32 s10, 0x7f800001
	s_xor_b64 s[4:5], exec, -1
; %bb.17583:
	s_or_b64 exec, exec, s[8:9]
	s_and_b64 s[4:5], s[4:5], exec
	s_or_saveexec_b64 s[6:7], s[6:7]
	v_mov_b32_e32 v12, s10
	s_xor_b64 exec, exec, s[6:7]
	s_cbranch_execnz .LBB2_17584
; %bb.53421:
	s_getpc_b64 s[14:15]
.Lpost_getpc30294:
	s_add_u32 s14, s14, (.LBB2_3246-.Lpost_getpc30294)&4294967295
	s_addc_u32 s15, s15, (.LBB2_3246-.Lpost_getpc30294)>>32
	s_setpc_b64 s[14:15]
.LBB2_17584:
	v_mov_b32_e32 v12, 0
	v_cmp_ne_u16_sdwa s[8:9], v6, v12 src0_sel:BYTE_0 src1_sel:DWORD
	s_andn2_b64 s[4:5], s[4:5], exec
	s_and_b64 s[8:9], s[8:9], exec
	s_or_b64 s[4:5], s[4:5], s[8:9]
	s_or_b64 exec, exec, s[6:7]
	s_and_saveexec_b64 s[6:7], s[4:5]
	s_cbranch_execz .LBB2_30295
; %bb.53423:
	s_getpc_b64 s[14:15]
.Lpost_getpc30295:
	s_add_u32 s14, s14, (.LBB2_3247-.Lpost_getpc30295)&4294967295
	s_addc_u32 s15, s15, (.LBB2_3247-.Lpost_getpc30295)>>32
	s_setpc_b64 s[14:15]
.LBB2_30295:
	s_getpc_b64 s[14:15]
.Lpost_getpc18731:
	s_add_u32 s14, s14, (.LBB2_3248-.Lpost_getpc18731)&4294967295
	s_addc_u32 s15, s15, (.LBB2_3248-.Lpost_getpc18731)>>32
	s_setpc_b64 s[14:15]
.LBB2_17585:
	s_movk_i32 s4, 0x80
	v_cmp_eq_u16_e32 vcc, s4, v6
	s_mov_b64 s[4:5], -1
                                        ; implicit-def: $sgpr10
	s_and_saveexec_b64 s[8:9], vcc
; %bb.17586:
	s_mov_b32 s10, 0x7f800001
	s_xor_b64 s[4:5], exec, -1
; %bb.17587:
	s_or_b64 exec, exec, s[8:9]
	s_and_b64 s[4:5], s[4:5], exec
                                        ; implicit-def: $vgpr6
	s_or_saveexec_b64 s[6:7], s[6:7]
	v_mov_b32_e32 v2, s10
	s_xor_b64 exec, exec, s[6:7]
	s_cbranch_execnz .LBB2_17588
; %bb.53425:
	s_getpc_b64 s[14:15]
.Lpost_getpc30296:
	s_add_u32 s14, s14, (.LBB2_3250-.Lpost_getpc30296)&4294967295
	s_addc_u32 s15, s15, (.LBB2_3250-.Lpost_getpc30296)>>32
	s_setpc_b64 s[14:15]
.LBB2_17588:
	v_cmp_ne_u16_e32 vcc, 0, v6
	s_andn2_b64 s[4:5], s[4:5], exec
	s_and_b64 s[8:9], vcc, exec
	v_mov_b32_e32 v2, 0
	s_or_b64 s[4:5], s[4:5], s[8:9]
	s_or_b64 exec, exec, s[6:7]
	s_and_saveexec_b64 s[6:7], s[4:5]
	s_cbranch_execz .LBB2_30297
; %bb.53427:
	s_getpc_b64 s[14:15]
.Lpost_getpc30297:
	s_add_u32 s14, s14, (.LBB2_3251-.Lpost_getpc30297)&4294967295
	s_addc_u32 s15, s15, (.LBB2_3251-.Lpost_getpc30297)>>32
	s_setpc_b64 s[14:15]
.LBB2_30297:
	s_getpc_b64 s[14:15]
.Lpost_getpc18732:
	s_add_u32 s14, s14, (.LBB2_3252-.Lpost_getpc18732)&4294967295
	s_addc_u32 s15, s15, (.LBB2_3252-.Lpost_getpc18732)>>32
	s_setpc_b64 s[14:15]
.LBB2_17589:
	s_movk_i32 s4, 0x80
	v_cmp_eq_u16_e32 vcc, s4, v6
	s_mov_b64 s[4:5], -1
                                        ; implicit-def: $sgpr10
	s_and_saveexec_b64 s[8:9], vcc
; %bb.17590:
	s_mov_b32 s10, 0x7f800001
	s_xor_b64 s[4:5], exec, -1
; %bb.17591:
	s_or_b64 exec, exec, s[8:9]
	s_and_b64 s[4:5], s[4:5], exec
                                        ; implicit-def: $vgpr6
	s_or_saveexec_b64 s[6:7], s[6:7]
	v_mov_b32_e32 v12, s10
	s_xor_b64 exec, exec, s[6:7]
	s_cbranch_execnz .LBB2_17592
; %bb.53429:
	s_getpc_b64 s[14:15]
.Lpost_getpc30298:
	s_add_u32 s14, s14, (.LBB2_3254-.Lpost_getpc30298)&4294967295
	s_addc_u32 s15, s15, (.LBB2_3254-.Lpost_getpc30298)>>32
	s_setpc_b64 s[14:15]
.LBB2_17592:
	v_cmp_ne_u16_e32 vcc, 0, v6
	s_andn2_b64 s[4:5], s[4:5], exec
	s_and_b64 s[8:9], vcc, exec
	v_mov_b32_e32 v12, 0
	s_or_b64 s[4:5], s[4:5], s[8:9]
	s_or_b64 exec, exec, s[6:7]
	s_and_saveexec_b64 s[6:7], s[4:5]
	s_cbranch_execz .LBB2_30299
; %bb.53431:
	s_getpc_b64 s[14:15]
.Lpost_getpc30299:
	s_add_u32 s14, s14, (.LBB2_3255-.Lpost_getpc30299)&4294967295
	s_addc_u32 s15, s15, (.LBB2_3255-.Lpost_getpc30299)>>32
	s_setpc_b64 s[14:15]
.LBB2_30299:
	s_getpc_b64 s[14:15]
.Lpost_getpc18733:
	s_add_u32 s14, s14, (.LBB2_3256-.Lpost_getpc18733)&4294967295
	s_addc_u32 s15, s15, (.LBB2_3256-.Lpost_getpc18733)>>32
	s_setpc_b64 s[14:15]
.LBB2_17593:
	s_movk_i32 s4, 0x80
	v_cmp_eq_u16_sdwa s[12:13], v7, s4 src0_sel:BYTE_3 src1_sel:DWORD
	s_mov_b64 s[4:5], -1
                                        ; implicit-def: $sgpr10
	s_and_saveexec_b64 s[8:9], s[12:13]
; %bb.17594:
	s_mov_b32 s10, 0x7f800001
	s_xor_b64 s[4:5], exec, -1
; %bb.17595:
	s_or_b64 exec, exec, s[8:9]
	s_and_b64 s[4:5], s[4:5], exec
	s_or_saveexec_b64 s[6:7], s[6:7]
	v_mov_b32_e32 v2, s10
	s_xor_b64 exec, exec, s[6:7]
	s_cbranch_execnz .LBB2_17596
; %bb.53433:
	s_getpc_b64 s[14:15]
.Lpost_getpc30300:
	s_add_u32 s14, s14, (.LBB2_3258-.Lpost_getpc30300)&4294967295
	s_addc_u32 s15, s15, (.LBB2_3258-.Lpost_getpc30300)>>32
	s_setpc_b64 s[14:15]
.LBB2_17596:
	v_mov_b32_e32 v2, 0
	v_cmp_ne_u16_sdwa s[8:9], v7, v2 src0_sel:BYTE_3 src1_sel:DWORD
	s_andn2_b64 s[4:5], s[4:5], exec
	s_and_b64 s[8:9], s[8:9], exec
	s_or_b64 s[4:5], s[4:5], s[8:9]
	s_or_b64 exec, exec, s[6:7]
	s_and_saveexec_b64 s[6:7], s[4:5]
	s_cbranch_execz .LBB2_30301
; %bb.53435:
	s_getpc_b64 s[14:15]
.Lpost_getpc30301:
	s_add_u32 s14, s14, (.LBB2_3259-.Lpost_getpc30301)&4294967295
	s_addc_u32 s15, s15, (.LBB2_3259-.Lpost_getpc30301)>>32
	s_setpc_b64 s[14:15]
.LBB2_30301:
	s_getpc_b64 s[14:15]
.Lpost_getpc18734:
	s_add_u32 s14, s14, (.LBB2_3260-.Lpost_getpc18734)&4294967295
	s_addc_u32 s15, s15, (.LBB2_3260-.Lpost_getpc18734)>>32
	s_setpc_b64 s[14:15]
.LBB2_17597:
	s_movk_i32 s4, 0x80
	v_cmp_eq_u16_sdwa s[12:13], v3, s4 src0_sel:BYTE_3 src1_sel:DWORD
	s_mov_b64 s[4:5], -1
                                        ; implicit-def: $sgpr10
	s_and_saveexec_b64 s[8:9], s[12:13]
; %bb.17598:
	s_mov_b32 s10, 0x7f800001
	s_xor_b64 s[4:5], exec, -1
; %bb.17599:
	s_or_b64 exec, exec, s[8:9]
	s_and_b64 s[4:5], s[4:5], exec
	s_or_saveexec_b64 s[6:7], s[6:7]
	v_mov_b32_e32 v6, s10
	s_xor_b64 exec, exec, s[6:7]
	s_cbranch_execnz .LBB2_17600
; %bb.53437:
	s_getpc_b64 s[14:15]
.Lpost_getpc30302:
	s_add_u32 s14, s14, (.LBB2_3262-.Lpost_getpc30302)&4294967295
	s_addc_u32 s15, s15, (.LBB2_3262-.Lpost_getpc30302)>>32
	s_setpc_b64 s[14:15]
.LBB2_17600:
	v_mov_b32_e32 v6, 0
	v_cmp_ne_u16_sdwa s[8:9], v3, v6 src0_sel:BYTE_3 src1_sel:DWORD
	s_andn2_b64 s[4:5], s[4:5], exec
	s_and_b64 s[8:9], s[8:9], exec
	s_or_b64 s[4:5], s[4:5], s[8:9]
	s_or_b64 exec, exec, s[6:7]
	s_and_saveexec_b64 s[6:7], s[4:5]
	s_cbranch_execz .LBB2_30303
; %bb.53439:
	s_getpc_b64 s[14:15]
.Lpost_getpc30303:
	s_add_u32 s14, s14, (.LBB2_3263-.Lpost_getpc30303)&4294967295
	s_addc_u32 s15, s15, (.LBB2_3263-.Lpost_getpc30303)>>32
	s_setpc_b64 s[14:15]
.LBB2_30303:
	s_getpc_b64 s[14:15]
.Lpost_getpc18735:
	s_add_u32 s14, s14, (.LBB2_3264-.Lpost_getpc18735)&4294967295
	s_addc_u32 s15, s15, (.LBB2_3264-.Lpost_getpc18735)>>32
	s_setpc_b64 s[14:15]
.LBB2_17601:
	s_movk_i32 s4, 0x80
	v_cmp_eq_u16_sdwa s[12:13], v8, s4 src0_sel:BYTE_0 src1_sel:DWORD
	s_mov_b64 s[4:5], -1
                                        ; implicit-def: $sgpr10
	s_and_saveexec_b64 s[8:9], s[12:13]
; %bb.17602:
	s_mov_b32 s10, 0x7f800001
	s_xor_b64 s[4:5], exec, -1
; %bb.17603:
	s_or_b64 exec, exec, s[8:9]
	s_and_b64 s[4:5], s[4:5], exec
	s_or_saveexec_b64 s[6:7], s[6:7]
	v_mov_b32_e32 v2, s10
	s_xor_b64 exec, exec, s[6:7]
	s_cbranch_execnz .LBB2_17604
; %bb.53441:
	s_getpc_b64 s[14:15]
.Lpost_getpc30304:
	s_add_u32 s14, s14, (.LBB2_3266-.Lpost_getpc30304)&4294967295
	s_addc_u32 s15, s15, (.LBB2_3266-.Lpost_getpc30304)>>32
	s_setpc_b64 s[14:15]
.LBB2_17604:
	v_mov_b32_e32 v2, 0
	v_cmp_ne_u16_sdwa s[8:9], v8, v2 src0_sel:BYTE_0 src1_sel:DWORD
	s_andn2_b64 s[4:5], s[4:5], exec
	s_and_b64 s[8:9], s[8:9], exec
	s_or_b64 s[4:5], s[4:5], s[8:9]
	s_or_b64 exec, exec, s[6:7]
	s_and_saveexec_b64 s[6:7], s[4:5]
	s_cbranch_execz .LBB2_30305
; %bb.53443:
	s_getpc_b64 s[14:15]
.Lpost_getpc30305:
	s_add_u32 s14, s14, (.LBB2_3267-.Lpost_getpc30305)&4294967295
	s_addc_u32 s15, s15, (.LBB2_3267-.Lpost_getpc30305)>>32
	s_setpc_b64 s[14:15]
.LBB2_30305:
	s_getpc_b64 s[14:15]
.Lpost_getpc18736:
	s_add_u32 s14, s14, (.LBB2_3268-.Lpost_getpc18736)&4294967295
	s_addc_u32 s15, s15, (.LBB2_3268-.Lpost_getpc18736)>>32
	s_setpc_b64 s[14:15]
.LBB2_17605:
	s_movk_i32 s4, 0x80
	v_cmp_eq_u16_sdwa s[12:13], v4, s4 src0_sel:BYTE_0 src1_sel:DWORD
	s_mov_b64 s[4:5], -1
                                        ; implicit-def: $sgpr10
	s_and_saveexec_b64 s[8:9], s[12:13]
; %bb.17606:
	s_mov_b32 s10, 0x7f800001
	s_xor_b64 s[4:5], exec, -1
; %bb.17607:
	s_or_b64 exec, exec, s[8:9]
	s_and_b64 s[4:5], s[4:5], exec
	s_or_saveexec_b64 s[6:7], s[6:7]
	v_mov_b32_e32 v3, s10
	s_xor_b64 exec, exec, s[6:7]
	s_cbranch_execnz .LBB2_17608
; %bb.53445:
	s_getpc_b64 s[14:15]
.Lpost_getpc30306:
	s_add_u32 s14, s14, (.LBB2_3270-.Lpost_getpc30306)&4294967295
	s_addc_u32 s15, s15, (.LBB2_3270-.Lpost_getpc30306)>>32
	s_setpc_b64 s[14:15]
.LBB2_17608:
	v_mov_b32_e32 v3, 0
	v_cmp_ne_u16_sdwa s[8:9], v4, v3 src0_sel:BYTE_0 src1_sel:DWORD
	s_andn2_b64 s[4:5], s[4:5], exec
	s_and_b64 s[8:9], s[8:9], exec
	s_or_b64 s[4:5], s[4:5], s[8:9]
	s_or_b64 exec, exec, s[6:7]
	s_and_saveexec_b64 s[6:7], s[4:5]
	s_cbranch_execz .LBB2_30307
; %bb.53447:
	s_getpc_b64 s[14:15]
.Lpost_getpc30307:
	s_add_u32 s14, s14, (.LBB2_3271-.Lpost_getpc30307)&4294967295
	s_addc_u32 s15, s15, (.LBB2_3271-.Lpost_getpc30307)>>32
	s_setpc_b64 s[14:15]
.LBB2_30307:
	s_getpc_b64 s[14:15]
.Lpost_getpc18737:
	s_add_u32 s14, s14, (.LBB2_3272-.Lpost_getpc18737)&4294967295
	s_addc_u32 s15, s15, (.LBB2_3272-.Lpost_getpc18737)>>32
	s_setpc_b64 s[14:15]
.LBB2_17609:
	s_movk_i32 s4, 0x80
	v_cmp_eq_u16_sdwa s[12:13], v3, s4 src0_sel:BYTE_0 src1_sel:DWORD
	s_mov_b64 s[4:5], -1
                                        ; implicit-def: $sgpr10
	s_and_saveexec_b64 s[8:9], s[12:13]
; %bb.17610:
	s_mov_b32 s10, 0x7f800001
	s_xor_b64 s[4:5], exec, -1
; %bb.17611:
	s_or_b64 exec, exec, s[8:9]
	s_and_b64 s[4:5], s[4:5], exec
	s_or_saveexec_b64 s[6:7], s[6:7]
	v_mov_b32_e32 v2, s10
	s_xor_b64 exec, exec, s[6:7]
	s_cbranch_execnz .LBB2_17612
; %bb.53449:
	s_getpc_b64 s[14:15]
.Lpost_getpc30308:
	s_add_u32 s14, s14, (.LBB2_3274-.Lpost_getpc30308)&4294967295
	s_addc_u32 s15, s15, (.LBB2_3274-.Lpost_getpc30308)>>32
	s_setpc_b64 s[14:15]
.LBB2_17612:
	v_mov_b32_e32 v2, 0
	v_cmp_ne_u16_sdwa s[8:9], v3, v2 src0_sel:BYTE_0 src1_sel:DWORD
	s_andn2_b64 s[4:5], s[4:5], exec
	s_and_b64 s[8:9], s[8:9], exec
	s_or_b64 s[4:5], s[4:5], s[8:9]
	s_or_b64 exec, exec, s[6:7]
	s_and_saveexec_b64 s[6:7], s[4:5]
	s_cbranch_execz .LBB2_30309
; %bb.53451:
	s_getpc_b64 s[14:15]
.Lpost_getpc30309:
	s_add_u32 s14, s14, (.LBB2_3275-.Lpost_getpc30309)&4294967295
	s_addc_u32 s15, s15, (.LBB2_3275-.Lpost_getpc30309)>>32
	s_setpc_b64 s[14:15]
.LBB2_30309:
	s_getpc_b64 s[14:15]
.Lpost_getpc18738:
	s_add_u32 s14, s14, (.LBB2_3276-.Lpost_getpc18738)&4294967295
	s_addc_u32 s15, s15, (.LBB2_3276-.Lpost_getpc18738)>>32
	s_setpc_b64 s[14:15]
.LBB2_17613:
	s_movk_i32 s4, 0x80
	v_cmp_eq_u16_sdwa s[12:13], v3, s4 src0_sel:BYTE_0 src1_sel:DWORD
	s_mov_b64 s[4:5], -1
                                        ; implicit-def: $sgpr10
	s_and_saveexec_b64 s[8:9], s[12:13]
; %bb.17614:
	s_mov_b32 s10, 0x7f800001
	s_xor_b64 s[4:5], exec, -1
; %bb.17615:
	s_or_b64 exec, exec, s[8:9]
	s_and_b64 s[4:5], s[4:5], exec
	s_or_saveexec_b64 s[6:7], s[6:7]
	v_mov_b32_e32 v6, s10
	s_xor_b64 exec, exec, s[6:7]
	s_cbranch_execnz .LBB2_17616
; %bb.53453:
	s_getpc_b64 s[14:15]
.Lpost_getpc30310:
	s_add_u32 s14, s14, (.LBB2_3278-.Lpost_getpc30310)&4294967295
	s_addc_u32 s15, s15, (.LBB2_3278-.Lpost_getpc30310)>>32
	s_setpc_b64 s[14:15]
.LBB2_17616:
	v_mov_b32_e32 v6, 0
	v_cmp_ne_u16_sdwa s[8:9], v3, v6 src0_sel:BYTE_0 src1_sel:DWORD
	s_andn2_b64 s[4:5], s[4:5], exec
	s_and_b64 s[8:9], s[8:9], exec
	s_or_b64 s[4:5], s[4:5], s[8:9]
	s_or_b64 exec, exec, s[6:7]
	s_and_saveexec_b64 s[6:7], s[4:5]
	s_cbranch_execz .LBB2_30311
; %bb.53455:
	s_getpc_b64 s[14:15]
.Lpost_getpc30311:
	s_add_u32 s14, s14, (.LBB2_3279-.Lpost_getpc30311)&4294967295
	s_addc_u32 s15, s15, (.LBB2_3279-.Lpost_getpc30311)>>32
	s_setpc_b64 s[14:15]
.LBB2_30311:
	s_getpc_b64 s[14:15]
.Lpost_getpc18739:
	s_add_u32 s14, s14, (.LBB2_3280-.Lpost_getpc18739)&4294967295
	s_addc_u32 s15, s15, (.LBB2_3280-.Lpost_getpc18739)>>32
	s_setpc_b64 s[14:15]
.LBB2_17617:
	s_movk_i32 s4, 0x80
	v_cmp_eq_u16_e32 vcc, s4, v3
	s_mov_b64 s[4:5], -1
                                        ; implicit-def: $sgpr10
	s_and_saveexec_b64 s[8:9], vcc
; %bb.17618:
	s_mov_b32 s10, 0x7f800001
	s_xor_b64 s[4:5], exec, -1
; %bb.17619:
	s_or_b64 exec, exec, s[8:9]
	s_and_b64 s[4:5], s[4:5], exec
                                        ; implicit-def: $vgpr3
	s_or_saveexec_b64 s[6:7], s[6:7]
	v_mov_b32_e32 v2, s10
	s_xor_b64 exec, exec, s[6:7]
	s_cbranch_execnz .LBB2_17620
; %bb.53457:
	s_getpc_b64 s[14:15]
.Lpost_getpc30312:
	s_add_u32 s14, s14, (.LBB2_3282-.Lpost_getpc30312)&4294967295
	s_addc_u32 s15, s15, (.LBB2_3282-.Lpost_getpc30312)>>32
	s_setpc_b64 s[14:15]
.LBB2_17620:
	v_cmp_ne_u16_e32 vcc, 0, v3
	s_andn2_b64 s[4:5], s[4:5], exec
	s_and_b64 s[8:9], vcc, exec
	v_mov_b32_e32 v2, 0
	s_or_b64 s[4:5], s[4:5], s[8:9]
	s_or_b64 exec, exec, s[6:7]
	s_and_saveexec_b64 s[6:7], s[4:5]
	s_cbranch_execz .LBB2_30313
; %bb.53459:
	s_getpc_b64 s[14:15]
.Lpost_getpc30313:
	s_add_u32 s14, s14, (.LBB2_3283-.Lpost_getpc30313)&4294967295
	s_addc_u32 s15, s15, (.LBB2_3283-.Lpost_getpc30313)>>32
	s_setpc_b64 s[14:15]
.LBB2_30313:
	s_getpc_b64 s[14:15]
.Lpost_getpc18740:
	s_add_u32 s14, s14, (.LBB2_3284-.Lpost_getpc18740)&4294967295
	s_addc_u32 s15, s15, (.LBB2_3284-.Lpost_getpc18740)>>32
	s_setpc_b64 s[14:15]
.LBB2_17621:
	s_movk_i32 s4, 0x80
	v_cmp_eq_u16_e32 vcc, s4, v3
	s_mov_b64 s[4:5], -1
                                        ; implicit-def: $sgpr10
	s_and_saveexec_b64 s[8:9], vcc
; %bb.17622:
	s_mov_b32 s10, 0x7f800001
	s_xor_b64 s[4:5], exec, -1
; %bb.17623:
	s_or_b64 exec, exec, s[8:9]
	s_and_b64 s[4:5], s[4:5], exec
                                        ; implicit-def: $vgpr3
	s_or_saveexec_b64 s[6:7], s[6:7]
	v_mov_b32_e32 v6, s10
	s_xor_b64 exec, exec, s[6:7]
	s_cbranch_execnz .LBB2_17624
; %bb.53461:
	s_getpc_b64 s[14:15]
.Lpost_getpc30314:
	s_add_u32 s14, s14, (.LBB2_3286-.Lpost_getpc30314)&4294967295
	s_addc_u32 s15, s15, (.LBB2_3286-.Lpost_getpc30314)>>32
	s_setpc_b64 s[14:15]
.LBB2_17624:
	v_cmp_ne_u16_e32 vcc, 0, v3
	s_andn2_b64 s[4:5], s[4:5], exec
	s_and_b64 s[8:9], vcc, exec
	v_mov_b32_e32 v6, 0
	s_or_b64 s[4:5], s[4:5], s[8:9]
	s_or_b64 exec, exec, s[6:7]
	s_and_saveexec_b64 s[6:7], s[4:5]
	s_cbranch_execz .LBB2_30315
; %bb.53463:
	s_getpc_b64 s[14:15]
.Lpost_getpc30315:
	s_add_u32 s14, s14, (.LBB2_3287-.Lpost_getpc30315)&4294967295
	s_addc_u32 s15, s15, (.LBB2_3287-.Lpost_getpc30315)>>32
	s_setpc_b64 s[14:15]
.LBB2_30315:
	s_getpc_b64 s[14:15]
.Lpost_getpc18741:
	s_add_u32 s14, s14, (.LBB2_3288-.Lpost_getpc18741)&4294967295
	s_addc_u32 s15, s15, (.LBB2_3288-.Lpost_getpc18741)>>32
	s_setpc_b64 s[14:15]
.LBB2_17625:
	s_movk_i32 s4, 0x80
	v_cmp_eq_u16_sdwa s[12:13], v8, s4 src0_sel:BYTE_3 src1_sel:DWORD
	s_mov_b64 s[4:5], -1
                                        ; implicit-def: $sgpr10
	s_and_saveexec_b64 s[8:9], s[12:13]
; %bb.17626:
	s_mov_b32 s10, 0x7f800001
	s_xor_b64 s[4:5], exec, -1
; %bb.17627:
	s_or_b64 exec, exec, s[8:9]
	s_and_b64 s[4:5], s[4:5], exec
	s_or_saveexec_b64 s[6:7], s[6:7]
	v_mov_b32_e32 v2, s10
	s_xor_b64 exec, exec, s[6:7]
	s_cbranch_execnz .LBB2_17628
; %bb.53465:
	s_getpc_b64 s[14:15]
.Lpost_getpc30316:
	s_add_u32 s14, s14, (.LBB2_3290-.Lpost_getpc30316)&4294967295
	s_addc_u32 s15, s15, (.LBB2_3290-.Lpost_getpc30316)>>32
	s_setpc_b64 s[14:15]
.LBB2_17628:
	v_mov_b32_e32 v2, 0
	v_cmp_ne_u16_sdwa s[8:9], v8, v2 src0_sel:BYTE_3 src1_sel:DWORD
	s_andn2_b64 s[4:5], s[4:5], exec
	s_and_b64 s[8:9], s[8:9], exec
	s_or_b64 s[4:5], s[4:5], s[8:9]
	s_or_b64 exec, exec, s[6:7]
	s_and_saveexec_b64 s[6:7], s[4:5]
	s_cbranch_execz .LBB2_30317
; %bb.53467:
	s_getpc_b64 s[14:15]
.Lpost_getpc30317:
	s_add_u32 s14, s14, (.LBB2_3291-.Lpost_getpc30317)&4294967295
	s_addc_u32 s15, s15, (.LBB2_3291-.Lpost_getpc30317)>>32
	s_setpc_b64 s[14:15]
.LBB2_30317:
	s_getpc_b64 s[14:15]
.Lpost_getpc18742:
	s_add_u32 s14, s14, (.LBB2_3292-.Lpost_getpc18742)&4294967295
	s_addc_u32 s15, s15, (.LBB2_3292-.Lpost_getpc18742)>>32
	s_setpc_b64 s[14:15]
.LBB2_17629:
	s_movk_i32 s4, 0x80
	v_cmp_eq_u16_sdwa s[12:13], v4, s4 src0_sel:BYTE_3 src1_sel:DWORD
	s_mov_b64 s[4:5], -1
                                        ; implicit-def: $sgpr10
	s_and_saveexec_b64 s[8:9], s[12:13]
; %bb.17630:
	s_mov_b32 s10, 0x7f800001
	s_xor_b64 s[4:5], exec, -1
; %bb.17631:
	s_or_b64 exec, exec, s[8:9]
	s_and_b64 s[4:5], s[4:5], exec
	s_or_saveexec_b64 s[6:7], s[6:7]
	v_mov_b32_e32 v3, s10
	s_xor_b64 exec, exec, s[6:7]
	s_cbranch_execnz .LBB2_17632
; %bb.53469:
	s_getpc_b64 s[14:15]
.Lpost_getpc30318:
	s_add_u32 s14, s14, (.LBB2_3294-.Lpost_getpc30318)&4294967295
	s_addc_u32 s15, s15, (.LBB2_3294-.Lpost_getpc30318)>>32
	s_setpc_b64 s[14:15]
.LBB2_17632:
	v_mov_b32_e32 v3, 0
	v_cmp_ne_u16_sdwa s[8:9], v4, v3 src0_sel:BYTE_3 src1_sel:DWORD
	s_andn2_b64 s[4:5], s[4:5], exec
	s_and_b64 s[8:9], s[8:9], exec
	s_or_b64 s[4:5], s[4:5], s[8:9]
	s_or_b64 exec, exec, s[6:7]
	s_and_saveexec_b64 s[6:7], s[4:5]
	s_cbranch_execz .LBB2_30319
; %bb.53471:
	s_getpc_b64 s[14:15]
.Lpost_getpc30319:
	s_add_u32 s14, s14, (.LBB2_3295-.Lpost_getpc30319)&4294967295
	s_addc_u32 s15, s15, (.LBB2_3295-.Lpost_getpc30319)>>32
	s_setpc_b64 s[14:15]
.LBB2_30319:
	s_getpc_b64 s[14:15]
.Lpost_getpc18743:
	s_add_u32 s14, s14, (.LBB2_3296-.Lpost_getpc18743)&4294967295
	s_addc_u32 s15, s15, (.LBB2_3296-.Lpost_getpc18743)>>32
	s_setpc_b64 s[14:15]
.LBB2_17633:
	s_movk_i32 s4, 0x80
	v_cmp_eq_u16_sdwa s[12:13], v9, s4 src0_sel:BYTE_0 src1_sel:DWORD
	s_mov_b64 s[4:5], -1
                                        ; implicit-def: $sgpr10
	s_and_saveexec_b64 s[8:9], s[12:13]
; %bb.17634:
	s_mov_b32 s10, 0x7f800001
	s_xor_b64 s[4:5], exec, -1
; %bb.17635:
	s_or_b64 exec, exec, s[8:9]
	s_and_b64 s[4:5], s[4:5], exec
	s_or_saveexec_b64 s[6:7], s[6:7]
	v_mov_b32_e32 v2, s10
	s_xor_b64 exec, exec, s[6:7]
	s_cbranch_execnz .LBB2_17636
; %bb.53473:
	s_getpc_b64 s[14:15]
.Lpost_getpc30320:
	s_add_u32 s14, s14, (.LBB2_3298-.Lpost_getpc30320)&4294967295
	s_addc_u32 s15, s15, (.LBB2_3298-.Lpost_getpc30320)>>32
	s_setpc_b64 s[14:15]
.LBB2_17636:
	v_mov_b32_e32 v2, 0
	v_cmp_ne_u16_sdwa s[8:9], v9, v2 src0_sel:BYTE_0 src1_sel:DWORD
	s_andn2_b64 s[4:5], s[4:5], exec
	s_and_b64 s[8:9], s[8:9], exec
	s_or_b64 s[4:5], s[4:5], s[8:9]
	s_or_b64 exec, exec, s[6:7]
	s_and_saveexec_b64 s[6:7], s[4:5]
	s_cbranch_execz .LBB2_30321
; %bb.53475:
	s_getpc_b64 s[14:15]
.Lpost_getpc30321:
	s_add_u32 s14, s14, (.LBB2_3299-.Lpost_getpc30321)&4294967295
	s_addc_u32 s15, s15, (.LBB2_3299-.Lpost_getpc30321)>>32
	s_setpc_b64 s[14:15]
.LBB2_30321:
	s_getpc_b64 s[14:15]
.Lpost_getpc18744:
	s_add_u32 s14, s14, (.LBB2_3300-.Lpost_getpc18744)&4294967295
	s_addc_u32 s15, s15, (.LBB2_3300-.Lpost_getpc18744)>>32
	s_setpc_b64 s[14:15]
.LBB2_17637:
	s_movk_i32 s4, 0x80
	v_cmp_eq_u16_sdwa s[12:13], v5, s4 src0_sel:BYTE_0 src1_sel:DWORD
	s_mov_b64 s[4:5], -1
                                        ; implicit-def: $sgpr10
	s_and_saveexec_b64 s[8:9], s[12:13]
; %bb.17638:
	s_mov_b32 s10, 0x7f800001
	s_xor_b64 s[4:5], exec, -1
; %bb.17639:
	s_or_b64 exec, exec, s[8:9]
	s_and_b64 s[4:5], s[4:5], exec
	s_or_saveexec_b64 s[6:7], s[6:7]
	v_mov_b32_e32 v3, s10
	s_xor_b64 exec, exec, s[6:7]
	s_cbranch_execnz .LBB2_17640
; %bb.53477:
	s_getpc_b64 s[14:15]
.Lpost_getpc30322:
	s_add_u32 s14, s14, (.LBB2_3302-.Lpost_getpc30322)&4294967295
	s_addc_u32 s15, s15, (.LBB2_3302-.Lpost_getpc30322)>>32
	s_setpc_b64 s[14:15]
.LBB2_17640:
	v_mov_b32_e32 v3, 0
	v_cmp_ne_u16_sdwa s[8:9], v5, v3 src0_sel:BYTE_0 src1_sel:DWORD
	s_andn2_b64 s[4:5], s[4:5], exec
	s_and_b64 s[8:9], s[8:9], exec
	s_or_b64 s[4:5], s[4:5], s[8:9]
	s_or_b64 exec, exec, s[6:7]
	s_and_saveexec_b64 s[6:7], s[4:5]
	s_cbranch_execz .LBB2_30323
; %bb.53479:
	s_getpc_b64 s[14:15]
.Lpost_getpc30323:
	s_add_u32 s14, s14, (.LBB2_3303-.Lpost_getpc30323)&4294967295
	s_addc_u32 s15, s15, (.LBB2_3303-.Lpost_getpc30323)>>32
	s_setpc_b64 s[14:15]
.LBB2_30323:
	s_getpc_b64 s[14:15]
.Lpost_getpc18745:
	s_add_u32 s14, s14, (.LBB2_3304-.Lpost_getpc18745)&4294967295
	s_addc_u32 s15, s15, (.LBB2_3304-.Lpost_getpc18745)>>32
	s_setpc_b64 s[14:15]
.LBB2_17641:
	s_movk_i32 s4, 0x80
	v_cmp_eq_u16_sdwa s[12:13], v3, s4 src0_sel:BYTE_0 src1_sel:DWORD
	s_mov_b64 s[4:5], -1
                                        ; implicit-def: $sgpr10
	s_and_saveexec_b64 s[8:9], s[12:13]
; %bb.17642:
	s_mov_b32 s10, 0x7f800001
	s_xor_b64 s[4:5], exec, -1
; %bb.17643:
	s_or_b64 exec, exec, s[8:9]
	s_and_b64 s[4:5], s[4:5], exec
	s_or_saveexec_b64 s[6:7], s[6:7]
	v_mov_b32_e32 v2, s10
	s_xor_b64 exec, exec, s[6:7]
	s_cbranch_execnz .LBB2_17644
; %bb.53481:
	s_getpc_b64 s[14:15]
.Lpost_getpc30324:
	s_add_u32 s14, s14, (.LBB2_3306-.Lpost_getpc30324)&4294967295
	s_addc_u32 s15, s15, (.LBB2_3306-.Lpost_getpc30324)>>32
	s_setpc_b64 s[14:15]
.LBB2_17644:
	v_mov_b32_e32 v2, 0
	v_cmp_ne_u16_sdwa s[8:9], v3, v2 src0_sel:BYTE_0 src1_sel:DWORD
	s_andn2_b64 s[4:5], s[4:5], exec
	s_and_b64 s[8:9], s[8:9], exec
	s_or_b64 s[4:5], s[4:5], s[8:9]
	s_or_b64 exec, exec, s[6:7]
	s_and_saveexec_b64 s[6:7], s[4:5]
	s_cbranch_execz .LBB2_30325
; %bb.53483:
	s_getpc_b64 s[14:15]
.Lpost_getpc30325:
	s_add_u32 s14, s14, (.LBB2_3307-.Lpost_getpc30325)&4294967295
	s_addc_u32 s15, s15, (.LBB2_3307-.Lpost_getpc30325)>>32
	s_setpc_b64 s[14:15]
.LBB2_30325:
	s_getpc_b64 s[14:15]
.Lpost_getpc18746:
	s_add_u32 s14, s14, (.LBB2_3308-.Lpost_getpc18746)&4294967295
	s_addc_u32 s15, s15, (.LBB2_3308-.Lpost_getpc18746)>>32
	s_setpc_b64 s[14:15]
.LBB2_17645:
	s_movk_i32 s4, 0x80
	v_cmp_eq_u16_sdwa s[12:13], v3, s4 src0_sel:BYTE_0 src1_sel:DWORD
	s_mov_b64 s[4:5], -1
                                        ; implicit-def: $sgpr10
	s_and_saveexec_b64 s[8:9], s[12:13]
; %bb.17646:
	s_mov_b32 s10, 0x7f800001
	s_xor_b64 s[4:5], exec, -1
; %bb.17647:
	s_or_b64 exec, exec, s[8:9]
	s_and_b64 s[4:5], s[4:5], exec
	s_or_saveexec_b64 s[6:7], s[6:7]
	v_mov_b32_e32 v4, s10
	s_xor_b64 exec, exec, s[6:7]
	s_cbranch_execnz .LBB2_17648
; %bb.53485:
	s_getpc_b64 s[14:15]
.Lpost_getpc30326:
	s_add_u32 s14, s14, (.LBB2_3310-.Lpost_getpc30326)&4294967295
	s_addc_u32 s15, s15, (.LBB2_3310-.Lpost_getpc30326)>>32
	s_setpc_b64 s[14:15]
.LBB2_17648:
	v_mov_b32_e32 v4, 0
	v_cmp_ne_u16_sdwa s[8:9], v3, v4 src0_sel:BYTE_0 src1_sel:DWORD
	s_andn2_b64 s[4:5], s[4:5], exec
	s_and_b64 s[8:9], s[8:9], exec
	s_or_b64 s[4:5], s[4:5], s[8:9]
	s_or_b64 exec, exec, s[6:7]
	s_and_saveexec_b64 s[6:7], s[4:5]
	s_cbranch_execz .LBB2_30327
; %bb.53487:
	s_getpc_b64 s[14:15]
.Lpost_getpc30327:
	s_add_u32 s14, s14, (.LBB2_3311-.Lpost_getpc30327)&4294967295
	s_addc_u32 s15, s15, (.LBB2_3311-.Lpost_getpc30327)>>32
	s_setpc_b64 s[14:15]
.LBB2_30327:
	s_getpc_b64 s[14:15]
.Lpost_getpc18747:
	s_add_u32 s14, s14, (.LBB2_3312-.Lpost_getpc18747)&4294967295
	s_addc_u32 s15, s15, (.LBB2_3312-.Lpost_getpc18747)>>32
	s_setpc_b64 s[14:15]
.LBB2_17649:
	s_movk_i32 s4, 0x80
	v_cmp_eq_u16_e32 vcc, s4, v3
	s_mov_b64 s[4:5], -1
                                        ; implicit-def: $sgpr10
	s_and_saveexec_b64 s[8:9], vcc
; %bb.17650:
	s_mov_b32 s10, 0x7f800001
	s_xor_b64 s[4:5], exec, -1
; %bb.17651:
	s_or_b64 exec, exec, s[8:9]
	s_and_b64 s[4:5], s[4:5], exec
                                        ; implicit-def: $vgpr3
	s_or_saveexec_b64 s[6:7], s[6:7]
	v_mov_b32_e32 v2, s10
	s_xor_b64 exec, exec, s[6:7]
	s_cbranch_execnz .LBB2_17652
; %bb.53489:
	s_getpc_b64 s[14:15]
.Lpost_getpc30328:
	s_add_u32 s14, s14, (.LBB2_3314-.Lpost_getpc30328)&4294967295
	s_addc_u32 s15, s15, (.LBB2_3314-.Lpost_getpc30328)>>32
	s_setpc_b64 s[14:15]
.LBB2_17652:
	v_cmp_ne_u16_e32 vcc, 0, v3
	s_andn2_b64 s[4:5], s[4:5], exec
	s_and_b64 s[8:9], vcc, exec
	v_mov_b32_e32 v2, 0
	s_or_b64 s[4:5], s[4:5], s[8:9]
	s_or_b64 exec, exec, s[6:7]
	s_and_saveexec_b64 s[6:7], s[4:5]
	s_cbranch_execz .LBB2_30329
; %bb.53491:
	s_getpc_b64 s[14:15]
.Lpost_getpc30329:
	s_add_u32 s14, s14, (.LBB2_3315-.Lpost_getpc30329)&4294967295
	s_addc_u32 s15, s15, (.LBB2_3315-.Lpost_getpc30329)>>32
	s_setpc_b64 s[14:15]
.LBB2_30329:
	s_getpc_b64 s[14:15]
.Lpost_getpc18748:
	s_add_u32 s14, s14, (.LBB2_3316-.Lpost_getpc18748)&4294967295
	s_addc_u32 s15, s15, (.LBB2_3316-.Lpost_getpc18748)>>32
	s_setpc_b64 s[14:15]
.LBB2_17653:
	s_movk_i32 s4, 0x80
	v_cmp_eq_u16_e32 vcc, s4, v3
	s_mov_b64 s[4:5], -1
                                        ; implicit-def: $sgpr10
	s_and_saveexec_b64 s[8:9], vcc
; %bb.17654:
	s_mov_b32 s10, 0x7f800001
	s_xor_b64 s[4:5], exec, -1
; %bb.17655:
	s_or_b64 exec, exec, s[8:9]
	s_and_b64 s[4:5], s[4:5], exec
                                        ; implicit-def: $vgpr3
	s_or_saveexec_b64 s[6:7], s[6:7]
	v_mov_b32_e32 v4, s10
	s_xor_b64 exec, exec, s[6:7]
	s_cbranch_execnz .LBB2_17656
; %bb.53493:
	s_getpc_b64 s[14:15]
.Lpost_getpc30330:
	s_add_u32 s14, s14, (.LBB2_3318-.Lpost_getpc30330)&4294967295
	s_addc_u32 s15, s15, (.LBB2_3318-.Lpost_getpc30330)>>32
	s_setpc_b64 s[14:15]
.LBB2_17656:
	v_cmp_ne_u16_e32 vcc, 0, v3
	s_andn2_b64 s[4:5], s[4:5], exec
	s_and_b64 s[8:9], vcc, exec
	v_mov_b32_e32 v4, 0
	s_or_b64 s[4:5], s[4:5], s[8:9]
	s_or_b64 exec, exec, s[6:7]
	s_and_saveexec_b64 s[6:7], s[4:5]
	s_cbranch_execz .LBB2_30331
; %bb.53495:
	s_getpc_b64 s[14:15]
.Lpost_getpc30331:
	s_add_u32 s14, s14, (.LBB2_3319-.Lpost_getpc30331)&4294967295
	s_addc_u32 s15, s15, (.LBB2_3319-.Lpost_getpc30331)>>32
	s_setpc_b64 s[14:15]
.LBB2_30331:
	s_getpc_b64 s[14:15]
.Lpost_getpc18749:
	s_add_u32 s14, s14, (.LBB2_3320-.Lpost_getpc18749)&4294967295
	s_addc_u32 s15, s15, (.LBB2_3320-.Lpost_getpc18749)>>32
	s_setpc_b64 s[14:15]
.LBB2_17657:
	s_movk_i32 s4, 0x80
	v_cmp_eq_u16_sdwa s[12:13], v9, s4 src0_sel:BYTE_3 src1_sel:DWORD
	s_mov_b64 s[4:5], -1
                                        ; implicit-def: $sgpr10
	s_and_saveexec_b64 s[8:9], s[12:13]
; %bb.17658:
	s_mov_b32 s10, 0x7f800001
	s_xor_b64 s[4:5], exec, -1
; %bb.17659:
	s_or_b64 exec, exec, s[8:9]
	s_and_b64 s[4:5], s[4:5], exec
	s_or_saveexec_b64 s[6:7], s[6:7]
	v_mov_b32_e32 v2, s10
	s_xor_b64 exec, exec, s[6:7]
	s_cbranch_execnz .LBB2_17660
; %bb.53497:
	s_getpc_b64 s[14:15]
.Lpost_getpc30332:
	s_add_u32 s14, s14, (.LBB2_3322-.Lpost_getpc30332)&4294967295
	s_addc_u32 s15, s15, (.LBB2_3322-.Lpost_getpc30332)>>32
	s_setpc_b64 s[14:15]
.LBB2_17660:
	v_mov_b32_e32 v2, 0
	v_cmp_ne_u16_sdwa s[8:9], v9, v2 src0_sel:BYTE_3 src1_sel:DWORD
	s_andn2_b64 s[4:5], s[4:5], exec
	s_and_b64 s[8:9], s[8:9], exec
	s_or_b64 s[4:5], s[4:5], s[8:9]
	s_or_b64 exec, exec, s[6:7]
	s_and_saveexec_b64 s[6:7], s[4:5]
	s_cbranch_execz .LBB2_30333
; %bb.53499:
	s_getpc_b64 s[14:15]
.Lpost_getpc30333:
	s_add_u32 s14, s14, (.LBB2_3323-.Lpost_getpc30333)&4294967295
	s_addc_u32 s15, s15, (.LBB2_3323-.Lpost_getpc30333)>>32
	s_setpc_b64 s[14:15]
.LBB2_30333:
	s_getpc_b64 s[14:15]
.Lpost_getpc18750:
	s_add_u32 s14, s14, (.LBB2_3324-.Lpost_getpc18750)&4294967295
	s_addc_u32 s15, s15, (.LBB2_3324-.Lpost_getpc18750)>>32
	s_setpc_b64 s[14:15]
.LBB2_17661:
	s_movk_i32 s4, 0x80
	v_cmp_eq_u16_sdwa s[12:13], v5, s4 src0_sel:BYTE_3 src1_sel:DWORD
	s_mov_b64 s[4:5], -1
                                        ; implicit-def: $sgpr10
	s_and_saveexec_b64 s[8:9], s[12:13]
; %bb.17662:
	s_mov_b32 s10, 0x7f800001
	s_xor_b64 s[4:5], exec, -1
; %bb.17663:
	s_or_b64 exec, exec, s[8:9]
	s_and_b64 s[4:5], s[4:5], exec
	s_or_saveexec_b64 s[6:7], s[6:7]
	v_mov_b32_e32 v3, s10
	s_xor_b64 exec, exec, s[6:7]
	s_cbranch_execnz .LBB2_17664
; %bb.53501:
	s_getpc_b64 s[14:15]
.Lpost_getpc30334:
	s_add_u32 s14, s14, (.LBB2_3326-.Lpost_getpc30334)&4294967295
	s_addc_u32 s15, s15, (.LBB2_3326-.Lpost_getpc30334)>>32
	s_setpc_b64 s[14:15]
.LBB2_17664:
	v_mov_b32_e32 v3, 0
	v_cmp_ne_u16_sdwa s[8:9], v5, v3 src0_sel:BYTE_3 src1_sel:DWORD
	s_andn2_b64 s[4:5], s[4:5], exec
	s_and_b64 s[8:9], s[8:9], exec
	s_or_b64 s[4:5], s[4:5], s[8:9]
	s_or_b64 exec, exec, s[6:7]
	s_and_saveexec_b64 s[6:7], s[4:5]
	s_cbranch_execz .LBB2_30335
; %bb.53503:
	s_getpc_b64 s[14:15]
.Lpost_getpc30335:
	s_add_u32 s14, s14, (.LBB2_3327-.Lpost_getpc30335)&4294967295
	s_addc_u32 s15, s15, (.LBB2_3327-.Lpost_getpc30335)>>32
	s_setpc_b64 s[14:15]
.LBB2_30335:
	s_getpc_b64 s[14:15]
.Lpost_getpc18751:
	s_add_u32 s14, s14, (.LBB2_3328-.Lpost_getpc18751)&4294967295
	s_addc_u32 s15, s15, (.LBB2_3328-.Lpost_getpc18751)>>32
	s_setpc_b64 s[14:15]
.LBB2_17665:
	s_movk_i32 s4, 0x80
	v_cmp_eq_u16_sdwa s[12:13], v6, s4 src0_sel:BYTE_0 src1_sel:DWORD
	s_mov_b64 s[4:5], -1
                                        ; implicit-def: $sgpr10
	s_and_saveexec_b64 s[8:9], s[12:13]
; %bb.17666:
	s_mov_b32 s10, 0x7f800001
	s_xor_b64 s[4:5], exec, -1
; %bb.17667:
	s_or_b64 exec, exec, s[8:9]
	s_and_b64 s[4:5], s[4:5], exec
	s_or_saveexec_b64 s[6:7], s[6:7]
	v_mov_b32_e32 v12, s10
	s_xor_b64 exec, exec, s[6:7]
	s_cbranch_execnz .LBB2_17668
; %bb.53505:
	s_getpc_b64 s[14:15]
.Lpost_getpc30336:
	s_add_u32 s14, s14, (.LBB2_3330-.Lpost_getpc30336)&4294967295
	s_addc_u32 s15, s15, (.LBB2_3330-.Lpost_getpc30336)>>32
	s_setpc_b64 s[14:15]
.LBB2_17668:
	v_mov_b32_e32 v12, 0
	v_cmp_ne_u16_sdwa s[8:9], v6, v12 src0_sel:BYTE_0 src1_sel:DWORD
	s_andn2_b64 s[4:5], s[4:5], exec
	s_and_b64 s[8:9], s[8:9], exec
	s_or_b64 s[4:5], s[4:5], s[8:9]
	s_or_b64 exec, exec, s[6:7]
	s_and_saveexec_b64 s[6:7], s[4:5]
	s_cbranch_execz .LBB2_30337
; %bb.53507:
	s_getpc_b64 s[14:15]
.Lpost_getpc30337:
	s_add_u32 s14, s14, (.LBB2_3331-.Lpost_getpc30337)&4294967295
	s_addc_u32 s15, s15, (.LBB2_3331-.Lpost_getpc30337)>>32
	s_setpc_b64 s[14:15]
.LBB2_30337:
	s_getpc_b64 s[14:15]
.Lpost_getpc18752:
	s_add_u32 s14, s14, (.LBB2_3332-.Lpost_getpc18752)&4294967295
	s_addc_u32 s15, s15, (.LBB2_3332-.Lpost_getpc18752)>>32
	s_setpc_b64 s[14:15]
.LBB2_17669:
	s_movk_i32 s4, 0x80
	v_cmp_eq_u16_sdwa s[12:13], v2, s4 src0_sel:BYTE_0 src1_sel:DWORD
	s_mov_b64 s[4:5], -1
                                        ; implicit-def: $sgpr10
	s_and_saveexec_b64 s[8:9], s[12:13]
; %bb.17670:
	s_mov_b32 s10, 0x7f800001
	s_xor_b64 s[4:5], exec, -1
; %bb.17671:
	s_or_b64 exec, exec, s[8:9]
	s_and_b64 s[4:5], s[4:5], exec
	s_or_saveexec_b64 s[6:7], s[6:7]
	v_mov_b32_e32 v13, s10
	s_xor_b64 exec, exec, s[6:7]
	s_cbranch_execnz .LBB2_17672
; %bb.53509:
	s_getpc_b64 s[14:15]
.Lpost_getpc30338:
	s_add_u32 s14, s14, (.LBB2_3334-.Lpost_getpc30338)&4294967295
	s_addc_u32 s15, s15, (.LBB2_3334-.Lpost_getpc30338)>>32
	s_setpc_b64 s[14:15]
.LBB2_17672:
	v_mov_b32_e32 v13, 0
	v_cmp_ne_u16_sdwa s[8:9], v2, v13 src0_sel:BYTE_0 src1_sel:DWORD
	s_andn2_b64 s[4:5], s[4:5], exec
	s_and_b64 s[8:9], s[8:9], exec
	s_or_b64 s[4:5], s[4:5], s[8:9]
	s_or_b64 exec, exec, s[6:7]
	s_and_saveexec_b64 s[6:7], s[4:5]
	s_cbranch_execz .LBB2_30339
; %bb.53511:
	s_getpc_b64 s[14:15]
.Lpost_getpc30339:
	s_add_u32 s14, s14, (.LBB2_3335-.Lpost_getpc30339)&4294967295
	s_addc_u32 s15, s15, (.LBB2_3335-.Lpost_getpc30339)>>32
	s_setpc_b64 s[14:15]
.LBB2_30339:
	s_getpc_b64 s[14:15]
.Lpost_getpc18753:
	s_add_u32 s14, s14, (.LBB2_3336-.Lpost_getpc18753)&4294967295
	s_addc_u32 s15, s15, (.LBB2_3336-.Lpost_getpc18753)>>32
	s_setpc_b64 s[14:15]
.LBB2_17673:
	s_movk_i32 s4, 0x80
	v_cmp_eq_u16_sdwa s[12:13], v13, s4 src0_sel:BYTE_0 src1_sel:DWORD
	s_mov_b64 s[4:5], -1
                                        ; implicit-def: $sgpr10
	s_and_saveexec_b64 s[8:9], s[12:13]
; %bb.17674:
	s_mov_b32 s10, 0x7f800001
	s_xor_b64 s[4:5], exec, -1
; %bb.17675:
	s_or_b64 exec, exec, s[8:9]
	s_and_b64 s[4:5], s[4:5], exec
	s_or_saveexec_b64 s[6:7], s[6:7]
	v_mov_b32_e32 v12, s10
	s_xor_b64 exec, exec, s[6:7]
	s_cbranch_execnz .LBB2_17676
; %bb.53513:
	s_getpc_b64 s[14:15]
.Lpost_getpc30340:
	s_add_u32 s14, s14, (.LBB2_3338-.Lpost_getpc30340)&4294967295
	s_addc_u32 s15, s15, (.LBB2_3338-.Lpost_getpc30340)>>32
	s_setpc_b64 s[14:15]
.LBB2_17676:
	v_mov_b32_e32 v12, 0
	v_cmp_ne_u16_sdwa s[8:9], v13, v12 src0_sel:BYTE_0 src1_sel:DWORD
	s_andn2_b64 s[4:5], s[4:5], exec
	s_and_b64 s[8:9], s[8:9], exec
	s_or_b64 s[4:5], s[4:5], s[8:9]
	s_or_b64 exec, exec, s[6:7]
	s_and_saveexec_b64 s[6:7], s[4:5]
	s_cbranch_execz .LBB2_30341
; %bb.53515:
	s_getpc_b64 s[14:15]
.Lpost_getpc30341:
	s_add_u32 s14, s14, (.LBB2_3339-.Lpost_getpc30341)&4294967295
	s_addc_u32 s15, s15, (.LBB2_3339-.Lpost_getpc30341)>>32
	s_setpc_b64 s[14:15]
.LBB2_30341:
	s_getpc_b64 s[14:15]
.Lpost_getpc18754:
	s_add_u32 s14, s14, (.LBB2_3340-.Lpost_getpc18754)&4294967295
	s_addc_u32 s15, s15, (.LBB2_3340-.Lpost_getpc18754)>>32
	s_setpc_b64 s[14:15]
.LBB2_17677:
	s_movk_i32 s4, 0x80
	v_cmp_eq_u16_sdwa s[12:13], v13, s4 src0_sel:BYTE_0 src1_sel:DWORD
	s_mov_b64 s[4:5], -1
                                        ; implicit-def: $sgpr10
	s_and_saveexec_b64 s[8:9], s[12:13]
; %bb.17678:
	s_mov_b32 s10, 0x7f800001
	s_xor_b64 s[4:5], exec, -1
; %bb.17679:
	s_or_b64 exec, exec, s[8:9]
	s_and_b64 s[4:5], s[4:5], exec
	s_or_saveexec_b64 s[6:7], s[6:7]
	v_mov_b32_e32 v14, s10
	s_xor_b64 exec, exec, s[6:7]
	s_cbranch_execnz .LBB2_17680
; %bb.53517:
	s_getpc_b64 s[14:15]
.Lpost_getpc30342:
	s_add_u32 s14, s14, (.LBB2_3342-.Lpost_getpc30342)&4294967295
	s_addc_u32 s15, s15, (.LBB2_3342-.Lpost_getpc30342)>>32
	s_setpc_b64 s[14:15]
.LBB2_17680:
	v_mov_b32_e32 v14, 0
	v_cmp_ne_u16_sdwa s[8:9], v13, v14 src0_sel:BYTE_0 src1_sel:DWORD
	s_andn2_b64 s[4:5], s[4:5], exec
	s_and_b64 s[8:9], s[8:9], exec
	s_or_b64 s[4:5], s[4:5], s[8:9]
	s_or_b64 exec, exec, s[6:7]
	s_and_saveexec_b64 s[6:7], s[4:5]
	s_cbranch_execz .LBB2_30343
; %bb.53519:
	s_getpc_b64 s[14:15]
.Lpost_getpc30343:
	s_add_u32 s14, s14, (.LBB2_3343-.Lpost_getpc30343)&4294967295
	s_addc_u32 s15, s15, (.LBB2_3343-.Lpost_getpc30343)>>32
	s_setpc_b64 s[14:15]
.LBB2_30343:
	s_getpc_b64 s[14:15]
.Lpost_getpc18755:
	s_add_u32 s14, s14, (.LBB2_3344-.Lpost_getpc18755)&4294967295
	s_addc_u32 s15, s15, (.LBB2_3344-.Lpost_getpc18755)>>32
	s_setpc_b64 s[14:15]
.LBB2_17681:
	s_movk_i32 s4, 0x80
	v_cmp_eq_u16_e32 vcc, s4, v13
	s_mov_b64 s[4:5], -1
                                        ; implicit-def: $sgpr10
	s_and_saveexec_b64 s[8:9], vcc
; %bb.17682:
	s_mov_b32 s10, 0x7f800001
	s_xor_b64 s[4:5], exec, -1
; %bb.17683:
	s_or_b64 exec, exec, s[8:9]
	s_and_b64 s[4:5], s[4:5], exec
                                        ; implicit-def: $vgpr13
	s_or_saveexec_b64 s[6:7], s[6:7]
	v_mov_b32_e32 v12, s10
	s_xor_b64 exec, exec, s[6:7]
	s_cbranch_execnz .LBB2_17684
; %bb.53521:
	s_getpc_b64 s[14:15]
.Lpost_getpc30344:
	s_add_u32 s14, s14, (.LBB2_3346-.Lpost_getpc30344)&4294967295
	s_addc_u32 s15, s15, (.LBB2_3346-.Lpost_getpc30344)>>32
	s_setpc_b64 s[14:15]
.LBB2_17684:
	v_cmp_ne_u16_e32 vcc, 0, v13
	s_andn2_b64 s[4:5], s[4:5], exec
	s_and_b64 s[8:9], vcc, exec
	v_mov_b32_e32 v12, 0
	s_or_b64 s[4:5], s[4:5], s[8:9]
	s_or_b64 exec, exec, s[6:7]
	s_and_saveexec_b64 s[6:7], s[4:5]
	s_cbranch_execz .LBB2_30345
; %bb.53523:
	s_getpc_b64 s[14:15]
.Lpost_getpc30345:
	s_add_u32 s14, s14, (.LBB2_3347-.Lpost_getpc30345)&4294967295
	s_addc_u32 s15, s15, (.LBB2_3347-.Lpost_getpc30345)>>32
	s_setpc_b64 s[14:15]
.LBB2_30345:
	s_getpc_b64 s[14:15]
.Lpost_getpc18756:
	s_add_u32 s14, s14, (.LBB2_3348-.Lpost_getpc18756)&4294967295
	s_addc_u32 s15, s15, (.LBB2_3348-.Lpost_getpc18756)>>32
	s_setpc_b64 s[14:15]
.LBB2_17685:
	s_movk_i32 s4, 0x80
	v_cmp_eq_u16_e32 vcc, s4, v13
	s_mov_b64 s[4:5], -1
                                        ; implicit-def: $sgpr10
	s_and_saveexec_b64 s[8:9], vcc
; %bb.17686:
	s_mov_b32 s10, 0x7f800001
	s_xor_b64 s[4:5], exec, -1
; %bb.17687:
	s_or_b64 exec, exec, s[8:9]
	s_and_b64 s[4:5], s[4:5], exec
                                        ; implicit-def: $vgpr13
	s_or_saveexec_b64 s[6:7], s[6:7]
	v_mov_b32_e32 v14, s10
	s_xor_b64 exec, exec, s[6:7]
	s_cbranch_execnz .LBB2_17688
; %bb.53525:
	s_getpc_b64 s[14:15]
.Lpost_getpc30346:
	s_add_u32 s14, s14, (.LBB2_3350-.Lpost_getpc30346)&4294967295
	s_addc_u32 s15, s15, (.LBB2_3350-.Lpost_getpc30346)>>32
	s_setpc_b64 s[14:15]
.LBB2_17688:
	v_cmp_ne_u16_e32 vcc, 0, v13
	s_andn2_b64 s[4:5], s[4:5], exec
	s_and_b64 s[8:9], vcc, exec
	v_mov_b32_e32 v14, 0
	s_or_b64 s[4:5], s[4:5], s[8:9]
	s_or_b64 exec, exec, s[6:7]
	s_and_saveexec_b64 s[6:7], s[4:5]
	s_cbranch_execz .LBB2_30347
; %bb.53527:
	s_getpc_b64 s[14:15]
.Lpost_getpc30347:
	s_add_u32 s14, s14, (.LBB2_3351-.Lpost_getpc30347)&4294967295
	s_addc_u32 s15, s15, (.LBB2_3351-.Lpost_getpc30347)>>32
	s_setpc_b64 s[14:15]
.LBB2_30347:
	s_getpc_b64 s[14:15]
.Lpost_getpc18757:
	s_add_u32 s14, s14, (.LBB2_3352-.Lpost_getpc18757)&4294967295
	s_addc_u32 s15, s15, (.LBB2_3352-.Lpost_getpc18757)>>32
	s_setpc_b64 s[14:15]
.LBB2_17689:
	s_movk_i32 s4, 0x80
	v_cmp_eq_u16_sdwa s[12:13], v6, s4 src0_sel:BYTE_3 src1_sel:DWORD
	s_mov_b64 s[4:5], -1
                                        ; implicit-def: $sgpr10
	s_and_saveexec_b64 s[8:9], s[12:13]
; %bb.17690:
	s_mov_b32 s10, 0x7f800001
	s_xor_b64 s[4:5], exec, -1
; %bb.17691:
	s_or_b64 exec, exec, s[8:9]
	s_and_b64 s[4:5], s[4:5], exec
	s_or_saveexec_b64 s[6:7], s[6:7]
	v_mov_b32_e32 v12, s10
	s_xor_b64 exec, exec, s[6:7]
	s_cbranch_execnz .LBB2_17692
; %bb.53529:
	s_getpc_b64 s[14:15]
.Lpost_getpc30348:
	s_add_u32 s14, s14, (.LBB2_3354-.Lpost_getpc30348)&4294967295
	s_addc_u32 s15, s15, (.LBB2_3354-.Lpost_getpc30348)>>32
	s_setpc_b64 s[14:15]
.LBB2_17692:
	v_mov_b32_e32 v12, 0
	v_cmp_ne_u16_sdwa s[8:9], v6, v12 src0_sel:BYTE_3 src1_sel:DWORD
	s_andn2_b64 s[4:5], s[4:5], exec
	s_and_b64 s[8:9], s[8:9], exec
	s_or_b64 s[4:5], s[4:5], s[8:9]
	s_or_b64 exec, exec, s[6:7]
	s_and_saveexec_b64 s[6:7], s[4:5]
	s_cbranch_execz .LBB2_30349
; %bb.53531:
	s_getpc_b64 s[14:15]
.Lpost_getpc30349:
	s_add_u32 s14, s14, (.LBB2_3355-.Lpost_getpc30349)&4294967295
	s_addc_u32 s15, s15, (.LBB2_3355-.Lpost_getpc30349)>>32
	s_setpc_b64 s[14:15]
.LBB2_30349:
	s_getpc_b64 s[14:15]
.Lpost_getpc18758:
	s_add_u32 s14, s14, (.LBB2_3356-.Lpost_getpc18758)&4294967295
	s_addc_u32 s15, s15, (.LBB2_3356-.Lpost_getpc18758)>>32
	s_setpc_b64 s[14:15]
.LBB2_17693:
	s_movk_i32 s4, 0x80
	v_cmp_eq_u16_sdwa s[12:13], v2, s4 src0_sel:BYTE_3 src1_sel:DWORD
	s_mov_b64 s[4:5], -1
                                        ; implicit-def: $sgpr10
	s_and_saveexec_b64 s[8:9], s[12:13]
; %bb.17694:
	s_mov_b32 s10, 0x7f800001
	s_xor_b64 s[4:5], exec, -1
; %bb.17695:
	s_or_b64 exec, exec, s[8:9]
	s_and_b64 s[4:5], s[4:5], exec
	s_or_saveexec_b64 s[6:7], s[6:7]
	v_mov_b32_e32 v6, s10
	s_xor_b64 exec, exec, s[6:7]
	s_cbranch_execnz .LBB2_17696
; %bb.53533:
	s_getpc_b64 s[14:15]
.Lpost_getpc30350:
	s_add_u32 s14, s14, (.LBB2_3358-.Lpost_getpc30350)&4294967295
	s_addc_u32 s15, s15, (.LBB2_3358-.Lpost_getpc30350)>>32
	s_setpc_b64 s[14:15]
.LBB2_17696:
	v_mov_b32_e32 v6, 0
	v_cmp_ne_u16_sdwa s[8:9], v2, v6 src0_sel:BYTE_3 src1_sel:DWORD
	s_andn2_b64 s[4:5], s[4:5], exec
	s_and_b64 s[8:9], s[8:9], exec
	s_or_b64 s[4:5], s[4:5], s[8:9]
	s_or_b64 exec, exec, s[6:7]
	s_and_saveexec_b64 s[6:7], s[4:5]
	s_cbranch_execz .LBB2_30351
; %bb.53535:
	s_getpc_b64 s[14:15]
.Lpost_getpc30351:
	s_add_u32 s14, s14, (.LBB2_3359-.Lpost_getpc30351)&4294967295
	s_addc_u32 s15, s15, (.LBB2_3359-.Lpost_getpc30351)>>32
	s_setpc_b64 s[14:15]
.LBB2_30351:
	s_getpc_b64 s[14:15]
.Lpost_getpc18759:
	s_add_u32 s14, s14, (.LBB2_3360-.Lpost_getpc18759)&4294967295
	s_addc_u32 s15, s15, (.LBB2_3360-.Lpost_getpc18759)>>32
	s_setpc_b64 s[14:15]
.LBB2_17697:
	s_movk_i32 s4, 0x80
	v_cmp_eq_u16_sdwa s[12:13], v7, s4 src0_sel:BYTE_0 src1_sel:DWORD
	s_mov_b64 s[4:5], -1
                                        ; implicit-def: $sgpr10
	s_and_saveexec_b64 s[8:9], s[12:13]
; %bb.17698:
	s_mov_b32 s10, 0x7f800001
	s_xor_b64 s[4:5], exec, -1
; %bb.17699:
	s_or_b64 exec, exec, s[8:9]
	s_and_b64 s[4:5], s[4:5], exec
	s_or_saveexec_b64 s[6:7], s[6:7]
	v_mov_b32_e32 v2, s10
	s_xor_b64 exec, exec, s[6:7]
	s_cbranch_execnz .LBB2_17700
; %bb.53537:
	s_getpc_b64 s[14:15]
.Lpost_getpc30352:
	s_add_u32 s14, s14, (.LBB2_3362-.Lpost_getpc30352)&4294967295
	s_addc_u32 s15, s15, (.LBB2_3362-.Lpost_getpc30352)>>32
	s_setpc_b64 s[14:15]
.LBB2_17700:
	v_mov_b32_e32 v2, 0
	v_cmp_ne_u16_sdwa s[8:9], v7, v2 src0_sel:BYTE_0 src1_sel:DWORD
	s_andn2_b64 s[4:5], s[4:5], exec
	s_and_b64 s[8:9], s[8:9], exec
	s_or_b64 s[4:5], s[4:5], s[8:9]
	s_or_b64 exec, exec, s[6:7]
	s_and_saveexec_b64 s[6:7], s[4:5]
	s_cbranch_execz .LBB2_30353
; %bb.53539:
	s_getpc_b64 s[14:15]
.Lpost_getpc30353:
	s_add_u32 s14, s14, (.LBB2_3363-.Lpost_getpc30353)&4294967295
	s_addc_u32 s15, s15, (.LBB2_3363-.Lpost_getpc30353)>>32
	s_setpc_b64 s[14:15]
.LBB2_30353:
	s_getpc_b64 s[14:15]
.Lpost_getpc18760:
	s_add_u32 s14, s14, (.LBB2_3364-.Lpost_getpc18760)&4294967295
	s_addc_u32 s15, s15, (.LBB2_3364-.Lpost_getpc18760)>>32
	s_setpc_b64 s[14:15]
.LBB2_17701:
	s_movk_i32 s4, 0x80
	v_cmp_eq_u16_sdwa s[12:13], v3, s4 src0_sel:BYTE_0 src1_sel:DWORD
	s_mov_b64 s[4:5], -1
                                        ; implicit-def: $sgpr10
	s_and_saveexec_b64 s[8:9], s[12:13]
; %bb.17702:
	s_mov_b32 s10, 0x7f800001
	s_xor_b64 s[4:5], exec, -1
; %bb.17703:
	s_or_b64 exec, exec, s[8:9]
	s_and_b64 s[4:5], s[4:5], exec
	s_or_saveexec_b64 s[6:7], s[6:7]
	v_mov_b32_e32 v6, s10
	s_xor_b64 exec, exec, s[6:7]
	s_cbranch_execnz .LBB2_17704
; %bb.53541:
	s_getpc_b64 s[14:15]
.Lpost_getpc30354:
	s_add_u32 s14, s14, (.LBB2_3366-.Lpost_getpc30354)&4294967295
	s_addc_u32 s15, s15, (.LBB2_3366-.Lpost_getpc30354)>>32
	s_setpc_b64 s[14:15]
.LBB2_17704:
	v_mov_b32_e32 v6, 0
	v_cmp_ne_u16_sdwa s[8:9], v3, v6 src0_sel:BYTE_0 src1_sel:DWORD
	s_andn2_b64 s[4:5], s[4:5], exec
	s_and_b64 s[8:9], s[8:9], exec
	s_or_b64 s[4:5], s[4:5], s[8:9]
	s_or_b64 exec, exec, s[6:7]
	s_and_saveexec_b64 s[6:7], s[4:5]
	s_cbranch_execz .LBB2_30355
; %bb.53543:
	s_getpc_b64 s[14:15]
.Lpost_getpc30355:
	s_add_u32 s14, s14, (.LBB2_3367-.Lpost_getpc30355)&4294967295
	s_addc_u32 s15, s15, (.LBB2_3367-.Lpost_getpc30355)>>32
	s_setpc_b64 s[14:15]
.LBB2_30355:
	s_getpc_b64 s[14:15]
.Lpost_getpc18761:
	s_add_u32 s14, s14, (.LBB2_3368-.Lpost_getpc18761)&4294967295
	s_addc_u32 s15, s15, (.LBB2_3368-.Lpost_getpc18761)>>32
	s_setpc_b64 s[14:15]
.LBB2_17705:
	s_movk_i32 s4, 0x80
	v_cmp_eq_u16_sdwa s[12:13], v6, s4 src0_sel:BYTE_0 src1_sel:DWORD
	s_mov_b64 s[4:5], -1
                                        ; implicit-def: $sgpr10
	s_and_saveexec_b64 s[8:9], s[12:13]
; %bb.17706:
	s_mov_b32 s10, 0x7f800001
	s_xor_b64 s[4:5], exec, -1
; %bb.17707:
	s_or_b64 exec, exec, s[8:9]
	s_and_b64 s[4:5], s[4:5], exec
	s_or_saveexec_b64 s[6:7], s[6:7]
	v_mov_b32_e32 v2, s10
	s_xor_b64 exec, exec, s[6:7]
	s_cbranch_execnz .LBB2_17708
; %bb.53545:
	s_getpc_b64 s[14:15]
.Lpost_getpc30356:
	s_add_u32 s14, s14, (.LBB2_3370-.Lpost_getpc30356)&4294967295
	s_addc_u32 s15, s15, (.LBB2_3370-.Lpost_getpc30356)>>32
	s_setpc_b64 s[14:15]
.LBB2_17708:
	v_mov_b32_e32 v2, 0
	v_cmp_ne_u16_sdwa s[8:9], v6, v2 src0_sel:BYTE_0 src1_sel:DWORD
	s_andn2_b64 s[4:5], s[4:5], exec
	s_and_b64 s[8:9], s[8:9], exec
	s_or_b64 s[4:5], s[4:5], s[8:9]
	s_or_b64 exec, exec, s[6:7]
	s_and_saveexec_b64 s[6:7], s[4:5]
	s_cbranch_execz .LBB2_30357
; %bb.53547:
	s_getpc_b64 s[14:15]
.Lpost_getpc30357:
	s_add_u32 s14, s14, (.LBB2_3371-.Lpost_getpc30357)&4294967295
	s_addc_u32 s15, s15, (.LBB2_3371-.Lpost_getpc30357)>>32
	s_setpc_b64 s[14:15]
.LBB2_30357:
	s_getpc_b64 s[14:15]
.Lpost_getpc18762:
	s_add_u32 s14, s14, (.LBB2_3372-.Lpost_getpc18762)&4294967295
	s_addc_u32 s15, s15, (.LBB2_3372-.Lpost_getpc18762)>>32
	s_setpc_b64 s[14:15]
.LBB2_17709:
	s_movk_i32 s4, 0x80
	v_cmp_eq_u16_sdwa s[12:13], v6, s4 src0_sel:BYTE_0 src1_sel:DWORD
	s_mov_b64 s[4:5], -1
                                        ; implicit-def: $sgpr10
	s_and_saveexec_b64 s[8:9], s[12:13]
; %bb.17710:
	s_mov_b32 s10, 0x7f800001
	s_xor_b64 s[4:5], exec, -1
; %bb.17711:
	s_or_b64 exec, exec, s[8:9]
	s_and_b64 s[4:5], s[4:5], exec
	s_or_saveexec_b64 s[6:7], s[6:7]
	v_mov_b32_e32 v12, s10
	s_xor_b64 exec, exec, s[6:7]
	s_cbranch_execnz .LBB2_17712
; %bb.53549:
	s_getpc_b64 s[14:15]
.Lpost_getpc30358:
	s_add_u32 s14, s14, (.LBB2_3374-.Lpost_getpc30358)&4294967295
	s_addc_u32 s15, s15, (.LBB2_3374-.Lpost_getpc30358)>>32
	s_setpc_b64 s[14:15]
.LBB2_17712:
	v_mov_b32_e32 v12, 0
	v_cmp_ne_u16_sdwa s[8:9], v6, v12 src0_sel:BYTE_0 src1_sel:DWORD
	s_andn2_b64 s[4:5], s[4:5], exec
	s_and_b64 s[8:9], s[8:9], exec
	s_or_b64 s[4:5], s[4:5], s[8:9]
	s_or_b64 exec, exec, s[6:7]
	s_and_saveexec_b64 s[6:7], s[4:5]
	s_cbranch_execz .LBB2_30359
; %bb.53551:
	s_getpc_b64 s[14:15]
.Lpost_getpc30359:
	s_add_u32 s14, s14, (.LBB2_3375-.Lpost_getpc30359)&4294967295
	s_addc_u32 s15, s15, (.LBB2_3375-.Lpost_getpc30359)>>32
	s_setpc_b64 s[14:15]
.LBB2_30359:
	s_getpc_b64 s[14:15]
.Lpost_getpc18763:
	s_add_u32 s14, s14, (.LBB2_3376-.Lpost_getpc18763)&4294967295
	s_addc_u32 s15, s15, (.LBB2_3376-.Lpost_getpc18763)>>32
	s_setpc_b64 s[14:15]
.LBB2_17713:
	s_movk_i32 s4, 0x80
	v_cmp_eq_u16_e32 vcc, s4, v6
	s_mov_b64 s[4:5], -1
                                        ; implicit-def: $sgpr10
	s_and_saveexec_b64 s[8:9], vcc
; %bb.17714:
	s_mov_b32 s10, 0x7f800001
	s_xor_b64 s[4:5], exec, -1
; %bb.17715:
	s_or_b64 exec, exec, s[8:9]
	s_and_b64 s[4:5], s[4:5], exec
                                        ; implicit-def: $vgpr6
	s_or_saveexec_b64 s[6:7], s[6:7]
	v_mov_b32_e32 v2, s10
	s_xor_b64 exec, exec, s[6:7]
	s_cbranch_execnz .LBB2_17716
; %bb.53553:
	s_getpc_b64 s[14:15]
.Lpost_getpc30360:
	s_add_u32 s14, s14, (.LBB2_3378-.Lpost_getpc30360)&4294967295
	s_addc_u32 s15, s15, (.LBB2_3378-.Lpost_getpc30360)>>32
	s_setpc_b64 s[14:15]
.LBB2_17716:
	v_cmp_ne_u16_e32 vcc, 0, v6
	s_andn2_b64 s[4:5], s[4:5], exec
	s_and_b64 s[8:9], vcc, exec
	v_mov_b32_e32 v2, 0
	s_or_b64 s[4:5], s[4:5], s[8:9]
	s_or_b64 exec, exec, s[6:7]
	s_and_saveexec_b64 s[6:7], s[4:5]
	s_cbranch_execz .LBB2_30361
; %bb.53555:
	s_getpc_b64 s[14:15]
.Lpost_getpc30361:
	s_add_u32 s14, s14, (.LBB2_3379-.Lpost_getpc30361)&4294967295
	s_addc_u32 s15, s15, (.LBB2_3379-.Lpost_getpc30361)>>32
	s_setpc_b64 s[14:15]
.LBB2_30361:
	s_getpc_b64 s[14:15]
.Lpost_getpc18764:
	s_add_u32 s14, s14, (.LBB2_3380-.Lpost_getpc18764)&4294967295
	s_addc_u32 s15, s15, (.LBB2_3380-.Lpost_getpc18764)>>32
	s_setpc_b64 s[14:15]
.LBB2_17717:
	s_movk_i32 s4, 0x80
	v_cmp_eq_u16_e32 vcc, s4, v6
	s_mov_b64 s[4:5], -1
                                        ; implicit-def: $sgpr10
	s_and_saveexec_b64 s[8:9], vcc
; %bb.17718:
	s_mov_b32 s10, 0x7f800001
	s_xor_b64 s[4:5], exec, -1
; %bb.17719:
	s_or_b64 exec, exec, s[8:9]
	s_and_b64 s[4:5], s[4:5], exec
                                        ; implicit-def: $vgpr6
	s_or_saveexec_b64 s[6:7], s[6:7]
	v_mov_b32_e32 v12, s10
	s_xor_b64 exec, exec, s[6:7]
	s_cbranch_execnz .LBB2_17720
; %bb.53557:
	s_getpc_b64 s[14:15]
.Lpost_getpc30362:
	s_add_u32 s14, s14, (.LBB2_3382-.Lpost_getpc30362)&4294967295
	s_addc_u32 s15, s15, (.LBB2_3382-.Lpost_getpc30362)>>32
	s_setpc_b64 s[14:15]
.LBB2_17720:
	v_cmp_ne_u16_e32 vcc, 0, v6
	s_andn2_b64 s[4:5], s[4:5], exec
	s_and_b64 s[8:9], vcc, exec
	v_mov_b32_e32 v12, 0
	s_or_b64 s[4:5], s[4:5], s[8:9]
	s_or_b64 exec, exec, s[6:7]
	s_and_saveexec_b64 s[6:7], s[4:5]
	s_cbranch_execz .LBB2_30363
; %bb.53559:
	s_getpc_b64 s[14:15]
.Lpost_getpc30363:
	s_add_u32 s14, s14, (.LBB2_3383-.Lpost_getpc30363)&4294967295
	s_addc_u32 s15, s15, (.LBB2_3383-.Lpost_getpc30363)>>32
	s_setpc_b64 s[14:15]
.LBB2_30363:
	s_getpc_b64 s[14:15]
.Lpost_getpc18765:
	s_add_u32 s14, s14, (.LBB2_3384-.Lpost_getpc18765)&4294967295
	s_addc_u32 s15, s15, (.LBB2_3384-.Lpost_getpc18765)>>32
	s_setpc_b64 s[14:15]
.LBB2_17721:
	s_movk_i32 s4, 0x80
	v_cmp_eq_u16_sdwa s[12:13], v7, s4 src0_sel:BYTE_3 src1_sel:DWORD
	s_mov_b64 s[4:5], -1
                                        ; implicit-def: $sgpr10
	s_and_saveexec_b64 s[8:9], s[12:13]
; %bb.17722:
	s_mov_b32 s10, 0x7f800001
	s_xor_b64 s[4:5], exec, -1
; %bb.17723:
	s_or_b64 exec, exec, s[8:9]
	s_and_b64 s[4:5], s[4:5], exec
	s_or_saveexec_b64 s[6:7], s[6:7]
	v_mov_b32_e32 v2, s10
	s_xor_b64 exec, exec, s[6:7]
	s_cbranch_execnz .LBB2_17724
; %bb.53561:
	s_getpc_b64 s[14:15]
.Lpost_getpc30364:
	s_add_u32 s14, s14, (.LBB2_3386-.Lpost_getpc30364)&4294967295
	s_addc_u32 s15, s15, (.LBB2_3386-.Lpost_getpc30364)>>32
	s_setpc_b64 s[14:15]
.LBB2_17724:
	v_mov_b32_e32 v2, 0
	v_cmp_ne_u16_sdwa s[8:9], v7, v2 src0_sel:BYTE_3 src1_sel:DWORD
	s_andn2_b64 s[4:5], s[4:5], exec
	s_and_b64 s[8:9], s[8:9], exec
	s_or_b64 s[4:5], s[4:5], s[8:9]
	s_or_b64 exec, exec, s[6:7]
	s_and_saveexec_b64 s[6:7], s[4:5]
	s_cbranch_execz .LBB2_30365
; %bb.53563:
	s_getpc_b64 s[14:15]
.Lpost_getpc30365:
	s_add_u32 s14, s14, (.LBB2_3387-.Lpost_getpc30365)&4294967295
	s_addc_u32 s15, s15, (.LBB2_3387-.Lpost_getpc30365)>>32
	s_setpc_b64 s[14:15]
.LBB2_30365:
	s_getpc_b64 s[14:15]
.Lpost_getpc18766:
	s_add_u32 s14, s14, (.LBB2_3388-.Lpost_getpc18766)&4294967295
	s_addc_u32 s15, s15, (.LBB2_3388-.Lpost_getpc18766)>>32
	s_setpc_b64 s[14:15]
.LBB2_17725:
	s_movk_i32 s4, 0x80
	v_cmp_eq_u16_sdwa s[12:13], v3, s4 src0_sel:BYTE_3 src1_sel:DWORD
	s_mov_b64 s[4:5], -1
                                        ; implicit-def: $sgpr10
	s_and_saveexec_b64 s[8:9], s[12:13]
; %bb.17726:
	s_mov_b32 s10, 0x7f800001
	s_xor_b64 s[4:5], exec, -1
; %bb.17727:
	s_or_b64 exec, exec, s[8:9]
	s_and_b64 s[4:5], s[4:5], exec
	s_or_saveexec_b64 s[6:7], s[6:7]
	v_mov_b32_e32 v6, s10
	s_xor_b64 exec, exec, s[6:7]
	s_cbranch_execnz .LBB2_17728
; %bb.53565:
	s_getpc_b64 s[14:15]
.Lpost_getpc30366:
	s_add_u32 s14, s14, (.LBB2_3390-.Lpost_getpc30366)&4294967295
	s_addc_u32 s15, s15, (.LBB2_3390-.Lpost_getpc30366)>>32
	s_setpc_b64 s[14:15]
.LBB2_17728:
	v_mov_b32_e32 v6, 0
	v_cmp_ne_u16_sdwa s[8:9], v3, v6 src0_sel:BYTE_3 src1_sel:DWORD
	s_andn2_b64 s[4:5], s[4:5], exec
	s_and_b64 s[8:9], s[8:9], exec
	s_or_b64 s[4:5], s[4:5], s[8:9]
	s_or_b64 exec, exec, s[6:7]
	s_and_saveexec_b64 s[6:7], s[4:5]
	s_cbranch_execz .LBB2_30367
; %bb.53567:
	s_getpc_b64 s[14:15]
.Lpost_getpc30367:
	s_add_u32 s14, s14, (.LBB2_3391-.Lpost_getpc30367)&4294967295
	s_addc_u32 s15, s15, (.LBB2_3391-.Lpost_getpc30367)>>32
	s_setpc_b64 s[14:15]
.LBB2_30367:
	s_getpc_b64 s[14:15]
.Lpost_getpc18767:
	s_add_u32 s14, s14, (.LBB2_3392-.Lpost_getpc18767)&4294967295
	s_addc_u32 s15, s15, (.LBB2_3392-.Lpost_getpc18767)>>32
	s_setpc_b64 s[14:15]
.LBB2_17729:
	s_movk_i32 s4, 0x80
	v_cmp_eq_u16_sdwa s[12:13], v8, s4 src0_sel:BYTE_0 src1_sel:DWORD
	s_mov_b64 s[4:5], -1
                                        ; implicit-def: $sgpr10
	s_and_saveexec_b64 s[8:9], s[12:13]
; %bb.17730:
	s_mov_b32 s10, 0x7f800001
	s_xor_b64 s[4:5], exec, -1
; %bb.17731:
	s_or_b64 exec, exec, s[8:9]
	s_and_b64 s[4:5], s[4:5], exec
	s_or_saveexec_b64 s[6:7], s[6:7]
	v_mov_b32_e32 v2, s10
	s_xor_b64 exec, exec, s[6:7]
	s_cbranch_execnz .LBB2_17732
; %bb.53569:
	s_getpc_b64 s[14:15]
.Lpost_getpc30368:
	s_add_u32 s14, s14, (.LBB2_3394-.Lpost_getpc30368)&4294967295
	s_addc_u32 s15, s15, (.LBB2_3394-.Lpost_getpc30368)>>32
	s_setpc_b64 s[14:15]
.LBB2_17732:
	v_mov_b32_e32 v2, 0
	v_cmp_ne_u16_sdwa s[8:9], v8, v2 src0_sel:BYTE_0 src1_sel:DWORD
	s_andn2_b64 s[4:5], s[4:5], exec
	s_and_b64 s[8:9], s[8:9], exec
	s_or_b64 s[4:5], s[4:5], s[8:9]
	s_or_b64 exec, exec, s[6:7]
	s_and_saveexec_b64 s[6:7], s[4:5]
	s_cbranch_execz .LBB2_30369
; %bb.53571:
	s_getpc_b64 s[14:15]
.Lpost_getpc30369:
	s_add_u32 s14, s14, (.LBB2_3395-.Lpost_getpc30369)&4294967295
	s_addc_u32 s15, s15, (.LBB2_3395-.Lpost_getpc30369)>>32
	s_setpc_b64 s[14:15]
.LBB2_30369:
	s_getpc_b64 s[14:15]
.Lpost_getpc18768:
	s_add_u32 s14, s14, (.LBB2_3396-.Lpost_getpc18768)&4294967295
	s_addc_u32 s15, s15, (.LBB2_3396-.Lpost_getpc18768)>>32
	s_setpc_b64 s[14:15]
.LBB2_17733:
	s_movk_i32 s4, 0x80
	v_cmp_eq_u16_sdwa s[12:13], v4, s4 src0_sel:BYTE_0 src1_sel:DWORD
	s_mov_b64 s[4:5], -1
                                        ; implicit-def: $sgpr10
	s_and_saveexec_b64 s[8:9], s[12:13]
; %bb.17734:
	s_mov_b32 s10, 0x7f800001
	s_xor_b64 s[4:5], exec, -1
; %bb.17735:
	s_or_b64 exec, exec, s[8:9]
	s_and_b64 s[4:5], s[4:5], exec
	s_or_saveexec_b64 s[6:7], s[6:7]
	v_mov_b32_e32 v3, s10
	s_xor_b64 exec, exec, s[6:7]
	s_cbranch_execnz .LBB2_17736
; %bb.53573:
	s_getpc_b64 s[14:15]
.Lpost_getpc30370:
	s_add_u32 s14, s14, (.LBB2_3398-.Lpost_getpc30370)&4294967295
	s_addc_u32 s15, s15, (.LBB2_3398-.Lpost_getpc30370)>>32
	s_setpc_b64 s[14:15]
.LBB2_17736:
	v_mov_b32_e32 v3, 0
	v_cmp_ne_u16_sdwa s[8:9], v4, v3 src0_sel:BYTE_0 src1_sel:DWORD
	s_andn2_b64 s[4:5], s[4:5], exec
	s_and_b64 s[8:9], s[8:9], exec
	s_or_b64 s[4:5], s[4:5], s[8:9]
	s_or_b64 exec, exec, s[6:7]
	s_and_saveexec_b64 s[6:7], s[4:5]
	s_cbranch_execz .LBB2_30371
; %bb.53575:
	s_getpc_b64 s[14:15]
.Lpost_getpc30371:
	s_add_u32 s14, s14, (.LBB2_3399-.Lpost_getpc30371)&4294967295
	s_addc_u32 s15, s15, (.LBB2_3399-.Lpost_getpc30371)>>32
	s_setpc_b64 s[14:15]
.LBB2_30371:
	s_getpc_b64 s[14:15]
.Lpost_getpc18769:
	s_add_u32 s14, s14, (.LBB2_3400-.Lpost_getpc18769)&4294967295
	s_addc_u32 s15, s15, (.LBB2_3400-.Lpost_getpc18769)>>32
	s_setpc_b64 s[14:15]
.LBB2_17737:
	s_movk_i32 s4, 0x80
	v_cmp_eq_u16_sdwa s[12:13], v3, s4 src0_sel:BYTE_0 src1_sel:DWORD
	s_mov_b64 s[4:5], -1
                                        ; implicit-def: $sgpr10
	s_and_saveexec_b64 s[8:9], s[12:13]
; %bb.17738:
	s_mov_b32 s10, 0x7f800001
	s_xor_b64 s[4:5], exec, -1
; %bb.17739:
	s_or_b64 exec, exec, s[8:9]
	s_and_b64 s[4:5], s[4:5], exec
	s_or_saveexec_b64 s[6:7], s[6:7]
	v_mov_b32_e32 v2, s10
	s_xor_b64 exec, exec, s[6:7]
	s_cbranch_execnz .LBB2_17740
; %bb.53577:
	s_getpc_b64 s[14:15]
.Lpost_getpc30372:
	s_add_u32 s14, s14, (.LBB2_3402-.Lpost_getpc30372)&4294967295
	s_addc_u32 s15, s15, (.LBB2_3402-.Lpost_getpc30372)>>32
	s_setpc_b64 s[14:15]
.LBB2_17740:
	v_mov_b32_e32 v2, 0
	v_cmp_ne_u16_sdwa s[8:9], v3, v2 src0_sel:BYTE_0 src1_sel:DWORD
	s_andn2_b64 s[4:5], s[4:5], exec
	s_and_b64 s[8:9], s[8:9], exec
	s_or_b64 s[4:5], s[4:5], s[8:9]
	s_or_b64 exec, exec, s[6:7]
	s_and_saveexec_b64 s[6:7], s[4:5]
	s_cbranch_execz .LBB2_30373
; %bb.53579:
	s_getpc_b64 s[14:15]
.Lpost_getpc30373:
	s_add_u32 s14, s14, (.LBB2_3403-.Lpost_getpc30373)&4294967295
	s_addc_u32 s15, s15, (.LBB2_3403-.Lpost_getpc30373)>>32
	s_setpc_b64 s[14:15]
.LBB2_30373:
	s_getpc_b64 s[14:15]
.Lpost_getpc18770:
	s_add_u32 s14, s14, (.LBB2_3404-.Lpost_getpc18770)&4294967295
	s_addc_u32 s15, s15, (.LBB2_3404-.Lpost_getpc18770)>>32
	s_setpc_b64 s[14:15]
.LBB2_17741:
	s_movk_i32 s4, 0x80
	v_cmp_eq_u16_sdwa s[12:13], v3, s4 src0_sel:BYTE_0 src1_sel:DWORD
	s_mov_b64 s[4:5], -1
                                        ; implicit-def: $sgpr10
	s_and_saveexec_b64 s[8:9], s[12:13]
; %bb.17742:
	s_mov_b32 s10, 0x7f800001
	s_xor_b64 s[4:5], exec, -1
; %bb.17743:
	s_or_b64 exec, exec, s[8:9]
	s_and_b64 s[4:5], s[4:5], exec
	s_or_saveexec_b64 s[6:7], s[6:7]
	v_mov_b32_e32 v6, s10
	s_xor_b64 exec, exec, s[6:7]
	s_cbranch_execnz .LBB2_17744
; %bb.53581:
	s_getpc_b64 s[14:15]
.Lpost_getpc30374:
	s_add_u32 s14, s14, (.LBB2_3406-.Lpost_getpc30374)&4294967295
	s_addc_u32 s15, s15, (.LBB2_3406-.Lpost_getpc30374)>>32
	s_setpc_b64 s[14:15]
.LBB2_17744:
	v_mov_b32_e32 v6, 0
	v_cmp_ne_u16_sdwa s[8:9], v3, v6 src0_sel:BYTE_0 src1_sel:DWORD
	s_andn2_b64 s[4:5], s[4:5], exec
	s_and_b64 s[8:9], s[8:9], exec
	s_or_b64 s[4:5], s[4:5], s[8:9]
	s_or_b64 exec, exec, s[6:7]
	s_and_saveexec_b64 s[6:7], s[4:5]
	s_cbranch_execz .LBB2_30375
; %bb.53583:
	s_getpc_b64 s[14:15]
.Lpost_getpc30375:
	s_add_u32 s14, s14, (.LBB2_3407-.Lpost_getpc30375)&4294967295
	s_addc_u32 s15, s15, (.LBB2_3407-.Lpost_getpc30375)>>32
	s_setpc_b64 s[14:15]
.LBB2_30375:
	s_getpc_b64 s[14:15]
.Lpost_getpc18771:
	s_add_u32 s14, s14, (.LBB2_3408-.Lpost_getpc18771)&4294967295
	s_addc_u32 s15, s15, (.LBB2_3408-.Lpost_getpc18771)>>32
	s_setpc_b64 s[14:15]
.LBB2_17745:
	s_movk_i32 s4, 0x80
	v_cmp_eq_u16_e32 vcc, s4, v3
	s_mov_b64 s[4:5], -1
                                        ; implicit-def: $sgpr10
	s_and_saveexec_b64 s[8:9], vcc
; %bb.17746:
	s_mov_b32 s10, 0x7f800001
	s_xor_b64 s[4:5], exec, -1
; %bb.17747:
	s_or_b64 exec, exec, s[8:9]
	s_and_b64 s[4:5], s[4:5], exec
                                        ; implicit-def: $vgpr3
	s_or_saveexec_b64 s[6:7], s[6:7]
	v_mov_b32_e32 v2, s10
	s_xor_b64 exec, exec, s[6:7]
	s_cbranch_execnz .LBB2_17748
; %bb.53585:
	s_getpc_b64 s[14:15]
.Lpost_getpc30376:
	s_add_u32 s14, s14, (.LBB2_3410-.Lpost_getpc30376)&4294967295
	s_addc_u32 s15, s15, (.LBB2_3410-.Lpost_getpc30376)>>32
	s_setpc_b64 s[14:15]
.LBB2_17748:
	v_cmp_ne_u16_e32 vcc, 0, v3
	s_andn2_b64 s[4:5], s[4:5], exec
	s_and_b64 s[8:9], vcc, exec
	v_mov_b32_e32 v2, 0
	s_or_b64 s[4:5], s[4:5], s[8:9]
	s_or_b64 exec, exec, s[6:7]
	s_and_saveexec_b64 s[6:7], s[4:5]
	s_cbranch_execz .LBB2_30377
; %bb.53587:
	s_getpc_b64 s[14:15]
.Lpost_getpc30377:
	s_add_u32 s14, s14, (.LBB2_3411-.Lpost_getpc30377)&4294967295
	s_addc_u32 s15, s15, (.LBB2_3411-.Lpost_getpc30377)>>32
	s_setpc_b64 s[14:15]
.LBB2_30377:
	s_getpc_b64 s[14:15]
.Lpost_getpc18772:
	s_add_u32 s14, s14, (.LBB2_3412-.Lpost_getpc18772)&4294967295
	s_addc_u32 s15, s15, (.LBB2_3412-.Lpost_getpc18772)>>32
	s_setpc_b64 s[14:15]
.LBB2_17749:
	s_movk_i32 s4, 0x80
	v_cmp_eq_u16_e32 vcc, s4, v3
	s_mov_b64 s[4:5], -1
                                        ; implicit-def: $sgpr10
	s_and_saveexec_b64 s[8:9], vcc
; %bb.17750:
	s_mov_b32 s10, 0x7f800001
	s_xor_b64 s[4:5], exec, -1
; %bb.17751:
	s_or_b64 exec, exec, s[8:9]
	s_and_b64 s[4:5], s[4:5], exec
                                        ; implicit-def: $vgpr3
	s_or_saveexec_b64 s[6:7], s[6:7]
	v_mov_b32_e32 v6, s10
	s_xor_b64 exec, exec, s[6:7]
	s_cbranch_execnz .LBB2_17752
; %bb.53589:
	s_getpc_b64 s[14:15]
.Lpost_getpc30378:
	s_add_u32 s14, s14, (.LBB2_3414-.Lpost_getpc30378)&4294967295
	s_addc_u32 s15, s15, (.LBB2_3414-.Lpost_getpc30378)>>32
	s_setpc_b64 s[14:15]
.LBB2_17752:
	v_cmp_ne_u16_e32 vcc, 0, v3
	s_andn2_b64 s[4:5], s[4:5], exec
	s_and_b64 s[8:9], vcc, exec
	v_mov_b32_e32 v6, 0
	s_or_b64 s[4:5], s[4:5], s[8:9]
	s_or_b64 exec, exec, s[6:7]
	s_and_saveexec_b64 s[6:7], s[4:5]
	s_cbranch_execz .LBB2_30379
; %bb.53591:
	s_getpc_b64 s[14:15]
.Lpost_getpc30379:
	s_add_u32 s14, s14, (.LBB2_3415-.Lpost_getpc30379)&4294967295
	s_addc_u32 s15, s15, (.LBB2_3415-.Lpost_getpc30379)>>32
	s_setpc_b64 s[14:15]
.LBB2_30379:
	s_getpc_b64 s[14:15]
.Lpost_getpc18773:
	s_add_u32 s14, s14, (.LBB2_3416-.Lpost_getpc18773)&4294967295
	s_addc_u32 s15, s15, (.LBB2_3416-.Lpost_getpc18773)>>32
	s_setpc_b64 s[14:15]
.LBB2_17753:
	s_movk_i32 s4, 0x80
	v_cmp_eq_u16_sdwa s[12:13], v8, s4 src0_sel:BYTE_3 src1_sel:DWORD
	s_mov_b64 s[4:5], -1
                                        ; implicit-def: $sgpr10
	s_and_saveexec_b64 s[8:9], s[12:13]
; %bb.17754:
	s_mov_b32 s10, 0x7f800001
	s_xor_b64 s[4:5], exec, -1
; %bb.17755:
	s_or_b64 exec, exec, s[8:9]
	s_and_b64 s[4:5], s[4:5], exec
	s_or_saveexec_b64 s[6:7], s[6:7]
	v_mov_b32_e32 v2, s10
	s_xor_b64 exec, exec, s[6:7]
	s_cbranch_execnz .LBB2_17756
; %bb.53593:
	s_getpc_b64 s[14:15]
.Lpost_getpc30380:
	s_add_u32 s14, s14, (.LBB2_3418-.Lpost_getpc30380)&4294967295
	s_addc_u32 s15, s15, (.LBB2_3418-.Lpost_getpc30380)>>32
	s_setpc_b64 s[14:15]
.LBB2_17756:
	v_mov_b32_e32 v2, 0
	v_cmp_ne_u16_sdwa s[8:9], v8, v2 src0_sel:BYTE_3 src1_sel:DWORD
	s_andn2_b64 s[4:5], s[4:5], exec
	s_and_b64 s[8:9], s[8:9], exec
	s_or_b64 s[4:5], s[4:5], s[8:9]
	s_or_b64 exec, exec, s[6:7]
	s_and_saveexec_b64 s[6:7], s[4:5]
	s_cbranch_execz .LBB2_30381
; %bb.53595:
	s_getpc_b64 s[14:15]
.Lpost_getpc30381:
	s_add_u32 s14, s14, (.LBB2_3419-.Lpost_getpc30381)&4294967295
	s_addc_u32 s15, s15, (.LBB2_3419-.Lpost_getpc30381)>>32
	s_setpc_b64 s[14:15]
.LBB2_30381:
	s_getpc_b64 s[14:15]
.Lpost_getpc18774:
	s_add_u32 s14, s14, (.LBB2_3420-.Lpost_getpc18774)&4294967295
	s_addc_u32 s15, s15, (.LBB2_3420-.Lpost_getpc18774)>>32
	s_setpc_b64 s[14:15]
.LBB2_17757:
	s_movk_i32 s4, 0x80
	v_cmp_eq_u16_sdwa s[12:13], v4, s4 src0_sel:BYTE_3 src1_sel:DWORD
	s_mov_b64 s[4:5], -1
                                        ; implicit-def: $sgpr10
	s_and_saveexec_b64 s[8:9], s[12:13]
; %bb.17758:
	s_mov_b32 s10, 0x7f800001
	s_xor_b64 s[4:5], exec, -1
; %bb.17759:
	s_or_b64 exec, exec, s[8:9]
	s_and_b64 s[4:5], s[4:5], exec
	s_or_saveexec_b64 s[6:7], s[6:7]
	v_mov_b32_e32 v3, s10
	s_xor_b64 exec, exec, s[6:7]
	s_cbranch_execnz .LBB2_17760
; %bb.53597:
	s_getpc_b64 s[14:15]
.Lpost_getpc30382:
	s_add_u32 s14, s14, (.LBB2_3422-.Lpost_getpc30382)&4294967295
	s_addc_u32 s15, s15, (.LBB2_3422-.Lpost_getpc30382)>>32
	s_setpc_b64 s[14:15]
.LBB2_17760:
	v_mov_b32_e32 v3, 0
	v_cmp_ne_u16_sdwa s[8:9], v4, v3 src0_sel:BYTE_3 src1_sel:DWORD
	s_andn2_b64 s[4:5], s[4:5], exec
	s_and_b64 s[8:9], s[8:9], exec
	s_or_b64 s[4:5], s[4:5], s[8:9]
	s_or_b64 exec, exec, s[6:7]
	s_and_saveexec_b64 s[6:7], s[4:5]
	s_cbranch_execz .LBB2_30383
; %bb.53599:
	s_getpc_b64 s[14:15]
.Lpost_getpc30383:
	s_add_u32 s14, s14, (.LBB2_3423-.Lpost_getpc30383)&4294967295
	s_addc_u32 s15, s15, (.LBB2_3423-.Lpost_getpc30383)>>32
	s_setpc_b64 s[14:15]
.LBB2_30383:
	s_getpc_b64 s[14:15]
.Lpost_getpc18775:
	s_add_u32 s14, s14, (.LBB2_3424-.Lpost_getpc18775)&4294967295
	s_addc_u32 s15, s15, (.LBB2_3424-.Lpost_getpc18775)>>32
	s_setpc_b64 s[14:15]
.LBB2_17761:
	s_movk_i32 s4, 0x80
	v_cmp_eq_u16_sdwa s[12:13], v9, s4 src0_sel:BYTE_0 src1_sel:DWORD
	s_mov_b64 s[4:5], -1
                                        ; implicit-def: $sgpr10
	s_and_saveexec_b64 s[8:9], s[12:13]
; %bb.17762:
	s_mov_b32 s10, 0x7f800001
	s_xor_b64 s[4:5], exec, -1
; %bb.17763:
	s_or_b64 exec, exec, s[8:9]
	s_and_b64 s[4:5], s[4:5], exec
	s_or_saveexec_b64 s[6:7], s[6:7]
	v_mov_b32_e32 v2, s10
	s_xor_b64 exec, exec, s[6:7]
	s_cbranch_execnz .LBB2_17764
; %bb.53601:
	s_getpc_b64 s[14:15]
.Lpost_getpc30384:
	s_add_u32 s14, s14, (.LBB2_3426-.Lpost_getpc30384)&4294967295
	s_addc_u32 s15, s15, (.LBB2_3426-.Lpost_getpc30384)>>32
	s_setpc_b64 s[14:15]
.LBB2_17764:
	v_mov_b32_e32 v2, 0
	v_cmp_ne_u16_sdwa s[8:9], v9, v2 src0_sel:BYTE_0 src1_sel:DWORD
	s_andn2_b64 s[4:5], s[4:5], exec
	s_and_b64 s[8:9], s[8:9], exec
	s_or_b64 s[4:5], s[4:5], s[8:9]
	s_or_b64 exec, exec, s[6:7]
	s_and_saveexec_b64 s[6:7], s[4:5]
	s_cbranch_execz .LBB2_30385
; %bb.53603:
	s_getpc_b64 s[14:15]
.Lpost_getpc30385:
	s_add_u32 s14, s14, (.LBB2_3427-.Lpost_getpc30385)&4294967295
	s_addc_u32 s15, s15, (.LBB2_3427-.Lpost_getpc30385)>>32
	s_setpc_b64 s[14:15]
.LBB2_30385:
	s_getpc_b64 s[14:15]
.Lpost_getpc18776:
	s_add_u32 s14, s14, (.LBB2_3428-.Lpost_getpc18776)&4294967295
	s_addc_u32 s15, s15, (.LBB2_3428-.Lpost_getpc18776)>>32
	s_setpc_b64 s[14:15]
.LBB2_17765:
	s_movk_i32 s4, 0x80
	v_cmp_eq_u16_sdwa s[12:13], v5, s4 src0_sel:BYTE_0 src1_sel:DWORD
	s_mov_b64 s[4:5], -1
                                        ; implicit-def: $sgpr10
	s_and_saveexec_b64 s[8:9], s[12:13]
; %bb.17766:
	s_mov_b32 s10, 0x7f800001
	s_xor_b64 s[4:5], exec, -1
; %bb.17767:
	s_or_b64 exec, exec, s[8:9]
	s_and_b64 s[4:5], s[4:5], exec
	s_or_saveexec_b64 s[6:7], s[6:7]
	v_mov_b32_e32 v3, s10
	s_xor_b64 exec, exec, s[6:7]
	s_cbranch_execnz .LBB2_17768
; %bb.53605:
	s_getpc_b64 s[14:15]
.Lpost_getpc30386:
	s_add_u32 s14, s14, (.LBB2_3430-.Lpost_getpc30386)&4294967295
	s_addc_u32 s15, s15, (.LBB2_3430-.Lpost_getpc30386)>>32
	s_setpc_b64 s[14:15]
.LBB2_17768:
	v_mov_b32_e32 v3, 0
	v_cmp_ne_u16_sdwa s[8:9], v5, v3 src0_sel:BYTE_0 src1_sel:DWORD
	s_andn2_b64 s[4:5], s[4:5], exec
	s_and_b64 s[8:9], s[8:9], exec
	s_or_b64 s[4:5], s[4:5], s[8:9]
	s_or_b64 exec, exec, s[6:7]
	s_and_saveexec_b64 s[6:7], s[4:5]
	s_cbranch_execz .LBB2_30387
; %bb.53607:
	s_getpc_b64 s[14:15]
.Lpost_getpc30387:
	s_add_u32 s14, s14, (.LBB2_3431-.Lpost_getpc30387)&4294967295
	s_addc_u32 s15, s15, (.LBB2_3431-.Lpost_getpc30387)>>32
	s_setpc_b64 s[14:15]
.LBB2_30387:
	s_getpc_b64 s[14:15]
.Lpost_getpc18777:
	s_add_u32 s14, s14, (.LBB2_3432-.Lpost_getpc18777)&4294967295
	s_addc_u32 s15, s15, (.LBB2_3432-.Lpost_getpc18777)>>32
	s_setpc_b64 s[14:15]
.LBB2_17769:
	s_movk_i32 s4, 0x80
	v_cmp_eq_u16_sdwa s[12:13], v3, s4 src0_sel:BYTE_0 src1_sel:DWORD
	s_mov_b64 s[4:5], -1
                                        ; implicit-def: $sgpr10
	s_and_saveexec_b64 s[8:9], s[12:13]
; %bb.17770:
	s_mov_b32 s10, 0x7f800001
	s_xor_b64 s[4:5], exec, -1
; %bb.17771:
	s_or_b64 exec, exec, s[8:9]
	s_and_b64 s[4:5], s[4:5], exec
	s_or_saveexec_b64 s[6:7], s[6:7]
	v_mov_b32_e32 v2, s10
	s_xor_b64 exec, exec, s[6:7]
	s_cbranch_execnz .LBB2_17772
; %bb.53609:
	s_getpc_b64 s[14:15]
.Lpost_getpc30388:
	s_add_u32 s14, s14, (.LBB2_3434-.Lpost_getpc30388)&4294967295
	s_addc_u32 s15, s15, (.LBB2_3434-.Lpost_getpc30388)>>32
	s_setpc_b64 s[14:15]
.LBB2_17772:
	v_mov_b32_e32 v2, 0
	v_cmp_ne_u16_sdwa s[8:9], v3, v2 src0_sel:BYTE_0 src1_sel:DWORD
	s_andn2_b64 s[4:5], s[4:5], exec
	s_and_b64 s[8:9], s[8:9], exec
	s_or_b64 s[4:5], s[4:5], s[8:9]
	s_or_b64 exec, exec, s[6:7]
	s_and_saveexec_b64 s[6:7], s[4:5]
	s_cbranch_execz .LBB2_30389
; %bb.53611:
	s_getpc_b64 s[14:15]
.Lpost_getpc30389:
	s_add_u32 s14, s14, (.LBB2_3435-.Lpost_getpc30389)&4294967295
	s_addc_u32 s15, s15, (.LBB2_3435-.Lpost_getpc30389)>>32
	s_setpc_b64 s[14:15]
.LBB2_30389:
	s_getpc_b64 s[14:15]
.Lpost_getpc18778:
	s_add_u32 s14, s14, (.LBB2_3436-.Lpost_getpc18778)&4294967295
	s_addc_u32 s15, s15, (.LBB2_3436-.Lpost_getpc18778)>>32
	s_setpc_b64 s[14:15]
.LBB2_17773:
	s_movk_i32 s4, 0x80
	v_cmp_eq_u16_sdwa s[12:13], v3, s4 src0_sel:BYTE_0 src1_sel:DWORD
	s_mov_b64 s[4:5], -1
                                        ; implicit-def: $sgpr10
	s_and_saveexec_b64 s[8:9], s[12:13]
; %bb.17774:
	s_mov_b32 s10, 0x7f800001
	s_xor_b64 s[4:5], exec, -1
; %bb.17775:
	s_or_b64 exec, exec, s[8:9]
	s_and_b64 s[4:5], s[4:5], exec
	s_or_saveexec_b64 s[6:7], s[6:7]
	v_mov_b32_e32 v4, s10
	s_xor_b64 exec, exec, s[6:7]
	s_cbranch_execnz .LBB2_17776
; %bb.53613:
	s_getpc_b64 s[14:15]
.Lpost_getpc30390:
	s_add_u32 s14, s14, (.LBB2_3438-.Lpost_getpc30390)&4294967295
	s_addc_u32 s15, s15, (.LBB2_3438-.Lpost_getpc30390)>>32
	s_setpc_b64 s[14:15]
.LBB2_17776:
	v_mov_b32_e32 v4, 0
	v_cmp_ne_u16_sdwa s[8:9], v3, v4 src0_sel:BYTE_0 src1_sel:DWORD
	s_andn2_b64 s[4:5], s[4:5], exec
	s_and_b64 s[8:9], s[8:9], exec
	s_or_b64 s[4:5], s[4:5], s[8:9]
	s_or_b64 exec, exec, s[6:7]
	s_and_saveexec_b64 s[6:7], s[4:5]
	s_cbranch_execz .LBB2_30391
; %bb.53615:
	s_getpc_b64 s[14:15]
.Lpost_getpc30391:
	s_add_u32 s14, s14, (.LBB2_3439-.Lpost_getpc30391)&4294967295
	s_addc_u32 s15, s15, (.LBB2_3439-.Lpost_getpc30391)>>32
	s_setpc_b64 s[14:15]
.LBB2_30391:
	s_getpc_b64 s[14:15]
.Lpost_getpc18779:
	s_add_u32 s14, s14, (.LBB2_3440-.Lpost_getpc18779)&4294967295
	s_addc_u32 s15, s15, (.LBB2_3440-.Lpost_getpc18779)>>32
	s_setpc_b64 s[14:15]
.LBB2_17777:
	s_movk_i32 s4, 0x80
	v_cmp_eq_u16_e32 vcc, s4, v3
	s_mov_b64 s[4:5], -1
                                        ; implicit-def: $sgpr10
	s_and_saveexec_b64 s[8:9], vcc
; %bb.17778:
	s_mov_b32 s10, 0x7f800001
	s_xor_b64 s[4:5], exec, -1
; %bb.17779:
	s_or_b64 exec, exec, s[8:9]
	s_and_b64 s[4:5], s[4:5], exec
                                        ; implicit-def: $vgpr3
	s_or_saveexec_b64 s[6:7], s[6:7]
	v_mov_b32_e32 v2, s10
	s_xor_b64 exec, exec, s[6:7]
	s_cbranch_execnz .LBB2_17780
; %bb.53617:
	s_getpc_b64 s[14:15]
.Lpost_getpc30392:
	s_add_u32 s14, s14, (.LBB2_3442-.Lpost_getpc30392)&4294967295
	s_addc_u32 s15, s15, (.LBB2_3442-.Lpost_getpc30392)>>32
	s_setpc_b64 s[14:15]
.LBB2_17780:
	v_cmp_ne_u16_e32 vcc, 0, v3
	s_andn2_b64 s[4:5], s[4:5], exec
	s_and_b64 s[8:9], vcc, exec
	v_mov_b32_e32 v2, 0
	s_or_b64 s[4:5], s[4:5], s[8:9]
	s_or_b64 exec, exec, s[6:7]
	s_and_saveexec_b64 s[6:7], s[4:5]
	s_cbranch_execz .LBB2_30393
; %bb.53619:
	s_getpc_b64 s[14:15]
.Lpost_getpc30393:
	s_add_u32 s14, s14, (.LBB2_3443-.Lpost_getpc30393)&4294967295
	s_addc_u32 s15, s15, (.LBB2_3443-.Lpost_getpc30393)>>32
	s_setpc_b64 s[14:15]
.LBB2_30393:
	s_getpc_b64 s[14:15]
.Lpost_getpc18780:
	s_add_u32 s14, s14, (.LBB2_3444-.Lpost_getpc18780)&4294967295
	s_addc_u32 s15, s15, (.LBB2_3444-.Lpost_getpc18780)>>32
	s_setpc_b64 s[14:15]
.LBB2_17781:
	s_movk_i32 s4, 0x80
	v_cmp_eq_u16_e32 vcc, s4, v3
	s_mov_b64 s[4:5], -1
                                        ; implicit-def: $sgpr10
	s_and_saveexec_b64 s[8:9], vcc
; %bb.17782:
	s_mov_b32 s10, 0x7f800001
	s_xor_b64 s[4:5], exec, -1
; %bb.17783:
	s_or_b64 exec, exec, s[8:9]
	s_and_b64 s[4:5], s[4:5], exec
                                        ; implicit-def: $vgpr3
	s_or_saveexec_b64 s[6:7], s[6:7]
	v_mov_b32_e32 v4, s10
	s_xor_b64 exec, exec, s[6:7]
	s_cbranch_execnz .LBB2_17784
; %bb.53621:
	s_getpc_b64 s[14:15]
.Lpost_getpc30394:
	s_add_u32 s14, s14, (.LBB2_3446-.Lpost_getpc30394)&4294967295
	s_addc_u32 s15, s15, (.LBB2_3446-.Lpost_getpc30394)>>32
	s_setpc_b64 s[14:15]
.LBB2_17784:
	v_cmp_ne_u16_e32 vcc, 0, v3
	s_andn2_b64 s[4:5], s[4:5], exec
	s_and_b64 s[8:9], vcc, exec
	v_mov_b32_e32 v4, 0
	s_or_b64 s[4:5], s[4:5], s[8:9]
	s_or_b64 exec, exec, s[6:7]
	s_and_saveexec_b64 s[6:7], s[4:5]
	s_cbranch_execz .LBB2_30395
; %bb.53623:
	s_getpc_b64 s[14:15]
.Lpost_getpc30395:
	s_add_u32 s14, s14, (.LBB2_3447-.Lpost_getpc30395)&4294967295
	s_addc_u32 s15, s15, (.LBB2_3447-.Lpost_getpc30395)>>32
	s_setpc_b64 s[14:15]
.LBB2_30395:
	s_getpc_b64 s[14:15]
.Lpost_getpc18781:
	s_add_u32 s14, s14, (.LBB2_3448-.Lpost_getpc18781)&4294967295
	s_addc_u32 s15, s15, (.LBB2_3448-.Lpost_getpc18781)>>32
	s_setpc_b64 s[14:15]
.LBB2_17785:
	s_movk_i32 s4, 0x80
	v_cmp_eq_u16_sdwa s[12:13], v9, s4 src0_sel:BYTE_3 src1_sel:DWORD
	s_mov_b64 s[4:5], -1
                                        ; implicit-def: $sgpr10
	s_and_saveexec_b64 s[8:9], s[12:13]
; %bb.17786:
	s_mov_b32 s10, 0x7f800001
	s_xor_b64 s[4:5], exec, -1
; %bb.17787:
	s_or_b64 exec, exec, s[8:9]
	s_and_b64 s[4:5], s[4:5], exec
	s_or_saveexec_b64 s[6:7], s[6:7]
	v_mov_b32_e32 v2, s10
	s_xor_b64 exec, exec, s[6:7]
	s_cbranch_execnz .LBB2_17788
; %bb.53625:
	s_getpc_b64 s[14:15]
.Lpost_getpc30396:
	s_add_u32 s14, s14, (.LBB2_3450-.Lpost_getpc30396)&4294967295
	s_addc_u32 s15, s15, (.LBB2_3450-.Lpost_getpc30396)>>32
	s_setpc_b64 s[14:15]
.LBB2_17788:
	v_mov_b32_e32 v2, 0
	v_cmp_ne_u16_sdwa s[8:9], v9, v2 src0_sel:BYTE_3 src1_sel:DWORD
	s_andn2_b64 s[4:5], s[4:5], exec
	s_and_b64 s[8:9], s[8:9], exec
	s_or_b64 s[4:5], s[4:5], s[8:9]
	s_or_b64 exec, exec, s[6:7]
	s_and_saveexec_b64 s[6:7], s[4:5]
	s_cbranch_execz .LBB2_30397
; %bb.53627:
	s_getpc_b64 s[14:15]
.Lpost_getpc30397:
	s_add_u32 s14, s14, (.LBB2_3451-.Lpost_getpc30397)&4294967295
	s_addc_u32 s15, s15, (.LBB2_3451-.Lpost_getpc30397)>>32
	s_setpc_b64 s[14:15]
.LBB2_30397:
	s_getpc_b64 s[14:15]
.Lpost_getpc18782:
	s_add_u32 s14, s14, (.LBB2_3452-.Lpost_getpc18782)&4294967295
	s_addc_u32 s15, s15, (.LBB2_3452-.Lpost_getpc18782)>>32
	s_setpc_b64 s[14:15]
.LBB2_17789:
	s_movk_i32 s4, 0x80
	v_cmp_eq_u16_sdwa s[12:13], v5, s4 src0_sel:BYTE_3 src1_sel:DWORD
	s_mov_b64 s[4:5], -1
                                        ; implicit-def: $sgpr10
	s_and_saveexec_b64 s[8:9], s[12:13]
; %bb.17790:
	s_mov_b32 s10, 0x7f800001
	s_xor_b64 s[4:5], exec, -1
; %bb.17791:
	s_or_b64 exec, exec, s[8:9]
	s_and_b64 s[4:5], s[4:5], exec
	s_or_saveexec_b64 s[6:7], s[6:7]
	v_mov_b32_e32 v3, s10
	s_xor_b64 exec, exec, s[6:7]
	s_cbranch_execnz .LBB2_17792
; %bb.53629:
	s_getpc_b64 s[14:15]
.Lpost_getpc30398:
	s_add_u32 s14, s14, (.LBB2_3454-.Lpost_getpc30398)&4294967295
	s_addc_u32 s15, s15, (.LBB2_3454-.Lpost_getpc30398)>>32
	s_setpc_b64 s[14:15]
.LBB2_17792:
	v_mov_b32_e32 v3, 0
	v_cmp_ne_u16_sdwa s[8:9], v5, v3 src0_sel:BYTE_3 src1_sel:DWORD
	s_andn2_b64 s[4:5], s[4:5], exec
	s_and_b64 s[8:9], s[8:9], exec
	s_or_b64 s[4:5], s[4:5], s[8:9]
	s_or_b64 exec, exec, s[6:7]
	s_and_saveexec_b64 s[6:7], s[4:5]
	s_cbranch_execz .LBB2_30399
; %bb.53631:
	s_getpc_b64 s[14:15]
.Lpost_getpc30399:
	s_add_u32 s14, s14, (.LBB2_3455-.Lpost_getpc30399)&4294967295
	s_addc_u32 s15, s15, (.LBB2_3455-.Lpost_getpc30399)>>32
	s_setpc_b64 s[14:15]
.LBB2_30399:
	s_getpc_b64 s[14:15]
.Lpost_getpc18783:
	s_add_u32 s14, s14, (.LBB2_3456-.Lpost_getpc18783)&4294967295
	s_addc_u32 s15, s15, (.LBB2_3456-.Lpost_getpc18783)>>32
	s_setpc_b64 s[14:15]
.LBB2_17793:
	s_movk_i32 s4, 0x80
	v_cmp_eq_u16_sdwa s[12:13], v6, s4 src0_sel:BYTE_0 src1_sel:DWORD
	s_mov_b64 s[4:5], -1
                                        ; implicit-def: $sgpr10
	s_and_saveexec_b64 s[8:9], s[12:13]
; %bb.17794:
	s_mov_b32 s10, 0x7f800001
	s_xor_b64 s[4:5], exec, -1
; %bb.17795:
	s_or_b64 exec, exec, s[8:9]
	s_and_b64 s[4:5], s[4:5], exec
	s_or_saveexec_b64 s[6:7], s[6:7]
	v_mov_b32_e32 v12, s10
	s_xor_b64 exec, exec, s[6:7]
	s_cbranch_execnz .LBB2_17796
; %bb.53633:
	s_getpc_b64 s[14:15]
.Lpost_getpc30400:
	s_add_u32 s14, s14, (.LBB2_3458-.Lpost_getpc30400)&4294967295
	s_addc_u32 s15, s15, (.LBB2_3458-.Lpost_getpc30400)>>32
	s_setpc_b64 s[14:15]
.LBB2_17796:
	v_mov_b32_e32 v12, 0
	v_cmp_ne_u16_sdwa s[8:9], v6, v12 src0_sel:BYTE_0 src1_sel:DWORD
	s_andn2_b64 s[4:5], s[4:5], exec
	s_and_b64 s[8:9], s[8:9], exec
	s_or_b64 s[4:5], s[4:5], s[8:9]
	s_or_b64 exec, exec, s[6:7]
	s_and_saveexec_b64 s[6:7], s[4:5]
	s_cbranch_execz .LBB2_30401
; %bb.53635:
	s_getpc_b64 s[14:15]
.Lpost_getpc30401:
	s_add_u32 s14, s14, (.LBB2_3459-.Lpost_getpc30401)&4294967295
	s_addc_u32 s15, s15, (.LBB2_3459-.Lpost_getpc30401)>>32
	s_setpc_b64 s[14:15]
.LBB2_30401:
	s_getpc_b64 s[14:15]
.Lpost_getpc18784:
	s_add_u32 s14, s14, (.LBB2_3460-.Lpost_getpc18784)&4294967295
	s_addc_u32 s15, s15, (.LBB2_3460-.Lpost_getpc18784)>>32
	s_setpc_b64 s[14:15]
.LBB2_17797:
	s_movk_i32 s4, 0x80
	v_cmp_eq_u16_sdwa s[12:13], v2, s4 src0_sel:BYTE_0 src1_sel:DWORD
	s_mov_b64 s[4:5], -1
                                        ; implicit-def: $sgpr10
	s_and_saveexec_b64 s[8:9], s[12:13]
; %bb.17798:
	s_mov_b32 s10, 0x7f800001
	s_xor_b64 s[4:5], exec, -1
; %bb.17799:
	s_or_b64 exec, exec, s[8:9]
	s_and_b64 s[4:5], s[4:5], exec
	s_or_saveexec_b64 s[6:7], s[6:7]
	v_mov_b32_e32 v13, s10
	s_xor_b64 exec, exec, s[6:7]
	s_cbranch_execnz .LBB2_17800
; %bb.53637:
	s_getpc_b64 s[14:15]
.Lpost_getpc30402:
	s_add_u32 s14, s14, (.LBB2_3462-.Lpost_getpc30402)&4294967295
	s_addc_u32 s15, s15, (.LBB2_3462-.Lpost_getpc30402)>>32
	s_setpc_b64 s[14:15]
.LBB2_17800:
	v_mov_b32_e32 v13, 0
	v_cmp_ne_u16_sdwa s[8:9], v2, v13 src0_sel:BYTE_0 src1_sel:DWORD
	s_andn2_b64 s[4:5], s[4:5], exec
	s_and_b64 s[8:9], s[8:9], exec
	s_or_b64 s[4:5], s[4:5], s[8:9]
	s_or_b64 exec, exec, s[6:7]
	s_and_saveexec_b64 s[6:7], s[4:5]
	s_cbranch_execz .LBB2_30403
; %bb.53639:
	s_getpc_b64 s[14:15]
.Lpost_getpc30403:
	s_add_u32 s14, s14, (.LBB2_3463-.Lpost_getpc30403)&4294967295
	s_addc_u32 s15, s15, (.LBB2_3463-.Lpost_getpc30403)>>32
	s_setpc_b64 s[14:15]
.LBB2_30403:
	s_getpc_b64 s[14:15]
.Lpost_getpc18785:
	s_add_u32 s14, s14, (.LBB2_3464-.Lpost_getpc18785)&4294967295
	s_addc_u32 s15, s15, (.LBB2_3464-.Lpost_getpc18785)>>32
	s_setpc_b64 s[14:15]
.LBB2_17801:
	s_movk_i32 s4, 0x80
	v_cmp_eq_u16_sdwa s[12:13], v13, s4 src0_sel:BYTE_0 src1_sel:DWORD
	s_mov_b64 s[4:5], -1
                                        ; implicit-def: $sgpr10
	s_and_saveexec_b64 s[8:9], s[12:13]
; %bb.17802:
	s_mov_b32 s10, 0x7f800001
	s_xor_b64 s[4:5], exec, -1
; %bb.17803:
	s_or_b64 exec, exec, s[8:9]
	s_and_b64 s[4:5], s[4:5], exec
	s_or_saveexec_b64 s[6:7], s[6:7]
	v_mov_b32_e32 v12, s10
	s_xor_b64 exec, exec, s[6:7]
	s_cbranch_execnz .LBB2_17804
; %bb.53641:
	s_getpc_b64 s[14:15]
.Lpost_getpc30404:
	s_add_u32 s14, s14, (.LBB2_3466-.Lpost_getpc30404)&4294967295
	s_addc_u32 s15, s15, (.LBB2_3466-.Lpost_getpc30404)>>32
	s_setpc_b64 s[14:15]
.LBB2_17804:
	v_mov_b32_e32 v12, 0
	v_cmp_ne_u16_sdwa s[8:9], v13, v12 src0_sel:BYTE_0 src1_sel:DWORD
	s_andn2_b64 s[4:5], s[4:5], exec
	s_and_b64 s[8:9], s[8:9], exec
	s_or_b64 s[4:5], s[4:5], s[8:9]
	s_or_b64 exec, exec, s[6:7]
	s_and_saveexec_b64 s[6:7], s[4:5]
	s_cbranch_execz .LBB2_30405
; %bb.53643:
	s_getpc_b64 s[14:15]
.Lpost_getpc30405:
	s_add_u32 s14, s14, (.LBB2_3467-.Lpost_getpc30405)&4294967295
	s_addc_u32 s15, s15, (.LBB2_3467-.Lpost_getpc30405)>>32
	s_setpc_b64 s[14:15]
.LBB2_30405:
	s_getpc_b64 s[14:15]
.Lpost_getpc18786:
	s_add_u32 s14, s14, (.LBB2_3468-.Lpost_getpc18786)&4294967295
	s_addc_u32 s15, s15, (.LBB2_3468-.Lpost_getpc18786)>>32
	s_setpc_b64 s[14:15]
.LBB2_17805:
	s_movk_i32 s4, 0x80
	v_cmp_eq_u16_sdwa s[12:13], v13, s4 src0_sel:BYTE_0 src1_sel:DWORD
	s_mov_b64 s[4:5], -1
                                        ; implicit-def: $sgpr10
	s_and_saveexec_b64 s[8:9], s[12:13]
; %bb.17806:
	s_mov_b32 s10, 0x7f800001
	s_xor_b64 s[4:5], exec, -1
; %bb.17807:
	s_or_b64 exec, exec, s[8:9]
	s_and_b64 s[4:5], s[4:5], exec
	s_or_saveexec_b64 s[6:7], s[6:7]
	v_mov_b32_e32 v14, s10
	s_xor_b64 exec, exec, s[6:7]
	s_cbranch_execnz .LBB2_17808
; %bb.53645:
	s_getpc_b64 s[14:15]
.Lpost_getpc30406:
	s_add_u32 s14, s14, (.LBB2_3470-.Lpost_getpc30406)&4294967295
	s_addc_u32 s15, s15, (.LBB2_3470-.Lpost_getpc30406)>>32
	s_setpc_b64 s[14:15]
.LBB2_17808:
	v_mov_b32_e32 v14, 0
	v_cmp_ne_u16_sdwa s[8:9], v13, v14 src0_sel:BYTE_0 src1_sel:DWORD
	s_andn2_b64 s[4:5], s[4:5], exec
	s_and_b64 s[8:9], s[8:9], exec
	s_or_b64 s[4:5], s[4:5], s[8:9]
	s_or_b64 exec, exec, s[6:7]
	s_and_saveexec_b64 s[6:7], s[4:5]
	s_cbranch_execz .LBB2_30407
; %bb.53647:
	s_getpc_b64 s[14:15]
.Lpost_getpc30407:
	s_add_u32 s14, s14, (.LBB2_3471-.Lpost_getpc30407)&4294967295
	s_addc_u32 s15, s15, (.LBB2_3471-.Lpost_getpc30407)>>32
	s_setpc_b64 s[14:15]
.LBB2_30407:
	s_getpc_b64 s[14:15]
.Lpost_getpc18787:
	s_add_u32 s14, s14, (.LBB2_3472-.Lpost_getpc18787)&4294967295
	s_addc_u32 s15, s15, (.LBB2_3472-.Lpost_getpc18787)>>32
	s_setpc_b64 s[14:15]
.LBB2_17809:
	s_movk_i32 s4, 0x80
	v_cmp_eq_u16_e32 vcc, s4, v13
	s_mov_b64 s[4:5], -1
                                        ; implicit-def: $sgpr10
	s_and_saveexec_b64 s[8:9], vcc
; %bb.17810:
	s_mov_b32 s10, 0x7f800001
	s_xor_b64 s[4:5], exec, -1
; %bb.17811:
	s_or_b64 exec, exec, s[8:9]
	s_and_b64 s[4:5], s[4:5], exec
                                        ; implicit-def: $vgpr13
	s_or_saveexec_b64 s[6:7], s[6:7]
	v_mov_b32_e32 v12, s10
	s_xor_b64 exec, exec, s[6:7]
	s_cbranch_execnz .LBB2_17812
; %bb.53649:
	s_getpc_b64 s[14:15]
.Lpost_getpc30408:
	s_add_u32 s14, s14, (.LBB2_3474-.Lpost_getpc30408)&4294967295
	s_addc_u32 s15, s15, (.LBB2_3474-.Lpost_getpc30408)>>32
	s_setpc_b64 s[14:15]
.LBB2_17812:
	v_cmp_ne_u16_e32 vcc, 0, v13
	s_andn2_b64 s[4:5], s[4:5], exec
	s_and_b64 s[8:9], vcc, exec
	v_mov_b32_e32 v12, 0
	s_or_b64 s[4:5], s[4:5], s[8:9]
	s_or_b64 exec, exec, s[6:7]
	s_and_saveexec_b64 s[6:7], s[4:5]
	s_cbranch_execz .LBB2_30409
; %bb.53651:
	s_getpc_b64 s[14:15]
.Lpost_getpc30409:
	s_add_u32 s14, s14, (.LBB2_3475-.Lpost_getpc30409)&4294967295
	s_addc_u32 s15, s15, (.LBB2_3475-.Lpost_getpc30409)>>32
	s_setpc_b64 s[14:15]
.LBB2_30409:
	s_getpc_b64 s[14:15]
.Lpost_getpc18788:
	s_add_u32 s14, s14, (.LBB2_3476-.Lpost_getpc18788)&4294967295
	s_addc_u32 s15, s15, (.LBB2_3476-.Lpost_getpc18788)>>32
	s_setpc_b64 s[14:15]
.LBB2_17813:
	s_movk_i32 s4, 0x80
	v_cmp_eq_u16_e32 vcc, s4, v13
	s_mov_b64 s[4:5], -1
                                        ; implicit-def: $sgpr10
	s_and_saveexec_b64 s[8:9], vcc
; %bb.17814:
	s_mov_b32 s10, 0x7f800001
	s_xor_b64 s[4:5], exec, -1
; %bb.17815:
	s_or_b64 exec, exec, s[8:9]
	s_and_b64 s[4:5], s[4:5], exec
                                        ; implicit-def: $vgpr13
	s_or_saveexec_b64 s[6:7], s[6:7]
	v_mov_b32_e32 v14, s10
	s_xor_b64 exec, exec, s[6:7]
	s_cbranch_execnz .LBB2_17816
; %bb.53653:
	s_getpc_b64 s[14:15]
.Lpost_getpc30410:
	s_add_u32 s14, s14, (.LBB2_3478-.Lpost_getpc30410)&4294967295
	s_addc_u32 s15, s15, (.LBB2_3478-.Lpost_getpc30410)>>32
	s_setpc_b64 s[14:15]
.LBB2_17816:
	v_cmp_ne_u16_e32 vcc, 0, v13
	s_andn2_b64 s[4:5], s[4:5], exec
	s_and_b64 s[8:9], vcc, exec
	v_mov_b32_e32 v14, 0
	s_or_b64 s[4:5], s[4:5], s[8:9]
	s_or_b64 exec, exec, s[6:7]
	s_and_saveexec_b64 s[6:7], s[4:5]
	s_cbranch_execz .LBB2_30411
; %bb.53655:
	s_getpc_b64 s[14:15]
.Lpost_getpc30411:
	s_add_u32 s14, s14, (.LBB2_3479-.Lpost_getpc30411)&4294967295
	s_addc_u32 s15, s15, (.LBB2_3479-.Lpost_getpc30411)>>32
	s_setpc_b64 s[14:15]
.LBB2_30411:
	s_getpc_b64 s[14:15]
.Lpost_getpc18789:
	s_add_u32 s14, s14, (.LBB2_3480-.Lpost_getpc18789)&4294967295
	s_addc_u32 s15, s15, (.LBB2_3480-.Lpost_getpc18789)>>32
	s_setpc_b64 s[14:15]
.LBB2_17817:
	s_movk_i32 s4, 0x80
	v_cmp_eq_u16_sdwa s[12:13], v6, s4 src0_sel:BYTE_3 src1_sel:DWORD
	s_mov_b64 s[4:5], -1
                                        ; implicit-def: $sgpr10
	s_and_saveexec_b64 s[8:9], s[12:13]
; %bb.17818:
	s_mov_b32 s10, 0x7f800001
	s_xor_b64 s[4:5], exec, -1
; %bb.17819:
	s_or_b64 exec, exec, s[8:9]
	s_and_b64 s[4:5], s[4:5], exec
	s_or_saveexec_b64 s[6:7], s[6:7]
	v_mov_b32_e32 v12, s10
	s_xor_b64 exec, exec, s[6:7]
	s_cbranch_execnz .LBB2_17820
; %bb.53657:
	s_getpc_b64 s[14:15]
.Lpost_getpc30412:
	s_add_u32 s14, s14, (.LBB2_3482-.Lpost_getpc30412)&4294967295
	s_addc_u32 s15, s15, (.LBB2_3482-.Lpost_getpc30412)>>32
	s_setpc_b64 s[14:15]
.LBB2_17820:
	v_mov_b32_e32 v12, 0
	v_cmp_ne_u16_sdwa s[8:9], v6, v12 src0_sel:BYTE_3 src1_sel:DWORD
	s_andn2_b64 s[4:5], s[4:5], exec
	s_and_b64 s[8:9], s[8:9], exec
	s_or_b64 s[4:5], s[4:5], s[8:9]
	s_or_b64 exec, exec, s[6:7]
	s_and_saveexec_b64 s[6:7], s[4:5]
	s_cbranch_execz .LBB2_30413
; %bb.53659:
	s_getpc_b64 s[14:15]
.Lpost_getpc30413:
	s_add_u32 s14, s14, (.LBB2_3483-.Lpost_getpc30413)&4294967295
	s_addc_u32 s15, s15, (.LBB2_3483-.Lpost_getpc30413)>>32
	s_setpc_b64 s[14:15]
.LBB2_30413:
	s_getpc_b64 s[14:15]
.Lpost_getpc18790:
	s_add_u32 s14, s14, (.LBB2_3484-.Lpost_getpc18790)&4294967295
	s_addc_u32 s15, s15, (.LBB2_3484-.Lpost_getpc18790)>>32
	s_setpc_b64 s[14:15]
.LBB2_17821:
	s_movk_i32 s4, 0x80
	v_cmp_eq_u16_sdwa s[12:13], v2, s4 src0_sel:BYTE_3 src1_sel:DWORD
	s_mov_b64 s[4:5], -1
                                        ; implicit-def: $sgpr10
	s_and_saveexec_b64 s[8:9], s[12:13]
; %bb.17822:
	s_mov_b32 s10, 0x7f800001
	s_xor_b64 s[4:5], exec, -1
; %bb.17823:
	s_or_b64 exec, exec, s[8:9]
	s_and_b64 s[4:5], s[4:5], exec
	s_or_saveexec_b64 s[6:7], s[6:7]
	v_mov_b32_e32 v6, s10
	s_xor_b64 exec, exec, s[6:7]
	s_cbranch_execnz .LBB2_17824
; %bb.53661:
	s_getpc_b64 s[14:15]
.Lpost_getpc30414:
	s_add_u32 s14, s14, (.LBB2_3486-.Lpost_getpc30414)&4294967295
	s_addc_u32 s15, s15, (.LBB2_3486-.Lpost_getpc30414)>>32
	s_setpc_b64 s[14:15]
.LBB2_17824:
	v_mov_b32_e32 v6, 0
	v_cmp_ne_u16_sdwa s[8:9], v2, v6 src0_sel:BYTE_3 src1_sel:DWORD
	s_andn2_b64 s[4:5], s[4:5], exec
	s_and_b64 s[8:9], s[8:9], exec
	s_or_b64 s[4:5], s[4:5], s[8:9]
	s_or_b64 exec, exec, s[6:7]
	s_and_saveexec_b64 s[6:7], s[4:5]
	s_cbranch_execz .LBB2_30415
; %bb.53663:
	s_getpc_b64 s[14:15]
.Lpost_getpc30415:
	s_add_u32 s14, s14, (.LBB2_3487-.Lpost_getpc30415)&4294967295
	s_addc_u32 s15, s15, (.LBB2_3487-.Lpost_getpc30415)>>32
	s_setpc_b64 s[14:15]
.LBB2_30415:
	s_getpc_b64 s[14:15]
.Lpost_getpc18791:
	s_add_u32 s14, s14, (.LBB2_3488-.Lpost_getpc18791)&4294967295
	s_addc_u32 s15, s15, (.LBB2_3488-.Lpost_getpc18791)>>32
	s_setpc_b64 s[14:15]
.LBB2_17825:
	s_movk_i32 s4, 0x80
	v_cmp_eq_u16_sdwa s[12:13], v7, s4 src0_sel:BYTE_0 src1_sel:DWORD
	s_mov_b64 s[4:5], -1
                                        ; implicit-def: $sgpr10
	s_and_saveexec_b64 s[8:9], s[12:13]
; %bb.17826:
	s_mov_b32 s10, 0x7f800001
	s_xor_b64 s[4:5], exec, -1
; %bb.17827:
	s_or_b64 exec, exec, s[8:9]
	s_and_b64 s[4:5], s[4:5], exec
	s_or_saveexec_b64 s[6:7], s[6:7]
	v_mov_b32_e32 v2, s10
	s_xor_b64 exec, exec, s[6:7]
	s_cbranch_execnz .LBB2_17828
; %bb.53665:
	s_getpc_b64 s[14:15]
.Lpost_getpc30416:
	s_add_u32 s14, s14, (.LBB2_3490-.Lpost_getpc30416)&4294967295
	s_addc_u32 s15, s15, (.LBB2_3490-.Lpost_getpc30416)>>32
	s_setpc_b64 s[14:15]
.LBB2_17828:
	v_mov_b32_e32 v2, 0
	v_cmp_ne_u16_sdwa s[8:9], v7, v2 src0_sel:BYTE_0 src1_sel:DWORD
	s_andn2_b64 s[4:5], s[4:5], exec
	s_and_b64 s[8:9], s[8:9], exec
	s_or_b64 s[4:5], s[4:5], s[8:9]
	s_or_b64 exec, exec, s[6:7]
	s_and_saveexec_b64 s[6:7], s[4:5]
	s_cbranch_execz .LBB2_30417
; %bb.53667:
	s_getpc_b64 s[14:15]
.Lpost_getpc30417:
	s_add_u32 s14, s14, (.LBB2_3491-.Lpost_getpc30417)&4294967295
	s_addc_u32 s15, s15, (.LBB2_3491-.Lpost_getpc30417)>>32
	s_setpc_b64 s[14:15]
.LBB2_30417:
	s_getpc_b64 s[14:15]
.Lpost_getpc18792:
	s_add_u32 s14, s14, (.LBB2_3492-.Lpost_getpc18792)&4294967295
	s_addc_u32 s15, s15, (.LBB2_3492-.Lpost_getpc18792)>>32
	s_setpc_b64 s[14:15]
.LBB2_17829:
	s_movk_i32 s4, 0x80
	v_cmp_eq_u16_sdwa s[12:13], v3, s4 src0_sel:BYTE_0 src1_sel:DWORD
	s_mov_b64 s[4:5], -1
                                        ; implicit-def: $sgpr10
	s_and_saveexec_b64 s[8:9], s[12:13]
; %bb.17830:
	s_mov_b32 s10, 0x7f800001
	s_xor_b64 s[4:5], exec, -1
; %bb.17831:
	s_or_b64 exec, exec, s[8:9]
	s_and_b64 s[4:5], s[4:5], exec
	s_or_saveexec_b64 s[6:7], s[6:7]
	v_mov_b32_e32 v6, s10
	s_xor_b64 exec, exec, s[6:7]
	s_cbranch_execnz .LBB2_17832
; %bb.53669:
	s_getpc_b64 s[14:15]
.Lpost_getpc30418:
	s_add_u32 s14, s14, (.LBB2_3494-.Lpost_getpc30418)&4294967295
	s_addc_u32 s15, s15, (.LBB2_3494-.Lpost_getpc30418)>>32
	s_setpc_b64 s[14:15]
.LBB2_17832:
	v_mov_b32_e32 v6, 0
	v_cmp_ne_u16_sdwa s[8:9], v3, v6 src0_sel:BYTE_0 src1_sel:DWORD
	s_andn2_b64 s[4:5], s[4:5], exec
	s_and_b64 s[8:9], s[8:9], exec
	s_or_b64 s[4:5], s[4:5], s[8:9]
	s_or_b64 exec, exec, s[6:7]
	s_and_saveexec_b64 s[6:7], s[4:5]
	s_cbranch_execz .LBB2_30419
; %bb.53671:
	s_getpc_b64 s[14:15]
.Lpost_getpc30419:
	s_add_u32 s14, s14, (.LBB2_3495-.Lpost_getpc30419)&4294967295
	s_addc_u32 s15, s15, (.LBB2_3495-.Lpost_getpc30419)>>32
	s_setpc_b64 s[14:15]
.LBB2_30419:
	s_getpc_b64 s[14:15]
.Lpost_getpc18793:
	s_add_u32 s14, s14, (.LBB2_3496-.Lpost_getpc18793)&4294967295
	s_addc_u32 s15, s15, (.LBB2_3496-.Lpost_getpc18793)>>32
	s_setpc_b64 s[14:15]
.LBB2_17833:
	s_movk_i32 s4, 0x80
	v_cmp_eq_u16_sdwa s[12:13], v6, s4 src0_sel:BYTE_0 src1_sel:DWORD
	s_mov_b64 s[4:5], -1
                                        ; implicit-def: $sgpr10
	s_and_saveexec_b64 s[8:9], s[12:13]
; %bb.17834:
	s_mov_b32 s10, 0x7f800001
	s_xor_b64 s[4:5], exec, -1
; %bb.17835:
	s_or_b64 exec, exec, s[8:9]
	s_and_b64 s[4:5], s[4:5], exec
	s_or_saveexec_b64 s[6:7], s[6:7]
	v_mov_b32_e32 v2, s10
	s_xor_b64 exec, exec, s[6:7]
	s_cbranch_execnz .LBB2_17836
; %bb.53673:
	s_getpc_b64 s[14:15]
.Lpost_getpc30420:
	s_add_u32 s14, s14, (.LBB2_3498-.Lpost_getpc30420)&4294967295
	s_addc_u32 s15, s15, (.LBB2_3498-.Lpost_getpc30420)>>32
	s_setpc_b64 s[14:15]
.LBB2_17836:
	v_mov_b32_e32 v2, 0
	v_cmp_ne_u16_sdwa s[8:9], v6, v2 src0_sel:BYTE_0 src1_sel:DWORD
	s_andn2_b64 s[4:5], s[4:5], exec
	s_and_b64 s[8:9], s[8:9], exec
	s_or_b64 s[4:5], s[4:5], s[8:9]
	s_or_b64 exec, exec, s[6:7]
	s_and_saveexec_b64 s[6:7], s[4:5]
	s_cbranch_execz .LBB2_30421
; %bb.53675:
	s_getpc_b64 s[14:15]
.Lpost_getpc30421:
	s_add_u32 s14, s14, (.LBB2_3499-.Lpost_getpc30421)&4294967295
	s_addc_u32 s15, s15, (.LBB2_3499-.Lpost_getpc30421)>>32
	s_setpc_b64 s[14:15]
.LBB2_30421:
	s_getpc_b64 s[14:15]
.Lpost_getpc18794:
	s_add_u32 s14, s14, (.LBB2_3500-.Lpost_getpc18794)&4294967295
	s_addc_u32 s15, s15, (.LBB2_3500-.Lpost_getpc18794)>>32
	s_setpc_b64 s[14:15]
.LBB2_17837:
	s_movk_i32 s4, 0x80
	v_cmp_eq_u16_sdwa s[12:13], v6, s4 src0_sel:BYTE_0 src1_sel:DWORD
	s_mov_b64 s[4:5], -1
                                        ; implicit-def: $sgpr10
	s_and_saveexec_b64 s[8:9], s[12:13]
; %bb.17838:
	s_mov_b32 s10, 0x7f800001
	s_xor_b64 s[4:5], exec, -1
; %bb.17839:
	s_or_b64 exec, exec, s[8:9]
	s_and_b64 s[4:5], s[4:5], exec
	s_or_saveexec_b64 s[6:7], s[6:7]
	v_mov_b32_e32 v12, s10
	s_xor_b64 exec, exec, s[6:7]
	s_cbranch_execnz .LBB2_17840
; %bb.53677:
	s_getpc_b64 s[14:15]
.Lpost_getpc30422:
	s_add_u32 s14, s14, (.LBB2_3502-.Lpost_getpc30422)&4294967295
	s_addc_u32 s15, s15, (.LBB2_3502-.Lpost_getpc30422)>>32
	s_setpc_b64 s[14:15]
.LBB2_17840:
	v_mov_b32_e32 v12, 0
	v_cmp_ne_u16_sdwa s[8:9], v6, v12 src0_sel:BYTE_0 src1_sel:DWORD
	s_andn2_b64 s[4:5], s[4:5], exec
	s_and_b64 s[8:9], s[8:9], exec
	s_or_b64 s[4:5], s[4:5], s[8:9]
	s_or_b64 exec, exec, s[6:7]
	s_and_saveexec_b64 s[6:7], s[4:5]
	s_cbranch_execz .LBB2_30423
; %bb.53679:
	s_getpc_b64 s[14:15]
.Lpost_getpc30423:
	s_add_u32 s14, s14, (.LBB2_3503-.Lpost_getpc30423)&4294967295
	s_addc_u32 s15, s15, (.LBB2_3503-.Lpost_getpc30423)>>32
	s_setpc_b64 s[14:15]
.LBB2_30423:
	s_getpc_b64 s[14:15]
.Lpost_getpc18795:
	s_add_u32 s14, s14, (.LBB2_3504-.Lpost_getpc18795)&4294967295
	s_addc_u32 s15, s15, (.LBB2_3504-.Lpost_getpc18795)>>32
	s_setpc_b64 s[14:15]
.LBB2_17841:
	s_movk_i32 s4, 0x80
	v_cmp_eq_u16_e32 vcc, s4, v6
	s_mov_b64 s[4:5], -1
                                        ; implicit-def: $sgpr10
	s_and_saveexec_b64 s[8:9], vcc
; %bb.17842:
	s_mov_b32 s10, 0x7f800001
	s_xor_b64 s[4:5], exec, -1
; %bb.17843:
	s_or_b64 exec, exec, s[8:9]
	s_and_b64 s[4:5], s[4:5], exec
                                        ; implicit-def: $vgpr6
	s_or_saveexec_b64 s[6:7], s[6:7]
	v_mov_b32_e32 v2, s10
	s_xor_b64 exec, exec, s[6:7]
	s_cbranch_execnz .LBB2_17844
; %bb.53681:
	s_getpc_b64 s[14:15]
.Lpost_getpc30424:
	s_add_u32 s14, s14, (.LBB2_3506-.Lpost_getpc30424)&4294967295
	s_addc_u32 s15, s15, (.LBB2_3506-.Lpost_getpc30424)>>32
	s_setpc_b64 s[14:15]
.LBB2_17844:
	v_cmp_ne_u16_e32 vcc, 0, v6
	s_andn2_b64 s[4:5], s[4:5], exec
	s_and_b64 s[8:9], vcc, exec
	v_mov_b32_e32 v2, 0
	s_or_b64 s[4:5], s[4:5], s[8:9]
	s_or_b64 exec, exec, s[6:7]
	s_and_saveexec_b64 s[6:7], s[4:5]
	s_cbranch_execz .LBB2_30425
; %bb.53683:
	s_getpc_b64 s[14:15]
.Lpost_getpc30425:
	s_add_u32 s14, s14, (.LBB2_3507-.Lpost_getpc30425)&4294967295
	s_addc_u32 s15, s15, (.LBB2_3507-.Lpost_getpc30425)>>32
	s_setpc_b64 s[14:15]
.LBB2_30425:
	s_getpc_b64 s[14:15]
.Lpost_getpc18796:
	s_add_u32 s14, s14, (.LBB2_3508-.Lpost_getpc18796)&4294967295
	s_addc_u32 s15, s15, (.LBB2_3508-.Lpost_getpc18796)>>32
	s_setpc_b64 s[14:15]
.LBB2_17845:
	s_movk_i32 s4, 0x80
	v_cmp_eq_u16_e32 vcc, s4, v6
	s_mov_b64 s[4:5], -1
                                        ; implicit-def: $sgpr10
	s_and_saveexec_b64 s[8:9], vcc
; %bb.17846:
	s_mov_b32 s10, 0x7f800001
	s_xor_b64 s[4:5], exec, -1
; %bb.17847:
	s_or_b64 exec, exec, s[8:9]
	s_and_b64 s[4:5], s[4:5], exec
                                        ; implicit-def: $vgpr6
	s_or_saveexec_b64 s[6:7], s[6:7]
	v_mov_b32_e32 v12, s10
	s_xor_b64 exec, exec, s[6:7]
	s_cbranch_execnz .LBB2_17848
; %bb.53685:
	s_getpc_b64 s[14:15]
.Lpost_getpc30426:
	s_add_u32 s14, s14, (.LBB2_3510-.Lpost_getpc30426)&4294967295
	s_addc_u32 s15, s15, (.LBB2_3510-.Lpost_getpc30426)>>32
	s_setpc_b64 s[14:15]
.LBB2_17848:
	v_cmp_ne_u16_e32 vcc, 0, v6
	s_andn2_b64 s[4:5], s[4:5], exec
	s_and_b64 s[8:9], vcc, exec
	v_mov_b32_e32 v12, 0
	s_or_b64 s[4:5], s[4:5], s[8:9]
	s_or_b64 exec, exec, s[6:7]
	s_and_saveexec_b64 s[6:7], s[4:5]
	s_cbranch_execz .LBB2_30427
; %bb.53687:
	s_getpc_b64 s[14:15]
.Lpost_getpc30427:
	s_add_u32 s14, s14, (.LBB2_3511-.Lpost_getpc30427)&4294967295
	s_addc_u32 s15, s15, (.LBB2_3511-.Lpost_getpc30427)>>32
	s_setpc_b64 s[14:15]
.LBB2_30427:
	s_getpc_b64 s[14:15]
.Lpost_getpc18797:
	s_add_u32 s14, s14, (.LBB2_3512-.Lpost_getpc18797)&4294967295
	s_addc_u32 s15, s15, (.LBB2_3512-.Lpost_getpc18797)>>32
	s_setpc_b64 s[14:15]
.LBB2_17849:
	s_movk_i32 s4, 0x80
	v_cmp_eq_u16_sdwa s[12:13], v7, s4 src0_sel:BYTE_3 src1_sel:DWORD
	s_mov_b64 s[4:5], -1
                                        ; implicit-def: $sgpr10
	s_and_saveexec_b64 s[8:9], s[12:13]
; %bb.17850:
	s_mov_b32 s10, 0x7f800001
	s_xor_b64 s[4:5], exec, -1
; %bb.17851:
	s_or_b64 exec, exec, s[8:9]
	s_and_b64 s[4:5], s[4:5], exec
	s_or_saveexec_b64 s[6:7], s[6:7]
	v_mov_b32_e32 v2, s10
	s_xor_b64 exec, exec, s[6:7]
	s_cbranch_execnz .LBB2_17852
; %bb.53689:
	s_getpc_b64 s[14:15]
.Lpost_getpc30428:
	s_add_u32 s14, s14, (.LBB2_3514-.Lpost_getpc30428)&4294967295
	s_addc_u32 s15, s15, (.LBB2_3514-.Lpost_getpc30428)>>32
	s_setpc_b64 s[14:15]
.LBB2_17852:
	v_mov_b32_e32 v2, 0
	v_cmp_ne_u16_sdwa s[8:9], v7, v2 src0_sel:BYTE_3 src1_sel:DWORD
	s_andn2_b64 s[4:5], s[4:5], exec
	s_and_b64 s[8:9], s[8:9], exec
	s_or_b64 s[4:5], s[4:5], s[8:9]
	s_or_b64 exec, exec, s[6:7]
	s_and_saveexec_b64 s[6:7], s[4:5]
	s_cbranch_execz .LBB2_30429
; %bb.53691:
	s_getpc_b64 s[14:15]
.Lpost_getpc30429:
	s_add_u32 s14, s14, (.LBB2_3515-.Lpost_getpc30429)&4294967295
	s_addc_u32 s15, s15, (.LBB2_3515-.Lpost_getpc30429)>>32
	s_setpc_b64 s[14:15]
.LBB2_30429:
	s_getpc_b64 s[14:15]
.Lpost_getpc18798:
	s_add_u32 s14, s14, (.LBB2_3516-.Lpost_getpc18798)&4294967295
	s_addc_u32 s15, s15, (.LBB2_3516-.Lpost_getpc18798)>>32
	s_setpc_b64 s[14:15]
.LBB2_17853:
	s_movk_i32 s4, 0x80
	v_cmp_eq_u16_sdwa s[12:13], v3, s4 src0_sel:BYTE_3 src1_sel:DWORD
	s_mov_b64 s[4:5], -1
                                        ; implicit-def: $sgpr10
	s_and_saveexec_b64 s[8:9], s[12:13]
; %bb.17854:
	s_mov_b32 s10, 0x7f800001
	s_xor_b64 s[4:5], exec, -1
; %bb.17855:
	s_or_b64 exec, exec, s[8:9]
	s_and_b64 s[4:5], s[4:5], exec
	s_or_saveexec_b64 s[6:7], s[6:7]
	v_mov_b32_e32 v6, s10
	s_xor_b64 exec, exec, s[6:7]
	s_cbranch_execnz .LBB2_17856
; %bb.53693:
	s_getpc_b64 s[14:15]
.Lpost_getpc30430:
	s_add_u32 s14, s14, (.LBB2_3518-.Lpost_getpc30430)&4294967295
	s_addc_u32 s15, s15, (.LBB2_3518-.Lpost_getpc30430)>>32
	s_setpc_b64 s[14:15]
.LBB2_17856:
	v_mov_b32_e32 v6, 0
	v_cmp_ne_u16_sdwa s[8:9], v3, v6 src0_sel:BYTE_3 src1_sel:DWORD
	s_andn2_b64 s[4:5], s[4:5], exec
	s_and_b64 s[8:9], s[8:9], exec
	s_or_b64 s[4:5], s[4:5], s[8:9]
	s_or_b64 exec, exec, s[6:7]
	s_and_saveexec_b64 s[6:7], s[4:5]
	s_cbranch_execz .LBB2_30431
; %bb.53695:
	s_getpc_b64 s[14:15]
.Lpost_getpc30431:
	s_add_u32 s14, s14, (.LBB2_3519-.Lpost_getpc30431)&4294967295
	s_addc_u32 s15, s15, (.LBB2_3519-.Lpost_getpc30431)>>32
	s_setpc_b64 s[14:15]
.LBB2_30431:
	s_getpc_b64 s[14:15]
.Lpost_getpc18799:
	s_add_u32 s14, s14, (.LBB2_3520-.Lpost_getpc18799)&4294967295
	s_addc_u32 s15, s15, (.LBB2_3520-.Lpost_getpc18799)>>32
	s_setpc_b64 s[14:15]
.LBB2_17857:
	s_movk_i32 s4, 0x80
	v_cmp_eq_u16_sdwa s[12:13], v8, s4 src0_sel:BYTE_0 src1_sel:DWORD
	s_mov_b64 s[4:5], -1
                                        ; implicit-def: $sgpr10
	s_and_saveexec_b64 s[8:9], s[12:13]
; %bb.17858:
	s_mov_b32 s10, 0x7f800001
	s_xor_b64 s[4:5], exec, -1
; %bb.17859:
	s_or_b64 exec, exec, s[8:9]
	s_and_b64 s[4:5], s[4:5], exec
	s_or_saveexec_b64 s[6:7], s[6:7]
	v_mov_b32_e32 v2, s10
	s_xor_b64 exec, exec, s[6:7]
	s_cbranch_execnz .LBB2_17860
; %bb.53697:
	s_getpc_b64 s[14:15]
.Lpost_getpc30432:
	s_add_u32 s14, s14, (.LBB2_3522-.Lpost_getpc30432)&4294967295
	s_addc_u32 s15, s15, (.LBB2_3522-.Lpost_getpc30432)>>32
	s_setpc_b64 s[14:15]
.LBB2_17860:
	v_mov_b32_e32 v2, 0
	v_cmp_ne_u16_sdwa s[8:9], v8, v2 src0_sel:BYTE_0 src1_sel:DWORD
	s_andn2_b64 s[4:5], s[4:5], exec
	s_and_b64 s[8:9], s[8:9], exec
	s_or_b64 s[4:5], s[4:5], s[8:9]
	s_or_b64 exec, exec, s[6:7]
	s_and_saveexec_b64 s[6:7], s[4:5]
	s_cbranch_execz .LBB2_30433
; %bb.53699:
	s_getpc_b64 s[14:15]
.Lpost_getpc30433:
	s_add_u32 s14, s14, (.LBB2_3523-.Lpost_getpc30433)&4294967295
	s_addc_u32 s15, s15, (.LBB2_3523-.Lpost_getpc30433)>>32
	s_setpc_b64 s[14:15]
.LBB2_30433:
	s_getpc_b64 s[14:15]
.Lpost_getpc18800:
	s_add_u32 s14, s14, (.LBB2_3524-.Lpost_getpc18800)&4294967295
	s_addc_u32 s15, s15, (.LBB2_3524-.Lpost_getpc18800)>>32
	s_setpc_b64 s[14:15]
.LBB2_17861:
	s_movk_i32 s4, 0x80
	v_cmp_eq_u16_sdwa s[12:13], v4, s4 src0_sel:BYTE_0 src1_sel:DWORD
	s_mov_b64 s[4:5], -1
                                        ; implicit-def: $sgpr10
	s_and_saveexec_b64 s[8:9], s[12:13]
; %bb.17862:
	s_mov_b32 s10, 0x7f800001
	s_xor_b64 s[4:5], exec, -1
; %bb.17863:
	s_or_b64 exec, exec, s[8:9]
	s_and_b64 s[4:5], s[4:5], exec
	s_or_saveexec_b64 s[6:7], s[6:7]
	v_mov_b32_e32 v3, s10
	s_xor_b64 exec, exec, s[6:7]
	s_cbranch_execnz .LBB2_17864
; %bb.53701:
	s_getpc_b64 s[14:15]
.Lpost_getpc30434:
	s_add_u32 s14, s14, (.LBB2_3526-.Lpost_getpc30434)&4294967295
	s_addc_u32 s15, s15, (.LBB2_3526-.Lpost_getpc30434)>>32
	s_setpc_b64 s[14:15]
.LBB2_17864:
	v_mov_b32_e32 v3, 0
	v_cmp_ne_u16_sdwa s[8:9], v4, v3 src0_sel:BYTE_0 src1_sel:DWORD
	s_andn2_b64 s[4:5], s[4:5], exec
	s_and_b64 s[8:9], s[8:9], exec
	s_or_b64 s[4:5], s[4:5], s[8:9]
	s_or_b64 exec, exec, s[6:7]
	s_and_saveexec_b64 s[6:7], s[4:5]
	s_cbranch_execz .LBB2_30435
; %bb.53703:
	s_getpc_b64 s[14:15]
.Lpost_getpc30435:
	s_add_u32 s14, s14, (.LBB2_3527-.Lpost_getpc30435)&4294967295
	s_addc_u32 s15, s15, (.LBB2_3527-.Lpost_getpc30435)>>32
	s_setpc_b64 s[14:15]
.LBB2_30435:
	s_getpc_b64 s[14:15]
.Lpost_getpc18801:
	s_add_u32 s14, s14, (.LBB2_3528-.Lpost_getpc18801)&4294967295
	s_addc_u32 s15, s15, (.LBB2_3528-.Lpost_getpc18801)>>32
	s_setpc_b64 s[14:15]
.LBB2_17865:
	s_movk_i32 s4, 0x80
	v_cmp_eq_u16_sdwa s[12:13], v3, s4 src0_sel:BYTE_0 src1_sel:DWORD
	s_mov_b64 s[4:5], -1
                                        ; implicit-def: $sgpr10
	s_and_saveexec_b64 s[8:9], s[12:13]
; %bb.17866:
	s_mov_b32 s10, 0x7f800001
	s_xor_b64 s[4:5], exec, -1
; %bb.17867:
	s_or_b64 exec, exec, s[8:9]
	s_and_b64 s[4:5], s[4:5], exec
	s_or_saveexec_b64 s[6:7], s[6:7]
	v_mov_b32_e32 v2, s10
	s_xor_b64 exec, exec, s[6:7]
	s_cbranch_execnz .LBB2_17868
; %bb.53705:
	s_getpc_b64 s[14:15]
.Lpost_getpc30436:
	s_add_u32 s14, s14, (.LBB2_3530-.Lpost_getpc30436)&4294967295
	s_addc_u32 s15, s15, (.LBB2_3530-.Lpost_getpc30436)>>32
	s_setpc_b64 s[14:15]
.LBB2_17868:
	v_mov_b32_e32 v2, 0
	v_cmp_ne_u16_sdwa s[8:9], v3, v2 src0_sel:BYTE_0 src1_sel:DWORD
	s_andn2_b64 s[4:5], s[4:5], exec
	s_and_b64 s[8:9], s[8:9], exec
	s_or_b64 s[4:5], s[4:5], s[8:9]
	s_or_b64 exec, exec, s[6:7]
	s_and_saveexec_b64 s[6:7], s[4:5]
	s_cbranch_execz .LBB2_30437
; %bb.53707:
	s_getpc_b64 s[14:15]
.Lpost_getpc30437:
	s_add_u32 s14, s14, (.LBB2_3531-.Lpost_getpc30437)&4294967295
	s_addc_u32 s15, s15, (.LBB2_3531-.Lpost_getpc30437)>>32
	s_setpc_b64 s[14:15]
.LBB2_30437:
	s_getpc_b64 s[14:15]
.Lpost_getpc18802:
	s_add_u32 s14, s14, (.LBB2_3532-.Lpost_getpc18802)&4294967295
	s_addc_u32 s15, s15, (.LBB2_3532-.Lpost_getpc18802)>>32
	s_setpc_b64 s[14:15]
.LBB2_17869:
	s_movk_i32 s4, 0x80
	v_cmp_eq_u16_sdwa s[12:13], v3, s4 src0_sel:BYTE_0 src1_sel:DWORD
	s_mov_b64 s[4:5], -1
                                        ; implicit-def: $sgpr10
	s_and_saveexec_b64 s[8:9], s[12:13]
; %bb.17870:
	s_mov_b32 s10, 0x7f800001
	s_xor_b64 s[4:5], exec, -1
; %bb.17871:
	s_or_b64 exec, exec, s[8:9]
	s_and_b64 s[4:5], s[4:5], exec
	s_or_saveexec_b64 s[6:7], s[6:7]
	v_mov_b32_e32 v6, s10
	s_xor_b64 exec, exec, s[6:7]
	s_cbranch_execnz .LBB2_17872
; %bb.53709:
	s_getpc_b64 s[14:15]
.Lpost_getpc30438:
	s_add_u32 s14, s14, (.LBB2_3534-.Lpost_getpc30438)&4294967295
	s_addc_u32 s15, s15, (.LBB2_3534-.Lpost_getpc30438)>>32
	s_setpc_b64 s[14:15]
.LBB2_17872:
	v_mov_b32_e32 v6, 0
	v_cmp_ne_u16_sdwa s[8:9], v3, v6 src0_sel:BYTE_0 src1_sel:DWORD
	s_andn2_b64 s[4:5], s[4:5], exec
	s_and_b64 s[8:9], s[8:9], exec
	s_or_b64 s[4:5], s[4:5], s[8:9]
	s_or_b64 exec, exec, s[6:7]
	s_and_saveexec_b64 s[6:7], s[4:5]
	s_cbranch_execz .LBB2_30439
; %bb.53711:
	s_getpc_b64 s[14:15]
.Lpost_getpc30439:
	s_add_u32 s14, s14, (.LBB2_3535-.Lpost_getpc30439)&4294967295
	s_addc_u32 s15, s15, (.LBB2_3535-.Lpost_getpc30439)>>32
	s_setpc_b64 s[14:15]
.LBB2_30439:
	s_getpc_b64 s[14:15]
.Lpost_getpc18803:
	s_add_u32 s14, s14, (.LBB2_3536-.Lpost_getpc18803)&4294967295
	s_addc_u32 s15, s15, (.LBB2_3536-.Lpost_getpc18803)>>32
	s_setpc_b64 s[14:15]
.LBB2_17873:
	s_movk_i32 s4, 0x80
	v_cmp_eq_u16_e32 vcc, s4, v3
	s_mov_b64 s[4:5], -1
                                        ; implicit-def: $sgpr10
	s_and_saveexec_b64 s[8:9], vcc
; %bb.17874:
	s_mov_b32 s10, 0x7f800001
	s_xor_b64 s[4:5], exec, -1
; %bb.17875:
	s_or_b64 exec, exec, s[8:9]
	s_and_b64 s[4:5], s[4:5], exec
                                        ; implicit-def: $vgpr3
	s_or_saveexec_b64 s[6:7], s[6:7]
	v_mov_b32_e32 v2, s10
	s_xor_b64 exec, exec, s[6:7]
	s_cbranch_execnz .LBB2_17876
; %bb.53713:
	s_getpc_b64 s[14:15]
.Lpost_getpc30440:
	s_add_u32 s14, s14, (.LBB2_3538-.Lpost_getpc30440)&4294967295
	s_addc_u32 s15, s15, (.LBB2_3538-.Lpost_getpc30440)>>32
	s_setpc_b64 s[14:15]
.LBB2_17876:
	v_cmp_ne_u16_e32 vcc, 0, v3
	s_andn2_b64 s[4:5], s[4:5], exec
	s_and_b64 s[8:9], vcc, exec
	v_mov_b32_e32 v2, 0
	s_or_b64 s[4:5], s[4:5], s[8:9]
	s_or_b64 exec, exec, s[6:7]
	s_and_saveexec_b64 s[6:7], s[4:5]
	s_cbranch_execz .LBB2_30441
; %bb.53715:
	s_getpc_b64 s[14:15]
.Lpost_getpc30441:
	s_add_u32 s14, s14, (.LBB2_3539-.Lpost_getpc30441)&4294967295
	s_addc_u32 s15, s15, (.LBB2_3539-.Lpost_getpc30441)>>32
	s_setpc_b64 s[14:15]
.LBB2_30441:
	s_getpc_b64 s[14:15]
.Lpost_getpc18804:
	s_add_u32 s14, s14, (.LBB2_3540-.Lpost_getpc18804)&4294967295
	s_addc_u32 s15, s15, (.LBB2_3540-.Lpost_getpc18804)>>32
	s_setpc_b64 s[14:15]
.LBB2_17877:
	s_movk_i32 s4, 0x80
	v_cmp_eq_u16_e32 vcc, s4, v3
	s_mov_b64 s[4:5], -1
                                        ; implicit-def: $sgpr10
	s_and_saveexec_b64 s[8:9], vcc
; %bb.17878:
	s_mov_b32 s10, 0x7f800001
	s_xor_b64 s[4:5], exec, -1
; %bb.17879:
	s_or_b64 exec, exec, s[8:9]
	s_and_b64 s[4:5], s[4:5], exec
                                        ; implicit-def: $vgpr3
	s_or_saveexec_b64 s[6:7], s[6:7]
	v_mov_b32_e32 v6, s10
	s_xor_b64 exec, exec, s[6:7]
	s_cbranch_execnz .LBB2_17880
; %bb.53717:
	s_getpc_b64 s[14:15]
.Lpost_getpc30442:
	s_add_u32 s14, s14, (.LBB2_3542-.Lpost_getpc30442)&4294967295
	s_addc_u32 s15, s15, (.LBB2_3542-.Lpost_getpc30442)>>32
	s_setpc_b64 s[14:15]
.LBB2_17880:
	v_cmp_ne_u16_e32 vcc, 0, v3
	s_andn2_b64 s[4:5], s[4:5], exec
	s_and_b64 s[8:9], vcc, exec
	v_mov_b32_e32 v6, 0
	s_or_b64 s[4:5], s[4:5], s[8:9]
	s_or_b64 exec, exec, s[6:7]
	s_and_saveexec_b64 s[6:7], s[4:5]
	s_cbranch_execz .LBB2_30443
; %bb.53719:
	s_getpc_b64 s[14:15]
.Lpost_getpc30443:
	s_add_u32 s14, s14, (.LBB2_3543-.Lpost_getpc30443)&4294967295
	s_addc_u32 s15, s15, (.LBB2_3543-.Lpost_getpc30443)>>32
	s_setpc_b64 s[14:15]
.LBB2_30443:
	s_getpc_b64 s[14:15]
.Lpost_getpc18805:
	s_add_u32 s14, s14, (.LBB2_3544-.Lpost_getpc18805)&4294967295
	s_addc_u32 s15, s15, (.LBB2_3544-.Lpost_getpc18805)>>32
	s_setpc_b64 s[14:15]
.LBB2_17881:
	s_movk_i32 s4, 0x80
	v_cmp_eq_u16_sdwa s[12:13], v8, s4 src0_sel:BYTE_3 src1_sel:DWORD
	s_mov_b64 s[4:5], -1
                                        ; implicit-def: $sgpr10
	s_and_saveexec_b64 s[8:9], s[12:13]
; %bb.17882:
	s_mov_b32 s10, 0x7f800001
	s_xor_b64 s[4:5], exec, -1
; %bb.17883:
	s_or_b64 exec, exec, s[8:9]
	s_and_b64 s[4:5], s[4:5], exec
	s_or_saveexec_b64 s[6:7], s[6:7]
	v_mov_b32_e32 v2, s10
	s_xor_b64 exec, exec, s[6:7]
	s_cbranch_execnz .LBB2_17884
; %bb.53721:
	s_getpc_b64 s[14:15]
.Lpost_getpc30444:
	s_add_u32 s14, s14, (.LBB2_3546-.Lpost_getpc30444)&4294967295
	s_addc_u32 s15, s15, (.LBB2_3546-.Lpost_getpc30444)>>32
	s_setpc_b64 s[14:15]
.LBB2_17884:
	v_mov_b32_e32 v2, 0
	v_cmp_ne_u16_sdwa s[8:9], v8, v2 src0_sel:BYTE_3 src1_sel:DWORD
	s_andn2_b64 s[4:5], s[4:5], exec
	s_and_b64 s[8:9], s[8:9], exec
	s_or_b64 s[4:5], s[4:5], s[8:9]
	s_or_b64 exec, exec, s[6:7]
	s_and_saveexec_b64 s[6:7], s[4:5]
	s_cbranch_execz .LBB2_30445
; %bb.53723:
	s_getpc_b64 s[14:15]
.Lpost_getpc30445:
	s_add_u32 s14, s14, (.LBB2_3547-.Lpost_getpc30445)&4294967295
	s_addc_u32 s15, s15, (.LBB2_3547-.Lpost_getpc30445)>>32
	s_setpc_b64 s[14:15]
.LBB2_30445:
	s_getpc_b64 s[14:15]
.Lpost_getpc18806:
	s_add_u32 s14, s14, (.LBB2_3548-.Lpost_getpc18806)&4294967295
	s_addc_u32 s15, s15, (.LBB2_3548-.Lpost_getpc18806)>>32
	s_setpc_b64 s[14:15]
.LBB2_17885:
	s_movk_i32 s4, 0x80
	v_cmp_eq_u16_sdwa s[12:13], v4, s4 src0_sel:BYTE_3 src1_sel:DWORD
	s_mov_b64 s[4:5], -1
                                        ; implicit-def: $sgpr10
	s_and_saveexec_b64 s[8:9], s[12:13]
; %bb.17886:
	s_mov_b32 s10, 0x7f800001
	s_xor_b64 s[4:5], exec, -1
; %bb.17887:
	s_or_b64 exec, exec, s[8:9]
	s_and_b64 s[4:5], s[4:5], exec
	s_or_saveexec_b64 s[6:7], s[6:7]
	v_mov_b32_e32 v3, s10
	s_xor_b64 exec, exec, s[6:7]
	s_cbranch_execnz .LBB2_17888
; %bb.53725:
	s_getpc_b64 s[14:15]
.Lpost_getpc30446:
	s_add_u32 s14, s14, (.LBB2_3550-.Lpost_getpc30446)&4294967295
	s_addc_u32 s15, s15, (.LBB2_3550-.Lpost_getpc30446)>>32
	s_setpc_b64 s[14:15]
.LBB2_17888:
	v_mov_b32_e32 v3, 0
	v_cmp_ne_u16_sdwa s[8:9], v4, v3 src0_sel:BYTE_3 src1_sel:DWORD
	s_andn2_b64 s[4:5], s[4:5], exec
	s_and_b64 s[8:9], s[8:9], exec
	s_or_b64 s[4:5], s[4:5], s[8:9]
	s_or_b64 exec, exec, s[6:7]
	s_and_saveexec_b64 s[6:7], s[4:5]
	s_cbranch_execz .LBB2_30447
; %bb.53727:
	s_getpc_b64 s[14:15]
.Lpost_getpc30447:
	s_add_u32 s14, s14, (.LBB2_3551-.Lpost_getpc30447)&4294967295
	s_addc_u32 s15, s15, (.LBB2_3551-.Lpost_getpc30447)>>32
	s_setpc_b64 s[14:15]
.LBB2_30447:
	s_getpc_b64 s[14:15]
.Lpost_getpc18807:
	s_add_u32 s14, s14, (.LBB2_3552-.Lpost_getpc18807)&4294967295
	s_addc_u32 s15, s15, (.LBB2_3552-.Lpost_getpc18807)>>32
	s_setpc_b64 s[14:15]
.LBB2_17889:
	s_movk_i32 s4, 0x80
	v_cmp_eq_u16_sdwa s[12:13], v9, s4 src0_sel:BYTE_0 src1_sel:DWORD
	s_mov_b64 s[4:5], -1
                                        ; implicit-def: $sgpr10
	s_and_saveexec_b64 s[8:9], s[12:13]
; %bb.17890:
	s_mov_b32 s10, 0x7f800001
	s_xor_b64 s[4:5], exec, -1
; %bb.17891:
	s_or_b64 exec, exec, s[8:9]
	s_and_b64 s[4:5], s[4:5], exec
	s_or_saveexec_b64 s[6:7], s[6:7]
	v_mov_b32_e32 v2, s10
	s_xor_b64 exec, exec, s[6:7]
	s_cbranch_execnz .LBB2_17892
; %bb.53729:
	s_getpc_b64 s[14:15]
.Lpost_getpc30448:
	s_add_u32 s14, s14, (.LBB2_3554-.Lpost_getpc30448)&4294967295
	s_addc_u32 s15, s15, (.LBB2_3554-.Lpost_getpc30448)>>32
	s_setpc_b64 s[14:15]
.LBB2_17892:
	v_mov_b32_e32 v2, 0
	v_cmp_ne_u16_sdwa s[8:9], v9, v2 src0_sel:BYTE_0 src1_sel:DWORD
	s_andn2_b64 s[4:5], s[4:5], exec
	s_and_b64 s[8:9], s[8:9], exec
	s_or_b64 s[4:5], s[4:5], s[8:9]
	s_or_b64 exec, exec, s[6:7]
	s_and_saveexec_b64 s[6:7], s[4:5]
	s_cbranch_execz .LBB2_30449
; %bb.53731:
	s_getpc_b64 s[14:15]
.Lpost_getpc30449:
	s_add_u32 s14, s14, (.LBB2_3555-.Lpost_getpc30449)&4294967295
	s_addc_u32 s15, s15, (.LBB2_3555-.Lpost_getpc30449)>>32
	s_setpc_b64 s[14:15]
.LBB2_30449:
	s_getpc_b64 s[14:15]
.Lpost_getpc18808:
	s_add_u32 s14, s14, (.LBB2_3556-.Lpost_getpc18808)&4294967295
	s_addc_u32 s15, s15, (.LBB2_3556-.Lpost_getpc18808)>>32
	s_setpc_b64 s[14:15]
.LBB2_17893:
	s_movk_i32 s4, 0x80
	v_cmp_eq_u16_sdwa s[12:13], v5, s4 src0_sel:BYTE_0 src1_sel:DWORD
	s_mov_b64 s[4:5], -1
                                        ; implicit-def: $sgpr10
	s_and_saveexec_b64 s[8:9], s[12:13]
; %bb.17894:
	s_mov_b32 s10, 0x7f800001
	s_xor_b64 s[4:5], exec, -1
; %bb.17895:
	s_or_b64 exec, exec, s[8:9]
	s_and_b64 s[4:5], s[4:5], exec
	s_or_saveexec_b64 s[6:7], s[6:7]
	v_mov_b32_e32 v3, s10
	s_xor_b64 exec, exec, s[6:7]
	s_cbranch_execnz .LBB2_17896
; %bb.53733:
	s_getpc_b64 s[14:15]
.Lpost_getpc30450:
	s_add_u32 s14, s14, (.LBB2_3558-.Lpost_getpc30450)&4294967295
	s_addc_u32 s15, s15, (.LBB2_3558-.Lpost_getpc30450)>>32
	s_setpc_b64 s[14:15]
.LBB2_17896:
	v_mov_b32_e32 v3, 0
	v_cmp_ne_u16_sdwa s[8:9], v5, v3 src0_sel:BYTE_0 src1_sel:DWORD
	s_andn2_b64 s[4:5], s[4:5], exec
	s_and_b64 s[8:9], s[8:9], exec
	s_or_b64 s[4:5], s[4:5], s[8:9]
	s_or_b64 exec, exec, s[6:7]
	s_and_saveexec_b64 s[6:7], s[4:5]
	s_cbranch_execz .LBB2_30451
; %bb.53735:
	s_getpc_b64 s[14:15]
.Lpost_getpc30451:
	s_add_u32 s14, s14, (.LBB2_3559-.Lpost_getpc30451)&4294967295
	s_addc_u32 s15, s15, (.LBB2_3559-.Lpost_getpc30451)>>32
	s_setpc_b64 s[14:15]
.LBB2_30451:
	s_getpc_b64 s[14:15]
.Lpost_getpc18809:
	s_add_u32 s14, s14, (.LBB2_3560-.Lpost_getpc18809)&4294967295
	s_addc_u32 s15, s15, (.LBB2_3560-.Lpost_getpc18809)>>32
	s_setpc_b64 s[14:15]
.LBB2_17897:
	s_movk_i32 s4, 0x80
	v_cmp_eq_u16_sdwa s[12:13], v3, s4 src0_sel:BYTE_0 src1_sel:DWORD
	s_mov_b64 s[4:5], -1
                                        ; implicit-def: $sgpr10
	s_and_saveexec_b64 s[8:9], s[12:13]
; %bb.17898:
	s_mov_b32 s10, 0x7f800001
	s_xor_b64 s[4:5], exec, -1
; %bb.17899:
	s_or_b64 exec, exec, s[8:9]
	s_and_b64 s[4:5], s[4:5], exec
	s_or_saveexec_b64 s[6:7], s[6:7]
	v_mov_b32_e32 v2, s10
	s_xor_b64 exec, exec, s[6:7]
	s_cbranch_execnz .LBB2_17900
; %bb.53737:
	s_getpc_b64 s[14:15]
.Lpost_getpc30452:
	s_add_u32 s14, s14, (.LBB2_3562-.Lpost_getpc30452)&4294967295
	s_addc_u32 s15, s15, (.LBB2_3562-.Lpost_getpc30452)>>32
	s_setpc_b64 s[14:15]
.LBB2_17900:
	v_mov_b32_e32 v2, 0
	v_cmp_ne_u16_sdwa s[8:9], v3, v2 src0_sel:BYTE_0 src1_sel:DWORD
	s_andn2_b64 s[4:5], s[4:5], exec
	s_and_b64 s[8:9], s[8:9], exec
	s_or_b64 s[4:5], s[4:5], s[8:9]
	s_or_b64 exec, exec, s[6:7]
	s_and_saveexec_b64 s[6:7], s[4:5]
	s_cbranch_execz .LBB2_30453
; %bb.53739:
	s_getpc_b64 s[14:15]
.Lpost_getpc30453:
	s_add_u32 s14, s14, (.LBB2_3563-.Lpost_getpc30453)&4294967295
	s_addc_u32 s15, s15, (.LBB2_3563-.Lpost_getpc30453)>>32
	s_setpc_b64 s[14:15]
.LBB2_30453:
	s_getpc_b64 s[14:15]
.Lpost_getpc18810:
	s_add_u32 s14, s14, (.LBB2_3564-.Lpost_getpc18810)&4294967295
	s_addc_u32 s15, s15, (.LBB2_3564-.Lpost_getpc18810)>>32
	s_setpc_b64 s[14:15]
.LBB2_17901:
	s_movk_i32 s4, 0x80
	v_cmp_eq_u16_sdwa s[12:13], v3, s4 src0_sel:BYTE_0 src1_sel:DWORD
	s_mov_b64 s[4:5], -1
                                        ; implicit-def: $sgpr10
	s_and_saveexec_b64 s[8:9], s[12:13]
; %bb.17902:
	s_mov_b32 s10, 0x7f800001
	s_xor_b64 s[4:5], exec, -1
; %bb.17903:
	s_or_b64 exec, exec, s[8:9]
	s_and_b64 s[4:5], s[4:5], exec
	s_or_saveexec_b64 s[6:7], s[6:7]
	v_mov_b32_e32 v4, s10
	s_xor_b64 exec, exec, s[6:7]
	s_cbranch_execnz .LBB2_17904
; %bb.53741:
	s_getpc_b64 s[14:15]
.Lpost_getpc30454:
	s_add_u32 s14, s14, (.LBB2_3566-.Lpost_getpc30454)&4294967295
	s_addc_u32 s15, s15, (.LBB2_3566-.Lpost_getpc30454)>>32
	s_setpc_b64 s[14:15]
.LBB2_17904:
	v_mov_b32_e32 v4, 0
	v_cmp_ne_u16_sdwa s[8:9], v3, v4 src0_sel:BYTE_0 src1_sel:DWORD
	s_andn2_b64 s[4:5], s[4:5], exec
	s_and_b64 s[8:9], s[8:9], exec
	s_or_b64 s[4:5], s[4:5], s[8:9]
	s_or_b64 exec, exec, s[6:7]
	s_and_saveexec_b64 s[6:7], s[4:5]
	s_cbranch_execz .LBB2_30455
; %bb.53743:
	s_getpc_b64 s[14:15]
.Lpost_getpc30455:
	s_add_u32 s14, s14, (.LBB2_3567-.Lpost_getpc30455)&4294967295
	s_addc_u32 s15, s15, (.LBB2_3567-.Lpost_getpc30455)>>32
	s_setpc_b64 s[14:15]
.LBB2_30455:
	s_getpc_b64 s[14:15]
.Lpost_getpc18811:
	s_add_u32 s14, s14, (.LBB2_3568-.Lpost_getpc18811)&4294967295
	s_addc_u32 s15, s15, (.LBB2_3568-.Lpost_getpc18811)>>32
	s_setpc_b64 s[14:15]
.LBB2_17905:
	s_movk_i32 s4, 0x80
	v_cmp_eq_u16_e32 vcc, s4, v3
	s_mov_b64 s[4:5], -1
                                        ; implicit-def: $sgpr10
	s_and_saveexec_b64 s[8:9], vcc
; %bb.17906:
	s_mov_b32 s10, 0x7f800001
	s_xor_b64 s[4:5], exec, -1
; %bb.17907:
	s_or_b64 exec, exec, s[8:9]
	s_and_b64 s[4:5], s[4:5], exec
                                        ; implicit-def: $vgpr3
	s_or_saveexec_b64 s[6:7], s[6:7]
	v_mov_b32_e32 v2, s10
	s_xor_b64 exec, exec, s[6:7]
	s_cbranch_execnz .LBB2_17908
; %bb.53745:
	s_getpc_b64 s[14:15]
.Lpost_getpc30456:
	s_add_u32 s14, s14, (.LBB2_3570-.Lpost_getpc30456)&4294967295
	s_addc_u32 s15, s15, (.LBB2_3570-.Lpost_getpc30456)>>32
	s_setpc_b64 s[14:15]
.LBB2_17908:
	v_cmp_ne_u16_e32 vcc, 0, v3
	s_andn2_b64 s[4:5], s[4:5], exec
	s_and_b64 s[8:9], vcc, exec
	v_mov_b32_e32 v2, 0
	s_or_b64 s[4:5], s[4:5], s[8:9]
	s_or_b64 exec, exec, s[6:7]
	s_and_saveexec_b64 s[6:7], s[4:5]
	s_cbranch_execz .LBB2_30457
; %bb.53747:
	s_getpc_b64 s[14:15]
.Lpost_getpc30457:
	s_add_u32 s14, s14, (.LBB2_3571-.Lpost_getpc30457)&4294967295
	s_addc_u32 s15, s15, (.LBB2_3571-.Lpost_getpc30457)>>32
	s_setpc_b64 s[14:15]
.LBB2_30457:
	s_getpc_b64 s[14:15]
.Lpost_getpc18812:
	s_add_u32 s14, s14, (.LBB2_3572-.Lpost_getpc18812)&4294967295
	s_addc_u32 s15, s15, (.LBB2_3572-.Lpost_getpc18812)>>32
	s_setpc_b64 s[14:15]
.LBB2_17909:
	s_movk_i32 s4, 0x80
	v_cmp_eq_u16_e32 vcc, s4, v3
	s_mov_b64 s[4:5], -1
                                        ; implicit-def: $sgpr10
	s_and_saveexec_b64 s[8:9], vcc
; %bb.17910:
	s_mov_b32 s10, 0x7f800001
	s_xor_b64 s[4:5], exec, -1
; %bb.17911:
	s_or_b64 exec, exec, s[8:9]
	s_and_b64 s[4:5], s[4:5], exec
                                        ; implicit-def: $vgpr3
	s_or_saveexec_b64 s[6:7], s[6:7]
	v_mov_b32_e32 v4, s10
	s_xor_b64 exec, exec, s[6:7]
	s_cbranch_execnz .LBB2_17912
; %bb.53749:
	s_getpc_b64 s[14:15]
.Lpost_getpc30458:
	s_add_u32 s14, s14, (.LBB2_3574-.Lpost_getpc30458)&4294967295
	s_addc_u32 s15, s15, (.LBB2_3574-.Lpost_getpc30458)>>32
	s_setpc_b64 s[14:15]
.LBB2_17912:
	v_cmp_ne_u16_e32 vcc, 0, v3
	s_andn2_b64 s[4:5], s[4:5], exec
	s_and_b64 s[8:9], vcc, exec
	v_mov_b32_e32 v4, 0
	s_or_b64 s[4:5], s[4:5], s[8:9]
	s_or_b64 exec, exec, s[6:7]
	s_and_saveexec_b64 s[6:7], s[4:5]
	s_cbranch_execz .LBB2_30459
; %bb.53751:
	s_getpc_b64 s[14:15]
.Lpost_getpc30459:
	s_add_u32 s14, s14, (.LBB2_3575-.Lpost_getpc30459)&4294967295
	s_addc_u32 s15, s15, (.LBB2_3575-.Lpost_getpc30459)>>32
	s_setpc_b64 s[14:15]
.LBB2_30459:
	s_getpc_b64 s[14:15]
.Lpost_getpc18813:
	s_add_u32 s14, s14, (.LBB2_3576-.Lpost_getpc18813)&4294967295
	s_addc_u32 s15, s15, (.LBB2_3576-.Lpost_getpc18813)>>32
	s_setpc_b64 s[14:15]
.LBB2_17913:
	s_movk_i32 s4, 0x80
	v_cmp_eq_u16_sdwa s[12:13], v9, s4 src0_sel:BYTE_3 src1_sel:DWORD
	s_mov_b64 s[4:5], -1
                                        ; implicit-def: $sgpr10
	s_and_saveexec_b64 s[8:9], s[12:13]
; %bb.17914:
	s_mov_b32 s10, 0x7f800001
	s_xor_b64 s[4:5], exec, -1
; %bb.17915:
	s_or_b64 exec, exec, s[8:9]
	s_and_b64 s[4:5], s[4:5], exec
	s_or_saveexec_b64 s[6:7], s[6:7]
	v_mov_b32_e32 v2, s10
	s_xor_b64 exec, exec, s[6:7]
	s_cbranch_execnz .LBB2_17916
; %bb.53753:
	s_getpc_b64 s[14:15]
.Lpost_getpc30460:
	s_add_u32 s14, s14, (.LBB2_3578-.Lpost_getpc30460)&4294967295
	s_addc_u32 s15, s15, (.LBB2_3578-.Lpost_getpc30460)>>32
	s_setpc_b64 s[14:15]
.LBB2_17916:
	v_mov_b32_e32 v2, 0
	v_cmp_ne_u16_sdwa s[8:9], v9, v2 src0_sel:BYTE_3 src1_sel:DWORD
	s_andn2_b64 s[4:5], s[4:5], exec
	s_and_b64 s[8:9], s[8:9], exec
	s_or_b64 s[4:5], s[4:5], s[8:9]
	s_or_b64 exec, exec, s[6:7]
	s_and_saveexec_b64 s[6:7], s[4:5]
	s_cbranch_execz .LBB2_30461
; %bb.53755:
	s_getpc_b64 s[14:15]
.Lpost_getpc30461:
	s_add_u32 s14, s14, (.LBB2_3579-.Lpost_getpc30461)&4294967295
	s_addc_u32 s15, s15, (.LBB2_3579-.Lpost_getpc30461)>>32
	s_setpc_b64 s[14:15]
.LBB2_30461:
	s_getpc_b64 s[14:15]
.Lpost_getpc18814:
	s_add_u32 s14, s14, (.LBB2_3580-.Lpost_getpc18814)&4294967295
	s_addc_u32 s15, s15, (.LBB2_3580-.Lpost_getpc18814)>>32
	s_setpc_b64 s[14:15]
.LBB2_17917:
	s_movk_i32 s4, 0x80
	v_cmp_eq_u16_sdwa s[12:13], v5, s4 src0_sel:BYTE_3 src1_sel:DWORD
	s_mov_b64 s[4:5], -1
                                        ; implicit-def: $sgpr10
	s_and_saveexec_b64 s[8:9], s[12:13]
; %bb.17918:
	s_mov_b32 s10, 0x7f800001
	s_xor_b64 s[4:5], exec, -1
; %bb.17919:
	s_or_b64 exec, exec, s[8:9]
	s_and_b64 s[4:5], s[4:5], exec
	s_or_saveexec_b64 s[6:7], s[6:7]
	v_mov_b32_e32 v3, s10
	s_xor_b64 exec, exec, s[6:7]
	s_cbranch_execnz .LBB2_17920
; %bb.53757:
	s_getpc_b64 s[14:15]
.Lpost_getpc30462:
	s_add_u32 s14, s14, (.LBB2_3582-.Lpost_getpc30462)&4294967295
	s_addc_u32 s15, s15, (.LBB2_3582-.Lpost_getpc30462)>>32
	s_setpc_b64 s[14:15]
.LBB2_17920:
	v_mov_b32_e32 v3, 0
	v_cmp_ne_u16_sdwa s[8:9], v5, v3 src0_sel:BYTE_3 src1_sel:DWORD
	s_andn2_b64 s[4:5], s[4:5], exec
	s_and_b64 s[8:9], s[8:9], exec
	s_or_b64 s[4:5], s[4:5], s[8:9]
	s_or_b64 exec, exec, s[6:7]
	s_and_saveexec_b64 s[6:7], s[4:5]
	s_cbranch_execz .LBB2_30463
; %bb.53759:
	s_getpc_b64 s[14:15]
.Lpost_getpc30463:
	s_add_u32 s14, s14, (.LBB2_3583-.Lpost_getpc30463)&4294967295
	s_addc_u32 s15, s15, (.LBB2_3583-.Lpost_getpc30463)>>32
	s_setpc_b64 s[14:15]
.LBB2_30463:
	s_getpc_b64 s[14:15]
.Lpost_getpc18815:
	s_add_u32 s14, s14, (.LBB2_3584-.Lpost_getpc18815)&4294967295
	s_addc_u32 s15, s15, (.LBB2_3584-.Lpost_getpc18815)>>32
	s_setpc_b64 s[14:15]
.LBB2_17921:
	s_movk_i32 s4, 0x80
	v_cmp_eq_u16_sdwa s[12:13], v6, s4 src0_sel:BYTE_0 src1_sel:DWORD
	s_mov_b64 s[4:5], -1
                                        ; implicit-def: $sgpr10
	s_and_saveexec_b64 s[8:9], s[12:13]
; %bb.17922:
	s_mov_b32 s10, 0x7f800001
	s_xor_b64 s[4:5], exec, -1
; %bb.17923:
	s_or_b64 exec, exec, s[8:9]
	s_and_b64 s[4:5], s[4:5], exec
	s_or_saveexec_b64 s[6:7], s[6:7]
	v_mov_b32_e32 v12, s10
	s_xor_b64 exec, exec, s[6:7]
	s_cbranch_execnz .LBB2_17924
; %bb.53761:
	s_getpc_b64 s[14:15]
.Lpost_getpc30464:
	s_add_u32 s14, s14, (.LBB2_3586-.Lpost_getpc30464)&4294967295
	s_addc_u32 s15, s15, (.LBB2_3586-.Lpost_getpc30464)>>32
	s_setpc_b64 s[14:15]
.LBB2_17924:
	v_mov_b32_e32 v12, 0
	v_cmp_ne_u16_sdwa s[8:9], v6, v12 src0_sel:BYTE_0 src1_sel:DWORD
	s_andn2_b64 s[4:5], s[4:5], exec
	s_and_b64 s[8:9], s[8:9], exec
	s_or_b64 s[4:5], s[4:5], s[8:9]
	s_or_b64 exec, exec, s[6:7]
	s_and_saveexec_b64 s[6:7], s[4:5]
	s_cbranch_execz .LBB2_30465
; %bb.53763:
	s_getpc_b64 s[14:15]
.Lpost_getpc30465:
	s_add_u32 s14, s14, (.LBB2_3587-.Lpost_getpc30465)&4294967295
	s_addc_u32 s15, s15, (.LBB2_3587-.Lpost_getpc30465)>>32
	s_setpc_b64 s[14:15]
.LBB2_30465:
	s_getpc_b64 s[14:15]
.Lpost_getpc18816:
	s_add_u32 s14, s14, (.LBB2_3588-.Lpost_getpc18816)&4294967295
	s_addc_u32 s15, s15, (.LBB2_3588-.Lpost_getpc18816)>>32
	s_setpc_b64 s[14:15]
.LBB2_17925:
	s_movk_i32 s4, 0x80
	v_cmp_eq_u16_sdwa s[12:13], v2, s4 src0_sel:BYTE_0 src1_sel:DWORD
	s_mov_b64 s[4:5], -1
                                        ; implicit-def: $sgpr10
	s_and_saveexec_b64 s[8:9], s[12:13]
; %bb.17926:
	s_mov_b32 s10, 0x7f800001
	s_xor_b64 s[4:5], exec, -1
; %bb.17927:
	s_or_b64 exec, exec, s[8:9]
	s_and_b64 s[4:5], s[4:5], exec
	s_or_saveexec_b64 s[6:7], s[6:7]
	v_mov_b32_e32 v13, s10
	s_xor_b64 exec, exec, s[6:7]
	s_cbranch_execnz .LBB2_17928
; %bb.53765:
	s_getpc_b64 s[14:15]
.Lpost_getpc30466:
	s_add_u32 s14, s14, (.LBB2_3590-.Lpost_getpc30466)&4294967295
	s_addc_u32 s15, s15, (.LBB2_3590-.Lpost_getpc30466)>>32
	s_setpc_b64 s[14:15]
.LBB2_17928:
	v_mov_b32_e32 v13, 0
	v_cmp_ne_u16_sdwa s[8:9], v2, v13 src0_sel:BYTE_0 src1_sel:DWORD
	s_andn2_b64 s[4:5], s[4:5], exec
	s_and_b64 s[8:9], s[8:9], exec
	s_or_b64 s[4:5], s[4:5], s[8:9]
	s_or_b64 exec, exec, s[6:7]
	s_and_saveexec_b64 s[6:7], s[4:5]
	s_cbranch_execz .LBB2_30467
; %bb.53767:
	s_getpc_b64 s[14:15]
.Lpost_getpc30467:
	s_add_u32 s14, s14, (.LBB2_3591-.Lpost_getpc30467)&4294967295
	s_addc_u32 s15, s15, (.LBB2_3591-.Lpost_getpc30467)>>32
	s_setpc_b64 s[14:15]
.LBB2_30467:
	s_getpc_b64 s[14:15]
.Lpost_getpc18817:
	s_add_u32 s14, s14, (.LBB2_3592-.Lpost_getpc18817)&4294967295
	s_addc_u32 s15, s15, (.LBB2_3592-.Lpost_getpc18817)>>32
	s_setpc_b64 s[14:15]
.LBB2_17929:
	s_movk_i32 s4, 0x80
	v_cmp_eq_u16_sdwa s[12:13], v13, s4 src0_sel:BYTE_0 src1_sel:DWORD
	s_mov_b64 s[4:5], -1
                                        ; implicit-def: $sgpr10
	s_and_saveexec_b64 s[8:9], s[12:13]
; %bb.17930:
	s_mov_b32 s10, 0x7f800001
	s_xor_b64 s[4:5], exec, -1
; %bb.17931:
	s_or_b64 exec, exec, s[8:9]
	s_and_b64 s[4:5], s[4:5], exec
	s_or_saveexec_b64 s[6:7], s[6:7]
	v_mov_b32_e32 v12, s10
	s_xor_b64 exec, exec, s[6:7]
	s_cbranch_execnz .LBB2_17932
; %bb.53769:
	s_getpc_b64 s[14:15]
.Lpost_getpc30468:
	s_add_u32 s14, s14, (.LBB2_3594-.Lpost_getpc30468)&4294967295
	s_addc_u32 s15, s15, (.LBB2_3594-.Lpost_getpc30468)>>32
	s_setpc_b64 s[14:15]
.LBB2_17932:
	v_mov_b32_e32 v12, 0
	v_cmp_ne_u16_sdwa s[8:9], v13, v12 src0_sel:BYTE_0 src1_sel:DWORD
	s_andn2_b64 s[4:5], s[4:5], exec
	s_and_b64 s[8:9], s[8:9], exec
	s_or_b64 s[4:5], s[4:5], s[8:9]
	s_or_b64 exec, exec, s[6:7]
	s_and_saveexec_b64 s[6:7], s[4:5]
	s_cbranch_execz .LBB2_30469
; %bb.53771:
	s_getpc_b64 s[14:15]
.Lpost_getpc30469:
	s_add_u32 s14, s14, (.LBB2_3595-.Lpost_getpc30469)&4294967295
	s_addc_u32 s15, s15, (.LBB2_3595-.Lpost_getpc30469)>>32
	s_setpc_b64 s[14:15]
.LBB2_30469:
	s_getpc_b64 s[14:15]
.Lpost_getpc18818:
	s_add_u32 s14, s14, (.LBB2_3596-.Lpost_getpc18818)&4294967295
	s_addc_u32 s15, s15, (.LBB2_3596-.Lpost_getpc18818)>>32
	s_setpc_b64 s[14:15]
.LBB2_17933:
	s_movk_i32 s4, 0x80
	v_cmp_eq_u16_sdwa s[12:13], v13, s4 src0_sel:BYTE_0 src1_sel:DWORD
	s_mov_b64 s[4:5], -1
                                        ; implicit-def: $sgpr10
	s_and_saveexec_b64 s[8:9], s[12:13]
; %bb.17934:
	s_mov_b32 s10, 0x7f800001
	s_xor_b64 s[4:5], exec, -1
; %bb.17935:
	s_or_b64 exec, exec, s[8:9]
	s_and_b64 s[4:5], s[4:5], exec
	s_or_saveexec_b64 s[6:7], s[6:7]
	v_mov_b32_e32 v14, s10
	s_xor_b64 exec, exec, s[6:7]
	s_cbranch_execnz .LBB2_17936
; %bb.53773:
	s_getpc_b64 s[14:15]
.Lpost_getpc30470:
	s_add_u32 s14, s14, (.LBB2_3598-.Lpost_getpc30470)&4294967295
	s_addc_u32 s15, s15, (.LBB2_3598-.Lpost_getpc30470)>>32
	s_setpc_b64 s[14:15]
.LBB2_17936:
	v_mov_b32_e32 v14, 0
	v_cmp_ne_u16_sdwa s[8:9], v13, v14 src0_sel:BYTE_0 src1_sel:DWORD
	s_andn2_b64 s[4:5], s[4:5], exec
	s_and_b64 s[8:9], s[8:9], exec
	s_or_b64 s[4:5], s[4:5], s[8:9]
	s_or_b64 exec, exec, s[6:7]
	s_and_saveexec_b64 s[6:7], s[4:5]
	s_cbranch_execz .LBB2_30471
; %bb.53775:
	s_getpc_b64 s[14:15]
.Lpost_getpc30471:
	s_add_u32 s14, s14, (.LBB2_3599-.Lpost_getpc30471)&4294967295
	s_addc_u32 s15, s15, (.LBB2_3599-.Lpost_getpc30471)>>32
	s_setpc_b64 s[14:15]
.LBB2_30471:
	s_getpc_b64 s[14:15]
.Lpost_getpc18819:
	s_add_u32 s14, s14, (.LBB2_3600-.Lpost_getpc18819)&4294967295
	s_addc_u32 s15, s15, (.LBB2_3600-.Lpost_getpc18819)>>32
	s_setpc_b64 s[14:15]
.LBB2_17937:
	s_movk_i32 s4, 0x80
	v_cmp_eq_u16_e32 vcc, s4, v13
	s_mov_b64 s[4:5], -1
                                        ; implicit-def: $sgpr10
	s_and_saveexec_b64 s[8:9], vcc
; %bb.17938:
	s_mov_b32 s10, 0x7f800001
	s_xor_b64 s[4:5], exec, -1
; %bb.17939:
	s_or_b64 exec, exec, s[8:9]
	s_and_b64 s[4:5], s[4:5], exec
                                        ; implicit-def: $vgpr13
	s_or_saveexec_b64 s[6:7], s[6:7]
	v_mov_b32_e32 v12, s10
	s_xor_b64 exec, exec, s[6:7]
	s_cbranch_execnz .LBB2_17940
; %bb.53777:
	s_getpc_b64 s[14:15]
.Lpost_getpc30472:
	s_add_u32 s14, s14, (.LBB2_3602-.Lpost_getpc30472)&4294967295
	s_addc_u32 s15, s15, (.LBB2_3602-.Lpost_getpc30472)>>32
	s_setpc_b64 s[14:15]
.LBB2_17940:
	v_cmp_ne_u16_e32 vcc, 0, v13
	s_andn2_b64 s[4:5], s[4:5], exec
	s_and_b64 s[8:9], vcc, exec
	v_mov_b32_e32 v12, 0
	s_or_b64 s[4:5], s[4:5], s[8:9]
	s_or_b64 exec, exec, s[6:7]
	s_and_saveexec_b64 s[6:7], s[4:5]
	s_cbranch_execz .LBB2_30473
; %bb.53779:
	s_getpc_b64 s[14:15]
.Lpost_getpc30473:
	s_add_u32 s14, s14, (.LBB2_3603-.Lpost_getpc30473)&4294967295
	s_addc_u32 s15, s15, (.LBB2_3603-.Lpost_getpc30473)>>32
	s_setpc_b64 s[14:15]
.LBB2_30473:
	s_getpc_b64 s[14:15]
.Lpost_getpc18820:
	s_add_u32 s14, s14, (.LBB2_3604-.Lpost_getpc18820)&4294967295
	s_addc_u32 s15, s15, (.LBB2_3604-.Lpost_getpc18820)>>32
	s_setpc_b64 s[14:15]
.LBB2_17941:
	s_movk_i32 s4, 0x80
	v_cmp_eq_u16_e32 vcc, s4, v13
	s_mov_b64 s[4:5], -1
                                        ; implicit-def: $sgpr10
	s_and_saveexec_b64 s[8:9], vcc
; %bb.17942:
	s_mov_b32 s10, 0x7f800001
	s_xor_b64 s[4:5], exec, -1
; %bb.17943:
	s_or_b64 exec, exec, s[8:9]
	s_and_b64 s[4:5], s[4:5], exec
                                        ; implicit-def: $vgpr13
	s_or_saveexec_b64 s[6:7], s[6:7]
	v_mov_b32_e32 v14, s10
	s_xor_b64 exec, exec, s[6:7]
	s_cbranch_execnz .LBB2_17944
; %bb.53781:
	s_getpc_b64 s[14:15]
.Lpost_getpc30474:
	s_add_u32 s14, s14, (.LBB2_3606-.Lpost_getpc30474)&4294967295
	s_addc_u32 s15, s15, (.LBB2_3606-.Lpost_getpc30474)>>32
	s_setpc_b64 s[14:15]
.LBB2_17944:
	v_cmp_ne_u16_e32 vcc, 0, v13
	s_andn2_b64 s[4:5], s[4:5], exec
	s_and_b64 s[8:9], vcc, exec
	v_mov_b32_e32 v14, 0
	s_or_b64 s[4:5], s[4:5], s[8:9]
	s_or_b64 exec, exec, s[6:7]
	s_and_saveexec_b64 s[6:7], s[4:5]
	s_cbranch_execz .LBB2_30475
; %bb.53783:
	s_getpc_b64 s[14:15]
.Lpost_getpc30475:
	s_add_u32 s14, s14, (.LBB2_3607-.Lpost_getpc30475)&4294967295
	s_addc_u32 s15, s15, (.LBB2_3607-.Lpost_getpc30475)>>32
	s_setpc_b64 s[14:15]
.LBB2_30475:
	s_getpc_b64 s[14:15]
.Lpost_getpc18821:
	s_add_u32 s14, s14, (.LBB2_3608-.Lpost_getpc18821)&4294967295
	s_addc_u32 s15, s15, (.LBB2_3608-.Lpost_getpc18821)>>32
	s_setpc_b64 s[14:15]
.LBB2_17945:
	s_movk_i32 s4, 0x80
	v_cmp_eq_u16_sdwa s[12:13], v6, s4 src0_sel:BYTE_3 src1_sel:DWORD
	s_mov_b64 s[4:5], -1
                                        ; implicit-def: $sgpr10
	s_and_saveexec_b64 s[8:9], s[12:13]
; %bb.17946:
	s_mov_b32 s10, 0x7f800001
	s_xor_b64 s[4:5], exec, -1
; %bb.17947:
	s_or_b64 exec, exec, s[8:9]
	s_and_b64 s[4:5], s[4:5], exec
	s_or_saveexec_b64 s[6:7], s[6:7]
	v_mov_b32_e32 v12, s10
	s_xor_b64 exec, exec, s[6:7]
	s_cbranch_execnz .LBB2_17948
; %bb.53785:
	s_getpc_b64 s[14:15]
.Lpost_getpc30476:
	s_add_u32 s14, s14, (.LBB2_3610-.Lpost_getpc30476)&4294967295
	s_addc_u32 s15, s15, (.LBB2_3610-.Lpost_getpc30476)>>32
	s_setpc_b64 s[14:15]
.LBB2_17948:
	v_mov_b32_e32 v12, 0
	v_cmp_ne_u16_sdwa s[8:9], v6, v12 src0_sel:BYTE_3 src1_sel:DWORD
	s_andn2_b64 s[4:5], s[4:5], exec
	s_and_b64 s[8:9], s[8:9], exec
	s_or_b64 s[4:5], s[4:5], s[8:9]
	s_or_b64 exec, exec, s[6:7]
	s_and_saveexec_b64 s[6:7], s[4:5]
	s_cbranch_execz .LBB2_30477
; %bb.53787:
	s_getpc_b64 s[14:15]
.Lpost_getpc30477:
	s_add_u32 s14, s14, (.LBB2_3611-.Lpost_getpc30477)&4294967295
	s_addc_u32 s15, s15, (.LBB2_3611-.Lpost_getpc30477)>>32
	s_setpc_b64 s[14:15]
.LBB2_30477:
	s_getpc_b64 s[14:15]
.Lpost_getpc18822:
	s_add_u32 s14, s14, (.LBB2_3612-.Lpost_getpc18822)&4294967295
	s_addc_u32 s15, s15, (.LBB2_3612-.Lpost_getpc18822)>>32
	s_setpc_b64 s[14:15]
.LBB2_17949:
	s_movk_i32 s4, 0x80
	v_cmp_eq_u16_sdwa s[12:13], v2, s4 src0_sel:BYTE_3 src1_sel:DWORD
	s_mov_b64 s[4:5], -1
                                        ; implicit-def: $sgpr10
	s_and_saveexec_b64 s[8:9], s[12:13]
; %bb.17950:
	s_mov_b32 s10, 0x7f800001
	s_xor_b64 s[4:5], exec, -1
; %bb.17951:
	s_or_b64 exec, exec, s[8:9]
	s_and_b64 s[4:5], s[4:5], exec
	s_or_saveexec_b64 s[6:7], s[6:7]
	v_mov_b32_e32 v6, s10
	s_xor_b64 exec, exec, s[6:7]
	s_cbranch_execnz .LBB2_17952
; %bb.53789:
	s_getpc_b64 s[14:15]
.Lpost_getpc30478:
	s_add_u32 s14, s14, (.LBB2_3614-.Lpost_getpc30478)&4294967295
	s_addc_u32 s15, s15, (.LBB2_3614-.Lpost_getpc30478)>>32
	s_setpc_b64 s[14:15]
.LBB2_17952:
	v_mov_b32_e32 v6, 0
	v_cmp_ne_u16_sdwa s[8:9], v2, v6 src0_sel:BYTE_3 src1_sel:DWORD
	s_andn2_b64 s[4:5], s[4:5], exec
	s_and_b64 s[8:9], s[8:9], exec
	s_or_b64 s[4:5], s[4:5], s[8:9]
	s_or_b64 exec, exec, s[6:7]
	s_and_saveexec_b64 s[6:7], s[4:5]
	s_cbranch_execz .LBB2_30479
; %bb.53791:
	s_getpc_b64 s[14:15]
.Lpost_getpc30479:
	s_add_u32 s14, s14, (.LBB2_3615-.Lpost_getpc30479)&4294967295
	s_addc_u32 s15, s15, (.LBB2_3615-.Lpost_getpc30479)>>32
	s_setpc_b64 s[14:15]
.LBB2_30479:
	s_getpc_b64 s[14:15]
.Lpost_getpc18823:
	s_add_u32 s14, s14, (.LBB2_3616-.Lpost_getpc18823)&4294967295
	s_addc_u32 s15, s15, (.LBB2_3616-.Lpost_getpc18823)>>32
	s_setpc_b64 s[14:15]
.LBB2_17953:
	s_movk_i32 s4, 0x80
	v_cmp_eq_u16_sdwa s[12:13], v7, s4 src0_sel:BYTE_0 src1_sel:DWORD
	s_mov_b64 s[4:5], -1
                                        ; implicit-def: $sgpr10
	s_and_saveexec_b64 s[8:9], s[12:13]
; %bb.17954:
	s_mov_b32 s10, 0x7f800001
	s_xor_b64 s[4:5], exec, -1
; %bb.17955:
	s_or_b64 exec, exec, s[8:9]
	s_and_b64 s[4:5], s[4:5], exec
	s_or_saveexec_b64 s[6:7], s[6:7]
	v_mov_b32_e32 v2, s10
	s_xor_b64 exec, exec, s[6:7]
	s_cbranch_execnz .LBB2_17956
; %bb.53793:
	s_getpc_b64 s[14:15]
.Lpost_getpc30480:
	s_add_u32 s14, s14, (.LBB2_3618-.Lpost_getpc30480)&4294967295
	s_addc_u32 s15, s15, (.LBB2_3618-.Lpost_getpc30480)>>32
	s_setpc_b64 s[14:15]
.LBB2_17956:
	v_mov_b32_e32 v2, 0
	v_cmp_ne_u16_sdwa s[8:9], v7, v2 src0_sel:BYTE_0 src1_sel:DWORD
	s_andn2_b64 s[4:5], s[4:5], exec
	s_and_b64 s[8:9], s[8:9], exec
	s_or_b64 s[4:5], s[4:5], s[8:9]
	s_or_b64 exec, exec, s[6:7]
	s_and_saveexec_b64 s[6:7], s[4:5]
	s_cbranch_execz .LBB2_30481
; %bb.53795:
	s_getpc_b64 s[14:15]
.Lpost_getpc30481:
	s_add_u32 s14, s14, (.LBB2_3619-.Lpost_getpc30481)&4294967295
	s_addc_u32 s15, s15, (.LBB2_3619-.Lpost_getpc30481)>>32
	s_setpc_b64 s[14:15]
.LBB2_30481:
	s_getpc_b64 s[14:15]
.Lpost_getpc18824:
	s_add_u32 s14, s14, (.LBB2_3620-.Lpost_getpc18824)&4294967295
	s_addc_u32 s15, s15, (.LBB2_3620-.Lpost_getpc18824)>>32
	s_setpc_b64 s[14:15]
.LBB2_17957:
	s_movk_i32 s4, 0x80
	v_cmp_eq_u16_sdwa s[12:13], v3, s4 src0_sel:BYTE_0 src1_sel:DWORD
	s_mov_b64 s[4:5], -1
                                        ; implicit-def: $sgpr10
	s_and_saveexec_b64 s[8:9], s[12:13]
; %bb.17958:
	s_mov_b32 s10, 0x7f800001
	s_xor_b64 s[4:5], exec, -1
; %bb.17959:
	s_or_b64 exec, exec, s[8:9]
	s_and_b64 s[4:5], s[4:5], exec
	s_or_saveexec_b64 s[6:7], s[6:7]
	v_mov_b32_e32 v6, s10
	s_xor_b64 exec, exec, s[6:7]
	s_cbranch_execnz .LBB2_17960
; %bb.53797:
	s_getpc_b64 s[14:15]
.Lpost_getpc30482:
	s_add_u32 s14, s14, (.LBB2_3622-.Lpost_getpc30482)&4294967295
	s_addc_u32 s15, s15, (.LBB2_3622-.Lpost_getpc30482)>>32
	s_setpc_b64 s[14:15]
.LBB2_17960:
	v_mov_b32_e32 v6, 0
	v_cmp_ne_u16_sdwa s[8:9], v3, v6 src0_sel:BYTE_0 src1_sel:DWORD
	s_andn2_b64 s[4:5], s[4:5], exec
	s_and_b64 s[8:9], s[8:9], exec
	s_or_b64 s[4:5], s[4:5], s[8:9]
	s_or_b64 exec, exec, s[6:7]
	s_and_saveexec_b64 s[6:7], s[4:5]
	s_cbranch_execz .LBB2_30483
; %bb.53799:
	s_getpc_b64 s[14:15]
.Lpost_getpc30483:
	s_add_u32 s14, s14, (.LBB2_3623-.Lpost_getpc30483)&4294967295
	s_addc_u32 s15, s15, (.LBB2_3623-.Lpost_getpc30483)>>32
	s_setpc_b64 s[14:15]
.LBB2_30483:
	s_getpc_b64 s[14:15]
.Lpost_getpc18825:
	s_add_u32 s14, s14, (.LBB2_3624-.Lpost_getpc18825)&4294967295
	s_addc_u32 s15, s15, (.LBB2_3624-.Lpost_getpc18825)>>32
	s_setpc_b64 s[14:15]
.LBB2_17961:
	s_movk_i32 s4, 0x80
	v_cmp_eq_u16_sdwa s[12:13], v6, s4 src0_sel:BYTE_0 src1_sel:DWORD
	s_mov_b64 s[4:5], -1
                                        ; implicit-def: $sgpr10
	s_and_saveexec_b64 s[8:9], s[12:13]
; %bb.17962:
	s_mov_b32 s10, 0x7f800001
	s_xor_b64 s[4:5], exec, -1
; %bb.17963:
	s_or_b64 exec, exec, s[8:9]
	s_and_b64 s[4:5], s[4:5], exec
	s_or_saveexec_b64 s[6:7], s[6:7]
	v_mov_b32_e32 v2, s10
	s_xor_b64 exec, exec, s[6:7]
	s_cbranch_execnz .LBB2_17964
; %bb.53801:
	s_getpc_b64 s[14:15]
.Lpost_getpc30484:
	s_add_u32 s14, s14, (.LBB2_3626-.Lpost_getpc30484)&4294967295
	s_addc_u32 s15, s15, (.LBB2_3626-.Lpost_getpc30484)>>32
	s_setpc_b64 s[14:15]
.LBB2_17964:
	v_mov_b32_e32 v2, 0
	v_cmp_ne_u16_sdwa s[8:9], v6, v2 src0_sel:BYTE_0 src1_sel:DWORD
	s_andn2_b64 s[4:5], s[4:5], exec
	s_and_b64 s[8:9], s[8:9], exec
	s_or_b64 s[4:5], s[4:5], s[8:9]
	s_or_b64 exec, exec, s[6:7]
	s_and_saveexec_b64 s[6:7], s[4:5]
	s_cbranch_execz .LBB2_30485
; %bb.53803:
	s_getpc_b64 s[14:15]
.Lpost_getpc30485:
	s_add_u32 s14, s14, (.LBB2_3627-.Lpost_getpc30485)&4294967295
	s_addc_u32 s15, s15, (.LBB2_3627-.Lpost_getpc30485)>>32
	s_setpc_b64 s[14:15]
.LBB2_30485:
	s_getpc_b64 s[14:15]
.Lpost_getpc18826:
	s_add_u32 s14, s14, (.LBB2_3628-.Lpost_getpc18826)&4294967295
	s_addc_u32 s15, s15, (.LBB2_3628-.Lpost_getpc18826)>>32
	s_setpc_b64 s[14:15]
.LBB2_17965:
	s_movk_i32 s4, 0x80
	v_cmp_eq_u16_sdwa s[12:13], v6, s4 src0_sel:BYTE_0 src1_sel:DWORD
	s_mov_b64 s[4:5], -1
                                        ; implicit-def: $sgpr10
	s_and_saveexec_b64 s[8:9], s[12:13]
; %bb.17966:
	s_mov_b32 s10, 0x7f800001
	s_xor_b64 s[4:5], exec, -1
; %bb.17967:
	s_or_b64 exec, exec, s[8:9]
	s_and_b64 s[4:5], s[4:5], exec
	s_or_saveexec_b64 s[6:7], s[6:7]
	v_mov_b32_e32 v12, s10
	s_xor_b64 exec, exec, s[6:7]
	s_cbranch_execnz .LBB2_17968
; %bb.53805:
	s_getpc_b64 s[14:15]
.Lpost_getpc30486:
	s_add_u32 s14, s14, (.LBB2_3630-.Lpost_getpc30486)&4294967295
	s_addc_u32 s15, s15, (.LBB2_3630-.Lpost_getpc30486)>>32
	s_setpc_b64 s[14:15]
.LBB2_17968:
	v_mov_b32_e32 v12, 0
	v_cmp_ne_u16_sdwa s[8:9], v6, v12 src0_sel:BYTE_0 src1_sel:DWORD
	s_andn2_b64 s[4:5], s[4:5], exec
	s_and_b64 s[8:9], s[8:9], exec
	s_or_b64 s[4:5], s[4:5], s[8:9]
	s_or_b64 exec, exec, s[6:7]
	s_and_saveexec_b64 s[6:7], s[4:5]
	s_cbranch_execz .LBB2_30487
; %bb.53807:
	s_getpc_b64 s[14:15]
.Lpost_getpc30487:
	s_add_u32 s14, s14, (.LBB2_3631-.Lpost_getpc30487)&4294967295
	s_addc_u32 s15, s15, (.LBB2_3631-.Lpost_getpc30487)>>32
	s_setpc_b64 s[14:15]
.LBB2_30487:
	s_getpc_b64 s[14:15]
.Lpost_getpc18827:
	s_add_u32 s14, s14, (.LBB2_3632-.Lpost_getpc18827)&4294967295
	s_addc_u32 s15, s15, (.LBB2_3632-.Lpost_getpc18827)>>32
	s_setpc_b64 s[14:15]
.LBB2_17969:
	s_movk_i32 s4, 0x80
	v_cmp_eq_u16_e32 vcc, s4, v6
	s_mov_b64 s[4:5], -1
                                        ; implicit-def: $sgpr10
	s_and_saveexec_b64 s[8:9], vcc
; %bb.17970:
	s_mov_b32 s10, 0x7f800001
	s_xor_b64 s[4:5], exec, -1
; %bb.17971:
	s_or_b64 exec, exec, s[8:9]
	s_and_b64 s[4:5], s[4:5], exec
                                        ; implicit-def: $vgpr6
	s_or_saveexec_b64 s[6:7], s[6:7]
	v_mov_b32_e32 v2, s10
	s_xor_b64 exec, exec, s[6:7]
	s_cbranch_execnz .LBB2_17972
; %bb.53809:
	s_getpc_b64 s[14:15]
.Lpost_getpc30488:
	s_add_u32 s14, s14, (.LBB2_3634-.Lpost_getpc30488)&4294967295
	s_addc_u32 s15, s15, (.LBB2_3634-.Lpost_getpc30488)>>32
	s_setpc_b64 s[14:15]
.LBB2_17972:
	v_cmp_ne_u16_e32 vcc, 0, v6
	s_andn2_b64 s[4:5], s[4:5], exec
	s_and_b64 s[8:9], vcc, exec
	v_mov_b32_e32 v2, 0
	s_or_b64 s[4:5], s[4:5], s[8:9]
	s_or_b64 exec, exec, s[6:7]
	s_and_saveexec_b64 s[6:7], s[4:5]
	s_cbranch_execz .LBB2_30489
; %bb.53811:
	s_getpc_b64 s[14:15]
.Lpost_getpc30489:
	s_add_u32 s14, s14, (.LBB2_3635-.Lpost_getpc30489)&4294967295
	s_addc_u32 s15, s15, (.LBB2_3635-.Lpost_getpc30489)>>32
	s_setpc_b64 s[14:15]
.LBB2_30489:
	s_getpc_b64 s[14:15]
.Lpost_getpc18828:
	s_add_u32 s14, s14, (.LBB2_3636-.Lpost_getpc18828)&4294967295
	s_addc_u32 s15, s15, (.LBB2_3636-.Lpost_getpc18828)>>32
	s_setpc_b64 s[14:15]
.LBB2_17973:
	s_movk_i32 s4, 0x80
	v_cmp_eq_u16_e32 vcc, s4, v6
	s_mov_b64 s[4:5], -1
                                        ; implicit-def: $sgpr10
	s_and_saveexec_b64 s[8:9], vcc
; %bb.17974:
	s_mov_b32 s10, 0x7f800001
	s_xor_b64 s[4:5], exec, -1
; %bb.17975:
	s_or_b64 exec, exec, s[8:9]
	s_and_b64 s[4:5], s[4:5], exec
                                        ; implicit-def: $vgpr6
	s_or_saveexec_b64 s[6:7], s[6:7]
	v_mov_b32_e32 v12, s10
	s_xor_b64 exec, exec, s[6:7]
	s_cbranch_execnz .LBB2_17976
; %bb.53813:
	s_getpc_b64 s[14:15]
.Lpost_getpc30490:
	s_add_u32 s14, s14, (.LBB2_3638-.Lpost_getpc30490)&4294967295
	s_addc_u32 s15, s15, (.LBB2_3638-.Lpost_getpc30490)>>32
	s_setpc_b64 s[14:15]
.LBB2_17976:
	v_cmp_ne_u16_e32 vcc, 0, v6
	s_andn2_b64 s[4:5], s[4:5], exec
	s_and_b64 s[8:9], vcc, exec
	v_mov_b32_e32 v12, 0
	s_or_b64 s[4:5], s[4:5], s[8:9]
	s_or_b64 exec, exec, s[6:7]
	s_and_saveexec_b64 s[6:7], s[4:5]
	s_cbranch_execz .LBB2_30491
; %bb.53815:
	s_getpc_b64 s[14:15]
.Lpost_getpc30491:
	s_add_u32 s14, s14, (.LBB2_3639-.Lpost_getpc30491)&4294967295
	s_addc_u32 s15, s15, (.LBB2_3639-.Lpost_getpc30491)>>32
	s_setpc_b64 s[14:15]
.LBB2_30491:
	s_getpc_b64 s[14:15]
.Lpost_getpc18829:
	s_add_u32 s14, s14, (.LBB2_3640-.Lpost_getpc18829)&4294967295
	s_addc_u32 s15, s15, (.LBB2_3640-.Lpost_getpc18829)>>32
	s_setpc_b64 s[14:15]
.LBB2_17977:
	s_movk_i32 s4, 0x80
	v_cmp_eq_u16_sdwa s[12:13], v7, s4 src0_sel:BYTE_3 src1_sel:DWORD
	s_mov_b64 s[4:5], -1
                                        ; implicit-def: $sgpr10
	s_and_saveexec_b64 s[8:9], s[12:13]
; %bb.17978:
	s_mov_b32 s10, 0x7f800001
	s_xor_b64 s[4:5], exec, -1
; %bb.17979:
	s_or_b64 exec, exec, s[8:9]
	s_and_b64 s[4:5], s[4:5], exec
	s_or_saveexec_b64 s[6:7], s[6:7]
	v_mov_b32_e32 v2, s10
	s_xor_b64 exec, exec, s[6:7]
	s_cbranch_execnz .LBB2_17980
; %bb.53817:
	s_getpc_b64 s[14:15]
.Lpost_getpc30492:
	s_add_u32 s14, s14, (.LBB2_3642-.Lpost_getpc30492)&4294967295
	s_addc_u32 s15, s15, (.LBB2_3642-.Lpost_getpc30492)>>32
	s_setpc_b64 s[14:15]
.LBB2_17980:
	v_mov_b32_e32 v2, 0
	v_cmp_ne_u16_sdwa s[8:9], v7, v2 src0_sel:BYTE_3 src1_sel:DWORD
	s_andn2_b64 s[4:5], s[4:5], exec
	s_and_b64 s[8:9], s[8:9], exec
	s_or_b64 s[4:5], s[4:5], s[8:9]
	s_or_b64 exec, exec, s[6:7]
	s_and_saveexec_b64 s[6:7], s[4:5]
	s_cbranch_execz .LBB2_30493
; %bb.53819:
	s_getpc_b64 s[14:15]
.Lpost_getpc30493:
	s_add_u32 s14, s14, (.LBB2_3643-.Lpost_getpc30493)&4294967295
	s_addc_u32 s15, s15, (.LBB2_3643-.Lpost_getpc30493)>>32
	s_setpc_b64 s[14:15]
.LBB2_30493:
	s_getpc_b64 s[14:15]
.Lpost_getpc18830:
	s_add_u32 s14, s14, (.LBB2_3644-.Lpost_getpc18830)&4294967295
	s_addc_u32 s15, s15, (.LBB2_3644-.Lpost_getpc18830)>>32
	s_setpc_b64 s[14:15]
.LBB2_17981:
	s_movk_i32 s4, 0x80
	v_cmp_eq_u16_sdwa s[12:13], v3, s4 src0_sel:BYTE_3 src1_sel:DWORD
	s_mov_b64 s[4:5], -1
                                        ; implicit-def: $sgpr10
	s_and_saveexec_b64 s[8:9], s[12:13]
; %bb.17982:
	s_mov_b32 s10, 0x7f800001
	s_xor_b64 s[4:5], exec, -1
; %bb.17983:
	s_or_b64 exec, exec, s[8:9]
	s_and_b64 s[4:5], s[4:5], exec
	s_or_saveexec_b64 s[6:7], s[6:7]
	v_mov_b32_e32 v6, s10
	s_xor_b64 exec, exec, s[6:7]
	s_cbranch_execnz .LBB2_17984
; %bb.53821:
	s_getpc_b64 s[14:15]
.Lpost_getpc30494:
	s_add_u32 s14, s14, (.LBB2_3646-.Lpost_getpc30494)&4294967295
	s_addc_u32 s15, s15, (.LBB2_3646-.Lpost_getpc30494)>>32
	s_setpc_b64 s[14:15]
.LBB2_17984:
	v_mov_b32_e32 v6, 0
	v_cmp_ne_u16_sdwa s[8:9], v3, v6 src0_sel:BYTE_3 src1_sel:DWORD
	s_andn2_b64 s[4:5], s[4:5], exec
	s_and_b64 s[8:9], s[8:9], exec
	s_or_b64 s[4:5], s[4:5], s[8:9]
	s_or_b64 exec, exec, s[6:7]
	s_and_saveexec_b64 s[6:7], s[4:5]
	s_cbranch_execz .LBB2_30495
; %bb.53823:
	s_getpc_b64 s[14:15]
.Lpost_getpc30495:
	s_add_u32 s14, s14, (.LBB2_3647-.Lpost_getpc30495)&4294967295
	s_addc_u32 s15, s15, (.LBB2_3647-.Lpost_getpc30495)>>32
	s_setpc_b64 s[14:15]
.LBB2_30495:
	s_getpc_b64 s[14:15]
.Lpost_getpc18831:
	s_add_u32 s14, s14, (.LBB2_3648-.Lpost_getpc18831)&4294967295
	s_addc_u32 s15, s15, (.LBB2_3648-.Lpost_getpc18831)>>32
	s_setpc_b64 s[14:15]
.LBB2_17985:
	s_movk_i32 s4, 0x80
	v_cmp_eq_u16_sdwa s[12:13], v8, s4 src0_sel:BYTE_0 src1_sel:DWORD
	s_mov_b64 s[4:5], -1
                                        ; implicit-def: $sgpr10
	s_and_saveexec_b64 s[8:9], s[12:13]
; %bb.17986:
	s_mov_b32 s10, 0x7f800001
	s_xor_b64 s[4:5], exec, -1
; %bb.17987:
	s_or_b64 exec, exec, s[8:9]
	s_and_b64 s[4:5], s[4:5], exec
	s_or_saveexec_b64 s[6:7], s[6:7]
	v_mov_b32_e32 v2, s10
	s_xor_b64 exec, exec, s[6:7]
	s_cbranch_execnz .LBB2_17988
; %bb.53825:
	s_getpc_b64 s[14:15]
.Lpost_getpc30496:
	s_add_u32 s14, s14, (.LBB2_3650-.Lpost_getpc30496)&4294967295
	s_addc_u32 s15, s15, (.LBB2_3650-.Lpost_getpc30496)>>32
	s_setpc_b64 s[14:15]
.LBB2_17988:
	v_mov_b32_e32 v2, 0
	v_cmp_ne_u16_sdwa s[8:9], v8, v2 src0_sel:BYTE_0 src1_sel:DWORD
	s_andn2_b64 s[4:5], s[4:5], exec
	s_and_b64 s[8:9], s[8:9], exec
	s_or_b64 s[4:5], s[4:5], s[8:9]
	s_or_b64 exec, exec, s[6:7]
	s_and_saveexec_b64 s[6:7], s[4:5]
	s_cbranch_execz .LBB2_30497
; %bb.53827:
	s_getpc_b64 s[14:15]
.Lpost_getpc30497:
	s_add_u32 s14, s14, (.LBB2_3651-.Lpost_getpc30497)&4294967295
	s_addc_u32 s15, s15, (.LBB2_3651-.Lpost_getpc30497)>>32
	s_setpc_b64 s[14:15]
.LBB2_30497:
	s_getpc_b64 s[14:15]
.Lpost_getpc18832:
	s_add_u32 s14, s14, (.LBB2_3652-.Lpost_getpc18832)&4294967295
	s_addc_u32 s15, s15, (.LBB2_3652-.Lpost_getpc18832)>>32
	s_setpc_b64 s[14:15]
.LBB2_17989:
	s_movk_i32 s4, 0x80
	v_cmp_eq_u16_sdwa s[12:13], v4, s4 src0_sel:BYTE_0 src1_sel:DWORD
	s_mov_b64 s[4:5], -1
                                        ; implicit-def: $sgpr10
	s_and_saveexec_b64 s[8:9], s[12:13]
; %bb.17990:
	s_mov_b32 s10, 0x7f800001
	s_xor_b64 s[4:5], exec, -1
; %bb.17991:
	s_or_b64 exec, exec, s[8:9]
	s_and_b64 s[4:5], s[4:5], exec
	s_or_saveexec_b64 s[6:7], s[6:7]
	v_mov_b32_e32 v3, s10
	s_xor_b64 exec, exec, s[6:7]
	s_cbranch_execnz .LBB2_17992
; %bb.53829:
	s_getpc_b64 s[14:15]
.Lpost_getpc30498:
	s_add_u32 s14, s14, (.LBB2_3654-.Lpost_getpc30498)&4294967295
	s_addc_u32 s15, s15, (.LBB2_3654-.Lpost_getpc30498)>>32
	s_setpc_b64 s[14:15]
.LBB2_17992:
	v_mov_b32_e32 v3, 0
	v_cmp_ne_u16_sdwa s[8:9], v4, v3 src0_sel:BYTE_0 src1_sel:DWORD
	s_andn2_b64 s[4:5], s[4:5], exec
	s_and_b64 s[8:9], s[8:9], exec
	s_or_b64 s[4:5], s[4:5], s[8:9]
	s_or_b64 exec, exec, s[6:7]
	s_and_saveexec_b64 s[6:7], s[4:5]
	s_cbranch_execz .LBB2_30499
; %bb.53831:
	s_getpc_b64 s[14:15]
.Lpost_getpc30499:
	s_add_u32 s14, s14, (.LBB2_3655-.Lpost_getpc30499)&4294967295
	s_addc_u32 s15, s15, (.LBB2_3655-.Lpost_getpc30499)>>32
	s_setpc_b64 s[14:15]
.LBB2_30499:
	s_getpc_b64 s[14:15]
.Lpost_getpc18833:
	s_add_u32 s14, s14, (.LBB2_3656-.Lpost_getpc18833)&4294967295
	s_addc_u32 s15, s15, (.LBB2_3656-.Lpost_getpc18833)>>32
	s_setpc_b64 s[14:15]
.LBB2_17993:
	s_movk_i32 s4, 0x80
	v_cmp_eq_u16_sdwa s[12:13], v3, s4 src0_sel:BYTE_0 src1_sel:DWORD
	s_mov_b64 s[4:5], -1
                                        ; implicit-def: $sgpr10
	s_and_saveexec_b64 s[8:9], s[12:13]
; %bb.17994:
	s_mov_b32 s10, 0x7f800001
	s_xor_b64 s[4:5], exec, -1
; %bb.17995:
	s_or_b64 exec, exec, s[8:9]
	s_and_b64 s[4:5], s[4:5], exec
	s_or_saveexec_b64 s[6:7], s[6:7]
	v_mov_b32_e32 v2, s10
	s_xor_b64 exec, exec, s[6:7]
	s_cbranch_execnz .LBB2_17996
; %bb.53833:
	s_getpc_b64 s[14:15]
.Lpost_getpc30500:
	s_add_u32 s14, s14, (.LBB2_3658-.Lpost_getpc30500)&4294967295
	s_addc_u32 s15, s15, (.LBB2_3658-.Lpost_getpc30500)>>32
	s_setpc_b64 s[14:15]
.LBB2_17996:
	v_mov_b32_e32 v2, 0
	v_cmp_ne_u16_sdwa s[8:9], v3, v2 src0_sel:BYTE_0 src1_sel:DWORD
	s_andn2_b64 s[4:5], s[4:5], exec
	s_and_b64 s[8:9], s[8:9], exec
	s_or_b64 s[4:5], s[4:5], s[8:9]
	s_or_b64 exec, exec, s[6:7]
	s_and_saveexec_b64 s[6:7], s[4:5]
	s_cbranch_execz .LBB2_30501
; %bb.53835:
	s_getpc_b64 s[14:15]
.Lpost_getpc30501:
	s_add_u32 s14, s14, (.LBB2_3659-.Lpost_getpc30501)&4294967295
	s_addc_u32 s15, s15, (.LBB2_3659-.Lpost_getpc30501)>>32
	s_setpc_b64 s[14:15]
.LBB2_30501:
	s_getpc_b64 s[14:15]
.Lpost_getpc18834:
	s_add_u32 s14, s14, (.LBB2_3660-.Lpost_getpc18834)&4294967295
	s_addc_u32 s15, s15, (.LBB2_3660-.Lpost_getpc18834)>>32
	s_setpc_b64 s[14:15]
.LBB2_17997:
	s_movk_i32 s4, 0x80
	v_cmp_eq_u16_sdwa s[12:13], v3, s4 src0_sel:BYTE_0 src1_sel:DWORD
	s_mov_b64 s[4:5], -1
                                        ; implicit-def: $sgpr10
	s_and_saveexec_b64 s[8:9], s[12:13]
; %bb.17998:
	s_mov_b32 s10, 0x7f800001
	s_xor_b64 s[4:5], exec, -1
; %bb.17999:
	s_or_b64 exec, exec, s[8:9]
	s_and_b64 s[4:5], s[4:5], exec
	s_or_saveexec_b64 s[6:7], s[6:7]
	v_mov_b32_e32 v6, s10
	s_xor_b64 exec, exec, s[6:7]
	s_cbranch_execnz .LBB2_18000
; %bb.53837:
	s_getpc_b64 s[14:15]
.Lpost_getpc30502:
	s_add_u32 s14, s14, (.LBB2_3662-.Lpost_getpc30502)&4294967295
	s_addc_u32 s15, s15, (.LBB2_3662-.Lpost_getpc30502)>>32
	s_setpc_b64 s[14:15]
.LBB2_18000:
	v_mov_b32_e32 v6, 0
	v_cmp_ne_u16_sdwa s[8:9], v3, v6 src0_sel:BYTE_0 src1_sel:DWORD
	s_andn2_b64 s[4:5], s[4:5], exec
	s_and_b64 s[8:9], s[8:9], exec
	s_or_b64 s[4:5], s[4:5], s[8:9]
	s_or_b64 exec, exec, s[6:7]
	s_and_saveexec_b64 s[6:7], s[4:5]
	s_cbranch_execz .LBB2_30503
; %bb.53839:
	s_getpc_b64 s[14:15]
.Lpost_getpc30503:
	s_add_u32 s14, s14, (.LBB2_3663-.Lpost_getpc30503)&4294967295
	s_addc_u32 s15, s15, (.LBB2_3663-.Lpost_getpc30503)>>32
	s_setpc_b64 s[14:15]
.LBB2_30503:
	s_getpc_b64 s[14:15]
.Lpost_getpc18835:
	s_add_u32 s14, s14, (.LBB2_3664-.Lpost_getpc18835)&4294967295
	s_addc_u32 s15, s15, (.LBB2_3664-.Lpost_getpc18835)>>32
	s_setpc_b64 s[14:15]
.LBB2_18001:
	s_movk_i32 s4, 0x80
	v_cmp_eq_u16_e32 vcc, s4, v3
	s_mov_b64 s[4:5], -1
                                        ; implicit-def: $sgpr10
	s_and_saveexec_b64 s[8:9], vcc
; %bb.18002:
	s_mov_b32 s10, 0x7f800001
	s_xor_b64 s[4:5], exec, -1
; %bb.18003:
	s_or_b64 exec, exec, s[8:9]
	s_and_b64 s[4:5], s[4:5], exec
                                        ; implicit-def: $vgpr3
	s_or_saveexec_b64 s[6:7], s[6:7]
	v_mov_b32_e32 v2, s10
	s_xor_b64 exec, exec, s[6:7]
	s_cbranch_execnz .LBB2_18004
; %bb.53841:
	s_getpc_b64 s[14:15]
.Lpost_getpc30504:
	s_add_u32 s14, s14, (.LBB2_3666-.Lpost_getpc30504)&4294967295
	s_addc_u32 s15, s15, (.LBB2_3666-.Lpost_getpc30504)>>32
	s_setpc_b64 s[14:15]
.LBB2_18004:
	v_cmp_ne_u16_e32 vcc, 0, v3
	s_andn2_b64 s[4:5], s[4:5], exec
	s_and_b64 s[8:9], vcc, exec
	v_mov_b32_e32 v2, 0
	s_or_b64 s[4:5], s[4:5], s[8:9]
	s_or_b64 exec, exec, s[6:7]
	s_and_saveexec_b64 s[6:7], s[4:5]
	s_cbranch_execz .LBB2_30505
; %bb.53843:
	s_getpc_b64 s[14:15]
.Lpost_getpc30505:
	s_add_u32 s14, s14, (.LBB2_3667-.Lpost_getpc30505)&4294967295
	s_addc_u32 s15, s15, (.LBB2_3667-.Lpost_getpc30505)>>32
	s_setpc_b64 s[14:15]
.LBB2_30505:
	s_getpc_b64 s[14:15]
.Lpost_getpc18836:
	s_add_u32 s14, s14, (.LBB2_3668-.Lpost_getpc18836)&4294967295
	s_addc_u32 s15, s15, (.LBB2_3668-.Lpost_getpc18836)>>32
	s_setpc_b64 s[14:15]
.LBB2_18005:
	s_movk_i32 s4, 0x80
	v_cmp_eq_u16_e32 vcc, s4, v3
	s_mov_b64 s[4:5], -1
                                        ; implicit-def: $sgpr10
	s_and_saveexec_b64 s[8:9], vcc
; %bb.18006:
	s_mov_b32 s10, 0x7f800001
	s_xor_b64 s[4:5], exec, -1
; %bb.18007:
	s_or_b64 exec, exec, s[8:9]
	s_and_b64 s[4:5], s[4:5], exec
                                        ; implicit-def: $vgpr3
	s_or_saveexec_b64 s[6:7], s[6:7]
	v_mov_b32_e32 v6, s10
	s_xor_b64 exec, exec, s[6:7]
	s_cbranch_execnz .LBB2_18008
; %bb.53845:
	s_getpc_b64 s[14:15]
.Lpost_getpc30506:
	s_add_u32 s14, s14, (.LBB2_3670-.Lpost_getpc30506)&4294967295
	s_addc_u32 s15, s15, (.LBB2_3670-.Lpost_getpc30506)>>32
	s_setpc_b64 s[14:15]
.LBB2_18008:
	v_cmp_ne_u16_e32 vcc, 0, v3
	s_andn2_b64 s[4:5], s[4:5], exec
	s_and_b64 s[8:9], vcc, exec
	v_mov_b32_e32 v6, 0
	s_or_b64 s[4:5], s[4:5], s[8:9]
	s_or_b64 exec, exec, s[6:7]
	s_and_saveexec_b64 s[6:7], s[4:5]
	s_cbranch_execz .LBB2_30507
; %bb.53847:
	s_getpc_b64 s[14:15]
.Lpost_getpc30507:
	s_add_u32 s14, s14, (.LBB2_3671-.Lpost_getpc30507)&4294967295
	s_addc_u32 s15, s15, (.LBB2_3671-.Lpost_getpc30507)>>32
	s_setpc_b64 s[14:15]
.LBB2_30507:
	s_getpc_b64 s[14:15]
.Lpost_getpc18837:
	s_add_u32 s14, s14, (.LBB2_3672-.Lpost_getpc18837)&4294967295
	s_addc_u32 s15, s15, (.LBB2_3672-.Lpost_getpc18837)>>32
	s_setpc_b64 s[14:15]
.LBB2_18009:
	s_movk_i32 s4, 0x80
	v_cmp_eq_u16_sdwa s[12:13], v8, s4 src0_sel:BYTE_3 src1_sel:DWORD
	s_mov_b64 s[4:5], -1
                                        ; implicit-def: $sgpr10
	s_and_saveexec_b64 s[8:9], s[12:13]
; %bb.18010:
	s_mov_b32 s10, 0x7f800001
	s_xor_b64 s[4:5], exec, -1
; %bb.18011:
	s_or_b64 exec, exec, s[8:9]
	s_and_b64 s[4:5], s[4:5], exec
	s_or_saveexec_b64 s[6:7], s[6:7]
	v_mov_b32_e32 v2, s10
	s_xor_b64 exec, exec, s[6:7]
	s_cbranch_execnz .LBB2_18012
; %bb.53849:
	s_getpc_b64 s[14:15]
.Lpost_getpc30508:
	s_add_u32 s14, s14, (.LBB2_3674-.Lpost_getpc30508)&4294967295
	s_addc_u32 s15, s15, (.LBB2_3674-.Lpost_getpc30508)>>32
	s_setpc_b64 s[14:15]
.LBB2_18012:
	v_mov_b32_e32 v2, 0
	v_cmp_ne_u16_sdwa s[8:9], v8, v2 src0_sel:BYTE_3 src1_sel:DWORD
	s_andn2_b64 s[4:5], s[4:5], exec
	s_and_b64 s[8:9], s[8:9], exec
	s_or_b64 s[4:5], s[4:5], s[8:9]
	s_or_b64 exec, exec, s[6:7]
	s_and_saveexec_b64 s[6:7], s[4:5]
	s_cbranch_execz .LBB2_30509
; %bb.53851:
	s_getpc_b64 s[14:15]
.Lpost_getpc30509:
	s_add_u32 s14, s14, (.LBB2_3675-.Lpost_getpc30509)&4294967295
	s_addc_u32 s15, s15, (.LBB2_3675-.Lpost_getpc30509)>>32
	s_setpc_b64 s[14:15]
.LBB2_30509:
	s_getpc_b64 s[14:15]
.Lpost_getpc18838:
	s_add_u32 s14, s14, (.LBB2_3676-.Lpost_getpc18838)&4294967295
	s_addc_u32 s15, s15, (.LBB2_3676-.Lpost_getpc18838)>>32
	s_setpc_b64 s[14:15]
.LBB2_18013:
	s_movk_i32 s4, 0x80
	v_cmp_eq_u16_sdwa s[12:13], v4, s4 src0_sel:BYTE_3 src1_sel:DWORD
	s_mov_b64 s[4:5], -1
                                        ; implicit-def: $sgpr10
	s_and_saveexec_b64 s[8:9], s[12:13]
; %bb.18014:
	s_mov_b32 s10, 0x7f800001
	s_xor_b64 s[4:5], exec, -1
; %bb.18015:
	s_or_b64 exec, exec, s[8:9]
	s_and_b64 s[4:5], s[4:5], exec
	s_or_saveexec_b64 s[6:7], s[6:7]
	v_mov_b32_e32 v3, s10
	s_xor_b64 exec, exec, s[6:7]
	s_cbranch_execnz .LBB2_18016
; %bb.53853:
	s_getpc_b64 s[14:15]
.Lpost_getpc30510:
	s_add_u32 s14, s14, (.LBB2_3678-.Lpost_getpc30510)&4294967295
	s_addc_u32 s15, s15, (.LBB2_3678-.Lpost_getpc30510)>>32
	s_setpc_b64 s[14:15]
.LBB2_18016:
	v_mov_b32_e32 v3, 0
	v_cmp_ne_u16_sdwa s[8:9], v4, v3 src0_sel:BYTE_3 src1_sel:DWORD
	s_andn2_b64 s[4:5], s[4:5], exec
	s_and_b64 s[8:9], s[8:9], exec
	s_or_b64 s[4:5], s[4:5], s[8:9]
	s_or_b64 exec, exec, s[6:7]
	s_and_saveexec_b64 s[6:7], s[4:5]
	s_cbranch_execz .LBB2_30511
; %bb.53855:
	s_getpc_b64 s[14:15]
.Lpost_getpc30511:
	s_add_u32 s14, s14, (.LBB2_3679-.Lpost_getpc30511)&4294967295
	s_addc_u32 s15, s15, (.LBB2_3679-.Lpost_getpc30511)>>32
	s_setpc_b64 s[14:15]
.LBB2_30511:
	s_getpc_b64 s[14:15]
.Lpost_getpc18839:
	s_add_u32 s14, s14, (.LBB2_3680-.Lpost_getpc18839)&4294967295
	s_addc_u32 s15, s15, (.LBB2_3680-.Lpost_getpc18839)>>32
	s_setpc_b64 s[14:15]
.LBB2_18017:
	s_movk_i32 s4, 0x80
	v_cmp_eq_u16_sdwa s[12:13], v9, s4 src0_sel:BYTE_0 src1_sel:DWORD
	s_mov_b64 s[4:5], -1
                                        ; implicit-def: $sgpr10
	s_and_saveexec_b64 s[8:9], s[12:13]
; %bb.18018:
	s_mov_b32 s10, 0x7f800001
	s_xor_b64 s[4:5], exec, -1
; %bb.18019:
	s_or_b64 exec, exec, s[8:9]
	s_and_b64 s[4:5], s[4:5], exec
	s_or_saveexec_b64 s[6:7], s[6:7]
	v_mov_b32_e32 v2, s10
	s_xor_b64 exec, exec, s[6:7]
	s_cbranch_execnz .LBB2_18020
; %bb.53857:
	s_getpc_b64 s[14:15]
.Lpost_getpc30512:
	s_add_u32 s14, s14, (.LBB2_3682-.Lpost_getpc30512)&4294967295
	s_addc_u32 s15, s15, (.LBB2_3682-.Lpost_getpc30512)>>32
	s_setpc_b64 s[14:15]
.LBB2_18020:
	v_mov_b32_e32 v2, 0
	v_cmp_ne_u16_sdwa s[8:9], v9, v2 src0_sel:BYTE_0 src1_sel:DWORD
	s_andn2_b64 s[4:5], s[4:5], exec
	s_and_b64 s[8:9], s[8:9], exec
	s_or_b64 s[4:5], s[4:5], s[8:9]
	s_or_b64 exec, exec, s[6:7]
	s_and_saveexec_b64 s[6:7], s[4:5]
	s_cbranch_execz .LBB2_30513
; %bb.53859:
	s_getpc_b64 s[14:15]
.Lpost_getpc30513:
	s_add_u32 s14, s14, (.LBB2_3683-.Lpost_getpc30513)&4294967295
	s_addc_u32 s15, s15, (.LBB2_3683-.Lpost_getpc30513)>>32
	s_setpc_b64 s[14:15]
.LBB2_30513:
	s_getpc_b64 s[14:15]
.Lpost_getpc18840:
	s_add_u32 s14, s14, (.LBB2_3684-.Lpost_getpc18840)&4294967295
	s_addc_u32 s15, s15, (.LBB2_3684-.Lpost_getpc18840)>>32
	s_setpc_b64 s[14:15]
.LBB2_18021:
	s_movk_i32 s4, 0x80
	v_cmp_eq_u16_sdwa s[12:13], v5, s4 src0_sel:BYTE_0 src1_sel:DWORD
	s_mov_b64 s[4:5], -1
                                        ; implicit-def: $sgpr10
	s_and_saveexec_b64 s[8:9], s[12:13]
; %bb.18022:
	s_mov_b32 s10, 0x7f800001
	s_xor_b64 s[4:5], exec, -1
; %bb.18023:
	s_or_b64 exec, exec, s[8:9]
	s_and_b64 s[4:5], s[4:5], exec
	s_or_saveexec_b64 s[6:7], s[6:7]
	v_mov_b32_e32 v3, s10
	s_xor_b64 exec, exec, s[6:7]
	s_cbranch_execnz .LBB2_18024
; %bb.53861:
	s_getpc_b64 s[14:15]
.Lpost_getpc30514:
	s_add_u32 s14, s14, (.LBB2_3686-.Lpost_getpc30514)&4294967295
	s_addc_u32 s15, s15, (.LBB2_3686-.Lpost_getpc30514)>>32
	s_setpc_b64 s[14:15]
.LBB2_18024:
	v_mov_b32_e32 v3, 0
	v_cmp_ne_u16_sdwa s[8:9], v5, v3 src0_sel:BYTE_0 src1_sel:DWORD
	s_andn2_b64 s[4:5], s[4:5], exec
	s_and_b64 s[8:9], s[8:9], exec
	s_or_b64 s[4:5], s[4:5], s[8:9]
	s_or_b64 exec, exec, s[6:7]
	s_and_saveexec_b64 s[6:7], s[4:5]
	s_cbranch_execz .LBB2_30515
; %bb.53863:
	s_getpc_b64 s[14:15]
.Lpost_getpc30515:
	s_add_u32 s14, s14, (.LBB2_3687-.Lpost_getpc30515)&4294967295
	s_addc_u32 s15, s15, (.LBB2_3687-.Lpost_getpc30515)>>32
	s_setpc_b64 s[14:15]
.LBB2_30515:
	s_getpc_b64 s[14:15]
.Lpost_getpc18841:
	s_add_u32 s14, s14, (.LBB2_3688-.Lpost_getpc18841)&4294967295
	s_addc_u32 s15, s15, (.LBB2_3688-.Lpost_getpc18841)>>32
	s_setpc_b64 s[14:15]
.LBB2_18025:
	s_movk_i32 s4, 0x80
	v_cmp_eq_u16_sdwa s[12:13], v3, s4 src0_sel:BYTE_0 src1_sel:DWORD
	s_mov_b64 s[4:5], -1
                                        ; implicit-def: $sgpr10
	s_and_saveexec_b64 s[8:9], s[12:13]
; %bb.18026:
	s_mov_b32 s10, 0x7f800001
	s_xor_b64 s[4:5], exec, -1
; %bb.18027:
	s_or_b64 exec, exec, s[8:9]
	s_and_b64 s[4:5], s[4:5], exec
	s_or_saveexec_b64 s[6:7], s[6:7]
	v_mov_b32_e32 v2, s10
	s_xor_b64 exec, exec, s[6:7]
	s_cbranch_execnz .LBB2_18028
; %bb.53865:
	s_getpc_b64 s[14:15]
.Lpost_getpc30516:
	s_add_u32 s14, s14, (.LBB2_3690-.Lpost_getpc30516)&4294967295
	s_addc_u32 s15, s15, (.LBB2_3690-.Lpost_getpc30516)>>32
	s_setpc_b64 s[14:15]
.LBB2_18028:
	v_mov_b32_e32 v2, 0
	v_cmp_ne_u16_sdwa s[8:9], v3, v2 src0_sel:BYTE_0 src1_sel:DWORD
	s_andn2_b64 s[4:5], s[4:5], exec
	s_and_b64 s[8:9], s[8:9], exec
	s_or_b64 s[4:5], s[4:5], s[8:9]
	s_or_b64 exec, exec, s[6:7]
	s_and_saveexec_b64 s[6:7], s[4:5]
	s_cbranch_execz .LBB2_30517
; %bb.53867:
	s_getpc_b64 s[14:15]
.Lpost_getpc30517:
	s_add_u32 s14, s14, (.LBB2_3691-.Lpost_getpc30517)&4294967295
	s_addc_u32 s15, s15, (.LBB2_3691-.Lpost_getpc30517)>>32
	s_setpc_b64 s[14:15]
.LBB2_30517:
	s_getpc_b64 s[14:15]
.Lpost_getpc18842:
	s_add_u32 s14, s14, (.LBB2_3692-.Lpost_getpc18842)&4294967295
	s_addc_u32 s15, s15, (.LBB2_3692-.Lpost_getpc18842)>>32
	s_setpc_b64 s[14:15]
.LBB2_18029:
	s_movk_i32 s4, 0x80
	v_cmp_eq_u16_sdwa s[12:13], v3, s4 src0_sel:BYTE_0 src1_sel:DWORD
	s_mov_b64 s[4:5], -1
                                        ; implicit-def: $sgpr10
	s_and_saveexec_b64 s[8:9], s[12:13]
; %bb.18030:
	s_mov_b32 s10, 0x7f800001
	s_xor_b64 s[4:5], exec, -1
; %bb.18031:
	s_or_b64 exec, exec, s[8:9]
	s_and_b64 s[4:5], s[4:5], exec
	s_or_saveexec_b64 s[6:7], s[6:7]
	v_mov_b32_e32 v4, s10
	s_xor_b64 exec, exec, s[6:7]
	s_cbranch_execnz .LBB2_18032
; %bb.53869:
	s_getpc_b64 s[14:15]
.Lpost_getpc30518:
	s_add_u32 s14, s14, (.LBB2_3694-.Lpost_getpc30518)&4294967295
	s_addc_u32 s15, s15, (.LBB2_3694-.Lpost_getpc30518)>>32
	s_setpc_b64 s[14:15]
.LBB2_18032:
	v_mov_b32_e32 v4, 0
	v_cmp_ne_u16_sdwa s[8:9], v3, v4 src0_sel:BYTE_0 src1_sel:DWORD
	s_andn2_b64 s[4:5], s[4:5], exec
	s_and_b64 s[8:9], s[8:9], exec
	s_or_b64 s[4:5], s[4:5], s[8:9]
	s_or_b64 exec, exec, s[6:7]
	s_and_saveexec_b64 s[6:7], s[4:5]
	s_cbranch_execz .LBB2_30519
; %bb.53871:
	s_getpc_b64 s[14:15]
.Lpost_getpc30519:
	s_add_u32 s14, s14, (.LBB2_3695-.Lpost_getpc30519)&4294967295
	s_addc_u32 s15, s15, (.LBB2_3695-.Lpost_getpc30519)>>32
	s_setpc_b64 s[14:15]
.LBB2_30519:
	s_getpc_b64 s[14:15]
.Lpost_getpc18843:
	s_add_u32 s14, s14, (.LBB2_3696-.Lpost_getpc18843)&4294967295
	s_addc_u32 s15, s15, (.LBB2_3696-.Lpost_getpc18843)>>32
	s_setpc_b64 s[14:15]
.LBB2_18033:
	s_movk_i32 s4, 0x80
	v_cmp_eq_u16_e32 vcc, s4, v3
	s_mov_b64 s[4:5], -1
                                        ; implicit-def: $sgpr10
	s_and_saveexec_b64 s[8:9], vcc
; %bb.18034:
	s_mov_b32 s10, 0x7f800001
	s_xor_b64 s[4:5], exec, -1
; %bb.18035:
	s_or_b64 exec, exec, s[8:9]
	s_and_b64 s[4:5], s[4:5], exec
                                        ; implicit-def: $vgpr3
	s_or_saveexec_b64 s[6:7], s[6:7]
	v_mov_b32_e32 v2, s10
	s_xor_b64 exec, exec, s[6:7]
	s_cbranch_execnz .LBB2_18036
; %bb.53873:
	s_getpc_b64 s[14:15]
.Lpost_getpc30520:
	s_add_u32 s14, s14, (.LBB2_3698-.Lpost_getpc30520)&4294967295
	s_addc_u32 s15, s15, (.LBB2_3698-.Lpost_getpc30520)>>32
	s_setpc_b64 s[14:15]
.LBB2_18036:
	v_cmp_ne_u16_e32 vcc, 0, v3
	s_andn2_b64 s[4:5], s[4:5], exec
	s_and_b64 s[8:9], vcc, exec
	v_mov_b32_e32 v2, 0
	s_or_b64 s[4:5], s[4:5], s[8:9]
	s_or_b64 exec, exec, s[6:7]
	s_and_saveexec_b64 s[6:7], s[4:5]
	s_cbranch_execz .LBB2_30521
; %bb.53875:
	s_getpc_b64 s[14:15]
.Lpost_getpc30521:
	s_add_u32 s14, s14, (.LBB2_3699-.Lpost_getpc30521)&4294967295
	s_addc_u32 s15, s15, (.LBB2_3699-.Lpost_getpc30521)>>32
	s_setpc_b64 s[14:15]
.LBB2_30521:
	s_getpc_b64 s[14:15]
.Lpost_getpc18844:
	s_add_u32 s14, s14, (.LBB2_3700-.Lpost_getpc18844)&4294967295
	s_addc_u32 s15, s15, (.LBB2_3700-.Lpost_getpc18844)>>32
	s_setpc_b64 s[14:15]
.LBB2_18037:
	s_movk_i32 s4, 0x80
	v_cmp_eq_u16_e32 vcc, s4, v3
	s_mov_b64 s[4:5], -1
                                        ; implicit-def: $sgpr10
	s_and_saveexec_b64 s[8:9], vcc
; %bb.18038:
	s_mov_b32 s10, 0x7f800001
	s_xor_b64 s[4:5], exec, -1
; %bb.18039:
	s_or_b64 exec, exec, s[8:9]
	s_and_b64 s[4:5], s[4:5], exec
                                        ; implicit-def: $vgpr3
	s_or_saveexec_b64 s[6:7], s[6:7]
	v_mov_b32_e32 v4, s10
	s_xor_b64 exec, exec, s[6:7]
	s_cbranch_execnz .LBB2_18040
; %bb.53877:
	s_getpc_b64 s[14:15]
.Lpost_getpc30522:
	s_add_u32 s14, s14, (.LBB2_3702-.Lpost_getpc30522)&4294967295
	s_addc_u32 s15, s15, (.LBB2_3702-.Lpost_getpc30522)>>32
	s_setpc_b64 s[14:15]
.LBB2_18040:
	v_cmp_ne_u16_e32 vcc, 0, v3
	s_andn2_b64 s[4:5], s[4:5], exec
	s_and_b64 s[8:9], vcc, exec
	v_mov_b32_e32 v4, 0
	s_or_b64 s[4:5], s[4:5], s[8:9]
	s_or_b64 exec, exec, s[6:7]
	s_and_saveexec_b64 s[6:7], s[4:5]
	s_cbranch_execz .LBB2_30523
; %bb.53879:
	s_getpc_b64 s[14:15]
.Lpost_getpc30523:
	s_add_u32 s14, s14, (.LBB2_3703-.Lpost_getpc30523)&4294967295
	s_addc_u32 s15, s15, (.LBB2_3703-.Lpost_getpc30523)>>32
	s_setpc_b64 s[14:15]
.LBB2_30523:
	s_getpc_b64 s[14:15]
.Lpost_getpc18845:
	s_add_u32 s14, s14, (.LBB2_3704-.Lpost_getpc18845)&4294967295
	s_addc_u32 s15, s15, (.LBB2_3704-.Lpost_getpc18845)>>32
	s_setpc_b64 s[14:15]
.LBB2_18041:
	s_movk_i32 s4, 0x80
	v_cmp_eq_u16_sdwa s[12:13], v9, s4 src0_sel:BYTE_3 src1_sel:DWORD
	s_mov_b64 s[4:5], -1
                                        ; implicit-def: $sgpr10
	s_and_saveexec_b64 s[8:9], s[12:13]
; %bb.18042:
	s_mov_b32 s10, 0x7f800001
	s_xor_b64 s[4:5], exec, -1
; %bb.18043:
	s_or_b64 exec, exec, s[8:9]
	s_and_b64 s[4:5], s[4:5], exec
	s_or_saveexec_b64 s[6:7], s[6:7]
	v_mov_b32_e32 v2, s10
	s_xor_b64 exec, exec, s[6:7]
	s_cbranch_execnz .LBB2_18044
; %bb.53881:
	s_getpc_b64 s[14:15]
.Lpost_getpc30524:
	s_add_u32 s14, s14, (.LBB2_3706-.Lpost_getpc30524)&4294967295
	s_addc_u32 s15, s15, (.LBB2_3706-.Lpost_getpc30524)>>32
	s_setpc_b64 s[14:15]
.LBB2_18044:
	v_mov_b32_e32 v2, 0
	v_cmp_ne_u16_sdwa s[8:9], v9, v2 src0_sel:BYTE_3 src1_sel:DWORD
	s_andn2_b64 s[4:5], s[4:5], exec
	s_and_b64 s[8:9], s[8:9], exec
	s_or_b64 s[4:5], s[4:5], s[8:9]
	s_or_b64 exec, exec, s[6:7]
	s_and_saveexec_b64 s[6:7], s[4:5]
	s_cbranch_execz .LBB2_30525
; %bb.53883:
	s_getpc_b64 s[14:15]
.Lpost_getpc30525:
	s_add_u32 s14, s14, (.LBB2_3707-.Lpost_getpc30525)&4294967295
	s_addc_u32 s15, s15, (.LBB2_3707-.Lpost_getpc30525)>>32
	s_setpc_b64 s[14:15]
.LBB2_30525:
	s_getpc_b64 s[14:15]
.Lpost_getpc18846:
	s_add_u32 s14, s14, (.LBB2_3708-.Lpost_getpc18846)&4294967295
	s_addc_u32 s15, s15, (.LBB2_3708-.Lpost_getpc18846)>>32
	s_setpc_b64 s[14:15]
.LBB2_18045:
	s_movk_i32 s4, 0x80
	v_cmp_eq_u16_sdwa s[12:13], v5, s4 src0_sel:BYTE_3 src1_sel:DWORD
	s_mov_b64 s[4:5], -1
                                        ; implicit-def: $sgpr10
	s_and_saveexec_b64 s[8:9], s[12:13]
; %bb.18046:
	s_mov_b32 s10, 0x7f800001
	s_xor_b64 s[4:5], exec, -1
; %bb.18047:
	s_or_b64 exec, exec, s[8:9]
	s_and_b64 s[4:5], s[4:5], exec
	s_or_saveexec_b64 s[6:7], s[6:7]
	v_mov_b32_e32 v3, s10
	s_xor_b64 exec, exec, s[6:7]
	s_cbranch_execnz .LBB2_18048
; %bb.53885:
	s_getpc_b64 s[14:15]
.Lpost_getpc30526:
	s_add_u32 s14, s14, (.LBB2_3710-.Lpost_getpc30526)&4294967295
	s_addc_u32 s15, s15, (.LBB2_3710-.Lpost_getpc30526)>>32
	s_setpc_b64 s[14:15]
.LBB2_18048:
	v_mov_b32_e32 v3, 0
	v_cmp_ne_u16_sdwa s[8:9], v5, v3 src0_sel:BYTE_3 src1_sel:DWORD
	s_andn2_b64 s[4:5], s[4:5], exec
	s_and_b64 s[8:9], s[8:9], exec
	s_or_b64 s[4:5], s[4:5], s[8:9]
	s_or_b64 exec, exec, s[6:7]
	s_and_saveexec_b64 s[6:7], s[4:5]
	s_cbranch_execz .LBB2_30527
; %bb.53887:
	s_getpc_b64 s[14:15]
.Lpost_getpc30527:
	s_add_u32 s14, s14, (.LBB2_3711-.Lpost_getpc30527)&4294967295
	s_addc_u32 s15, s15, (.LBB2_3711-.Lpost_getpc30527)>>32
	s_setpc_b64 s[14:15]
.LBB2_30527:
	s_getpc_b64 s[14:15]
.Lpost_getpc18847:
	s_add_u32 s14, s14, (.LBB2_3712-.Lpost_getpc18847)&4294967295
	s_addc_u32 s15, s15, (.LBB2_3712-.Lpost_getpc18847)>>32
	s_setpc_b64 s[14:15]
.LBB2_18049:
	s_movk_i32 s4, 0x80
	v_cmp_eq_u16_sdwa s[12:13], v6, s4 src0_sel:BYTE_0 src1_sel:DWORD
	s_mov_b64 s[4:5], -1
                                        ; implicit-def: $sgpr10
	s_and_saveexec_b64 s[8:9], s[12:13]
; %bb.18050:
	s_mov_b32 s10, 0x7f800001
	s_xor_b64 s[4:5], exec, -1
; %bb.18051:
	s_or_b64 exec, exec, s[8:9]
	s_and_b64 s[4:5], s[4:5], exec
	s_or_saveexec_b64 s[6:7], s[6:7]
	v_mov_b32_e32 v12, s10
	s_xor_b64 exec, exec, s[6:7]
	s_cbranch_execnz .LBB2_18052
; %bb.53889:
	s_getpc_b64 s[14:15]
.Lpost_getpc30528:
	s_add_u32 s14, s14, (.LBB2_3714-.Lpost_getpc30528)&4294967295
	s_addc_u32 s15, s15, (.LBB2_3714-.Lpost_getpc30528)>>32
	s_setpc_b64 s[14:15]
.LBB2_18052:
	v_mov_b32_e32 v12, 0
	v_cmp_ne_u16_sdwa s[8:9], v6, v12 src0_sel:BYTE_0 src1_sel:DWORD
	s_andn2_b64 s[4:5], s[4:5], exec
	s_and_b64 s[8:9], s[8:9], exec
	s_or_b64 s[4:5], s[4:5], s[8:9]
	s_or_b64 exec, exec, s[6:7]
	s_and_saveexec_b64 s[6:7], s[4:5]
	s_cbranch_execz .LBB2_30529
; %bb.53891:
	s_getpc_b64 s[14:15]
.Lpost_getpc30529:
	s_add_u32 s14, s14, (.LBB2_3715-.Lpost_getpc30529)&4294967295
	s_addc_u32 s15, s15, (.LBB2_3715-.Lpost_getpc30529)>>32
	s_setpc_b64 s[14:15]
.LBB2_30529:
	s_getpc_b64 s[14:15]
.Lpost_getpc18848:
	s_add_u32 s14, s14, (.LBB2_3716-.Lpost_getpc18848)&4294967295
	s_addc_u32 s15, s15, (.LBB2_3716-.Lpost_getpc18848)>>32
	s_setpc_b64 s[14:15]
.LBB2_18053:
	s_movk_i32 s4, 0x80
	v_cmp_eq_u16_sdwa s[12:13], v2, s4 src0_sel:BYTE_0 src1_sel:DWORD
	s_mov_b64 s[4:5], -1
                                        ; implicit-def: $sgpr10
	s_and_saveexec_b64 s[8:9], s[12:13]
; %bb.18054:
	s_mov_b32 s10, 0x7f800001
	s_xor_b64 s[4:5], exec, -1
; %bb.18055:
	s_or_b64 exec, exec, s[8:9]
	s_and_b64 s[4:5], s[4:5], exec
	s_or_saveexec_b64 s[6:7], s[6:7]
	v_mov_b32_e32 v13, s10
	s_xor_b64 exec, exec, s[6:7]
	s_cbranch_execnz .LBB2_18056
; %bb.53893:
	s_getpc_b64 s[14:15]
.Lpost_getpc30530:
	s_add_u32 s14, s14, (.LBB2_3718-.Lpost_getpc30530)&4294967295
	s_addc_u32 s15, s15, (.LBB2_3718-.Lpost_getpc30530)>>32
	s_setpc_b64 s[14:15]
.LBB2_18056:
	v_mov_b32_e32 v13, 0
	v_cmp_ne_u16_sdwa s[8:9], v2, v13 src0_sel:BYTE_0 src1_sel:DWORD
	s_andn2_b64 s[4:5], s[4:5], exec
	s_and_b64 s[8:9], s[8:9], exec
	s_or_b64 s[4:5], s[4:5], s[8:9]
	s_or_b64 exec, exec, s[6:7]
	s_and_saveexec_b64 s[6:7], s[4:5]
	s_cbranch_execz .LBB2_30531
; %bb.53895:
	s_getpc_b64 s[14:15]
.Lpost_getpc30531:
	s_add_u32 s14, s14, (.LBB2_3719-.Lpost_getpc30531)&4294967295
	s_addc_u32 s15, s15, (.LBB2_3719-.Lpost_getpc30531)>>32
	s_setpc_b64 s[14:15]
.LBB2_30531:
	s_getpc_b64 s[14:15]
.Lpost_getpc18849:
	s_add_u32 s14, s14, (.LBB2_3720-.Lpost_getpc18849)&4294967295
	s_addc_u32 s15, s15, (.LBB2_3720-.Lpost_getpc18849)>>32
	s_setpc_b64 s[14:15]
.LBB2_18057:
	s_movk_i32 s4, 0x80
	v_cmp_eq_u16_sdwa s[12:13], v13, s4 src0_sel:BYTE_0 src1_sel:DWORD
	s_mov_b64 s[4:5], -1
                                        ; implicit-def: $sgpr10
	s_and_saveexec_b64 s[8:9], s[12:13]
; %bb.18058:
	s_mov_b32 s10, 0x7f800001
	s_xor_b64 s[4:5], exec, -1
; %bb.18059:
	s_or_b64 exec, exec, s[8:9]
	s_and_b64 s[4:5], s[4:5], exec
	s_or_saveexec_b64 s[6:7], s[6:7]
	v_mov_b32_e32 v12, s10
	s_xor_b64 exec, exec, s[6:7]
	s_cbranch_execnz .LBB2_18060
; %bb.53897:
	s_getpc_b64 s[14:15]
.Lpost_getpc30532:
	s_add_u32 s14, s14, (.LBB2_3722-.Lpost_getpc30532)&4294967295
	s_addc_u32 s15, s15, (.LBB2_3722-.Lpost_getpc30532)>>32
	s_setpc_b64 s[14:15]
.LBB2_18060:
	v_mov_b32_e32 v12, 0
	v_cmp_ne_u16_sdwa s[8:9], v13, v12 src0_sel:BYTE_0 src1_sel:DWORD
	s_andn2_b64 s[4:5], s[4:5], exec
	s_and_b64 s[8:9], s[8:9], exec
	s_or_b64 s[4:5], s[4:5], s[8:9]
	s_or_b64 exec, exec, s[6:7]
	s_and_saveexec_b64 s[6:7], s[4:5]
	s_cbranch_execz .LBB2_30533
; %bb.53899:
	s_getpc_b64 s[14:15]
.Lpost_getpc30533:
	s_add_u32 s14, s14, (.LBB2_3723-.Lpost_getpc30533)&4294967295
	s_addc_u32 s15, s15, (.LBB2_3723-.Lpost_getpc30533)>>32
	s_setpc_b64 s[14:15]
.LBB2_30533:
	s_getpc_b64 s[14:15]
.Lpost_getpc18850:
	s_add_u32 s14, s14, (.LBB2_3724-.Lpost_getpc18850)&4294967295
	s_addc_u32 s15, s15, (.LBB2_3724-.Lpost_getpc18850)>>32
	s_setpc_b64 s[14:15]
.LBB2_18061:
	s_movk_i32 s4, 0x80
	v_cmp_eq_u16_sdwa s[12:13], v13, s4 src0_sel:BYTE_0 src1_sel:DWORD
	s_mov_b64 s[4:5], -1
                                        ; implicit-def: $sgpr10
	s_and_saveexec_b64 s[8:9], s[12:13]
; %bb.18062:
	s_mov_b32 s10, 0x7f800001
	s_xor_b64 s[4:5], exec, -1
; %bb.18063:
	s_or_b64 exec, exec, s[8:9]
	s_and_b64 s[4:5], s[4:5], exec
	s_or_saveexec_b64 s[6:7], s[6:7]
	v_mov_b32_e32 v14, s10
	s_xor_b64 exec, exec, s[6:7]
	s_cbranch_execnz .LBB2_18064
; %bb.53901:
	s_getpc_b64 s[14:15]
.Lpost_getpc30534:
	s_add_u32 s14, s14, (.LBB2_3726-.Lpost_getpc30534)&4294967295
	s_addc_u32 s15, s15, (.LBB2_3726-.Lpost_getpc30534)>>32
	s_setpc_b64 s[14:15]
.LBB2_18064:
	v_mov_b32_e32 v14, 0
	v_cmp_ne_u16_sdwa s[8:9], v13, v14 src0_sel:BYTE_0 src1_sel:DWORD
	s_andn2_b64 s[4:5], s[4:5], exec
	s_and_b64 s[8:9], s[8:9], exec
	s_or_b64 s[4:5], s[4:5], s[8:9]
	s_or_b64 exec, exec, s[6:7]
	s_and_saveexec_b64 s[6:7], s[4:5]
	s_cbranch_execz .LBB2_30535
; %bb.53903:
	s_getpc_b64 s[14:15]
.Lpost_getpc30535:
	s_add_u32 s14, s14, (.LBB2_3727-.Lpost_getpc30535)&4294967295
	s_addc_u32 s15, s15, (.LBB2_3727-.Lpost_getpc30535)>>32
	s_setpc_b64 s[14:15]
.LBB2_30535:
	s_getpc_b64 s[14:15]
.Lpost_getpc18851:
	s_add_u32 s14, s14, (.LBB2_3728-.Lpost_getpc18851)&4294967295
	s_addc_u32 s15, s15, (.LBB2_3728-.Lpost_getpc18851)>>32
	s_setpc_b64 s[14:15]
.LBB2_18065:
	s_movk_i32 s4, 0x80
	v_cmp_eq_u16_e32 vcc, s4, v13
	s_mov_b64 s[4:5], -1
                                        ; implicit-def: $sgpr10
	s_and_saveexec_b64 s[8:9], vcc
; %bb.18066:
	s_mov_b32 s10, 0x7f800001
	s_xor_b64 s[4:5], exec, -1
; %bb.18067:
	s_or_b64 exec, exec, s[8:9]
	s_and_b64 s[4:5], s[4:5], exec
                                        ; implicit-def: $vgpr13
	s_or_saveexec_b64 s[6:7], s[6:7]
	v_mov_b32_e32 v12, s10
	s_xor_b64 exec, exec, s[6:7]
	s_cbranch_execnz .LBB2_18068
; %bb.53905:
	s_getpc_b64 s[14:15]
.Lpost_getpc30536:
	s_add_u32 s14, s14, (.LBB2_3730-.Lpost_getpc30536)&4294967295
	s_addc_u32 s15, s15, (.LBB2_3730-.Lpost_getpc30536)>>32
	s_setpc_b64 s[14:15]
.LBB2_18068:
	v_cmp_ne_u16_e32 vcc, 0, v13
	s_andn2_b64 s[4:5], s[4:5], exec
	s_and_b64 s[8:9], vcc, exec
	v_mov_b32_e32 v12, 0
	s_or_b64 s[4:5], s[4:5], s[8:9]
	s_or_b64 exec, exec, s[6:7]
	s_and_saveexec_b64 s[6:7], s[4:5]
	s_cbranch_execz .LBB2_30537
; %bb.53907:
	s_getpc_b64 s[14:15]
.Lpost_getpc30537:
	s_add_u32 s14, s14, (.LBB2_3731-.Lpost_getpc30537)&4294967295
	s_addc_u32 s15, s15, (.LBB2_3731-.Lpost_getpc30537)>>32
	s_setpc_b64 s[14:15]
.LBB2_30537:
	s_getpc_b64 s[14:15]
.Lpost_getpc18852:
	s_add_u32 s14, s14, (.LBB2_3732-.Lpost_getpc18852)&4294967295
	s_addc_u32 s15, s15, (.LBB2_3732-.Lpost_getpc18852)>>32
	s_setpc_b64 s[14:15]
.LBB2_18069:
	s_movk_i32 s4, 0x80
	v_cmp_eq_u16_e32 vcc, s4, v13
	s_mov_b64 s[4:5], -1
                                        ; implicit-def: $sgpr10
	s_and_saveexec_b64 s[8:9], vcc
; %bb.18070:
	s_mov_b32 s10, 0x7f800001
	s_xor_b64 s[4:5], exec, -1
; %bb.18071:
	s_or_b64 exec, exec, s[8:9]
	s_and_b64 s[4:5], s[4:5], exec
                                        ; implicit-def: $vgpr13
	s_or_saveexec_b64 s[6:7], s[6:7]
	v_mov_b32_e32 v14, s10
	s_xor_b64 exec, exec, s[6:7]
	s_cbranch_execnz .LBB2_18072
; %bb.53909:
	s_getpc_b64 s[14:15]
.Lpost_getpc30538:
	s_add_u32 s14, s14, (.LBB2_3734-.Lpost_getpc30538)&4294967295
	s_addc_u32 s15, s15, (.LBB2_3734-.Lpost_getpc30538)>>32
	s_setpc_b64 s[14:15]
.LBB2_18072:
	v_cmp_ne_u16_e32 vcc, 0, v13
	s_andn2_b64 s[4:5], s[4:5], exec
	s_and_b64 s[8:9], vcc, exec
	v_mov_b32_e32 v14, 0
	s_or_b64 s[4:5], s[4:5], s[8:9]
	s_or_b64 exec, exec, s[6:7]
	s_and_saveexec_b64 s[6:7], s[4:5]
	s_cbranch_execz .LBB2_30539
; %bb.53911:
	s_getpc_b64 s[14:15]
.Lpost_getpc30539:
	s_add_u32 s14, s14, (.LBB2_3735-.Lpost_getpc30539)&4294967295
	s_addc_u32 s15, s15, (.LBB2_3735-.Lpost_getpc30539)>>32
	s_setpc_b64 s[14:15]
.LBB2_30539:
	s_getpc_b64 s[14:15]
.Lpost_getpc18853:
	s_add_u32 s14, s14, (.LBB2_3736-.Lpost_getpc18853)&4294967295
	s_addc_u32 s15, s15, (.LBB2_3736-.Lpost_getpc18853)>>32
	s_setpc_b64 s[14:15]
.LBB2_18073:
	s_movk_i32 s4, 0x80
	v_cmp_eq_u16_sdwa s[12:13], v6, s4 src0_sel:BYTE_3 src1_sel:DWORD
	s_mov_b64 s[4:5], -1
                                        ; implicit-def: $sgpr10
	s_and_saveexec_b64 s[8:9], s[12:13]
; %bb.18074:
	s_mov_b32 s10, 0x7f800001
	s_xor_b64 s[4:5], exec, -1
; %bb.18075:
	s_or_b64 exec, exec, s[8:9]
	s_and_b64 s[4:5], s[4:5], exec
	s_or_saveexec_b64 s[6:7], s[6:7]
	v_mov_b32_e32 v12, s10
	s_xor_b64 exec, exec, s[6:7]
	s_cbranch_execnz .LBB2_18076
; %bb.53913:
	s_getpc_b64 s[14:15]
.Lpost_getpc30540:
	s_add_u32 s14, s14, (.LBB2_3738-.Lpost_getpc30540)&4294967295
	s_addc_u32 s15, s15, (.LBB2_3738-.Lpost_getpc30540)>>32
	s_setpc_b64 s[14:15]
.LBB2_18076:
	v_mov_b32_e32 v12, 0
	v_cmp_ne_u16_sdwa s[8:9], v6, v12 src0_sel:BYTE_3 src1_sel:DWORD
	s_andn2_b64 s[4:5], s[4:5], exec
	s_and_b64 s[8:9], s[8:9], exec
	s_or_b64 s[4:5], s[4:5], s[8:9]
	s_or_b64 exec, exec, s[6:7]
	s_and_saveexec_b64 s[6:7], s[4:5]
	s_cbranch_execz .LBB2_30541
; %bb.53915:
	s_getpc_b64 s[14:15]
.Lpost_getpc30541:
	s_add_u32 s14, s14, (.LBB2_3739-.Lpost_getpc30541)&4294967295
	s_addc_u32 s15, s15, (.LBB2_3739-.Lpost_getpc30541)>>32
	s_setpc_b64 s[14:15]
.LBB2_30541:
	s_getpc_b64 s[14:15]
.Lpost_getpc18854:
	s_add_u32 s14, s14, (.LBB2_3740-.Lpost_getpc18854)&4294967295
	s_addc_u32 s15, s15, (.LBB2_3740-.Lpost_getpc18854)>>32
	s_setpc_b64 s[14:15]
.LBB2_18077:
	s_movk_i32 s4, 0x80
	v_cmp_eq_u16_sdwa s[12:13], v2, s4 src0_sel:BYTE_3 src1_sel:DWORD
	s_mov_b64 s[4:5], -1
                                        ; implicit-def: $sgpr10
	s_and_saveexec_b64 s[8:9], s[12:13]
; %bb.18078:
	s_mov_b32 s10, 0x7f800001
	s_xor_b64 s[4:5], exec, -1
; %bb.18079:
	s_or_b64 exec, exec, s[8:9]
	s_and_b64 s[4:5], s[4:5], exec
	s_or_saveexec_b64 s[6:7], s[6:7]
	v_mov_b32_e32 v6, s10
	s_xor_b64 exec, exec, s[6:7]
	s_cbranch_execnz .LBB2_18080
; %bb.53917:
	s_getpc_b64 s[14:15]
.Lpost_getpc30542:
	s_add_u32 s14, s14, (.LBB2_3742-.Lpost_getpc30542)&4294967295
	s_addc_u32 s15, s15, (.LBB2_3742-.Lpost_getpc30542)>>32
	s_setpc_b64 s[14:15]
.LBB2_18080:
	v_mov_b32_e32 v6, 0
	v_cmp_ne_u16_sdwa s[8:9], v2, v6 src0_sel:BYTE_3 src1_sel:DWORD
	s_andn2_b64 s[4:5], s[4:5], exec
	s_and_b64 s[8:9], s[8:9], exec
	s_or_b64 s[4:5], s[4:5], s[8:9]
	s_or_b64 exec, exec, s[6:7]
	s_and_saveexec_b64 s[6:7], s[4:5]
	s_cbranch_execz .LBB2_30543
; %bb.53919:
	s_getpc_b64 s[14:15]
.Lpost_getpc30543:
	s_add_u32 s14, s14, (.LBB2_3743-.Lpost_getpc30543)&4294967295
	s_addc_u32 s15, s15, (.LBB2_3743-.Lpost_getpc30543)>>32
	s_setpc_b64 s[14:15]
.LBB2_30543:
	s_getpc_b64 s[14:15]
.Lpost_getpc18855:
	s_add_u32 s14, s14, (.LBB2_3744-.Lpost_getpc18855)&4294967295
	s_addc_u32 s15, s15, (.LBB2_3744-.Lpost_getpc18855)>>32
	s_setpc_b64 s[14:15]
.LBB2_18081:
	s_movk_i32 s4, 0x80
	v_cmp_eq_u16_sdwa s[12:13], v7, s4 src0_sel:BYTE_0 src1_sel:DWORD
	s_mov_b64 s[4:5], -1
                                        ; implicit-def: $sgpr10
	s_and_saveexec_b64 s[8:9], s[12:13]
; %bb.18082:
	s_mov_b32 s10, 0x7f800001
	s_xor_b64 s[4:5], exec, -1
; %bb.18083:
	s_or_b64 exec, exec, s[8:9]
	s_and_b64 s[4:5], s[4:5], exec
	s_or_saveexec_b64 s[6:7], s[6:7]
	v_mov_b32_e32 v2, s10
	s_xor_b64 exec, exec, s[6:7]
	s_cbranch_execnz .LBB2_18084
; %bb.53921:
	s_getpc_b64 s[14:15]
.Lpost_getpc30544:
	s_add_u32 s14, s14, (.LBB2_3746-.Lpost_getpc30544)&4294967295
	s_addc_u32 s15, s15, (.LBB2_3746-.Lpost_getpc30544)>>32
	s_setpc_b64 s[14:15]
.LBB2_18084:
	v_mov_b32_e32 v2, 0
	v_cmp_ne_u16_sdwa s[8:9], v7, v2 src0_sel:BYTE_0 src1_sel:DWORD
	s_andn2_b64 s[4:5], s[4:5], exec
	s_and_b64 s[8:9], s[8:9], exec
	s_or_b64 s[4:5], s[4:5], s[8:9]
	s_or_b64 exec, exec, s[6:7]
	s_and_saveexec_b64 s[6:7], s[4:5]
	s_cbranch_execz .LBB2_30545
; %bb.53923:
	s_getpc_b64 s[14:15]
.Lpost_getpc30545:
	s_add_u32 s14, s14, (.LBB2_3747-.Lpost_getpc30545)&4294967295
	s_addc_u32 s15, s15, (.LBB2_3747-.Lpost_getpc30545)>>32
	s_setpc_b64 s[14:15]
.LBB2_30545:
	s_getpc_b64 s[14:15]
.Lpost_getpc18856:
	s_add_u32 s14, s14, (.LBB2_3748-.Lpost_getpc18856)&4294967295
	s_addc_u32 s15, s15, (.LBB2_3748-.Lpost_getpc18856)>>32
	s_setpc_b64 s[14:15]
.LBB2_18085:
	s_movk_i32 s4, 0x80
	v_cmp_eq_u16_sdwa s[12:13], v3, s4 src0_sel:BYTE_0 src1_sel:DWORD
	s_mov_b64 s[4:5], -1
                                        ; implicit-def: $sgpr10
	s_and_saveexec_b64 s[8:9], s[12:13]
; %bb.18086:
	s_mov_b32 s10, 0x7f800001
	s_xor_b64 s[4:5], exec, -1
; %bb.18087:
	s_or_b64 exec, exec, s[8:9]
	s_and_b64 s[4:5], s[4:5], exec
	s_or_saveexec_b64 s[6:7], s[6:7]
	v_mov_b32_e32 v6, s10
	s_xor_b64 exec, exec, s[6:7]
	s_cbranch_execnz .LBB2_18088
; %bb.53925:
	s_getpc_b64 s[14:15]
.Lpost_getpc30546:
	s_add_u32 s14, s14, (.LBB2_3750-.Lpost_getpc30546)&4294967295
	s_addc_u32 s15, s15, (.LBB2_3750-.Lpost_getpc30546)>>32
	s_setpc_b64 s[14:15]
.LBB2_18088:
	v_mov_b32_e32 v6, 0
	v_cmp_ne_u16_sdwa s[8:9], v3, v6 src0_sel:BYTE_0 src1_sel:DWORD
	s_andn2_b64 s[4:5], s[4:5], exec
	s_and_b64 s[8:9], s[8:9], exec
	s_or_b64 s[4:5], s[4:5], s[8:9]
	s_or_b64 exec, exec, s[6:7]
	s_and_saveexec_b64 s[6:7], s[4:5]
	s_cbranch_execz .LBB2_30547
; %bb.53927:
	s_getpc_b64 s[14:15]
.Lpost_getpc30547:
	s_add_u32 s14, s14, (.LBB2_3751-.Lpost_getpc30547)&4294967295
	s_addc_u32 s15, s15, (.LBB2_3751-.Lpost_getpc30547)>>32
	s_setpc_b64 s[14:15]
.LBB2_30547:
	s_getpc_b64 s[14:15]
.Lpost_getpc18857:
	s_add_u32 s14, s14, (.LBB2_3752-.Lpost_getpc18857)&4294967295
	s_addc_u32 s15, s15, (.LBB2_3752-.Lpost_getpc18857)>>32
	s_setpc_b64 s[14:15]
.LBB2_18089:
	s_movk_i32 s4, 0x80
	v_cmp_eq_u16_sdwa s[12:13], v6, s4 src0_sel:BYTE_0 src1_sel:DWORD
	s_mov_b64 s[4:5], -1
                                        ; implicit-def: $sgpr10
	s_and_saveexec_b64 s[8:9], s[12:13]
; %bb.18090:
	s_mov_b32 s10, 0x7f800001
	s_xor_b64 s[4:5], exec, -1
; %bb.18091:
	s_or_b64 exec, exec, s[8:9]
	s_and_b64 s[4:5], s[4:5], exec
	s_or_saveexec_b64 s[6:7], s[6:7]
	v_mov_b32_e32 v2, s10
	s_xor_b64 exec, exec, s[6:7]
	s_cbranch_execnz .LBB2_18092
; %bb.53929:
	s_getpc_b64 s[14:15]
.Lpost_getpc30548:
	s_add_u32 s14, s14, (.LBB2_3754-.Lpost_getpc30548)&4294967295
	s_addc_u32 s15, s15, (.LBB2_3754-.Lpost_getpc30548)>>32
	s_setpc_b64 s[14:15]
.LBB2_18092:
	v_mov_b32_e32 v2, 0
	v_cmp_ne_u16_sdwa s[8:9], v6, v2 src0_sel:BYTE_0 src1_sel:DWORD
	s_andn2_b64 s[4:5], s[4:5], exec
	s_and_b64 s[8:9], s[8:9], exec
	s_or_b64 s[4:5], s[4:5], s[8:9]
	s_or_b64 exec, exec, s[6:7]
	s_and_saveexec_b64 s[6:7], s[4:5]
	s_cbranch_execz .LBB2_30549
; %bb.53931:
	s_getpc_b64 s[14:15]
.Lpost_getpc30549:
	s_add_u32 s14, s14, (.LBB2_3755-.Lpost_getpc30549)&4294967295
	s_addc_u32 s15, s15, (.LBB2_3755-.Lpost_getpc30549)>>32
	s_setpc_b64 s[14:15]
.LBB2_30549:
	s_getpc_b64 s[14:15]
.Lpost_getpc18858:
	s_add_u32 s14, s14, (.LBB2_3756-.Lpost_getpc18858)&4294967295
	s_addc_u32 s15, s15, (.LBB2_3756-.Lpost_getpc18858)>>32
	s_setpc_b64 s[14:15]
.LBB2_18093:
	s_movk_i32 s4, 0x80
	v_cmp_eq_u16_sdwa s[12:13], v6, s4 src0_sel:BYTE_0 src1_sel:DWORD
	s_mov_b64 s[4:5], -1
                                        ; implicit-def: $sgpr10
	s_and_saveexec_b64 s[8:9], s[12:13]
; %bb.18094:
	s_mov_b32 s10, 0x7f800001
	s_xor_b64 s[4:5], exec, -1
; %bb.18095:
	s_or_b64 exec, exec, s[8:9]
	s_and_b64 s[4:5], s[4:5], exec
	s_or_saveexec_b64 s[6:7], s[6:7]
	v_mov_b32_e32 v12, s10
	s_xor_b64 exec, exec, s[6:7]
	s_cbranch_execnz .LBB2_18096
; %bb.53933:
	s_getpc_b64 s[14:15]
.Lpost_getpc30550:
	s_add_u32 s14, s14, (.LBB2_3758-.Lpost_getpc30550)&4294967295
	s_addc_u32 s15, s15, (.LBB2_3758-.Lpost_getpc30550)>>32
	s_setpc_b64 s[14:15]
.LBB2_18096:
	v_mov_b32_e32 v12, 0
	v_cmp_ne_u16_sdwa s[8:9], v6, v12 src0_sel:BYTE_0 src1_sel:DWORD
	s_andn2_b64 s[4:5], s[4:5], exec
	s_and_b64 s[8:9], s[8:9], exec
	s_or_b64 s[4:5], s[4:5], s[8:9]
	s_or_b64 exec, exec, s[6:7]
	s_and_saveexec_b64 s[6:7], s[4:5]
	s_cbranch_execz .LBB2_30551
; %bb.53935:
	s_getpc_b64 s[14:15]
.Lpost_getpc30551:
	s_add_u32 s14, s14, (.LBB2_3759-.Lpost_getpc30551)&4294967295
	s_addc_u32 s15, s15, (.LBB2_3759-.Lpost_getpc30551)>>32
	s_setpc_b64 s[14:15]
.LBB2_30551:
	s_getpc_b64 s[14:15]
.Lpost_getpc18859:
	s_add_u32 s14, s14, (.LBB2_3760-.Lpost_getpc18859)&4294967295
	s_addc_u32 s15, s15, (.LBB2_3760-.Lpost_getpc18859)>>32
	s_setpc_b64 s[14:15]
.LBB2_18097:
	s_movk_i32 s4, 0x80
	v_cmp_eq_u16_e32 vcc, s4, v6
	s_mov_b64 s[4:5], -1
                                        ; implicit-def: $sgpr10
	s_and_saveexec_b64 s[8:9], vcc
; %bb.18098:
	s_mov_b32 s10, 0x7f800001
	s_xor_b64 s[4:5], exec, -1
; %bb.18099:
	s_or_b64 exec, exec, s[8:9]
	s_and_b64 s[4:5], s[4:5], exec
                                        ; implicit-def: $vgpr6
	s_or_saveexec_b64 s[6:7], s[6:7]
	v_mov_b32_e32 v2, s10
	s_xor_b64 exec, exec, s[6:7]
	s_cbranch_execnz .LBB2_18100
; %bb.53937:
	s_getpc_b64 s[14:15]
.Lpost_getpc30552:
	s_add_u32 s14, s14, (.LBB2_3762-.Lpost_getpc30552)&4294967295
	s_addc_u32 s15, s15, (.LBB2_3762-.Lpost_getpc30552)>>32
	s_setpc_b64 s[14:15]
.LBB2_18100:
	v_cmp_ne_u16_e32 vcc, 0, v6
	s_andn2_b64 s[4:5], s[4:5], exec
	s_and_b64 s[8:9], vcc, exec
	v_mov_b32_e32 v2, 0
	s_or_b64 s[4:5], s[4:5], s[8:9]
	s_or_b64 exec, exec, s[6:7]
	s_and_saveexec_b64 s[6:7], s[4:5]
	s_cbranch_execz .LBB2_30553
; %bb.53939:
	s_getpc_b64 s[14:15]
.Lpost_getpc30553:
	s_add_u32 s14, s14, (.LBB2_3763-.Lpost_getpc30553)&4294967295
	s_addc_u32 s15, s15, (.LBB2_3763-.Lpost_getpc30553)>>32
	s_setpc_b64 s[14:15]
.LBB2_30553:
	s_getpc_b64 s[14:15]
.Lpost_getpc18860:
	s_add_u32 s14, s14, (.LBB2_3764-.Lpost_getpc18860)&4294967295
	s_addc_u32 s15, s15, (.LBB2_3764-.Lpost_getpc18860)>>32
	s_setpc_b64 s[14:15]
.LBB2_18101:
	s_movk_i32 s4, 0x80
	v_cmp_eq_u16_e32 vcc, s4, v6
	s_mov_b64 s[4:5], -1
                                        ; implicit-def: $sgpr10
	s_and_saveexec_b64 s[8:9], vcc
; %bb.18102:
	s_mov_b32 s10, 0x7f800001
	s_xor_b64 s[4:5], exec, -1
; %bb.18103:
	s_or_b64 exec, exec, s[8:9]
	s_and_b64 s[4:5], s[4:5], exec
                                        ; implicit-def: $vgpr6
	s_or_saveexec_b64 s[6:7], s[6:7]
	v_mov_b32_e32 v12, s10
	s_xor_b64 exec, exec, s[6:7]
	s_cbranch_execnz .LBB2_18104
; %bb.53941:
	s_getpc_b64 s[14:15]
.Lpost_getpc30554:
	s_add_u32 s14, s14, (.LBB2_3766-.Lpost_getpc30554)&4294967295
	s_addc_u32 s15, s15, (.LBB2_3766-.Lpost_getpc30554)>>32
	s_setpc_b64 s[14:15]
.LBB2_18104:
	v_cmp_ne_u16_e32 vcc, 0, v6
	s_andn2_b64 s[4:5], s[4:5], exec
	s_and_b64 s[8:9], vcc, exec
	v_mov_b32_e32 v12, 0
	s_or_b64 s[4:5], s[4:5], s[8:9]
	s_or_b64 exec, exec, s[6:7]
	s_and_saveexec_b64 s[6:7], s[4:5]
	s_cbranch_execz .LBB2_30555
; %bb.53943:
	s_getpc_b64 s[14:15]
.Lpost_getpc30555:
	s_add_u32 s14, s14, (.LBB2_3767-.Lpost_getpc30555)&4294967295
	s_addc_u32 s15, s15, (.LBB2_3767-.Lpost_getpc30555)>>32
	s_setpc_b64 s[14:15]
.LBB2_30555:
	s_getpc_b64 s[14:15]
.Lpost_getpc18861:
	s_add_u32 s14, s14, (.LBB2_3768-.Lpost_getpc18861)&4294967295
	s_addc_u32 s15, s15, (.LBB2_3768-.Lpost_getpc18861)>>32
	s_setpc_b64 s[14:15]
.LBB2_18105:
	s_movk_i32 s4, 0x80
	v_cmp_eq_u16_sdwa s[12:13], v7, s4 src0_sel:BYTE_3 src1_sel:DWORD
	s_mov_b64 s[4:5], -1
                                        ; implicit-def: $sgpr10
	s_and_saveexec_b64 s[8:9], s[12:13]
; %bb.18106:
	s_mov_b32 s10, 0x7f800001
	s_xor_b64 s[4:5], exec, -1
; %bb.18107:
	s_or_b64 exec, exec, s[8:9]
	s_and_b64 s[4:5], s[4:5], exec
	s_or_saveexec_b64 s[6:7], s[6:7]
	v_mov_b32_e32 v2, s10
	s_xor_b64 exec, exec, s[6:7]
	s_cbranch_execnz .LBB2_18108
; %bb.53945:
	s_getpc_b64 s[14:15]
.Lpost_getpc30556:
	s_add_u32 s14, s14, (.LBB2_3770-.Lpost_getpc30556)&4294967295
	s_addc_u32 s15, s15, (.LBB2_3770-.Lpost_getpc30556)>>32
	s_setpc_b64 s[14:15]
.LBB2_18108:
	v_mov_b32_e32 v2, 0
	v_cmp_ne_u16_sdwa s[8:9], v7, v2 src0_sel:BYTE_3 src1_sel:DWORD
	s_andn2_b64 s[4:5], s[4:5], exec
	s_and_b64 s[8:9], s[8:9], exec
	s_or_b64 s[4:5], s[4:5], s[8:9]
	s_or_b64 exec, exec, s[6:7]
	s_and_saveexec_b64 s[6:7], s[4:5]
	s_cbranch_execz .LBB2_30557
; %bb.53947:
	s_getpc_b64 s[14:15]
.Lpost_getpc30557:
	s_add_u32 s14, s14, (.LBB2_3771-.Lpost_getpc30557)&4294967295
	s_addc_u32 s15, s15, (.LBB2_3771-.Lpost_getpc30557)>>32
	s_setpc_b64 s[14:15]
.LBB2_30557:
	s_getpc_b64 s[14:15]
.Lpost_getpc18862:
	s_add_u32 s14, s14, (.LBB2_3772-.Lpost_getpc18862)&4294967295
	s_addc_u32 s15, s15, (.LBB2_3772-.Lpost_getpc18862)>>32
	s_setpc_b64 s[14:15]
.LBB2_18109:
	s_movk_i32 s4, 0x80
	v_cmp_eq_u16_sdwa s[12:13], v3, s4 src0_sel:BYTE_3 src1_sel:DWORD
	s_mov_b64 s[4:5], -1
                                        ; implicit-def: $sgpr10
	s_and_saveexec_b64 s[8:9], s[12:13]
; %bb.18110:
	s_mov_b32 s10, 0x7f800001
	s_xor_b64 s[4:5], exec, -1
; %bb.18111:
	s_or_b64 exec, exec, s[8:9]
	s_and_b64 s[4:5], s[4:5], exec
	s_or_saveexec_b64 s[6:7], s[6:7]
	v_mov_b32_e32 v6, s10
	s_xor_b64 exec, exec, s[6:7]
	s_cbranch_execnz .LBB2_18112
; %bb.53949:
	s_getpc_b64 s[14:15]
.Lpost_getpc30558:
	s_add_u32 s14, s14, (.LBB2_3774-.Lpost_getpc30558)&4294967295
	s_addc_u32 s15, s15, (.LBB2_3774-.Lpost_getpc30558)>>32
	s_setpc_b64 s[14:15]
.LBB2_18112:
	v_mov_b32_e32 v6, 0
	v_cmp_ne_u16_sdwa s[8:9], v3, v6 src0_sel:BYTE_3 src1_sel:DWORD
	s_andn2_b64 s[4:5], s[4:5], exec
	s_and_b64 s[8:9], s[8:9], exec
	s_or_b64 s[4:5], s[4:5], s[8:9]
	s_or_b64 exec, exec, s[6:7]
	s_and_saveexec_b64 s[6:7], s[4:5]
	s_cbranch_execz .LBB2_30559
; %bb.53951:
	s_getpc_b64 s[14:15]
.Lpost_getpc30559:
	s_add_u32 s14, s14, (.LBB2_3775-.Lpost_getpc30559)&4294967295
	s_addc_u32 s15, s15, (.LBB2_3775-.Lpost_getpc30559)>>32
	s_setpc_b64 s[14:15]
.LBB2_30559:
	s_getpc_b64 s[14:15]
.Lpost_getpc18863:
	s_add_u32 s14, s14, (.LBB2_3776-.Lpost_getpc18863)&4294967295
	s_addc_u32 s15, s15, (.LBB2_3776-.Lpost_getpc18863)>>32
	s_setpc_b64 s[14:15]
.LBB2_18113:
	s_movk_i32 s4, 0x80
	v_cmp_eq_u16_sdwa s[12:13], v8, s4 src0_sel:BYTE_0 src1_sel:DWORD
	s_mov_b64 s[4:5], -1
                                        ; implicit-def: $sgpr10
	s_and_saveexec_b64 s[8:9], s[12:13]
; %bb.18114:
	s_mov_b32 s10, 0x7f800001
	s_xor_b64 s[4:5], exec, -1
; %bb.18115:
	s_or_b64 exec, exec, s[8:9]
	s_and_b64 s[4:5], s[4:5], exec
	s_or_saveexec_b64 s[6:7], s[6:7]
	v_mov_b32_e32 v2, s10
	s_xor_b64 exec, exec, s[6:7]
	s_cbranch_execnz .LBB2_18116
; %bb.53953:
	s_getpc_b64 s[14:15]
.Lpost_getpc30560:
	s_add_u32 s14, s14, (.LBB2_3778-.Lpost_getpc30560)&4294967295
	s_addc_u32 s15, s15, (.LBB2_3778-.Lpost_getpc30560)>>32
	s_setpc_b64 s[14:15]
.LBB2_18116:
	v_mov_b32_e32 v2, 0
	v_cmp_ne_u16_sdwa s[8:9], v8, v2 src0_sel:BYTE_0 src1_sel:DWORD
	s_andn2_b64 s[4:5], s[4:5], exec
	s_and_b64 s[8:9], s[8:9], exec
	s_or_b64 s[4:5], s[4:5], s[8:9]
	s_or_b64 exec, exec, s[6:7]
	s_and_saveexec_b64 s[6:7], s[4:5]
	s_cbranch_execz .LBB2_30561
; %bb.53955:
	s_getpc_b64 s[14:15]
.Lpost_getpc30561:
	s_add_u32 s14, s14, (.LBB2_3779-.Lpost_getpc30561)&4294967295
	s_addc_u32 s15, s15, (.LBB2_3779-.Lpost_getpc30561)>>32
	s_setpc_b64 s[14:15]
.LBB2_30561:
	s_getpc_b64 s[14:15]
.Lpost_getpc18864:
	s_add_u32 s14, s14, (.LBB2_3780-.Lpost_getpc18864)&4294967295
	s_addc_u32 s15, s15, (.LBB2_3780-.Lpost_getpc18864)>>32
	s_setpc_b64 s[14:15]
.LBB2_18117:
	s_movk_i32 s4, 0x80
	v_cmp_eq_u16_sdwa s[12:13], v4, s4 src0_sel:BYTE_0 src1_sel:DWORD
	s_mov_b64 s[4:5], -1
                                        ; implicit-def: $sgpr10
	s_and_saveexec_b64 s[8:9], s[12:13]
; %bb.18118:
	s_mov_b32 s10, 0x7f800001
	s_xor_b64 s[4:5], exec, -1
; %bb.18119:
	s_or_b64 exec, exec, s[8:9]
	s_and_b64 s[4:5], s[4:5], exec
	s_or_saveexec_b64 s[6:7], s[6:7]
	v_mov_b32_e32 v3, s10
	s_xor_b64 exec, exec, s[6:7]
	s_cbranch_execnz .LBB2_18120
; %bb.53957:
	s_getpc_b64 s[14:15]
.Lpost_getpc30562:
	s_add_u32 s14, s14, (.LBB2_3782-.Lpost_getpc30562)&4294967295
	s_addc_u32 s15, s15, (.LBB2_3782-.Lpost_getpc30562)>>32
	s_setpc_b64 s[14:15]
.LBB2_18120:
	v_mov_b32_e32 v3, 0
	v_cmp_ne_u16_sdwa s[8:9], v4, v3 src0_sel:BYTE_0 src1_sel:DWORD
	s_andn2_b64 s[4:5], s[4:5], exec
	s_and_b64 s[8:9], s[8:9], exec
	s_or_b64 s[4:5], s[4:5], s[8:9]
	s_or_b64 exec, exec, s[6:7]
	s_and_saveexec_b64 s[6:7], s[4:5]
	s_cbranch_execz .LBB2_30563
; %bb.53959:
	s_getpc_b64 s[14:15]
.Lpost_getpc30563:
	s_add_u32 s14, s14, (.LBB2_3783-.Lpost_getpc30563)&4294967295
	s_addc_u32 s15, s15, (.LBB2_3783-.Lpost_getpc30563)>>32
	s_setpc_b64 s[14:15]
.LBB2_30563:
	s_getpc_b64 s[14:15]
.Lpost_getpc18865:
	s_add_u32 s14, s14, (.LBB2_3784-.Lpost_getpc18865)&4294967295
	s_addc_u32 s15, s15, (.LBB2_3784-.Lpost_getpc18865)>>32
	s_setpc_b64 s[14:15]
.LBB2_18121:
	s_movk_i32 s4, 0x80
	v_cmp_eq_u16_sdwa s[12:13], v3, s4 src0_sel:BYTE_0 src1_sel:DWORD
	s_mov_b64 s[4:5], -1
                                        ; implicit-def: $sgpr10
	s_and_saveexec_b64 s[8:9], s[12:13]
; %bb.18122:
	s_mov_b32 s10, 0x7f800001
	s_xor_b64 s[4:5], exec, -1
; %bb.18123:
	s_or_b64 exec, exec, s[8:9]
	s_and_b64 s[4:5], s[4:5], exec
	s_or_saveexec_b64 s[6:7], s[6:7]
	v_mov_b32_e32 v2, s10
	s_xor_b64 exec, exec, s[6:7]
	s_cbranch_execnz .LBB2_18124
; %bb.53961:
	s_getpc_b64 s[14:15]
.Lpost_getpc30564:
	s_add_u32 s14, s14, (.LBB2_3786-.Lpost_getpc30564)&4294967295
	s_addc_u32 s15, s15, (.LBB2_3786-.Lpost_getpc30564)>>32
	s_setpc_b64 s[14:15]
.LBB2_18124:
	v_mov_b32_e32 v2, 0
	v_cmp_ne_u16_sdwa s[8:9], v3, v2 src0_sel:BYTE_0 src1_sel:DWORD
	s_andn2_b64 s[4:5], s[4:5], exec
	s_and_b64 s[8:9], s[8:9], exec
	s_or_b64 s[4:5], s[4:5], s[8:9]
	s_or_b64 exec, exec, s[6:7]
	s_and_saveexec_b64 s[6:7], s[4:5]
	s_cbranch_execz .LBB2_30565
; %bb.53963:
	s_getpc_b64 s[14:15]
.Lpost_getpc30565:
	s_add_u32 s14, s14, (.LBB2_3787-.Lpost_getpc30565)&4294967295
	s_addc_u32 s15, s15, (.LBB2_3787-.Lpost_getpc30565)>>32
	s_setpc_b64 s[14:15]
.LBB2_30565:
	s_getpc_b64 s[14:15]
.Lpost_getpc18866:
	s_add_u32 s14, s14, (.LBB2_3788-.Lpost_getpc18866)&4294967295
	s_addc_u32 s15, s15, (.LBB2_3788-.Lpost_getpc18866)>>32
	s_setpc_b64 s[14:15]
.LBB2_18125:
	s_movk_i32 s4, 0x80
	v_cmp_eq_u16_sdwa s[12:13], v3, s4 src0_sel:BYTE_0 src1_sel:DWORD
	s_mov_b64 s[4:5], -1
                                        ; implicit-def: $sgpr10
	s_and_saveexec_b64 s[8:9], s[12:13]
; %bb.18126:
	s_mov_b32 s10, 0x7f800001
	s_xor_b64 s[4:5], exec, -1
; %bb.18127:
	s_or_b64 exec, exec, s[8:9]
	s_and_b64 s[4:5], s[4:5], exec
	s_or_saveexec_b64 s[6:7], s[6:7]
	v_mov_b32_e32 v6, s10
	s_xor_b64 exec, exec, s[6:7]
	s_cbranch_execnz .LBB2_18128
; %bb.53965:
	s_getpc_b64 s[14:15]
.Lpost_getpc30566:
	s_add_u32 s14, s14, (.LBB2_3790-.Lpost_getpc30566)&4294967295
	s_addc_u32 s15, s15, (.LBB2_3790-.Lpost_getpc30566)>>32
	s_setpc_b64 s[14:15]
.LBB2_18128:
	v_mov_b32_e32 v6, 0
	v_cmp_ne_u16_sdwa s[8:9], v3, v6 src0_sel:BYTE_0 src1_sel:DWORD
	s_andn2_b64 s[4:5], s[4:5], exec
	s_and_b64 s[8:9], s[8:9], exec
	s_or_b64 s[4:5], s[4:5], s[8:9]
	s_or_b64 exec, exec, s[6:7]
	s_and_saveexec_b64 s[6:7], s[4:5]
	s_cbranch_execz .LBB2_30567
; %bb.53967:
	s_getpc_b64 s[14:15]
.Lpost_getpc30567:
	s_add_u32 s14, s14, (.LBB2_3791-.Lpost_getpc30567)&4294967295
	s_addc_u32 s15, s15, (.LBB2_3791-.Lpost_getpc30567)>>32
	s_setpc_b64 s[14:15]
.LBB2_30567:
	s_getpc_b64 s[14:15]
.Lpost_getpc18867:
	s_add_u32 s14, s14, (.LBB2_3792-.Lpost_getpc18867)&4294967295
	s_addc_u32 s15, s15, (.LBB2_3792-.Lpost_getpc18867)>>32
	s_setpc_b64 s[14:15]
.LBB2_18129:
	s_movk_i32 s4, 0x80
	v_cmp_eq_u16_e32 vcc, s4, v3
	s_mov_b64 s[4:5], -1
                                        ; implicit-def: $sgpr10
	s_and_saveexec_b64 s[8:9], vcc
; %bb.18130:
	s_mov_b32 s10, 0x7f800001
	s_xor_b64 s[4:5], exec, -1
; %bb.18131:
	s_or_b64 exec, exec, s[8:9]
	s_and_b64 s[4:5], s[4:5], exec
                                        ; implicit-def: $vgpr3
	s_or_saveexec_b64 s[6:7], s[6:7]
	v_mov_b32_e32 v2, s10
	s_xor_b64 exec, exec, s[6:7]
	s_cbranch_execnz .LBB2_18132
; %bb.53969:
	s_getpc_b64 s[14:15]
.Lpost_getpc30568:
	s_add_u32 s14, s14, (.LBB2_3794-.Lpost_getpc30568)&4294967295
	s_addc_u32 s15, s15, (.LBB2_3794-.Lpost_getpc30568)>>32
	s_setpc_b64 s[14:15]
.LBB2_18132:
	v_cmp_ne_u16_e32 vcc, 0, v3
	s_andn2_b64 s[4:5], s[4:5], exec
	s_and_b64 s[8:9], vcc, exec
	v_mov_b32_e32 v2, 0
	s_or_b64 s[4:5], s[4:5], s[8:9]
	s_or_b64 exec, exec, s[6:7]
	s_and_saveexec_b64 s[6:7], s[4:5]
	s_cbranch_execz .LBB2_30569
; %bb.53971:
	s_getpc_b64 s[14:15]
.Lpost_getpc30569:
	s_add_u32 s14, s14, (.LBB2_3795-.Lpost_getpc30569)&4294967295
	s_addc_u32 s15, s15, (.LBB2_3795-.Lpost_getpc30569)>>32
	s_setpc_b64 s[14:15]
.LBB2_30569:
	s_getpc_b64 s[14:15]
.Lpost_getpc18868:
	s_add_u32 s14, s14, (.LBB2_3796-.Lpost_getpc18868)&4294967295
	s_addc_u32 s15, s15, (.LBB2_3796-.Lpost_getpc18868)>>32
	s_setpc_b64 s[14:15]
.LBB2_18133:
	s_movk_i32 s4, 0x80
	v_cmp_eq_u16_e32 vcc, s4, v3
	s_mov_b64 s[4:5], -1
                                        ; implicit-def: $sgpr10
	s_and_saveexec_b64 s[8:9], vcc
; %bb.18134:
	s_mov_b32 s10, 0x7f800001
	s_xor_b64 s[4:5], exec, -1
; %bb.18135:
	s_or_b64 exec, exec, s[8:9]
	s_and_b64 s[4:5], s[4:5], exec
                                        ; implicit-def: $vgpr3
	s_or_saveexec_b64 s[6:7], s[6:7]
	v_mov_b32_e32 v6, s10
	s_xor_b64 exec, exec, s[6:7]
	s_cbranch_execnz .LBB2_18136
; %bb.53973:
	s_getpc_b64 s[14:15]
.Lpost_getpc30570:
	s_add_u32 s14, s14, (.LBB2_3798-.Lpost_getpc30570)&4294967295
	s_addc_u32 s15, s15, (.LBB2_3798-.Lpost_getpc30570)>>32
	s_setpc_b64 s[14:15]
.LBB2_18136:
	v_cmp_ne_u16_e32 vcc, 0, v3
	s_andn2_b64 s[4:5], s[4:5], exec
	s_and_b64 s[8:9], vcc, exec
	v_mov_b32_e32 v6, 0
	s_or_b64 s[4:5], s[4:5], s[8:9]
	s_or_b64 exec, exec, s[6:7]
	s_and_saveexec_b64 s[6:7], s[4:5]
	s_cbranch_execz .LBB2_30571
; %bb.53975:
	s_getpc_b64 s[14:15]
.Lpost_getpc30571:
	s_add_u32 s14, s14, (.LBB2_3799-.Lpost_getpc30571)&4294967295
	s_addc_u32 s15, s15, (.LBB2_3799-.Lpost_getpc30571)>>32
	s_setpc_b64 s[14:15]
.LBB2_30571:
	s_getpc_b64 s[14:15]
.Lpost_getpc18869:
	s_add_u32 s14, s14, (.LBB2_3800-.Lpost_getpc18869)&4294967295
	s_addc_u32 s15, s15, (.LBB2_3800-.Lpost_getpc18869)>>32
	s_setpc_b64 s[14:15]
.LBB2_18137:
	s_movk_i32 s4, 0x80
	v_cmp_eq_u16_sdwa s[12:13], v8, s4 src0_sel:BYTE_3 src1_sel:DWORD
	s_mov_b64 s[4:5], -1
                                        ; implicit-def: $sgpr10
	s_and_saveexec_b64 s[8:9], s[12:13]
; %bb.18138:
	s_mov_b32 s10, 0x7f800001
	s_xor_b64 s[4:5], exec, -1
; %bb.18139:
	s_or_b64 exec, exec, s[8:9]
	s_and_b64 s[4:5], s[4:5], exec
	s_or_saveexec_b64 s[6:7], s[6:7]
	v_mov_b32_e32 v2, s10
	s_xor_b64 exec, exec, s[6:7]
	s_cbranch_execnz .LBB2_18140
; %bb.53977:
	s_getpc_b64 s[14:15]
.Lpost_getpc30572:
	s_add_u32 s14, s14, (.LBB2_3802-.Lpost_getpc30572)&4294967295
	s_addc_u32 s15, s15, (.LBB2_3802-.Lpost_getpc30572)>>32
	s_setpc_b64 s[14:15]
.LBB2_18140:
	v_mov_b32_e32 v2, 0
	v_cmp_ne_u16_sdwa s[8:9], v8, v2 src0_sel:BYTE_3 src1_sel:DWORD
	s_andn2_b64 s[4:5], s[4:5], exec
	s_and_b64 s[8:9], s[8:9], exec
	s_or_b64 s[4:5], s[4:5], s[8:9]
	s_or_b64 exec, exec, s[6:7]
	s_and_saveexec_b64 s[6:7], s[4:5]
	s_cbranch_execz .LBB2_30573
; %bb.53979:
	s_getpc_b64 s[14:15]
.Lpost_getpc30573:
	s_add_u32 s14, s14, (.LBB2_3803-.Lpost_getpc30573)&4294967295
	s_addc_u32 s15, s15, (.LBB2_3803-.Lpost_getpc30573)>>32
	s_setpc_b64 s[14:15]
.LBB2_30573:
	s_getpc_b64 s[14:15]
.Lpost_getpc18870:
	s_add_u32 s14, s14, (.LBB2_3804-.Lpost_getpc18870)&4294967295
	s_addc_u32 s15, s15, (.LBB2_3804-.Lpost_getpc18870)>>32
	s_setpc_b64 s[14:15]
.LBB2_18141:
	s_movk_i32 s4, 0x80
	v_cmp_eq_u16_sdwa s[12:13], v4, s4 src0_sel:BYTE_3 src1_sel:DWORD
	s_mov_b64 s[4:5], -1
                                        ; implicit-def: $sgpr10
	s_and_saveexec_b64 s[8:9], s[12:13]
; %bb.18142:
	s_mov_b32 s10, 0x7f800001
	s_xor_b64 s[4:5], exec, -1
; %bb.18143:
	s_or_b64 exec, exec, s[8:9]
	s_and_b64 s[4:5], s[4:5], exec
	s_or_saveexec_b64 s[6:7], s[6:7]
	v_mov_b32_e32 v3, s10
	s_xor_b64 exec, exec, s[6:7]
	s_cbranch_execnz .LBB2_18144
; %bb.53981:
	s_getpc_b64 s[14:15]
.Lpost_getpc30574:
	s_add_u32 s14, s14, (.LBB2_3806-.Lpost_getpc30574)&4294967295
	s_addc_u32 s15, s15, (.LBB2_3806-.Lpost_getpc30574)>>32
	s_setpc_b64 s[14:15]
.LBB2_18144:
	v_mov_b32_e32 v3, 0
	v_cmp_ne_u16_sdwa s[8:9], v4, v3 src0_sel:BYTE_3 src1_sel:DWORD
	s_andn2_b64 s[4:5], s[4:5], exec
	s_and_b64 s[8:9], s[8:9], exec
	s_or_b64 s[4:5], s[4:5], s[8:9]
	s_or_b64 exec, exec, s[6:7]
	s_and_saveexec_b64 s[6:7], s[4:5]
	s_cbranch_execz .LBB2_30575
; %bb.53983:
	s_getpc_b64 s[14:15]
.Lpost_getpc30575:
	s_add_u32 s14, s14, (.LBB2_3807-.Lpost_getpc30575)&4294967295
	s_addc_u32 s15, s15, (.LBB2_3807-.Lpost_getpc30575)>>32
	s_setpc_b64 s[14:15]
.LBB2_30575:
	s_getpc_b64 s[14:15]
.Lpost_getpc18871:
	s_add_u32 s14, s14, (.LBB2_3808-.Lpost_getpc18871)&4294967295
	s_addc_u32 s15, s15, (.LBB2_3808-.Lpost_getpc18871)>>32
	s_setpc_b64 s[14:15]
.LBB2_18145:
	s_movk_i32 s4, 0x80
	v_cmp_eq_u16_sdwa s[12:13], v9, s4 src0_sel:BYTE_0 src1_sel:DWORD
	s_mov_b64 s[4:5], -1
                                        ; implicit-def: $sgpr10
	s_and_saveexec_b64 s[8:9], s[12:13]
; %bb.18146:
	s_mov_b32 s10, 0x7f800001
	s_xor_b64 s[4:5], exec, -1
; %bb.18147:
	s_or_b64 exec, exec, s[8:9]
	s_and_b64 s[4:5], s[4:5], exec
	s_or_saveexec_b64 s[6:7], s[6:7]
	v_mov_b32_e32 v2, s10
	s_xor_b64 exec, exec, s[6:7]
	s_cbranch_execnz .LBB2_18148
; %bb.53985:
	s_getpc_b64 s[14:15]
.Lpost_getpc30576:
	s_add_u32 s14, s14, (.LBB2_3810-.Lpost_getpc30576)&4294967295
	s_addc_u32 s15, s15, (.LBB2_3810-.Lpost_getpc30576)>>32
	s_setpc_b64 s[14:15]
.LBB2_18148:
	v_mov_b32_e32 v2, 0
	v_cmp_ne_u16_sdwa s[8:9], v9, v2 src0_sel:BYTE_0 src1_sel:DWORD
	s_andn2_b64 s[4:5], s[4:5], exec
	s_and_b64 s[8:9], s[8:9], exec
	s_or_b64 s[4:5], s[4:5], s[8:9]
	s_or_b64 exec, exec, s[6:7]
	s_and_saveexec_b64 s[6:7], s[4:5]
	s_cbranch_execz .LBB2_30577
; %bb.53987:
	s_getpc_b64 s[14:15]
.Lpost_getpc30577:
	s_add_u32 s14, s14, (.LBB2_3811-.Lpost_getpc30577)&4294967295
	s_addc_u32 s15, s15, (.LBB2_3811-.Lpost_getpc30577)>>32
	s_setpc_b64 s[14:15]
.LBB2_30577:
	s_getpc_b64 s[14:15]
.Lpost_getpc18872:
	s_add_u32 s14, s14, (.LBB2_3812-.Lpost_getpc18872)&4294967295
	s_addc_u32 s15, s15, (.LBB2_3812-.Lpost_getpc18872)>>32
	s_setpc_b64 s[14:15]
.LBB2_18149:
	s_movk_i32 s4, 0x80
	v_cmp_eq_u16_sdwa s[12:13], v5, s4 src0_sel:BYTE_0 src1_sel:DWORD
	s_mov_b64 s[4:5], -1
                                        ; implicit-def: $sgpr10
	s_and_saveexec_b64 s[8:9], s[12:13]
; %bb.18150:
	s_mov_b32 s10, 0x7f800001
	s_xor_b64 s[4:5], exec, -1
; %bb.18151:
	s_or_b64 exec, exec, s[8:9]
	s_and_b64 s[4:5], s[4:5], exec
	s_or_saveexec_b64 s[6:7], s[6:7]
	v_mov_b32_e32 v3, s10
	s_xor_b64 exec, exec, s[6:7]
	s_cbranch_execnz .LBB2_18152
; %bb.53989:
	s_getpc_b64 s[14:15]
.Lpost_getpc30578:
	s_add_u32 s14, s14, (.LBB2_3814-.Lpost_getpc30578)&4294967295
	s_addc_u32 s15, s15, (.LBB2_3814-.Lpost_getpc30578)>>32
	s_setpc_b64 s[14:15]
.LBB2_18152:
	v_mov_b32_e32 v3, 0
	v_cmp_ne_u16_sdwa s[8:9], v5, v3 src0_sel:BYTE_0 src1_sel:DWORD
	s_andn2_b64 s[4:5], s[4:5], exec
	s_and_b64 s[8:9], s[8:9], exec
	s_or_b64 s[4:5], s[4:5], s[8:9]
	s_or_b64 exec, exec, s[6:7]
	s_and_saveexec_b64 s[6:7], s[4:5]
	s_cbranch_execz .LBB2_30579
; %bb.53991:
	s_getpc_b64 s[14:15]
.Lpost_getpc30579:
	s_add_u32 s14, s14, (.LBB2_3815-.Lpost_getpc30579)&4294967295
	s_addc_u32 s15, s15, (.LBB2_3815-.Lpost_getpc30579)>>32
	s_setpc_b64 s[14:15]
.LBB2_30579:
	s_getpc_b64 s[14:15]
.Lpost_getpc18873:
	s_add_u32 s14, s14, (.LBB2_3816-.Lpost_getpc18873)&4294967295
	s_addc_u32 s15, s15, (.LBB2_3816-.Lpost_getpc18873)>>32
	s_setpc_b64 s[14:15]
.LBB2_18153:
	s_movk_i32 s4, 0x80
	v_cmp_eq_u16_sdwa s[12:13], v3, s4 src0_sel:BYTE_0 src1_sel:DWORD
	s_mov_b64 s[4:5], -1
                                        ; implicit-def: $sgpr10
	s_and_saveexec_b64 s[8:9], s[12:13]
; %bb.18154:
	s_mov_b32 s10, 0x7f800001
	s_xor_b64 s[4:5], exec, -1
; %bb.18155:
	s_or_b64 exec, exec, s[8:9]
	s_and_b64 s[4:5], s[4:5], exec
	s_or_saveexec_b64 s[6:7], s[6:7]
	v_mov_b32_e32 v2, s10
	s_xor_b64 exec, exec, s[6:7]
	s_cbranch_execnz .LBB2_18156
; %bb.53993:
	s_getpc_b64 s[14:15]
.Lpost_getpc30580:
	s_add_u32 s14, s14, (.LBB2_3818-.Lpost_getpc30580)&4294967295
	s_addc_u32 s15, s15, (.LBB2_3818-.Lpost_getpc30580)>>32
	s_setpc_b64 s[14:15]
.LBB2_18156:
	v_mov_b32_e32 v2, 0
	v_cmp_ne_u16_sdwa s[8:9], v3, v2 src0_sel:BYTE_0 src1_sel:DWORD
	s_andn2_b64 s[4:5], s[4:5], exec
	s_and_b64 s[8:9], s[8:9], exec
	s_or_b64 s[4:5], s[4:5], s[8:9]
	s_or_b64 exec, exec, s[6:7]
	s_and_saveexec_b64 s[6:7], s[4:5]
	s_cbranch_execz .LBB2_30581
; %bb.53995:
	s_getpc_b64 s[14:15]
.Lpost_getpc30581:
	s_add_u32 s14, s14, (.LBB2_3819-.Lpost_getpc30581)&4294967295
	s_addc_u32 s15, s15, (.LBB2_3819-.Lpost_getpc30581)>>32
	s_setpc_b64 s[14:15]
.LBB2_30581:
	s_getpc_b64 s[14:15]
.Lpost_getpc18874:
	s_add_u32 s14, s14, (.LBB2_3820-.Lpost_getpc18874)&4294967295
	s_addc_u32 s15, s15, (.LBB2_3820-.Lpost_getpc18874)>>32
	s_setpc_b64 s[14:15]
.LBB2_18157:
	s_movk_i32 s4, 0x80
	v_cmp_eq_u16_sdwa s[12:13], v3, s4 src0_sel:BYTE_0 src1_sel:DWORD
	s_mov_b64 s[4:5], -1
                                        ; implicit-def: $sgpr10
	s_and_saveexec_b64 s[8:9], s[12:13]
; %bb.18158:
	s_mov_b32 s10, 0x7f800001
	s_xor_b64 s[4:5], exec, -1
; %bb.18159:
	s_or_b64 exec, exec, s[8:9]
	s_and_b64 s[4:5], s[4:5], exec
	s_or_saveexec_b64 s[6:7], s[6:7]
	v_mov_b32_e32 v4, s10
	s_xor_b64 exec, exec, s[6:7]
	s_cbranch_execnz .LBB2_18160
; %bb.53997:
	s_getpc_b64 s[14:15]
.Lpost_getpc30582:
	s_add_u32 s14, s14, (.LBB2_3822-.Lpost_getpc30582)&4294967295
	s_addc_u32 s15, s15, (.LBB2_3822-.Lpost_getpc30582)>>32
	s_setpc_b64 s[14:15]
.LBB2_18160:
	v_mov_b32_e32 v4, 0
	v_cmp_ne_u16_sdwa s[8:9], v3, v4 src0_sel:BYTE_0 src1_sel:DWORD
	s_andn2_b64 s[4:5], s[4:5], exec
	s_and_b64 s[8:9], s[8:9], exec
	s_or_b64 s[4:5], s[4:5], s[8:9]
	s_or_b64 exec, exec, s[6:7]
	s_and_saveexec_b64 s[6:7], s[4:5]
	s_cbranch_execz .LBB2_30583
; %bb.53999:
	s_getpc_b64 s[14:15]
.Lpost_getpc30583:
	s_add_u32 s14, s14, (.LBB2_3823-.Lpost_getpc30583)&4294967295
	s_addc_u32 s15, s15, (.LBB2_3823-.Lpost_getpc30583)>>32
	s_setpc_b64 s[14:15]
.LBB2_30583:
	s_getpc_b64 s[14:15]
.Lpost_getpc18875:
	s_add_u32 s14, s14, (.LBB2_3824-.Lpost_getpc18875)&4294967295
	s_addc_u32 s15, s15, (.LBB2_3824-.Lpost_getpc18875)>>32
	s_setpc_b64 s[14:15]
.LBB2_18161:
	s_movk_i32 s4, 0x80
	v_cmp_eq_u16_e32 vcc, s4, v3
	s_mov_b64 s[4:5], -1
                                        ; implicit-def: $sgpr10
	s_and_saveexec_b64 s[8:9], vcc
; %bb.18162:
	s_mov_b32 s10, 0x7f800001
	s_xor_b64 s[4:5], exec, -1
; %bb.18163:
	s_or_b64 exec, exec, s[8:9]
	s_and_b64 s[4:5], s[4:5], exec
                                        ; implicit-def: $vgpr3
	s_or_saveexec_b64 s[6:7], s[6:7]
	v_mov_b32_e32 v2, s10
	s_xor_b64 exec, exec, s[6:7]
	s_cbranch_execnz .LBB2_18164
; %bb.54001:
	s_getpc_b64 s[14:15]
.Lpost_getpc30584:
	s_add_u32 s14, s14, (.LBB2_3826-.Lpost_getpc30584)&4294967295
	s_addc_u32 s15, s15, (.LBB2_3826-.Lpost_getpc30584)>>32
	s_setpc_b64 s[14:15]
.LBB2_18164:
	v_cmp_ne_u16_e32 vcc, 0, v3
	s_andn2_b64 s[4:5], s[4:5], exec
	s_and_b64 s[8:9], vcc, exec
	v_mov_b32_e32 v2, 0
	s_or_b64 s[4:5], s[4:5], s[8:9]
	s_or_b64 exec, exec, s[6:7]
	s_and_saveexec_b64 s[6:7], s[4:5]
	s_cbranch_execz .LBB2_30585
; %bb.54003:
	s_getpc_b64 s[14:15]
.Lpost_getpc30585:
	s_add_u32 s14, s14, (.LBB2_3827-.Lpost_getpc30585)&4294967295
	s_addc_u32 s15, s15, (.LBB2_3827-.Lpost_getpc30585)>>32
	s_setpc_b64 s[14:15]
.LBB2_30585:
	s_getpc_b64 s[14:15]
.Lpost_getpc18876:
	s_add_u32 s14, s14, (.LBB2_3828-.Lpost_getpc18876)&4294967295
	s_addc_u32 s15, s15, (.LBB2_3828-.Lpost_getpc18876)>>32
	s_setpc_b64 s[14:15]
.LBB2_18165:
	s_movk_i32 s4, 0x80
	v_cmp_eq_u16_e32 vcc, s4, v3
	s_mov_b64 s[4:5], -1
                                        ; implicit-def: $sgpr10
	s_and_saveexec_b64 s[8:9], vcc
; %bb.18166:
	s_mov_b32 s10, 0x7f800001
	s_xor_b64 s[4:5], exec, -1
; %bb.18167:
	s_or_b64 exec, exec, s[8:9]
	s_and_b64 s[4:5], s[4:5], exec
                                        ; implicit-def: $vgpr3
	s_or_saveexec_b64 s[6:7], s[6:7]
	v_mov_b32_e32 v4, s10
	s_xor_b64 exec, exec, s[6:7]
	s_cbranch_execnz .LBB2_18168
; %bb.54005:
	s_getpc_b64 s[14:15]
.Lpost_getpc30586:
	s_add_u32 s14, s14, (.LBB2_3830-.Lpost_getpc30586)&4294967295
	s_addc_u32 s15, s15, (.LBB2_3830-.Lpost_getpc30586)>>32
	s_setpc_b64 s[14:15]
.LBB2_18168:
	v_cmp_ne_u16_e32 vcc, 0, v3
	s_andn2_b64 s[4:5], s[4:5], exec
	s_and_b64 s[8:9], vcc, exec
	v_mov_b32_e32 v4, 0
	s_or_b64 s[4:5], s[4:5], s[8:9]
	s_or_b64 exec, exec, s[6:7]
	s_and_saveexec_b64 s[6:7], s[4:5]
	s_cbranch_execz .LBB2_30587
; %bb.54007:
	s_getpc_b64 s[14:15]
.Lpost_getpc30587:
	s_add_u32 s14, s14, (.LBB2_3831-.Lpost_getpc30587)&4294967295
	s_addc_u32 s15, s15, (.LBB2_3831-.Lpost_getpc30587)>>32
	s_setpc_b64 s[14:15]
.LBB2_30587:
	s_getpc_b64 s[14:15]
.Lpost_getpc18877:
	s_add_u32 s14, s14, (.LBB2_3832-.Lpost_getpc18877)&4294967295
	s_addc_u32 s15, s15, (.LBB2_3832-.Lpost_getpc18877)>>32
	s_setpc_b64 s[14:15]
.LBB2_18169:
	s_movk_i32 s4, 0x80
	v_cmp_eq_u16_sdwa s[12:13], v9, s4 src0_sel:BYTE_3 src1_sel:DWORD
	s_mov_b64 s[4:5], -1
                                        ; implicit-def: $sgpr10
	s_and_saveexec_b64 s[8:9], s[12:13]
; %bb.18170:
	s_mov_b32 s10, 0x7f800001
	s_xor_b64 s[4:5], exec, -1
; %bb.18171:
	s_or_b64 exec, exec, s[8:9]
	s_and_b64 s[4:5], s[4:5], exec
	s_or_saveexec_b64 s[6:7], s[6:7]
	v_mov_b32_e32 v2, s10
	s_xor_b64 exec, exec, s[6:7]
	s_cbranch_execnz .LBB2_18172
; %bb.54009:
	s_getpc_b64 s[14:15]
.Lpost_getpc30588:
	s_add_u32 s14, s14, (.LBB2_3834-.Lpost_getpc30588)&4294967295
	s_addc_u32 s15, s15, (.LBB2_3834-.Lpost_getpc30588)>>32
	s_setpc_b64 s[14:15]
.LBB2_18172:
	v_mov_b32_e32 v2, 0
	v_cmp_ne_u16_sdwa s[8:9], v9, v2 src0_sel:BYTE_3 src1_sel:DWORD
	s_andn2_b64 s[4:5], s[4:5], exec
	s_and_b64 s[8:9], s[8:9], exec
	s_or_b64 s[4:5], s[4:5], s[8:9]
	s_or_b64 exec, exec, s[6:7]
	s_and_saveexec_b64 s[6:7], s[4:5]
	s_cbranch_execz .LBB2_30589
; %bb.54011:
	s_getpc_b64 s[14:15]
.Lpost_getpc30589:
	s_add_u32 s14, s14, (.LBB2_3835-.Lpost_getpc30589)&4294967295
	s_addc_u32 s15, s15, (.LBB2_3835-.Lpost_getpc30589)>>32
	s_setpc_b64 s[14:15]
.LBB2_30589:
	s_getpc_b64 s[14:15]
.Lpost_getpc18878:
	s_add_u32 s14, s14, (.LBB2_3836-.Lpost_getpc18878)&4294967295
	s_addc_u32 s15, s15, (.LBB2_3836-.Lpost_getpc18878)>>32
	s_setpc_b64 s[14:15]
.LBB2_18173:
	s_movk_i32 s4, 0x80
	v_cmp_eq_u16_sdwa s[12:13], v5, s4 src0_sel:BYTE_3 src1_sel:DWORD
	s_mov_b64 s[4:5], -1
                                        ; implicit-def: $sgpr10
	s_and_saveexec_b64 s[8:9], s[12:13]
; %bb.18174:
	s_mov_b32 s10, 0x7f800001
	s_xor_b64 s[4:5], exec, -1
; %bb.18175:
	s_or_b64 exec, exec, s[8:9]
	s_and_b64 s[4:5], s[4:5], exec
	s_or_saveexec_b64 s[6:7], s[6:7]
	v_mov_b32_e32 v3, s10
	s_xor_b64 exec, exec, s[6:7]
	s_cbranch_execnz .LBB2_18176
; %bb.54013:
	s_getpc_b64 s[14:15]
.Lpost_getpc30590:
	s_add_u32 s14, s14, (.LBB2_3838-.Lpost_getpc30590)&4294967295
	s_addc_u32 s15, s15, (.LBB2_3838-.Lpost_getpc30590)>>32
	s_setpc_b64 s[14:15]
.LBB2_18176:
	v_mov_b32_e32 v3, 0
	v_cmp_ne_u16_sdwa s[8:9], v5, v3 src0_sel:BYTE_3 src1_sel:DWORD
	s_andn2_b64 s[4:5], s[4:5], exec
	s_and_b64 s[8:9], s[8:9], exec
	s_or_b64 s[4:5], s[4:5], s[8:9]
	s_or_b64 exec, exec, s[6:7]
	s_and_saveexec_b64 s[6:7], s[4:5]
	s_cbranch_execz .LBB2_30591
; %bb.54015:
	s_getpc_b64 s[14:15]
.Lpost_getpc30591:
	s_add_u32 s14, s14, (.LBB2_3839-.Lpost_getpc30591)&4294967295
	s_addc_u32 s15, s15, (.LBB2_3839-.Lpost_getpc30591)>>32
	s_setpc_b64 s[14:15]
.LBB2_30591:
	s_getpc_b64 s[14:15]
.Lpost_getpc18879:
	s_add_u32 s14, s14, (.LBB2_3840-.Lpost_getpc18879)&4294967295
	s_addc_u32 s15, s15, (.LBB2_3840-.Lpost_getpc18879)>>32
	s_setpc_b64 s[14:15]
.LBB2_18177:
	s_movk_i32 s4, 0x80
	v_cmp_eq_u16_sdwa s[12:13], v6, s4 src0_sel:BYTE_0 src1_sel:DWORD
	s_mov_b64 s[4:5], -1
                                        ; implicit-def: $sgpr10
	s_and_saveexec_b64 s[8:9], s[12:13]
; %bb.18178:
	s_mov_b32 s10, 0x7f800001
	s_xor_b64 s[4:5], exec, -1
; %bb.18179:
	s_or_b64 exec, exec, s[8:9]
	s_and_b64 s[4:5], s[4:5], exec
	s_or_saveexec_b64 s[6:7], s[6:7]
	v_mov_b32_e32 v12, s10
	s_xor_b64 exec, exec, s[6:7]
	s_cbranch_execnz .LBB2_18180
; %bb.54017:
	s_getpc_b64 s[14:15]
.Lpost_getpc30592:
	s_add_u32 s14, s14, (.LBB2_3842-.Lpost_getpc30592)&4294967295
	s_addc_u32 s15, s15, (.LBB2_3842-.Lpost_getpc30592)>>32
	s_setpc_b64 s[14:15]
.LBB2_18180:
	v_mov_b32_e32 v12, 0
	v_cmp_ne_u16_sdwa s[8:9], v6, v12 src0_sel:BYTE_0 src1_sel:DWORD
	s_andn2_b64 s[4:5], s[4:5], exec
	s_and_b64 s[8:9], s[8:9], exec
	s_or_b64 s[4:5], s[4:5], s[8:9]
	s_or_b64 exec, exec, s[6:7]
	s_and_saveexec_b64 s[6:7], s[4:5]
	s_cbranch_execz .LBB2_30593
; %bb.54019:
	s_getpc_b64 s[14:15]
.Lpost_getpc30593:
	s_add_u32 s14, s14, (.LBB2_3843-.Lpost_getpc30593)&4294967295
	s_addc_u32 s15, s15, (.LBB2_3843-.Lpost_getpc30593)>>32
	s_setpc_b64 s[14:15]
.LBB2_30593:
	s_getpc_b64 s[14:15]
.Lpost_getpc18880:
	s_add_u32 s14, s14, (.LBB2_3844-.Lpost_getpc18880)&4294967295
	s_addc_u32 s15, s15, (.LBB2_3844-.Lpost_getpc18880)>>32
	s_setpc_b64 s[14:15]
.LBB2_18181:
	s_movk_i32 s4, 0x80
	v_cmp_eq_u16_sdwa s[12:13], v2, s4 src0_sel:BYTE_0 src1_sel:DWORD
	s_mov_b64 s[4:5], -1
                                        ; implicit-def: $sgpr10
	s_and_saveexec_b64 s[8:9], s[12:13]
; %bb.18182:
	s_mov_b32 s10, 0x7f800001
	s_xor_b64 s[4:5], exec, -1
; %bb.18183:
	s_or_b64 exec, exec, s[8:9]
	s_and_b64 s[4:5], s[4:5], exec
	s_or_saveexec_b64 s[6:7], s[6:7]
	v_mov_b32_e32 v13, s10
	s_xor_b64 exec, exec, s[6:7]
	s_cbranch_execnz .LBB2_18184
; %bb.54021:
	s_getpc_b64 s[14:15]
.Lpost_getpc30594:
	s_add_u32 s14, s14, (.LBB2_3846-.Lpost_getpc30594)&4294967295
	s_addc_u32 s15, s15, (.LBB2_3846-.Lpost_getpc30594)>>32
	s_setpc_b64 s[14:15]
.LBB2_18184:
	v_mov_b32_e32 v13, 0
	v_cmp_ne_u16_sdwa s[8:9], v2, v13 src0_sel:BYTE_0 src1_sel:DWORD
	s_andn2_b64 s[4:5], s[4:5], exec
	s_and_b64 s[8:9], s[8:9], exec
	s_or_b64 s[4:5], s[4:5], s[8:9]
	s_or_b64 exec, exec, s[6:7]
	s_and_saveexec_b64 s[6:7], s[4:5]
	s_cbranch_execz .LBB2_30595
; %bb.54023:
	s_getpc_b64 s[14:15]
.Lpost_getpc30595:
	s_add_u32 s14, s14, (.LBB2_3847-.Lpost_getpc30595)&4294967295
	s_addc_u32 s15, s15, (.LBB2_3847-.Lpost_getpc30595)>>32
	s_setpc_b64 s[14:15]
.LBB2_30595:
	s_getpc_b64 s[14:15]
.Lpost_getpc18881:
	s_add_u32 s14, s14, (.LBB2_3848-.Lpost_getpc18881)&4294967295
	s_addc_u32 s15, s15, (.LBB2_3848-.Lpost_getpc18881)>>32
	s_setpc_b64 s[14:15]
.LBB2_18185:
	s_movk_i32 s4, 0x80
	v_cmp_eq_u16_sdwa s[12:13], v13, s4 src0_sel:BYTE_0 src1_sel:DWORD
	s_mov_b64 s[4:5], -1
                                        ; implicit-def: $sgpr10
	s_and_saveexec_b64 s[8:9], s[12:13]
; %bb.18186:
	s_mov_b32 s10, 0x7f800001
	s_xor_b64 s[4:5], exec, -1
; %bb.18187:
	s_or_b64 exec, exec, s[8:9]
	s_and_b64 s[4:5], s[4:5], exec
	s_or_saveexec_b64 s[6:7], s[6:7]
	v_mov_b32_e32 v12, s10
	s_xor_b64 exec, exec, s[6:7]
	s_cbranch_execnz .LBB2_18188
; %bb.54025:
	s_getpc_b64 s[14:15]
.Lpost_getpc30596:
	s_add_u32 s14, s14, (.LBB2_3850-.Lpost_getpc30596)&4294967295
	s_addc_u32 s15, s15, (.LBB2_3850-.Lpost_getpc30596)>>32
	s_setpc_b64 s[14:15]
.LBB2_18188:
	v_mov_b32_e32 v12, 0
	v_cmp_ne_u16_sdwa s[8:9], v13, v12 src0_sel:BYTE_0 src1_sel:DWORD
	s_andn2_b64 s[4:5], s[4:5], exec
	s_and_b64 s[8:9], s[8:9], exec
	s_or_b64 s[4:5], s[4:5], s[8:9]
	s_or_b64 exec, exec, s[6:7]
	s_and_saveexec_b64 s[6:7], s[4:5]
	s_cbranch_execz .LBB2_30597
; %bb.54027:
	s_getpc_b64 s[14:15]
.Lpost_getpc30597:
	s_add_u32 s14, s14, (.LBB2_3851-.Lpost_getpc30597)&4294967295
	s_addc_u32 s15, s15, (.LBB2_3851-.Lpost_getpc30597)>>32
	s_setpc_b64 s[14:15]
.LBB2_30597:
	s_getpc_b64 s[14:15]
.Lpost_getpc18882:
	s_add_u32 s14, s14, (.LBB2_3852-.Lpost_getpc18882)&4294967295
	s_addc_u32 s15, s15, (.LBB2_3852-.Lpost_getpc18882)>>32
	s_setpc_b64 s[14:15]
.LBB2_18189:
	s_movk_i32 s4, 0x80
	v_cmp_eq_u16_sdwa s[12:13], v13, s4 src0_sel:BYTE_0 src1_sel:DWORD
	s_mov_b64 s[4:5], -1
                                        ; implicit-def: $sgpr10
	s_and_saveexec_b64 s[8:9], s[12:13]
; %bb.18190:
	s_mov_b32 s10, 0x7f800001
	s_xor_b64 s[4:5], exec, -1
; %bb.18191:
	s_or_b64 exec, exec, s[8:9]
	s_and_b64 s[4:5], s[4:5], exec
	s_or_saveexec_b64 s[6:7], s[6:7]
	v_mov_b32_e32 v14, s10
	s_xor_b64 exec, exec, s[6:7]
	s_cbranch_execnz .LBB2_18192
; %bb.54029:
	s_getpc_b64 s[14:15]
.Lpost_getpc30598:
	s_add_u32 s14, s14, (.LBB2_3854-.Lpost_getpc30598)&4294967295
	s_addc_u32 s15, s15, (.LBB2_3854-.Lpost_getpc30598)>>32
	s_setpc_b64 s[14:15]
.LBB2_18192:
	v_mov_b32_e32 v14, 0
	v_cmp_ne_u16_sdwa s[8:9], v13, v14 src0_sel:BYTE_0 src1_sel:DWORD
	s_andn2_b64 s[4:5], s[4:5], exec
	s_and_b64 s[8:9], s[8:9], exec
	s_or_b64 s[4:5], s[4:5], s[8:9]
	s_or_b64 exec, exec, s[6:7]
	s_and_saveexec_b64 s[6:7], s[4:5]
	s_cbranch_execz .LBB2_30599
; %bb.54031:
	s_getpc_b64 s[14:15]
.Lpost_getpc30599:
	s_add_u32 s14, s14, (.LBB2_3855-.Lpost_getpc30599)&4294967295
	s_addc_u32 s15, s15, (.LBB2_3855-.Lpost_getpc30599)>>32
	s_setpc_b64 s[14:15]
.LBB2_30599:
	s_getpc_b64 s[14:15]
.Lpost_getpc18883:
	s_add_u32 s14, s14, (.LBB2_3856-.Lpost_getpc18883)&4294967295
	s_addc_u32 s15, s15, (.LBB2_3856-.Lpost_getpc18883)>>32
	s_setpc_b64 s[14:15]
.LBB2_18193:
	s_movk_i32 s4, 0x80
	v_cmp_eq_u16_e32 vcc, s4, v13
	s_mov_b64 s[4:5], -1
                                        ; implicit-def: $sgpr10
	s_and_saveexec_b64 s[8:9], vcc
; %bb.18194:
	s_mov_b32 s10, 0x7f800001
	s_xor_b64 s[4:5], exec, -1
; %bb.18195:
	s_or_b64 exec, exec, s[8:9]
	s_and_b64 s[4:5], s[4:5], exec
                                        ; implicit-def: $vgpr13
	s_or_saveexec_b64 s[6:7], s[6:7]
	v_mov_b32_e32 v12, s10
	s_xor_b64 exec, exec, s[6:7]
	s_cbranch_execnz .LBB2_18196
; %bb.54033:
	s_getpc_b64 s[14:15]
.Lpost_getpc30600:
	s_add_u32 s14, s14, (.LBB2_3858-.Lpost_getpc30600)&4294967295
	s_addc_u32 s15, s15, (.LBB2_3858-.Lpost_getpc30600)>>32
	s_setpc_b64 s[14:15]
.LBB2_18196:
	v_cmp_ne_u16_e32 vcc, 0, v13
	s_andn2_b64 s[4:5], s[4:5], exec
	s_and_b64 s[8:9], vcc, exec
	v_mov_b32_e32 v12, 0
	s_or_b64 s[4:5], s[4:5], s[8:9]
	s_or_b64 exec, exec, s[6:7]
	s_and_saveexec_b64 s[6:7], s[4:5]
	s_cbranch_execz .LBB2_30601
; %bb.54035:
	s_getpc_b64 s[14:15]
.Lpost_getpc30601:
	s_add_u32 s14, s14, (.LBB2_3859-.Lpost_getpc30601)&4294967295
	s_addc_u32 s15, s15, (.LBB2_3859-.Lpost_getpc30601)>>32
	s_setpc_b64 s[14:15]
.LBB2_30601:
	s_getpc_b64 s[14:15]
.Lpost_getpc18884:
	s_add_u32 s14, s14, (.LBB2_3860-.Lpost_getpc18884)&4294967295
	s_addc_u32 s15, s15, (.LBB2_3860-.Lpost_getpc18884)>>32
	s_setpc_b64 s[14:15]
.LBB2_18197:
	s_movk_i32 s4, 0x80
	v_cmp_eq_u16_e32 vcc, s4, v13
	s_mov_b64 s[4:5], -1
                                        ; implicit-def: $sgpr10
	s_and_saveexec_b64 s[8:9], vcc
; %bb.18198:
	s_mov_b32 s10, 0x7f800001
	s_xor_b64 s[4:5], exec, -1
; %bb.18199:
	s_or_b64 exec, exec, s[8:9]
	s_and_b64 s[4:5], s[4:5], exec
                                        ; implicit-def: $vgpr13
	s_or_saveexec_b64 s[6:7], s[6:7]
	v_mov_b32_e32 v14, s10
	s_xor_b64 exec, exec, s[6:7]
	s_cbranch_execnz .LBB2_18200
; %bb.54037:
	s_getpc_b64 s[14:15]
.Lpost_getpc30602:
	s_add_u32 s14, s14, (.LBB2_3862-.Lpost_getpc30602)&4294967295
	s_addc_u32 s15, s15, (.LBB2_3862-.Lpost_getpc30602)>>32
	s_setpc_b64 s[14:15]
.LBB2_18200:
	v_cmp_ne_u16_e32 vcc, 0, v13
	s_andn2_b64 s[4:5], s[4:5], exec
	s_and_b64 s[8:9], vcc, exec
	v_mov_b32_e32 v14, 0
	s_or_b64 s[4:5], s[4:5], s[8:9]
	s_or_b64 exec, exec, s[6:7]
	s_and_saveexec_b64 s[6:7], s[4:5]
	s_cbranch_execz .LBB2_30603
; %bb.54039:
	s_getpc_b64 s[14:15]
.Lpost_getpc30603:
	s_add_u32 s14, s14, (.LBB2_3863-.Lpost_getpc30603)&4294967295
	s_addc_u32 s15, s15, (.LBB2_3863-.Lpost_getpc30603)>>32
	s_setpc_b64 s[14:15]
.LBB2_30603:
	s_getpc_b64 s[14:15]
.Lpost_getpc18885:
	s_add_u32 s14, s14, (.LBB2_3864-.Lpost_getpc18885)&4294967295
	s_addc_u32 s15, s15, (.LBB2_3864-.Lpost_getpc18885)>>32
	s_setpc_b64 s[14:15]
.LBB2_18201:
	s_movk_i32 s4, 0x80
	v_cmp_eq_u16_sdwa s[12:13], v6, s4 src0_sel:BYTE_3 src1_sel:DWORD
	s_mov_b64 s[4:5], -1
                                        ; implicit-def: $sgpr10
	s_and_saveexec_b64 s[8:9], s[12:13]
; %bb.18202:
	s_mov_b32 s10, 0x7f800001
	s_xor_b64 s[4:5], exec, -1
; %bb.18203:
	s_or_b64 exec, exec, s[8:9]
	s_and_b64 s[4:5], s[4:5], exec
	s_or_saveexec_b64 s[6:7], s[6:7]
	v_mov_b32_e32 v12, s10
	s_xor_b64 exec, exec, s[6:7]
	s_cbranch_execnz .LBB2_18204
; %bb.54041:
	s_getpc_b64 s[14:15]
.Lpost_getpc30604:
	s_add_u32 s14, s14, (.LBB2_3866-.Lpost_getpc30604)&4294967295
	s_addc_u32 s15, s15, (.LBB2_3866-.Lpost_getpc30604)>>32
	s_setpc_b64 s[14:15]
.LBB2_18204:
	v_mov_b32_e32 v12, 0
	v_cmp_ne_u16_sdwa s[8:9], v6, v12 src0_sel:BYTE_3 src1_sel:DWORD
	s_andn2_b64 s[4:5], s[4:5], exec
	s_and_b64 s[8:9], s[8:9], exec
	s_or_b64 s[4:5], s[4:5], s[8:9]
	s_or_b64 exec, exec, s[6:7]
	s_and_saveexec_b64 s[6:7], s[4:5]
	s_cbranch_execz .LBB2_30605
; %bb.54043:
	s_getpc_b64 s[14:15]
.Lpost_getpc30605:
	s_add_u32 s14, s14, (.LBB2_3867-.Lpost_getpc30605)&4294967295
	s_addc_u32 s15, s15, (.LBB2_3867-.Lpost_getpc30605)>>32
	s_setpc_b64 s[14:15]
.LBB2_30605:
	s_getpc_b64 s[14:15]
.Lpost_getpc18886:
	s_add_u32 s14, s14, (.LBB2_3868-.Lpost_getpc18886)&4294967295
	s_addc_u32 s15, s15, (.LBB2_3868-.Lpost_getpc18886)>>32
	s_setpc_b64 s[14:15]
.LBB2_18205:
	s_movk_i32 s4, 0x80
	v_cmp_eq_u16_sdwa s[12:13], v2, s4 src0_sel:BYTE_3 src1_sel:DWORD
	s_mov_b64 s[4:5], -1
                                        ; implicit-def: $sgpr10
	s_and_saveexec_b64 s[8:9], s[12:13]
; %bb.18206:
	s_mov_b32 s10, 0x7f800001
	s_xor_b64 s[4:5], exec, -1
; %bb.18207:
	s_or_b64 exec, exec, s[8:9]
	s_and_b64 s[4:5], s[4:5], exec
	s_or_saveexec_b64 s[6:7], s[6:7]
	v_mov_b32_e32 v6, s10
	s_xor_b64 exec, exec, s[6:7]
	s_cbranch_execnz .LBB2_18208
; %bb.54045:
	s_getpc_b64 s[14:15]
.Lpost_getpc30606:
	s_add_u32 s14, s14, (.LBB2_3870-.Lpost_getpc30606)&4294967295
	s_addc_u32 s15, s15, (.LBB2_3870-.Lpost_getpc30606)>>32
	s_setpc_b64 s[14:15]
.LBB2_18208:
	v_mov_b32_e32 v6, 0
	v_cmp_ne_u16_sdwa s[8:9], v2, v6 src0_sel:BYTE_3 src1_sel:DWORD
	s_andn2_b64 s[4:5], s[4:5], exec
	s_and_b64 s[8:9], s[8:9], exec
	s_or_b64 s[4:5], s[4:5], s[8:9]
	s_or_b64 exec, exec, s[6:7]
	s_and_saveexec_b64 s[6:7], s[4:5]
	s_cbranch_execz .LBB2_30607
; %bb.54047:
	s_getpc_b64 s[14:15]
.Lpost_getpc30607:
	s_add_u32 s14, s14, (.LBB2_3871-.Lpost_getpc30607)&4294967295
	s_addc_u32 s15, s15, (.LBB2_3871-.Lpost_getpc30607)>>32
	s_setpc_b64 s[14:15]
.LBB2_30607:
	s_getpc_b64 s[14:15]
.Lpost_getpc18887:
	s_add_u32 s14, s14, (.LBB2_3872-.Lpost_getpc18887)&4294967295
	s_addc_u32 s15, s15, (.LBB2_3872-.Lpost_getpc18887)>>32
	s_setpc_b64 s[14:15]
.LBB2_18209:
	s_movk_i32 s4, 0x80
	v_cmp_eq_u16_sdwa s[12:13], v7, s4 src0_sel:BYTE_0 src1_sel:DWORD
	s_mov_b64 s[4:5], -1
                                        ; implicit-def: $sgpr10
	s_and_saveexec_b64 s[8:9], s[12:13]
; %bb.18210:
	s_mov_b32 s10, 0x7f800001
	s_xor_b64 s[4:5], exec, -1
; %bb.18211:
	s_or_b64 exec, exec, s[8:9]
	s_and_b64 s[4:5], s[4:5], exec
	s_or_saveexec_b64 s[6:7], s[6:7]
	v_mov_b32_e32 v2, s10
	s_xor_b64 exec, exec, s[6:7]
	s_cbranch_execnz .LBB2_18212
; %bb.54049:
	s_getpc_b64 s[14:15]
.Lpost_getpc30608:
	s_add_u32 s14, s14, (.LBB2_3874-.Lpost_getpc30608)&4294967295
	s_addc_u32 s15, s15, (.LBB2_3874-.Lpost_getpc30608)>>32
	s_setpc_b64 s[14:15]
.LBB2_18212:
	v_mov_b32_e32 v2, 0
	v_cmp_ne_u16_sdwa s[8:9], v7, v2 src0_sel:BYTE_0 src1_sel:DWORD
	s_andn2_b64 s[4:5], s[4:5], exec
	s_and_b64 s[8:9], s[8:9], exec
	s_or_b64 s[4:5], s[4:5], s[8:9]
	s_or_b64 exec, exec, s[6:7]
	s_and_saveexec_b64 s[6:7], s[4:5]
	s_cbranch_execz .LBB2_30609
; %bb.54051:
	s_getpc_b64 s[14:15]
.Lpost_getpc30609:
	s_add_u32 s14, s14, (.LBB2_3875-.Lpost_getpc30609)&4294967295
	s_addc_u32 s15, s15, (.LBB2_3875-.Lpost_getpc30609)>>32
	s_setpc_b64 s[14:15]
.LBB2_30609:
	s_getpc_b64 s[14:15]
.Lpost_getpc18888:
	s_add_u32 s14, s14, (.LBB2_3876-.Lpost_getpc18888)&4294967295
	s_addc_u32 s15, s15, (.LBB2_3876-.Lpost_getpc18888)>>32
	s_setpc_b64 s[14:15]
.LBB2_18213:
	s_movk_i32 s4, 0x80
	v_cmp_eq_u16_sdwa s[12:13], v3, s4 src0_sel:BYTE_0 src1_sel:DWORD
	s_mov_b64 s[4:5], -1
                                        ; implicit-def: $sgpr10
	s_and_saveexec_b64 s[8:9], s[12:13]
; %bb.18214:
	s_mov_b32 s10, 0x7f800001
	s_xor_b64 s[4:5], exec, -1
; %bb.18215:
	s_or_b64 exec, exec, s[8:9]
	s_and_b64 s[4:5], s[4:5], exec
	s_or_saveexec_b64 s[6:7], s[6:7]
	v_mov_b32_e32 v6, s10
	s_xor_b64 exec, exec, s[6:7]
	s_cbranch_execnz .LBB2_18216
; %bb.54053:
	s_getpc_b64 s[14:15]
.Lpost_getpc30610:
	s_add_u32 s14, s14, (.LBB2_3878-.Lpost_getpc30610)&4294967295
	s_addc_u32 s15, s15, (.LBB2_3878-.Lpost_getpc30610)>>32
	s_setpc_b64 s[14:15]
.LBB2_18216:
	v_mov_b32_e32 v6, 0
	v_cmp_ne_u16_sdwa s[8:9], v3, v6 src0_sel:BYTE_0 src1_sel:DWORD
	s_andn2_b64 s[4:5], s[4:5], exec
	s_and_b64 s[8:9], s[8:9], exec
	s_or_b64 s[4:5], s[4:5], s[8:9]
	s_or_b64 exec, exec, s[6:7]
	s_and_saveexec_b64 s[6:7], s[4:5]
	s_cbranch_execz .LBB2_30611
; %bb.54055:
	s_getpc_b64 s[14:15]
.Lpost_getpc30611:
	s_add_u32 s14, s14, (.LBB2_3879-.Lpost_getpc30611)&4294967295
	s_addc_u32 s15, s15, (.LBB2_3879-.Lpost_getpc30611)>>32
	s_setpc_b64 s[14:15]
.LBB2_30611:
	s_getpc_b64 s[14:15]
.Lpost_getpc18889:
	s_add_u32 s14, s14, (.LBB2_3880-.Lpost_getpc18889)&4294967295
	s_addc_u32 s15, s15, (.LBB2_3880-.Lpost_getpc18889)>>32
	s_setpc_b64 s[14:15]
.LBB2_18217:
	s_movk_i32 s4, 0x80
	v_cmp_eq_u16_sdwa s[12:13], v6, s4 src0_sel:BYTE_0 src1_sel:DWORD
	s_mov_b64 s[4:5], -1
                                        ; implicit-def: $sgpr10
	s_and_saveexec_b64 s[8:9], s[12:13]
; %bb.18218:
	s_mov_b32 s10, 0x7f800001
	s_xor_b64 s[4:5], exec, -1
; %bb.18219:
	s_or_b64 exec, exec, s[8:9]
	s_and_b64 s[4:5], s[4:5], exec
	s_or_saveexec_b64 s[6:7], s[6:7]
	v_mov_b32_e32 v2, s10
	s_xor_b64 exec, exec, s[6:7]
	s_cbranch_execnz .LBB2_18220
; %bb.54057:
	s_getpc_b64 s[14:15]
.Lpost_getpc30612:
	s_add_u32 s14, s14, (.LBB2_3882-.Lpost_getpc30612)&4294967295
	s_addc_u32 s15, s15, (.LBB2_3882-.Lpost_getpc30612)>>32
	s_setpc_b64 s[14:15]
.LBB2_18220:
	v_mov_b32_e32 v2, 0
	v_cmp_ne_u16_sdwa s[8:9], v6, v2 src0_sel:BYTE_0 src1_sel:DWORD
	s_andn2_b64 s[4:5], s[4:5], exec
	s_and_b64 s[8:9], s[8:9], exec
	s_or_b64 s[4:5], s[4:5], s[8:9]
	s_or_b64 exec, exec, s[6:7]
	s_and_saveexec_b64 s[6:7], s[4:5]
	s_cbranch_execz .LBB2_30613
; %bb.54059:
	s_getpc_b64 s[14:15]
.Lpost_getpc30613:
	s_add_u32 s14, s14, (.LBB2_3883-.Lpost_getpc30613)&4294967295
	s_addc_u32 s15, s15, (.LBB2_3883-.Lpost_getpc30613)>>32
	s_setpc_b64 s[14:15]
.LBB2_30613:
	s_getpc_b64 s[14:15]
.Lpost_getpc18890:
	s_add_u32 s14, s14, (.LBB2_3884-.Lpost_getpc18890)&4294967295
	s_addc_u32 s15, s15, (.LBB2_3884-.Lpost_getpc18890)>>32
	s_setpc_b64 s[14:15]
.LBB2_18221:
	s_movk_i32 s4, 0x80
	v_cmp_eq_u16_sdwa s[12:13], v6, s4 src0_sel:BYTE_0 src1_sel:DWORD
	s_mov_b64 s[4:5], -1
                                        ; implicit-def: $sgpr10
	s_and_saveexec_b64 s[8:9], s[12:13]
; %bb.18222:
	s_mov_b32 s10, 0x7f800001
	s_xor_b64 s[4:5], exec, -1
; %bb.18223:
	s_or_b64 exec, exec, s[8:9]
	s_and_b64 s[4:5], s[4:5], exec
	s_or_saveexec_b64 s[6:7], s[6:7]
	v_mov_b32_e32 v12, s10
	s_xor_b64 exec, exec, s[6:7]
	s_cbranch_execnz .LBB2_18224
; %bb.54061:
	s_getpc_b64 s[14:15]
.Lpost_getpc30614:
	s_add_u32 s14, s14, (.LBB2_3886-.Lpost_getpc30614)&4294967295
	s_addc_u32 s15, s15, (.LBB2_3886-.Lpost_getpc30614)>>32
	s_setpc_b64 s[14:15]
.LBB2_18224:
	v_mov_b32_e32 v12, 0
	v_cmp_ne_u16_sdwa s[8:9], v6, v12 src0_sel:BYTE_0 src1_sel:DWORD
	s_andn2_b64 s[4:5], s[4:5], exec
	s_and_b64 s[8:9], s[8:9], exec
	s_or_b64 s[4:5], s[4:5], s[8:9]
	s_or_b64 exec, exec, s[6:7]
	s_and_saveexec_b64 s[6:7], s[4:5]
	s_cbranch_execz .LBB2_30615
; %bb.54063:
	s_getpc_b64 s[14:15]
.Lpost_getpc30615:
	s_add_u32 s14, s14, (.LBB2_3887-.Lpost_getpc30615)&4294967295
	s_addc_u32 s15, s15, (.LBB2_3887-.Lpost_getpc30615)>>32
	s_setpc_b64 s[14:15]
.LBB2_30615:
	s_getpc_b64 s[14:15]
.Lpost_getpc18891:
	s_add_u32 s14, s14, (.LBB2_3888-.Lpost_getpc18891)&4294967295
	s_addc_u32 s15, s15, (.LBB2_3888-.Lpost_getpc18891)>>32
	s_setpc_b64 s[14:15]
.LBB2_18225:
	s_movk_i32 s4, 0x80
	v_cmp_eq_u16_e32 vcc, s4, v6
	s_mov_b64 s[4:5], -1
                                        ; implicit-def: $sgpr10
	s_and_saveexec_b64 s[8:9], vcc
; %bb.18226:
	s_mov_b32 s10, 0x7f800001
	s_xor_b64 s[4:5], exec, -1
; %bb.18227:
	s_or_b64 exec, exec, s[8:9]
	s_and_b64 s[4:5], s[4:5], exec
                                        ; implicit-def: $vgpr6
	s_or_saveexec_b64 s[6:7], s[6:7]
	v_mov_b32_e32 v2, s10
	s_xor_b64 exec, exec, s[6:7]
	s_cbranch_execnz .LBB2_18228
; %bb.54065:
	s_getpc_b64 s[14:15]
.Lpost_getpc30616:
	s_add_u32 s14, s14, (.LBB2_3890-.Lpost_getpc30616)&4294967295
	s_addc_u32 s15, s15, (.LBB2_3890-.Lpost_getpc30616)>>32
	s_setpc_b64 s[14:15]
.LBB2_18228:
	v_cmp_ne_u16_e32 vcc, 0, v6
	s_andn2_b64 s[4:5], s[4:5], exec
	s_and_b64 s[8:9], vcc, exec
	v_mov_b32_e32 v2, 0
	s_or_b64 s[4:5], s[4:5], s[8:9]
	s_or_b64 exec, exec, s[6:7]
	s_and_saveexec_b64 s[6:7], s[4:5]
	s_cbranch_execz .LBB2_30617
; %bb.54067:
	s_getpc_b64 s[14:15]
.Lpost_getpc30617:
	s_add_u32 s14, s14, (.LBB2_3891-.Lpost_getpc30617)&4294967295
	s_addc_u32 s15, s15, (.LBB2_3891-.Lpost_getpc30617)>>32
	s_setpc_b64 s[14:15]
.LBB2_30617:
	s_getpc_b64 s[14:15]
.Lpost_getpc18892:
	s_add_u32 s14, s14, (.LBB2_3892-.Lpost_getpc18892)&4294967295
	s_addc_u32 s15, s15, (.LBB2_3892-.Lpost_getpc18892)>>32
	s_setpc_b64 s[14:15]
.LBB2_18229:
	s_movk_i32 s4, 0x80
	v_cmp_eq_u16_e32 vcc, s4, v6
	s_mov_b64 s[4:5], -1
                                        ; implicit-def: $sgpr10
	s_and_saveexec_b64 s[8:9], vcc
; %bb.18230:
	s_mov_b32 s10, 0x7f800001
	s_xor_b64 s[4:5], exec, -1
; %bb.18231:
	s_or_b64 exec, exec, s[8:9]
	s_and_b64 s[4:5], s[4:5], exec
                                        ; implicit-def: $vgpr6
	s_or_saveexec_b64 s[6:7], s[6:7]
	v_mov_b32_e32 v12, s10
	s_xor_b64 exec, exec, s[6:7]
	s_cbranch_execnz .LBB2_18232
; %bb.54069:
	s_getpc_b64 s[14:15]
.Lpost_getpc30618:
	s_add_u32 s14, s14, (.LBB2_3894-.Lpost_getpc30618)&4294967295
	s_addc_u32 s15, s15, (.LBB2_3894-.Lpost_getpc30618)>>32
	s_setpc_b64 s[14:15]
.LBB2_18232:
	v_cmp_ne_u16_e32 vcc, 0, v6
	s_andn2_b64 s[4:5], s[4:5], exec
	s_and_b64 s[8:9], vcc, exec
	v_mov_b32_e32 v12, 0
	s_or_b64 s[4:5], s[4:5], s[8:9]
	s_or_b64 exec, exec, s[6:7]
	s_and_saveexec_b64 s[6:7], s[4:5]
	s_cbranch_execz .LBB2_30619
; %bb.54071:
	s_getpc_b64 s[14:15]
.Lpost_getpc30619:
	s_add_u32 s14, s14, (.LBB2_3895-.Lpost_getpc30619)&4294967295
	s_addc_u32 s15, s15, (.LBB2_3895-.Lpost_getpc30619)>>32
	s_setpc_b64 s[14:15]
.LBB2_30619:
	s_getpc_b64 s[14:15]
.Lpost_getpc18893:
	s_add_u32 s14, s14, (.LBB2_3896-.Lpost_getpc18893)&4294967295
	s_addc_u32 s15, s15, (.LBB2_3896-.Lpost_getpc18893)>>32
	s_setpc_b64 s[14:15]
.LBB2_18233:
	s_movk_i32 s4, 0x80
	v_cmp_eq_u16_sdwa s[12:13], v7, s4 src0_sel:BYTE_3 src1_sel:DWORD
	s_mov_b64 s[4:5], -1
                                        ; implicit-def: $sgpr10
	s_and_saveexec_b64 s[8:9], s[12:13]
; %bb.18234:
	s_mov_b32 s10, 0x7f800001
	s_xor_b64 s[4:5], exec, -1
; %bb.18235:
	s_or_b64 exec, exec, s[8:9]
	s_and_b64 s[4:5], s[4:5], exec
	s_or_saveexec_b64 s[6:7], s[6:7]
	v_mov_b32_e32 v2, s10
	s_xor_b64 exec, exec, s[6:7]
	s_cbranch_execnz .LBB2_18236
; %bb.54073:
	s_getpc_b64 s[14:15]
.Lpost_getpc30620:
	s_add_u32 s14, s14, (.LBB2_3898-.Lpost_getpc30620)&4294967295
	s_addc_u32 s15, s15, (.LBB2_3898-.Lpost_getpc30620)>>32
	s_setpc_b64 s[14:15]
.LBB2_18236:
	v_mov_b32_e32 v2, 0
	v_cmp_ne_u16_sdwa s[8:9], v7, v2 src0_sel:BYTE_3 src1_sel:DWORD
	s_andn2_b64 s[4:5], s[4:5], exec
	s_and_b64 s[8:9], s[8:9], exec
	s_or_b64 s[4:5], s[4:5], s[8:9]
	s_or_b64 exec, exec, s[6:7]
	s_and_saveexec_b64 s[6:7], s[4:5]
	s_cbranch_execz .LBB2_30621
; %bb.54075:
	s_getpc_b64 s[14:15]
.Lpost_getpc30621:
	s_add_u32 s14, s14, (.LBB2_3899-.Lpost_getpc30621)&4294967295
	s_addc_u32 s15, s15, (.LBB2_3899-.Lpost_getpc30621)>>32
	s_setpc_b64 s[14:15]
.LBB2_30621:
	s_getpc_b64 s[14:15]
.Lpost_getpc18894:
	s_add_u32 s14, s14, (.LBB2_3900-.Lpost_getpc18894)&4294967295
	s_addc_u32 s15, s15, (.LBB2_3900-.Lpost_getpc18894)>>32
	s_setpc_b64 s[14:15]
.LBB2_18237:
	s_movk_i32 s4, 0x80
	v_cmp_eq_u16_sdwa s[12:13], v3, s4 src0_sel:BYTE_3 src1_sel:DWORD
	s_mov_b64 s[4:5], -1
                                        ; implicit-def: $sgpr10
	s_and_saveexec_b64 s[8:9], s[12:13]
; %bb.18238:
	s_mov_b32 s10, 0x7f800001
	s_xor_b64 s[4:5], exec, -1
; %bb.18239:
	s_or_b64 exec, exec, s[8:9]
	s_and_b64 s[4:5], s[4:5], exec
	s_or_saveexec_b64 s[6:7], s[6:7]
	v_mov_b32_e32 v6, s10
	s_xor_b64 exec, exec, s[6:7]
	s_cbranch_execnz .LBB2_18240
; %bb.54077:
	s_getpc_b64 s[14:15]
.Lpost_getpc30622:
	s_add_u32 s14, s14, (.LBB2_3902-.Lpost_getpc30622)&4294967295
	s_addc_u32 s15, s15, (.LBB2_3902-.Lpost_getpc30622)>>32
	s_setpc_b64 s[14:15]
.LBB2_18240:
	v_mov_b32_e32 v6, 0
	v_cmp_ne_u16_sdwa s[8:9], v3, v6 src0_sel:BYTE_3 src1_sel:DWORD
	s_andn2_b64 s[4:5], s[4:5], exec
	s_and_b64 s[8:9], s[8:9], exec
	s_or_b64 s[4:5], s[4:5], s[8:9]
	s_or_b64 exec, exec, s[6:7]
	s_and_saveexec_b64 s[6:7], s[4:5]
	s_cbranch_execz .LBB2_30623
; %bb.54079:
	s_getpc_b64 s[14:15]
.Lpost_getpc30623:
	s_add_u32 s14, s14, (.LBB2_3903-.Lpost_getpc30623)&4294967295
	s_addc_u32 s15, s15, (.LBB2_3903-.Lpost_getpc30623)>>32
	s_setpc_b64 s[14:15]
.LBB2_30623:
	s_getpc_b64 s[14:15]
.Lpost_getpc18895:
	s_add_u32 s14, s14, (.LBB2_3904-.Lpost_getpc18895)&4294967295
	s_addc_u32 s15, s15, (.LBB2_3904-.Lpost_getpc18895)>>32
	s_setpc_b64 s[14:15]
.LBB2_18241:
	s_movk_i32 s4, 0x80
	v_cmp_eq_u16_sdwa s[12:13], v8, s4 src0_sel:BYTE_0 src1_sel:DWORD
	s_mov_b64 s[4:5], -1
                                        ; implicit-def: $sgpr10
	s_and_saveexec_b64 s[8:9], s[12:13]
; %bb.18242:
	s_mov_b32 s10, 0x7f800001
	s_xor_b64 s[4:5], exec, -1
; %bb.18243:
	s_or_b64 exec, exec, s[8:9]
	s_and_b64 s[4:5], s[4:5], exec
	s_or_saveexec_b64 s[6:7], s[6:7]
	v_mov_b32_e32 v2, s10
	s_xor_b64 exec, exec, s[6:7]
	s_cbranch_execnz .LBB2_18244
; %bb.54081:
	s_getpc_b64 s[14:15]
.Lpost_getpc30624:
	s_add_u32 s14, s14, (.LBB2_3906-.Lpost_getpc30624)&4294967295
	s_addc_u32 s15, s15, (.LBB2_3906-.Lpost_getpc30624)>>32
	s_setpc_b64 s[14:15]
.LBB2_18244:
	v_mov_b32_e32 v2, 0
	v_cmp_ne_u16_sdwa s[8:9], v8, v2 src0_sel:BYTE_0 src1_sel:DWORD
	s_andn2_b64 s[4:5], s[4:5], exec
	s_and_b64 s[8:9], s[8:9], exec
	s_or_b64 s[4:5], s[4:5], s[8:9]
	s_or_b64 exec, exec, s[6:7]
	s_and_saveexec_b64 s[6:7], s[4:5]
	s_cbranch_execz .LBB2_30625
; %bb.54083:
	s_getpc_b64 s[14:15]
.Lpost_getpc30625:
	s_add_u32 s14, s14, (.LBB2_3907-.Lpost_getpc30625)&4294967295
	s_addc_u32 s15, s15, (.LBB2_3907-.Lpost_getpc30625)>>32
	s_setpc_b64 s[14:15]
.LBB2_30625:
	s_getpc_b64 s[14:15]
.Lpost_getpc18896:
	s_add_u32 s14, s14, (.LBB2_3908-.Lpost_getpc18896)&4294967295
	s_addc_u32 s15, s15, (.LBB2_3908-.Lpost_getpc18896)>>32
	s_setpc_b64 s[14:15]
.LBB2_18245:
	s_movk_i32 s4, 0x80
	v_cmp_eq_u16_sdwa s[12:13], v4, s4 src0_sel:BYTE_0 src1_sel:DWORD
	s_mov_b64 s[4:5], -1
                                        ; implicit-def: $sgpr10
	s_and_saveexec_b64 s[8:9], s[12:13]
; %bb.18246:
	s_mov_b32 s10, 0x7f800001
	s_xor_b64 s[4:5], exec, -1
; %bb.18247:
	s_or_b64 exec, exec, s[8:9]
	s_and_b64 s[4:5], s[4:5], exec
	s_or_saveexec_b64 s[6:7], s[6:7]
	v_mov_b32_e32 v3, s10
	s_xor_b64 exec, exec, s[6:7]
	s_cbranch_execnz .LBB2_18248
; %bb.54085:
	s_getpc_b64 s[14:15]
.Lpost_getpc30626:
	s_add_u32 s14, s14, (.LBB2_3910-.Lpost_getpc30626)&4294967295
	s_addc_u32 s15, s15, (.LBB2_3910-.Lpost_getpc30626)>>32
	s_setpc_b64 s[14:15]
.LBB2_18248:
	v_mov_b32_e32 v3, 0
	v_cmp_ne_u16_sdwa s[8:9], v4, v3 src0_sel:BYTE_0 src1_sel:DWORD
	s_andn2_b64 s[4:5], s[4:5], exec
	s_and_b64 s[8:9], s[8:9], exec
	s_or_b64 s[4:5], s[4:5], s[8:9]
	s_or_b64 exec, exec, s[6:7]
	s_and_saveexec_b64 s[6:7], s[4:5]
	s_cbranch_execz .LBB2_30627
; %bb.54087:
	s_getpc_b64 s[14:15]
.Lpost_getpc30627:
	s_add_u32 s14, s14, (.LBB2_3911-.Lpost_getpc30627)&4294967295
	s_addc_u32 s15, s15, (.LBB2_3911-.Lpost_getpc30627)>>32
	s_setpc_b64 s[14:15]
.LBB2_30627:
	s_getpc_b64 s[14:15]
.Lpost_getpc18897:
	s_add_u32 s14, s14, (.LBB2_3912-.Lpost_getpc18897)&4294967295
	s_addc_u32 s15, s15, (.LBB2_3912-.Lpost_getpc18897)>>32
	s_setpc_b64 s[14:15]
.LBB2_18249:
	s_movk_i32 s4, 0x80
	v_cmp_eq_u16_sdwa s[12:13], v3, s4 src0_sel:BYTE_0 src1_sel:DWORD
	s_mov_b64 s[4:5], -1
                                        ; implicit-def: $sgpr10
	s_and_saveexec_b64 s[8:9], s[12:13]
; %bb.18250:
	s_mov_b32 s10, 0x7f800001
	s_xor_b64 s[4:5], exec, -1
; %bb.18251:
	s_or_b64 exec, exec, s[8:9]
	s_and_b64 s[4:5], s[4:5], exec
	s_or_saveexec_b64 s[6:7], s[6:7]
	v_mov_b32_e32 v2, s10
	s_xor_b64 exec, exec, s[6:7]
	s_cbranch_execnz .LBB2_18252
; %bb.54089:
	s_getpc_b64 s[14:15]
.Lpost_getpc30628:
	s_add_u32 s14, s14, (.LBB2_3914-.Lpost_getpc30628)&4294967295
	s_addc_u32 s15, s15, (.LBB2_3914-.Lpost_getpc30628)>>32
	s_setpc_b64 s[14:15]
.LBB2_18252:
	v_mov_b32_e32 v2, 0
	v_cmp_ne_u16_sdwa s[8:9], v3, v2 src0_sel:BYTE_0 src1_sel:DWORD
	s_andn2_b64 s[4:5], s[4:5], exec
	s_and_b64 s[8:9], s[8:9], exec
	s_or_b64 s[4:5], s[4:5], s[8:9]
	s_or_b64 exec, exec, s[6:7]
	s_and_saveexec_b64 s[6:7], s[4:5]
	s_cbranch_execz .LBB2_30629
; %bb.54091:
	s_getpc_b64 s[14:15]
.Lpost_getpc30629:
	s_add_u32 s14, s14, (.LBB2_3915-.Lpost_getpc30629)&4294967295
	s_addc_u32 s15, s15, (.LBB2_3915-.Lpost_getpc30629)>>32
	s_setpc_b64 s[14:15]
.LBB2_30629:
	s_getpc_b64 s[14:15]
.Lpost_getpc18898:
	s_add_u32 s14, s14, (.LBB2_3916-.Lpost_getpc18898)&4294967295
	s_addc_u32 s15, s15, (.LBB2_3916-.Lpost_getpc18898)>>32
	s_setpc_b64 s[14:15]
.LBB2_18253:
	s_movk_i32 s4, 0x80
	v_cmp_eq_u16_sdwa s[12:13], v3, s4 src0_sel:BYTE_0 src1_sel:DWORD
	s_mov_b64 s[4:5], -1
                                        ; implicit-def: $sgpr10
	s_and_saveexec_b64 s[8:9], s[12:13]
; %bb.18254:
	s_mov_b32 s10, 0x7f800001
	s_xor_b64 s[4:5], exec, -1
; %bb.18255:
	s_or_b64 exec, exec, s[8:9]
	s_and_b64 s[4:5], s[4:5], exec
	s_or_saveexec_b64 s[6:7], s[6:7]
	v_mov_b32_e32 v6, s10
	s_xor_b64 exec, exec, s[6:7]
	s_cbranch_execnz .LBB2_18256
; %bb.54093:
	s_getpc_b64 s[14:15]
.Lpost_getpc30630:
	s_add_u32 s14, s14, (.LBB2_3918-.Lpost_getpc30630)&4294967295
	s_addc_u32 s15, s15, (.LBB2_3918-.Lpost_getpc30630)>>32
	s_setpc_b64 s[14:15]
.LBB2_18256:
	v_mov_b32_e32 v6, 0
	v_cmp_ne_u16_sdwa s[8:9], v3, v6 src0_sel:BYTE_0 src1_sel:DWORD
	s_andn2_b64 s[4:5], s[4:5], exec
	s_and_b64 s[8:9], s[8:9], exec
	s_or_b64 s[4:5], s[4:5], s[8:9]
	s_or_b64 exec, exec, s[6:7]
	s_and_saveexec_b64 s[6:7], s[4:5]
	s_cbranch_execz .LBB2_30631
; %bb.54095:
	s_getpc_b64 s[14:15]
.Lpost_getpc30631:
	s_add_u32 s14, s14, (.LBB2_3919-.Lpost_getpc30631)&4294967295
	s_addc_u32 s15, s15, (.LBB2_3919-.Lpost_getpc30631)>>32
	s_setpc_b64 s[14:15]
.LBB2_30631:
	s_getpc_b64 s[14:15]
.Lpost_getpc18899:
	s_add_u32 s14, s14, (.LBB2_3920-.Lpost_getpc18899)&4294967295
	s_addc_u32 s15, s15, (.LBB2_3920-.Lpost_getpc18899)>>32
	s_setpc_b64 s[14:15]
.LBB2_18257:
	s_movk_i32 s4, 0x80
	v_cmp_eq_u16_e32 vcc, s4, v3
	s_mov_b64 s[4:5], -1
                                        ; implicit-def: $sgpr10
	s_and_saveexec_b64 s[8:9], vcc
; %bb.18258:
	s_mov_b32 s10, 0x7f800001
	s_xor_b64 s[4:5], exec, -1
; %bb.18259:
	s_or_b64 exec, exec, s[8:9]
	s_and_b64 s[4:5], s[4:5], exec
                                        ; implicit-def: $vgpr3
	s_or_saveexec_b64 s[6:7], s[6:7]
	v_mov_b32_e32 v2, s10
	s_xor_b64 exec, exec, s[6:7]
	s_cbranch_execnz .LBB2_18260
; %bb.54097:
	s_getpc_b64 s[14:15]
.Lpost_getpc30632:
	s_add_u32 s14, s14, (.LBB2_3922-.Lpost_getpc30632)&4294967295
	s_addc_u32 s15, s15, (.LBB2_3922-.Lpost_getpc30632)>>32
	s_setpc_b64 s[14:15]
.LBB2_18260:
	v_cmp_ne_u16_e32 vcc, 0, v3
	s_andn2_b64 s[4:5], s[4:5], exec
	s_and_b64 s[8:9], vcc, exec
	v_mov_b32_e32 v2, 0
	s_or_b64 s[4:5], s[4:5], s[8:9]
	s_or_b64 exec, exec, s[6:7]
	s_and_saveexec_b64 s[6:7], s[4:5]
	s_cbranch_execz .LBB2_30633
; %bb.54099:
	s_getpc_b64 s[14:15]
.Lpost_getpc30633:
	s_add_u32 s14, s14, (.LBB2_3923-.Lpost_getpc30633)&4294967295
	s_addc_u32 s15, s15, (.LBB2_3923-.Lpost_getpc30633)>>32
	s_setpc_b64 s[14:15]
.LBB2_30633:
	s_getpc_b64 s[14:15]
.Lpost_getpc18900:
	s_add_u32 s14, s14, (.LBB2_3924-.Lpost_getpc18900)&4294967295
	s_addc_u32 s15, s15, (.LBB2_3924-.Lpost_getpc18900)>>32
	s_setpc_b64 s[14:15]
.LBB2_18261:
	s_movk_i32 s4, 0x80
	v_cmp_eq_u16_e32 vcc, s4, v3
	s_mov_b64 s[4:5], -1
                                        ; implicit-def: $sgpr10
	s_and_saveexec_b64 s[8:9], vcc
; %bb.18262:
	s_mov_b32 s10, 0x7f800001
	s_xor_b64 s[4:5], exec, -1
; %bb.18263:
	s_or_b64 exec, exec, s[8:9]
	s_and_b64 s[4:5], s[4:5], exec
                                        ; implicit-def: $vgpr3
	s_or_saveexec_b64 s[6:7], s[6:7]
	v_mov_b32_e32 v6, s10
	s_xor_b64 exec, exec, s[6:7]
	s_cbranch_execnz .LBB2_18264
; %bb.54101:
	s_getpc_b64 s[14:15]
.Lpost_getpc30634:
	s_add_u32 s14, s14, (.LBB2_3926-.Lpost_getpc30634)&4294967295
	s_addc_u32 s15, s15, (.LBB2_3926-.Lpost_getpc30634)>>32
	s_setpc_b64 s[14:15]
.LBB2_18264:
	v_cmp_ne_u16_e32 vcc, 0, v3
	s_andn2_b64 s[4:5], s[4:5], exec
	s_and_b64 s[8:9], vcc, exec
	v_mov_b32_e32 v6, 0
	s_or_b64 s[4:5], s[4:5], s[8:9]
	s_or_b64 exec, exec, s[6:7]
	s_and_saveexec_b64 s[6:7], s[4:5]
	s_cbranch_execz .LBB2_30635
; %bb.54103:
	s_getpc_b64 s[14:15]
.Lpost_getpc30635:
	s_add_u32 s14, s14, (.LBB2_3927-.Lpost_getpc30635)&4294967295
	s_addc_u32 s15, s15, (.LBB2_3927-.Lpost_getpc30635)>>32
	s_setpc_b64 s[14:15]
.LBB2_30635:
	s_getpc_b64 s[14:15]
.Lpost_getpc18901:
	s_add_u32 s14, s14, (.LBB2_3928-.Lpost_getpc18901)&4294967295
	s_addc_u32 s15, s15, (.LBB2_3928-.Lpost_getpc18901)>>32
	s_setpc_b64 s[14:15]
.LBB2_18265:
	s_movk_i32 s4, 0x80
	v_cmp_eq_u16_sdwa s[12:13], v8, s4 src0_sel:BYTE_3 src1_sel:DWORD
	s_mov_b64 s[4:5], -1
                                        ; implicit-def: $sgpr10
	s_and_saveexec_b64 s[8:9], s[12:13]
; %bb.18266:
	s_mov_b32 s10, 0x7f800001
	s_xor_b64 s[4:5], exec, -1
; %bb.18267:
	s_or_b64 exec, exec, s[8:9]
	s_and_b64 s[4:5], s[4:5], exec
	s_or_saveexec_b64 s[6:7], s[6:7]
	v_mov_b32_e32 v2, s10
	s_xor_b64 exec, exec, s[6:7]
	s_cbranch_execnz .LBB2_18268
; %bb.54105:
	s_getpc_b64 s[14:15]
.Lpost_getpc30636:
	s_add_u32 s14, s14, (.LBB2_3930-.Lpost_getpc30636)&4294967295
	s_addc_u32 s15, s15, (.LBB2_3930-.Lpost_getpc30636)>>32
	s_setpc_b64 s[14:15]
.LBB2_18268:
	v_mov_b32_e32 v2, 0
	v_cmp_ne_u16_sdwa s[8:9], v8, v2 src0_sel:BYTE_3 src1_sel:DWORD
	s_andn2_b64 s[4:5], s[4:5], exec
	s_and_b64 s[8:9], s[8:9], exec
	s_or_b64 s[4:5], s[4:5], s[8:9]
	s_or_b64 exec, exec, s[6:7]
	s_and_saveexec_b64 s[6:7], s[4:5]
	s_cbranch_execz .LBB2_30637
; %bb.54107:
	s_getpc_b64 s[14:15]
.Lpost_getpc30637:
	s_add_u32 s14, s14, (.LBB2_3931-.Lpost_getpc30637)&4294967295
	s_addc_u32 s15, s15, (.LBB2_3931-.Lpost_getpc30637)>>32
	s_setpc_b64 s[14:15]
.LBB2_30637:
	s_getpc_b64 s[14:15]
.Lpost_getpc18902:
	s_add_u32 s14, s14, (.LBB2_3932-.Lpost_getpc18902)&4294967295
	s_addc_u32 s15, s15, (.LBB2_3932-.Lpost_getpc18902)>>32
	s_setpc_b64 s[14:15]
.LBB2_18269:
	s_movk_i32 s4, 0x80
	v_cmp_eq_u16_sdwa s[12:13], v4, s4 src0_sel:BYTE_3 src1_sel:DWORD
	s_mov_b64 s[4:5], -1
                                        ; implicit-def: $sgpr10
	s_and_saveexec_b64 s[8:9], s[12:13]
; %bb.18270:
	s_mov_b32 s10, 0x7f800001
	s_xor_b64 s[4:5], exec, -1
; %bb.18271:
	s_or_b64 exec, exec, s[8:9]
	s_and_b64 s[4:5], s[4:5], exec
	s_or_saveexec_b64 s[6:7], s[6:7]
	v_mov_b32_e32 v3, s10
	s_xor_b64 exec, exec, s[6:7]
	s_cbranch_execnz .LBB2_18272
; %bb.54109:
	s_getpc_b64 s[14:15]
.Lpost_getpc30638:
	s_add_u32 s14, s14, (.LBB2_3934-.Lpost_getpc30638)&4294967295
	s_addc_u32 s15, s15, (.LBB2_3934-.Lpost_getpc30638)>>32
	s_setpc_b64 s[14:15]
.LBB2_18272:
	v_mov_b32_e32 v3, 0
	v_cmp_ne_u16_sdwa s[8:9], v4, v3 src0_sel:BYTE_3 src1_sel:DWORD
	s_andn2_b64 s[4:5], s[4:5], exec
	s_and_b64 s[8:9], s[8:9], exec
	s_or_b64 s[4:5], s[4:5], s[8:9]
	s_or_b64 exec, exec, s[6:7]
	s_and_saveexec_b64 s[6:7], s[4:5]
	s_cbranch_execz .LBB2_30639
; %bb.54111:
	s_getpc_b64 s[14:15]
.Lpost_getpc30639:
	s_add_u32 s14, s14, (.LBB2_3935-.Lpost_getpc30639)&4294967295
	s_addc_u32 s15, s15, (.LBB2_3935-.Lpost_getpc30639)>>32
	s_setpc_b64 s[14:15]
.LBB2_30639:
	s_getpc_b64 s[14:15]
.Lpost_getpc18903:
	s_add_u32 s14, s14, (.LBB2_3936-.Lpost_getpc18903)&4294967295
	s_addc_u32 s15, s15, (.LBB2_3936-.Lpost_getpc18903)>>32
	s_setpc_b64 s[14:15]
.LBB2_18273:
	s_movk_i32 s4, 0x80
	v_cmp_eq_u16_sdwa s[12:13], v9, s4 src0_sel:BYTE_0 src1_sel:DWORD
	s_mov_b64 s[4:5], -1
                                        ; implicit-def: $sgpr10
	s_and_saveexec_b64 s[8:9], s[12:13]
; %bb.18274:
	s_mov_b32 s10, 0x7f800001
	s_xor_b64 s[4:5], exec, -1
; %bb.18275:
	s_or_b64 exec, exec, s[8:9]
	s_and_b64 s[4:5], s[4:5], exec
	s_or_saveexec_b64 s[6:7], s[6:7]
	v_mov_b32_e32 v2, s10
	s_xor_b64 exec, exec, s[6:7]
	s_cbranch_execnz .LBB2_18276
; %bb.54113:
	s_getpc_b64 s[14:15]
.Lpost_getpc30640:
	s_add_u32 s14, s14, (.LBB2_3938-.Lpost_getpc30640)&4294967295
	s_addc_u32 s15, s15, (.LBB2_3938-.Lpost_getpc30640)>>32
	s_setpc_b64 s[14:15]
.LBB2_18276:
	v_mov_b32_e32 v2, 0
	v_cmp_ne_u16_sdwa s[8:9], v9, v2 src0_sel:BYTE_0 src1_sel:DWORD
	s_andn2_b64 s[4:5], s[4:5], exec
	s_and_b64 s[8:9], s[8:9], exec
	s_or_b64 s[4:5], s[4:5], s[8:9]
	s_or_b64 exec, exec, s[6:7]
	s_and_saveexec_b64 s[6:7], s[4:5]
	s_cbranch_execz .LBB2_30641
; %bb.54115:
	s_getpc_b64 s[14:15]
.Lpost_getpc30641:
	s_add_u32 s14, s14, (.LBB2_3939-.Lpost_getpc30641)&4294967295
	s_addc_u32 s15, s15, (.LBB2_3939-.Lpost_getpc30641)>>32
	s_setpc_b64 s[14:15]
.LBB2_30641:
	s_getpc_b64 s[14:15]
.Lpost_getpc18904:
	s_add_u32 s14, s14, (.LBB2_3940-.Lpost_getpc18904)&4294967295
	s_addc_u32 s15, s15, (.LBB2_3940-.Lpost_getpc18904)>>32
	s_setpc_b64 s[14:15]
.LBB2_18277:
	s_movk_i32 s4, 0x80
	v_cmp_eq_u16_sdwa s[12:13], v5, s4 src0_sel:BYTE_0 src1_sel:DWORD
	s_mov_b64 s[4:5], -1
                                        ; implicit-def: $sgpr10
	s_and_saveexec_b64 s[8:9], s[12:13]
; %bb.18278:
	s_mov_b32 s10, 0x7f800001
	s_xor_b64 s[4:5], exec, -1
; %bb.18279:
	s_or_b64 exec, exec, s[8:9]
	s_and_b64 s[4:5], s[4:5], exec
	s_or_saveexec_b64 s[6:7], s[6:7]
	v_mov_b32_e32 v3, s10
	s_xor_b64 exec, exec, s[6:7]
	s_cbranch_execnz .LBB2_18280
; %bb.54117:
	s_getpc_b64 s[14:15]
.Lpost_getpc30642:
	s_add_u32 s14, s14, (.LBB2_3942-.Lpost_getpc30642)&4294967295
	s_addc_u32 s15, s15, (.LBB2_3942-.Lpost_getpc30642)>>32
	s_setpc_b64 s[14:15]
.LBB2_18280:
	v_mov_b32_e32 v3, 0
	v_cmp_ne_u16_sdwa s[8:9], v5, v3 src0_sel:BYTE_0 src1_sel:DWORD
	s_andn2_b64 s[4:5], s[4:5], exec
	s_and_b64 s[8:9], s[8:9], exec
	s_or_b64 s[4:5], s[4:5], s[8:9]
	s_or_b64 exec, exec, s[6:7]
	s_and_saveexec_b64 s[6:7], s[4:5]
	s_cbranch_execz .LBB2_30643
; %bb.54119:
	s_getpc_b64 s[14:15]
.Lpost_getpc30643:
	s_add_u32 s14, s14, (.LBB2_3943-.Lpost_getpc30643)&4294967295
	s_addc_u32 s15, s15, (.LBB2_3943-.Lpost_getpc30643)>>32
	s_setpc_b64 s[14:15]
.LBB2_30643:
	s_getpc_b64 s[14:15]
.Lpost_getpc18905:
	s_add_u32 s14, s14, (.LBB2_3944-.Lpost_getpc18905)&4294967295
	s_addc_u32 s15, s15, (.LBB2_3944-.Lpost_getpc18905)>>32
	s_setpc_b64 s[14:15]
.LBB2_18281:
	s_movk_i32 s4, 0x80
	v_cmp_eq_u16_sdwa s[12:13], v3, s4 src0_sel:BYTE_0 src1_sel:DWORD
	s_mov_b64 s[4:5], -1
                                        ; implicit-def: $sgpr10
	s_and_saveexec_b64 s[8:9], s[12:13]
; %bb.18282:
	s_mov_b32 s10, 0x7f800001
	s_xor_b64 s[4:5], exec, -1
; %bb.18283:
	s_or_b64 exec, exec, s[8:9]
	s_and_b64 s[4:5], s[4:5], exec
	s_or_saveexec_b64 s[6:7], s[6:7]
	v_mov_b32_e32 v2, s10
	s_xor_b64 exec, exec, s[6:7]
	s_cbranch_execnz .LBB2_18284
; %bb.54121:
	s_getpc_b64 s[14:15]
.Lpost_getpc30644:
	s_add_u32 s14, s14, (.LBB2_3946-.Lpost_getpc30644)&4294967295
	s_addc_u32 s15, s15, (.LBB2_3946-.Lpost_getpc30644)>>32
	s_setpc_b64 s[14:15]
.LBB2_18284:
	v_mov_b32_e32 v2, 0
	v_cmp_ne_u16_sdwa s[8:9], v3, v2 src0_sel:BYTE_0 src1_sel:DWORD
	s_andn2_b64 s[4:5], s[4:5], exec
	s_and_b64 s[8:9], s[8:9], exec
	s_or_b64 s[4:5], s[4:5], s[8:9]
	s_or_b64 exec, exec, s[6:7]
	s_and_saveexec_b64 s[6:7], s[4:5]
	s_cbranch_execz .LBB2_30645
; %bb.54123:
	s_getpc_b64 s[14:15]
.Lpost_getpc30645:
	s_add_u32 s14, s14, (.LBB2_3947-.Lpost_getpc30645)&4294967295
	s_addc_u32 s15, s15, (.LBB2_3947-.Lpost_getpc30645)>>32
	s_setpc_b64 s[14:15]
.LBB2_30645:
	s_getpc_b64 s[14:15]
.Lpost_getpc18906:
	s_add_u32 s14, s14, (.LBB2_3948-.Lpost_getpc18906)&4294967295
	s_addc_u32 s15, s15, (.LBB2_3948-.Lpost_getpc18906)>>32
	s_setpc_b64 s[14:15]
.LBB2_18285:
	s_movk_i32 s4, 0x80
	v_cmp_eq_u16_sdwa s[12:13], v3, s4 src0_sel:BYTE_0 src1_sel:DWORD
	s_mov_b64 s[4:5], -1
                                        ; implicit-def: $sgpr10
	s_and_saveexec_b64 s[8:9], s[12:13]
; %bb.18286:
	s_mov_b32 s10, 0x7f800001
	s_xor_b64 s[4:5], exec, -1
; %bb.18287:
	s_or_b64 exec, exec, s[8:9]
	s_and_b64 s[4:5], s[4:5], exec
	s_or_saveexec_b64 s[6:7], s[6:7]
	v_mov_b32_e32 v4, s10
	s_xor_b64 exec, exec, s[6:7]
	s_cbranch_execnz .LBB2_18288
; %bb.54125:
	s_getpc_b64 s[14:15]
.Lpost_getpc30646:
	s_add_u32 s14, s14, (.LBB2_3950-.Lpost_getpc30646)&4294967295
	s_addc_u32 s15, s15, (.LBB2_3950-.Lpost_getpc30646)>>32
	s_setpc_b64 s[14:15]
.LBB2_18288:
	v_mov_b32_e32 v4, 0
	v_cmp_ne_u16_sdwa s[8:9], v3, v4 src0_sel:BYTE_0 src1_sel:DWORD
	s_andn2_b64 s[4:5], s[4:5], exec
	s_and_b64 s[8:9], s[8:9], exec
	s_or_b64 s[4:5], s[4:5], s[8:9]
	s_or_b64 exec, exec, s[6:7]
	s_and_saveexec_b64 s[6:7], s[4:5]
	s_cbranch_execz .LBB2_30647
; %bb.54127:
	s_getpc_b64 s[14:15]
.Lpost_getpc30647:
	s_add_u32 s14, s14, (.LBB2_3951-.Lpost_getpc30647)&4294967295
	s_addc_u32 s15, s15, (.LBB2_3951-.Lpost_getpc30647)>>32
	s_setpc_b64 s[14:15]
.LBB2_30647:
	s_getpc_b64 s[14:15]
.Lpost_getpc18907:
	s_add_u32 s14, s14, (.LBB2_3952-.Lpost_getpc18907)&4294967295
	s_addc_u32 s15, s15, (.LBB2_3952-.Lpost_getpc18907)>>32
	s_setpc_b64 s[14:15]
.LBB2_18289:
	s_movk_i32 s4, 0x80
	v_cmp_eq_u16_e32 vcc, s4, v3
	s_mov_b64 s[4:5], -1
                                        ; implicit-def: $sgpr10
	s_and_saveexec_b64 s[8:9], vcc
; %bb.18290:
	s_mov_b32 s10, 0x7f800001
	s_xor_b64 s[4:5], exec, -1
; %bb.18291:
	s_or_b64 exec, exec, s[8:9]
	s_and_b64 s[4:5], s[4:5], exec
                                        ; implicit-def: $vgpr3
	s_or_saveexec_b64 s[6:7], s[6:7]
	v_mov_b32_e32 v2, s10
	s_xor_b64 exec, exec, s[6:7]
	s_cbranch_execnz .LBB2_18292
; %bb.54129:
	s_getpc_b64 s[14:15]
.Lpost_getpc30648:
	s_add_u32 s14, s14, (.LBB2_3954-.Lpost_getpc30648)&4294967295
	s_addc_u32 s15, s15, (.LBB2_3954-.Lpost_getpc30648)>>32
	s_setpc_b64 s[14:15]
.LBB2_18292:
	v_cmp_ne_u16_e32 vcc, 0, v3
	s_andn2_b64 s[4:5], s[4:5], exec
	s_and_b64 s[8:9], vcc, exec
	v_mov_b32_e32 v2, 0
	s_or_b64 s[4:5], s[4:5], s[8:9]
	s_or_b64 exec, exec, s[6:7]
	s_and_saveexec_b64 s[6:7], s[4:5]
	s_cbranch_execz .LBB2_30649
; %bb.54131:
	s_getpc_b64 s[14:15]
.Lpost_getpc30649:
	s_add_u32 s14, s14, (.LBB2_3955-.Lpost_getpc30649)&4294967295
	s_addc_u32 s15, s15, (.LBB2_3955-.Lpost_getpc30649)>>32
	s_setpc_b64 s[14:15]
.LBB2_30649:
	s_getpc_b64 s[14:15]
.Lpost_getpc18908:
	s_add_u32 s14, s14, (.LBB2_3956-.Lpost_getpc18908)&4294967295
	s_addc_u32 s15, s15, (.LBB2_3956-.Lpost_getpc18908)>>32
	s_setpc_b64 s[14:15]
.LBB2_18293:
	s_movk_i32 s4, 0x80
	v_cmp_eq_u16_e32 vcc, s4, v3
	s_mov_b64 s[4:5], -1
                                        ; implicit-def: $sgpr10
	s_and_saveexec_b64 s[8:9], vcc
; %bb.18294:
	s_mov_b32 s10, 0x7f800001
	s_xor_b64 s[4:5], exec, -1
; %bb.18295:
	s_or_b64 exec, exec, s[8:9]
	s_and_b64 s[4:5], s[4:5], exec
                                        ; implicit-def: $vgpr3
	s_or_saveexec_b64 s[6:7], s[6:7]
	v_mov_b32_e32 v4, s10
	s_xor_b64 exec, exec, s[6:7]
	s_cbranch_execnz .LBB2_18296
; %bb.54133:
	s_getpc_b64 s[14:15]
.Lpost_getpc30650:
	s_add_u32 s14, s14, (.LBB2_3958-.Lpost_getpc30650)&4294967295
	s_addc_u32 s15, s15, (.LBB2_3958-.Lpost_getpc30650)>>32
	s_setpc_b64 s[14:15]
.LBB2_18296:
	v_cmp_ne_u16_e32 vcc, 0, v3
	s_andn2_b64 s[4:5], s[4:5], exec
	s_and_b64 s[8:9], vcc, exec
	v_mov_b32_e32 v4, 0
	s_or_b64 s[4:5], s[4:5], s[8:9]
	s_or_b64 exec, exec, s[6:7]
	s_and_saveexec_b64 s[6:7], s[4:5]
	s_cbranch_execz .LBB2_30651
; %bb.54135:
	s_getpc_b64 s[14:15]
.Lpost_getpc30651:
	s_add_u32 s14, s14, (.LBB2_3959-.Lpost_getpc30651)&4294967295
	s_addc_u32 s15, s15, (.LBB2_3959-.Lpost_getpc30651)>>32
	s_setpc_b64 s[14:15]
.LBB2_30651:
	s_getpc_b64 s[14:15]
.Lpost_getpc18909:
	s_add_u32 s14, s14, (.LBB2_3960-.Lpost_getpc18909)&4294967295
	s_addc_u32 s15, s15, (.LBB2_3960-.Lpost_getpc18909)>>32
	s_setpc_b64 s[14:15]
.LBB2_18297:
	s_movk_i32 s4, 0x80
	v_cmp_eq_u16_sdwa s[12:13], v9, s4 src0_sel:BYTE_3 src1_sel:DWORD
	s_mov_b64 s[4:5], -1
                                        ; implicit-def: $sgpr10
	s_and_saveexec_b64 s[8:9], s[12:13]
; %bb.18298:
	s_mov_b32 s10, 0x7f800001
	s_xor_b64 s[4:5], exec, -1
; %bb.18299:
	s_or_b64 exec, exec, s[8:9]
	s_and_b64 s[4:5], s[4:5], exec
	s_or_saveexec_b64 s[6:7], s[6:7]
	v_mov_b32_e32 v2, s10
	s_xor_b64 exec, exec, s[6:7]
	s_cbranch_execnz .LBB2_18300
; %bb.54137:
	s_getpc_b64 s[14:15]
.Lpost_getpc30652:
	s_add_u32 s14, s14, (.LBB2_3962-.Lpost_getpc30652)&4294967295
	s_addc_u32 s15, s15, (.LBB2_3962-.Lpost_getpc30652)>>32
	s_setpc_b64 s[14:15]
.LBB2_18300:
	v_mov_b32_e32 v2, 0
	v_cmp_ne_u16_sdwa s[8:9], v9, v2 src0_sel:BYTE_3 src1_sel:DWORD
	s_andn2_b64 s[4:5], s[4:5], exec
	s_and_b64 s[8:9], s[8:9], exec
	s_or_b64 s[4:5], s[4:5], s[8:9]
	s_or_b64 exec, exec, s[6:7]
	s_and_saveexec_b64 s[6:7], s[4:5]
	s_cbranch_execz .LBB2_30653
; %bb.54139:
	s_getpc_b64 s[14:15]
.Lpost_getpc30653:
	s_add_u32 s14, s14, (.LBB2_3963-.Lpost_getpc30653)&4294967295
	s_addc_u32 s15, s15, (.LBB2_3963-.Lpost_getpc30653)>>32
	s_setpc_b64 s[14:15]
.LBB2_30653:
	s_getpc_b64 s[14:15]
.Lpost_getpc18910:
	s_add_u32 s14, s14, (.LBB2_3964-.Lpost_getpc18910)&4294967295
	s_addc_u32 s15, s15, (.LBB2_3964-.Lpost_getpc18910)>>32
	s_setpc_b64 s[14:15]
.LBB2_18301:
	s_movk_i32 s4, 0x80
	v_cmp_eq_u16_sdwa s[12:13], v5, s4 src0_sel:BYTE_3 src1_sel:DWORD
	s_mov_b64 s[4:5], -1
                                        ; implicit-def: $sgpr10
	s_and_saveexec_b64 s[8:9], s[12:13]
; %bb.18302:
	s_mov_b32 s10, 0x7f800001
	s_xor_b64 s[4:5], exec, -1
; %bb.18303:
	s_or_b64 exec, exec, s[8:9]
	s_and_b64 s[4:5], s[4:5], exec
	s_or_saveexec_b64 s[6:7], s[6:7]
	v_mov_b32_e32 v3, s10
	s_xor_b64 exec, exec, s[6:7]
	s_cbranch_execnz .LBB2_18304
; %bb.54141:
	s_getpc_b64 s[14:15]
.Lpost_getpc30654:
	s_add_u32 s14, s14, (.LBB2_3966-.Lpost_getpc30654)&4294967295
	s_addc_u32 s15, s15, (.LBB2_3966-.Lpost_getpc30654)>>32
	s_setpc_b64 s[14:15]
.LBB2_18304:
	v_mov_b32_e32 v3, 0
	v_cmp_ne_u16_sdwa s[8:9], v5, v3 src0_sel:BYTE_3 src1_sel:DWORD
	s_andn2_b64 s[4:5], s[4:5], exec
	s_and_b64 s[8:9], s[8:9], exec
	s_or_b64 s[4:5], s[4:5], s[8:9]
	s_or_b64 exec, exec, s[6:7]
	s_and_saveexec_b64 s[6:7], s[4:5]
	s_cbranch_execz .LBB2_30655
; %bb.54143:
	s_getpc_b64 s[14:15]
.Lpost_getpc30655:
	s_add_u32 s14, s14, (.LBB2_3967-.Lpost_getpc30655)&4294967295
	s_addc_u32 s15, s15, (.LBB2_3967-.Lpost_getpc30655)>>32
	s_setpc_b64 s[14:15]
.LBB2_30655:
	s_getpc_b64 s[14:15]
.Lpost_getpc18911:
	s_add_u32 s14, s14, (.LBB2_3968-.Lpost_getpc18911)&4294967295
	s_addc_u32 s15, s15, (.LBB2_3968-.Lpost_getpc18911)>>32
	s_setpc_b64 s[14:15]
.LBB2_18305:
	s_movk_i32 s4, 0x80
	v_cmp_eq_u16_sdwa s[12:13], v6, s4 src0_sel:BYTE_0 src1_sel:DWORD
	s_mov_b64 s[4:5], -1
                                        ; implicit-def: $sgpr10
	s_and_saveexec_b64 s[8:9], s[12:13]
; %bb.18306:
	s_mov_b32 s10, 0x7f800001
	s_xor_b64 s[4:5], exec, -1
; %bb.18307:
	s_or_b64 exec, exec, s[8:9]
	s_and_b64 s[4:5], s[4:5], exec
	s_or_saveexec_b64 s[6:7], s[6:7]
	v_mov_b32_e32 v12, s10
	s_xor_b64 exec, exec, s[6:7]
	s_cbranch_execnz .LBB2_18308
; %bb.54145:
	s_getpc_b64 s[14:15]
.Lpost_getpc30656:
	s_add_u32 s14, s14, (.LBB2_3970-.Lpost_getpc30656)&4294967295
	s_addc_u32 s15, s15, (.LBB2_3970-.Lpost_getpc30656)>>32
	s_setpc_b64 s[14:15]
.LBB2_18308:
	v_mov_b32_e32 v12, 0
	v_cmp_ne_u16_sdwa s[8:9], v6, v12 src0_sel:BYTE_0 src1_sel:DWORD
	s_andn2_b64 s[4:5], s[4:5], exec
	s_and_b64 s[8:9], s[8:9], exec
	s_or_b64 s[4:5], s[4:5], s[8:9]
	s_or_b64 exec, exec, s[6:7]
	s_and_saveexec_b64 s[6:7], s[4:5]
	s_cbranch_execz .LBB2_30657
; %bb.54147:
	s_getpc_b64 s[14:15]
.Lpost_getpc30657:
	s_add_u32 s14, s14, (.LBB2_3971-.Lpost_getpc30657)&4294967295
	s_addc_u32 s15, s15, (.LBB2_3971-.Lpost_getpc30657)>>32
	s_setpc_b64 s[14:15]
.LBB2_30657:
	s_getpc_b64 s[14:15]
.Lpost_getpc18912:
	s_add_u32 s14, s14, (.LBB2_3972-.Lpost_getpc18912)&4294967295
	s_addc_u32 s15, s15, (.LBB2_3972-.Lpost_getpc18912)>>32
	s_setpc_b64 s[14:15]
.LBB2_18309:
	s_movk_i32 s4, 0x80
	v_cmp_eq_u16_sdwa s[12:13], v2, s4 src0_sel:BYTE_0 src1_sel:DWORD
	s_mov_b64 s[4:5], -1
                                        ; implicit-def: $sgpr10
	s_and_saveexec_b64 s[8:9], s[12:13]
; %bb.18310:
	s_mov_b32 s10, 0x7f800001
	s_xor_b64 s[4:5], exec, -1
; %bb.18311:
	s_or_b64 exec, exec, s[8:9]
	s_and_b64 s[4:5], s[4:5], exec
	s_or_saveexec_b64 s[6:7], s[6:7]
	v_mov_b32_e32 v13, s10
	s_xor_b64 exec, exec, s[6:7]
	s_cbranch_execnz .LBB2_18312
; %bb.54149:
	s_getpc_b64 s[14:15]
.Lpost_getpc30658:
	s_add_u32 s14, s14, (.LBB2_3974-.Lpost_getpc30658)&4294967295
	s_addc_u32 s15, s15, (.LBB2_3974-.Lpost_getpc30658)>>32
	s_setpc_b64 s[14:15]
.LBB2_18312:
	v_mov_b32_e32 v13, 0
	v_cmp_ne_u16_sdwa s[8:9], v2, v13 src0_sel:BYTE_0 src1_sel:DWORD
	s_andn2_b64 s[4:5], s[4:5], exec
	s_and_b64 s[8:9], s[8:9], exec
	s_or_b64 s[4:5], s[4:5], s[8:9]
	s_or_b64 exec, exec, s[6:7]
	s_and_saveexec_b64 s[6:7], s[4:5]
	s_cbranch_execz .LBB2_30659
; %bb.54151:
	s_getpc_b64 s[14:15]
.Lpost_getpc30659:
	s_add_u32 s14, s14, (.LBB2_3975-.Lpost_getpc30659)&4294967295
	s_addc_u32 s15, s15, (.LBB2_3975-.Lpost_getpc30659)>>32
	s_setpc_b64 s[14:15]
.LBB2_30659:
	s_getpc_b64 s[14:15]
.Lpost_getpc18913:
	s_add_u32 s14, s14, (.LBB2_3976-.Lpost_getpc18913)&4294967295
	s_addc_u32 s15, s15, (.LBB2_3976-.Lpost_getpc18913)>>32
	s_setpc_b64 s[14:15]
.LBB2_18313:
	s_movk_i32 s4, 0x80
	v_cmp_eq_u16_sdwa s[12:13], v13, s4 src0_sel:BYTE_0 src1_sel:DWORD
	s_mov_b64 s[4:5], -1
                                        ; implicit-def: $sgpr10
	s_and_saveexec_b64 s[8:9], s[12:13]
; %bb.18314:
	s_mov_b32 s10, 0x7f800001
	s_xor_b64 s[4:5], exec, -1
; %bb.18315:
	s_or_b64 exec, exec, s[8:9]
	s_and_b64 s[4:5], s[4:5], exec
	s_or_saveexec_b64 s[6:7], s[6:7]
	v_mov_b32_e32 v12, s10
	s_xor_b64 exec, exec, s[6:7]
	s_cbranch_execnz .LBB2_18316
; %bb.54153:
	s_getpc_b64 s[14:15]
.Lpost_getpc30660:
	s_add_u32 s14, s14, (.LBB2_3978-.Lpost_getpc30660)&4294967295
	s_addc_u32 s15, s15, (.LBB2_3978-.Lpost_getpc30660)>>32
	s_setpc_b64 s[14:15]
.LBB2_18316:
	v_mov_b32_e32 v12, 0
	v_cmp_ne_u16_sdwa s[8:9], v13, v12 src0_sel:BYTE_0 src1_sel:DWORD
	s_andn2_b64 s[4:5], s[4:5], exec
	s_and_b64 s[8:9], s[8:9], exec
	s_or_b64 s[4:5], s[4:5], s[8:9]
	s_or_b64 exec, exec, s[6:7]
	s_and_saveexec_b64 s[6:7], s[4:5]
	s_cbranch_execz .LBB2_30661
; %bb.54155:
	s_getpc_b64 s[14:15]
.Lpost_getpc30661:
	s_add_u32 s14, s14, (.LBB2_3979-.Lpost_getpc30661)&4294967295
	s_addc_u32 s15, s15, (.LBB2_3979-.Lpost_getpc30661)>>32
	s_setpc_b64 s[14:15]
.LBB2_30661:
	s_getpc_b64 s[14:15]
.Lpost_getpc18914:
	s_add_u32 s14, s14, (.LBB2_3980-.Lpost_getpc18914)&4294967295
	s_addc_u32 s15, s15, (.LBB2_3980-.Lpost_getpc18914)>>32
	s_setpc_b64 s[14:15]
.LBB2_18317:
	s_movk_i32 s4, 0x80
	v_cmp_eq_u16_sdwa s[12:13], v13, s4 src0_sel:BYTE_0 src1_sel:DWORD
	s_mov_b64 s[4:5], -1
                                        ; implicit-def: $sgpr10
	s_and_saveexec_b64 s[8:9], s[12:13]
; %bb.18318:
	s_mov_b32 s10, 0x7f800001
	s_xor_b64 s[4:5], exec, -1
; %bb.18319:
	s_or_b64 exec, exec, s[8:9]
	s_and_b64 s[4:5], s[4:5], exec
	s_or_saveexec_b64 s[6:7], s[6:7]
	v_mov_b32_e32 v14, s10
	s_xor_b64 exec, exec, s[6:7]
	s_cbranch_execnz .LBB2_18320
; %bb.54157:
	s_getpc_b64 s[14:15]
.Lpost_getpc30662:
	s_add_u32 s14, s14, (.LBB2_3982-.Lpost_getpc30662)&4294967295
	s_addc_u32 s15, s15, (.LBB2_3982-.Lpost_getpc30662)>>32
	s_setpc_b64 s[14:15]
.LBB2_18320:
	v_mov_b32_e32 v14, 0
	v_cmp_ne_u16_sdwa s[8:9], v13, v14 src0_sel:BYTE_0 src1_sel:DWORD
	s_andn2_b64 s[4:5], s[4:5], exec
	s_and_b64 s[8:9], s[8:9], exec
	s_or_b64 s[4:5], s[4:5], s[8:9]
	s_or_b64 exec, exec, s[6:7]
	s_and_saveexec_b64 s[6:7], s[4:5]
	s_cbranch_execz .LBB2_30663
; %bb.54159:
	s_getpc_b64 s[14:15]
.Lpost_getpc30663:
	s_add_u32 s14, s14, (.LBB2_3983-.Lpost_getpc30663)&4294967295
	s_addc_u32 s15, s15, (.LBB2_3983-.Lpost_getpc30663)>>32
	s_setpc_b64 s[14:15]
.LBB2_30663:
	s_getpc_b64 s[14:15]
.Lpost_getpc18915:
	s_add_u32 s14, s14, (.LBB2_3984-.Lpost_getpc18915)&4294967295
	s_addc_u32 s15, s15, (.LBB2_3984-.Lpost_getpc18915)>>32
	s_setpc_b64 s[14:15]
.LBB2_18321:
	s_movk_i32 s4, 0x80
	v_cmp_eq_u16_e32 vcc, s4, v13
	s_mov_b64 s[4:5], -1
                                        ; implicit-def: $sgpr10
	s_and_saveexec_b64 s[8:9], vcc
; %bb.18322:
	s_mov_b32 s10, 0x7f800001
	s_xor_b64 s[4:5], exec, -1
; %bb.18323:
	s_or_b64 exec, exec, s[8:9]
	s_and_b64 s[4:5], s[4:5], exec
                                        ; implicit-def: $vgpr13
	s_or_saveexec_b64 s[6:7], s[6:7]
	v_mov_b32_e32 v12, s10
	s_xor_b64 exec, exec, s[6:7]
	s_cbranch_execnz .LBB2_18324
; %bb.54161:
	s_getpc_b64 s[14:15]
.Lpost_getpc30664:
	s_add_u32 s14, s14, (.LBB2_3986-.Lpost_getpc30664)&4294967295
	s_addc_u32 s15, s15, (.LBB2_3986-.Lpost_getpc30664)>>32
	s_setpc_b64 s[14:15]
.LBB2_18324:
	v_cmp_ne_u16_e32 vcc, 0, v13
	s_andn2_b64 s[4:5], s[4:5], exec
	s_and_b64 s[8:9], vcc, exec
	v_mov_b32_e32 v12, 0
	s_or_b64 s[4:5], s[4:5], s[8:9]
	s_or_b64 exec, exec, s[6:7]
	s_and_saveexec_b64 s[6:7], s[4:5]
	s_cbranch_execz .LBB2_30665
; %bb.54163:
	s_getpc_b64 s[14:15]
.Lpost_getpc30665:
	s_add_u32 s14, s14, (.LBB2_3987-.Lpost_getpc30665)&4294967295
	s_addc_u32 s15, s15, (.LBB2_3987-.Lpost_getpc30665)>>32
	s_setpc_b64 s[14:15]
.LBB2_30665:
	s_getpc_b64 s[14:15]
.Lpost_getpc18916:
	s_add_u32 s14, s14, (.LBB2_3988-.Lpost_getpc18916)&4294967295
	s_addc_u32 s15, s15, (.LBB2_3988-.Lpost_getpc18916)>>32
	s_setpc_b64 s[14:15]
.LBB2_18325:
	s_movk_i32 s4, 0x80
	v_cmp_eq_u16_e32 vcc, s4, v13
	s_mov_b64 s[4:5], -1
                                        ; implicit-def: $sgpr10
	s_and_saveexec_b64 s[8:9], vcc
; %bb.18326:
	s_mov_b32 s10, 0x7f800001
	s_xor_b64 s[4:5], exec, -1
; %bb.18327:
	s_or_b64 exec, exec, s[8:9]
	s_and_b64 s[4:5], s[4:5], exec
                                        ; implicit-def: $vgpr13
	s_or_saveexec_b64 s[6:7], s[6:7]
	v_mov_b32_e32 v14, s10
	s_xor_b64 exec, exec, s[6:7]
	s_cbranch_execnz .LBB2_18328
; %bb.54165:
	s_getpc_b64 s[14:15]
.Lpost_getpc30666:
	s_add_u32 s14, s14, (.LBB2_3990-.Lpost_getpc30666)&4294967295
	s_addc_u32 s15, s15, (.LBB2_3990-.Lpost_getpc30666)>>32
	s_setpc_b64 s[14:15]
.LBB2_18328:
	v_cmp_ne_u16_e32 vcc, 0, v13
	s_andn2_b64 s[4:5], s[4:5], exec
	s_and_b64 s[8:9], vcc, exec
	v_mov_b32_e32 v14, 0
	s_or_b64 s[4:5], s[4:5], s[8:9]
	s_or_b64 exec, exec, s[6:7]
	s_and_saveexec_b64 s[6:7], s[4:5]
	s_cbranch_execz .LBB2_30667
; %bb.54167:
	s_getpc_b64 s[14:15]
.Lpost_getpc30667:
	s_add_u32 s14, s14, (.LBB2_3991-.Lpost_getpc30667)&4294967295
	s_addc_u32 s15, s15, (.LBB2_3991-.Lpost_getpc30667)>>32
	s_setpc_b64 s[14:15]
.LBB2_30667:
	s_getpc_b64 s[14:15]
.Lpost_getpc18917:
	s_add_u32 s14, s14, (.LBB2_3992-.Lpost_getpc18917)&4294967295
	s_addc_u32 s15, s15, (.LBB2_3992-.Lpost_getpc18917)>>32
	s_setpc_b64 s[14:15]
.LBB2_18329:
	s_movk_i32 s4, 0x80
	v_cmp_eq_u16_sdwa s[12:13], v6, s4 src0_sel:BYTE_3 src1_sel:DWORD
	s_mov_b64 s[4:5], -1
                                        ; implicit-def: $sgpr10
	s_and_saveexec_b64 s[8:9], s[12:13]
; %bb.18330:
	s_mov_b32 s10, 0x7f800001
	s_xor_b64 s[4:5], exec, -1
; %bb.18331:
	s_or_b64 exec, exec, s[8:9]
	s_and_b64 s[4:5], s[4:5], exec
	s_or_saveexec_b64 s[6:7], s[6:7]
	v_mov_b32_e32 v12, s10
	s_xor_b64 exec, exec, s[6:7]
	s_cbranch_execnz .LBB2_18332
; %bb.54169:
	s_getpc_b64 s[14:15]
.Lpost_getpc30668:
	s_add_u32 s14, s14, (.LBB2_3994-.Lpost_getpc30668)&4294967295
	s_addc_u32 s15, s15, (.LBB2_3994-.Lpost_getpc30668)>>32
	s_setpc_b64 s[14:15]
.LBB2_18332:
	v_mov_b32_e32 v12, 0
	v_cmp_ne_u16_sdwa s[8:9], v6, v12 src0_sel:BYTE_3 src1_sel:DWORD
	s_andn2_b64 s[4:5], s[4:5], exec
	s_and_b64 s[8:9], s[8:9], exec
	s_or_b64 s[4:5], s[4:5], s[8:9]
	s_or_b64 exec, exec, s[6:7]
	s_and_saveexec_b64 s[6:7], s[4:5]
	s_cbranch_execz .LBB2_30669
; %bb.54171:
	s_getpc_b64 s[14:15]
.Lpost_getpc30669:
	s_add_u32 s14, s14, (.LBB2_3995-.Lpost_getpc30669)&4294967295
	s_addc_u32 s15, s15, (.LBB2_3995-.Lpost_getpc30669)>>32
	s_setpc_b64 s[14:15]
.LBB2_30669:
	s_getpc_b64 s[14:15]
.Lpost_getpc18918:
	s_add_u32 s14, s14, (.LBB2_3996-.Lpost_getpc18918)&4294967295
	s_addc_u32 s15, s15, (.LBB2_3996-.Lpost_getpc18918)>>32
	s_setpc_b64 s[14:15]
.LBB2_18333:
	s_movk_i32 s4, 0x80
	v_cmp_eq_u16_sdwa s[12:13], v2, s4 src0_sel:BYTE_3 src1_sel:DWORD
	s_mov_b64 s[4:5], -1
                                        ; implicit-def: $sgpr10
	s_and_saveexec_b64 s[8:9], s[12:13]
; %bb.18334:
	s_mov_b32 s10, 0x7f800001
	s_xor_b64 s[4:5], exec, -1
; %bb.18335:
	s_or_b64 exec, exec, s[8:9]
	s_and_b64 s[4:5], s[4:5], exec
	s_or_saveexec_b64 s[6:7], s[6:7]
	v_mov_b32_e32 v6, s10
	s_xor_b64 exec, exec, s[6:7]
	s_cbranch_execnz .LBB2_18336
; %bb.54173:
	s_getpc_b64 s[14:15]
.Lpost_getpc30670:
	s_add_u32 s14, s14, (.LBB2_3998-.Lpost_getpc30670)&4294967295
	s_addc_u32 s15, s15, (.LBB2_3998-.Lpost_getpc30670)>>32
	s_setpc_b64 s[14:15]
.LBB2_18336:
	v_mov_b32_e32 v6, 0
	v_cmp_ne_u16_sdwa s[8:9], v2, v6 src0_sel:BYTE_3 src1_sel:DWORD
	s_andn2_b64 s[4:5], s[4:5], exec
	s_and_b64 s[8:9], s[8:9], exec
	s_or_b64 s[4:5], s[4:5], s[8:9]
	s_or_b64 exec, exec, s[6:7]
	s_and_saveexec_b64 s[6:7], s[4:5]
	s_cbranch_execz .LBB2_30671
; %bb.54175:
	s_getpc_b64 s[14:15]
.Lpost_getpc30671:
	s_add_u32 s14, s14, (.LBB2_3999-.Lpost_getpc30671)&4294967295
	s_addc_u32 s15, s15, (.LBB2_3999-.Lpost_getpc30671)>>32
	s_setpc_b64 s[14:15]
.LBB2_30671:
	s_getpc_b64 s[14:15]
.Lpost_getpc18919:
	s_add_u32 s14, s14, (.LBB2_4000-.Lpost_getpc18919)&4294967295
	s_addc_u32 s15, s15, (.LBB2_4000-.Lpost_getpc18919)>>32
	s_setpc_b64 s[14:15]
.LBB2_18337:
	s_movk_i32 s4, 0x80
	v_cmp_eq_u16_sdwa s[12:13], v7, s4 src0_sel:BYTE_0 src1_sel:DWORD
	s_mov_b64 s[4:5], -1
                                        ; implicit-def: $sgpr10
	s_and_saveexec_b64 s[8:9], s[12:13]
; %bb.18338:
	s_mov_b32 s10, 0x7f800001
	s_xor_b64 s[4:5], exec, -1
; %bb.18339:
	s_or_b64 exec, exec, s[8:9]
	s_and_b64 s[4:5], s[4:5], exec
	s_or_saveexec_b64 s[6:7], s[6:7]
	v_mov_b32_e32 v2, s10
	s_xor_b64 exec, exec, s[6:7]
	s_cbranch_execnz .LBB2_18340
; %bb.54177:
	s_getpc_b64 s[14:15]
.Lpost_getpc30672:
	s_add_u32 s14, s14, (.LBB2_4002-.Lpost_getpc30672)&4294967295
	s_addc_u32 s15, s15, (.LBB2_4002-.Lpost_getpc30672)>>32
	s_setpc_b64 s[14:15]
.LBB2_18340:
	v_mov_b32_e32 v2, 0
	v_cmp_ne_u16_sdwa s[8:9], v7, v2 src0_sel:BYTE_0 src1_sel:DWORD
	s_andn2_b64 s[4:5], s[4:5], exec
	s_and_b64 s[8:9], s[8:9], exec
	s_or_b64 s[4:5], s[4:5], s[8:9]
	s_or_b64 exec, exec, s[6:7]
	s_and_saveexec_b64 s[6:7], s[4:5]
	s_cbranch_execz .LBB2_30673
; %bb.54179:
	s_getpc_b64 s[14:15]
.Lpost_getpc30673:
	s_add_u32 s14, s14, (.LBB2_4003-.Lpost_getpc30673)&4294967295
	s_addc_u32 s15, s15, (.LBB2_4003-.Lpost_getpc30673)>>32
	s_setpc_b64 s[14:15]
.LBB2_30673:
	s_getpc_b64 s[14:15]
.Lpost_getpc18920:
	s_add_u32 s14, s14, (.LBB2_4004-.Lpost_getpc18920)&4294967295
	s_addc_u32 s15, s15, (.LBB2_4004-.Lpost_getpc18920)>>32
	s_setpc_b64 s[14:15]
.LBB2_18341:
	s_movk_i32 s4, 0x80
	v_cmp_eq_u16_sdwa s[12:13], v3, s4 src0_sel:BYTE_0 src1_sel:DWORD
	s_mov_b64 s[4:5], -1
                                        ; implicit-def: $sgpr10
	s_and_saveexec_b64 s[8:9], s[12:13]
; %bb.18342:
	s_mov_b32 s10, 0x7f800001
	s_xor_b64 s[4:5], exec, -1
; %bb.18343:
	s_or_b64 exec, exec, s[8:9]
	s_and_b64 s[4:5], s[4:5], exec
	s_or_saveexec_b64 s[6:7], s[6:7]
	v_mov_b32_e32 v6, s10
	s_xor_b64 exec, exec, s[6:7]
	s_cbranch_execnz .LBB2_18344
; %bb.54181:
	s_getpc_b64 s[14:15]
.Lpost_getpc30674:
	s_add_u32 s14, s14, (.LBB2_4006-.Lpost_getpc30674)&4294967295
	s_addc_u32 s15, s15, (.LBB2_4006-.Lpost_getpc30674)>>32
	s_setpc_b64 s[14:15]
.LBB2_18344:
	v_mov_b32_e32 v6, 0
	v_cmp_ne_u16_sdwa s[8:9], v3, v6 src0_sel:BYTE_0 src1_sel:DWORD
	s_andn2_b64 s[4:5], s[4:5], exec
	s_and_b64 s[8:9], s[8:9], exec
	s_or_b64 s[4:5], s[4:5], s[8:9]
	s_or_b64 exec, exec, s[6:7]
	s_and_saveexec_b64 s[6:7], s[4:5]
	s_cbranch_execz .LBB2_30675
; %bb.54183:
	s_getpc_b64 s[14:15]
.Lpost_getpc30675:
	s_add_u32 s14, s14, (.LBB2_4007-.Lpost_getpc30675)&4294967295
	s_addc_u32 s15, s15, (.LBB2_4007-.Lpost_getpc30675)>>32
	s_setpc_b64 s[14:15]
.LBB2_30675:
	s_getpc_b64 s[14:15]
.Lpost_getpc18921:
	s_add_u32 s14, s14, (.LBB2_4008-.Lpost_getpc18921)&4294967295
	s_addc_u32 s15, s15, (.LBB2_4008-.Lpost_getpc18921)>>32
	s_setpc_b64 s[14:15]
.LBB2_18345:
	s_movk_i32 s4, 0x80
	v_cmp_eq_u16_sdwa s[12:13], v6, s4 src0_sel:BYTE_0 src1_sel:DWORD
	s_mov_b64 s[4:5], -1
                                        ; implicit-def: $sgpr10
	s_and_saveexec_b64 s[8:9], s[12:13]
; %bb.18346:
	s_mov_b32 s10, 0x7f800001
	s_xor_b64 s[4:5], exec, -1
; %bb.18347:
	s_or_b64 exec, exec, s[8:9]
	s_and_b64 s[4:5], s[4:5], exec
	s_or_saveexec_b64 s[6:7], s[6:7]
	v_mov_b32_e32 v2, s10
	s_xor_b64 exec, exec, s[6:7]
	s_cbranch_execnz .LBB2_18348
; %bb.54185:
	s_getpc_b64 s[14:15]
.Lpost_getpc30676:
	s_add_u32 s14, s14, (.LBB2_4010-.Lpost_getpc30676)&4294967295
	s_addc_u32 s15, s15, (.LBB2_4010-.Lpost_getpc30676)>>32
	s_setpc_b64 s[14:15]
.LBB2_18348:
	v_mov_b32_e32 v2, 0
	v_cmp_ne_u16_sdwa s[8:9], v6, v2 src0_sel:BYTE_0 src1_sel:DWORD
	s_andn2_b64 s[4:5], s[4:5], exec
	s_and_b64 s[8:9], s[8:9], exec
	s_or_b64 s[4:5], s[4:5], s[8:9]
	s_or_b64 exec, exec, s[6:7]
	s_and_saveexec_b64 s[6:7], s[4:5]
	s_cbranch_execz .LBB2_30677
; %bb.54187:
	s_getpc_b64 s[14:15]
.Lpost_getpc30677:
	s_add_u32 s14, s14, (.LBB2_4011-.Lpost_getpc30677)&4294967295
	s_addc_u32 s15, s15, (.LBB2_4011-.Lpost_getpc30677)>>32
	s_setpc_b64 s[14:15]
.LBB2_30677:
	s_getpc_b64 s[14:15]
.Lpost_getpc18922:
	s_add_u32 s14, s14, (.LBB2_4012-.Lpost_getpc18922)&4294967295
	s_addc_u32 s15, s15, (.LBB2_4012-.Lpost_getpc18922)>>32
	s_setpc_b64 s[14:15]
.LBB2_18349:
	s_movk_i32 s4, 0x80
	v_cmp_eq_u16_sdwa s[12:13], v6, s4 src0_sel:BYTE_0 src1_sel:DWORD
	s_mov_b64 s[4:5], -1
                                        ; implicit-def: $sgpr10
	s_and_saveexec_b64 s[8:9], s[12:13]
; %bb.18350:
	s_mov_b32 s10, 0x7f800001
	s_xor_b64 s[4:5], exec, -1
; %bb.18351:
	s_or_b64 exec, exec, s[8:9]
	s_and_b64 s[4:5], s[4:5], exec
	s_or_saveexec_b64 s[6:7], s[6:7]
	v_mov_b32_e32 v12, s10
	s_xor_b64 exec, exec, s[6:7]
	s_cbranch_execnz .LBB2_18352
; %bb.54189:
	s_getpc_b64 s[14:15]
.Lpost_getpc30678:
	s_add_u32 s14, s14, (.LBB2_4014-.Lpost_getpc30678)&4294967295
	s_addc_u32 s15, s15, (.LBB2_4014-.Lpost_getpc30678)>>32
	s_setpc_b64 s[14:15]
.LBB2_18352:
	v_mov_b32_e32 v12, 0
	v_cmp_ne_u16_sdwa s[8:9], v6, v12 src0_sel:BYTE_0 src1_sel:DWORD
	s_andn2_b64 s[4:5], s[4:5], exec
	s_and_b64 s[8:9], s[8:9], exec
	s_or_b64 s[4:5], s[4:5], s[8:9]
	s_or_b64 exec, exec, s[6:7]
	s_and_saveexec_b64 s[6:7], s[4:5]
	s_cbranch_execz .LBB2_30679
; %bb.54191:
	s_getpc_b64 s[14:15]
.Lpost_getpc30679:
	s_add_u32 s14, s14, (.LBB2_4015-.Lpost_getpc30679)&4294967295
	s_addc_u32 s15, s15, (.LBB2_4015-.Lpost_getpc30679)>>32
	s_setpc_b64 s[14:15]
.LBB2_30679:
	s_getpc_b64 s[14:15]
.Lpost_getpc18923:
	s_add_u32 s14, s14, (.LBB2_4016-.Lpost_getpc18923)&4294967295
	s_addc_u32 s15, s15, (.LBB2_4016-.Lpost_getpc18923)>>32
	s_setpc_b64 s[14:15]
.LBB2_18353:
	s_movk_i32 s4, 0x80
	v_cmp_eq_u16_e32 vcc, s4, v6
	s_mov_b64 s[4:5], -1
                                        ; implicit-def: $sgpr10
	s_and_saveexec_b64 s[8:9], vcc
; %bb.18354:
	s_mov_b32 s10, 0x7f800001
	s_xor_b64 s[4:5], exec, -1
; %bb.18355:
	s_or_b64 exec, exec, s[8:9]
	s_and_b64 s[4:5], s[4:5], exec
                                        ; implicit-def: $vgpr6
	s_or_saveexec_b64 s[6:7], s[6:7]
	v_mov_b32_e32 v2, s10
	s_xor_b64 exec, exec, s[6:7]
	s_cbranch_execnz .LBB2_18356
; %bb.54193:
	s_getpc_b64 s[14:15]
.Lpost_getpc30680:
	s_add_u32 s14, s14, (.LBB2_4018-.Lpost_getpc30680)&4294967295
	s_addc_u32 s15, s15, (.LBB2_4018-.Lpost_getpc30680)>>32
	s_setpc_b64 s[14:15]
.LBB2_18356:
	v_cmp_ne_u16_e32 vcc, 0, v6
	s_andn2_b64 s[4:5], s[4:5], exec
	s_and_b64 s[8:9], vcc, exec
	v_mov_b32_e32 v2, 0
	s_or_b64 s[4:5], s[4:5], s[8:9]
	s_or_b64 exec, exec, s[6:7]
	s_and_saveexec_b64 s[6:7], s[4:5]
	s_cbranch_execz .LBB2_30681
; %bb.54195:
	s_getpc_b64 s[14:15]
.Lpost_getpc30681:
	s_add_u32 s14, s14, (.LBB2_4019-.Lpost_getpc30681)&4294967295
	s_addc_u32 s15, s15, (.LBB2_4019-.Lpost_getpc30681)>>32
	s_setpc_b64 s[14:15]
.LBB2_30681:
	s_getpc_b64 s[14:15]
.Lpost_getpc18924:
	s_add_u32 s14, s14, (.LBB2_4020-.Lpost_getpc18924)&4294967295
	s_addc_u32 s15, s15, (.LBB2_4020-.Lpost_getpc18924)>>32
	s_setpc_b64 s[14:15]
.LBB2_18357:
	s_movk_i32 s4, 0x80
	v_cmp_eq_u16_e32 vcc, s4, v6
	s_mov_b64 s[4:5], -1
                                        ; implicit-def: $sgpr10
	s_and_saveexec_b64 s[8:9], vcc
; %bb.18358:
	s_mov_b32 s10, 0x7f800001
	s_xor_b64 s[4:5], exec, -1
; %bb.18359:
	s_or_b64 exec, exec, s[8:9]
	s_and_b64 s[4:5], s[4:5], exec
                                        ; implicit-def: $vgpr6
	s_or_saveexec_b64 s[6:7], s[6:7]
	v_mov_b32_e32 v12, s10
	s_xor_b64 exec, exec, s[6:7]
	s_cbranch_execnz .LBB2_18360
; %bb.54197:
	s_getpc_b64 s[14:15]
.Lpost_getpc30682:
	s_add_u32 s14, s14, (.LBB2_4022-.Lpost_getpc30682)&4294967295
	s_addc_u32 s15, s15, (.LBB2_4022-.Lpost_getpc30682)>>32
	s_setpc_b64 s[14:15]
.LBB2_18360:
	v_cmp_ne_u16_e32 vcc, 0, v6
	s_andn2_b64 s[4:5], s[4:5], exec
	s_and_b64 s[8:9], vcc, exec
	v_mov_b32_e32 v12, 0
	s_or_b64 s[4:5], s[4:5], s[8:9]
	s_or_b64 exec, exec, s[6:7]
	s_and_saveexec_b64 s[6:7], s[4:5]
	s_cbranch_execz .LBB2_30683
; %bb.54199:
	s_getpc_b64 s[14:15]
.Lpost_getpc30683:
	s_add_u32 s14, s14, (.LBB2_4023-.Lpost_getpc30683)&4294967295
	s_addc_u32 s15, s15, (.LBB2_4023-.Lpost_getpc30683)>>32
	s_setpc_b64 s[14:15]
.LBB2_30683:
	s_getpc_b64 s[14:15]
.Lpost_getpc18925:
	s_add_u32 s14, s14, (.LBB2_4024-.Lpost_getpc18925)&4294967295
	s_addc_u32 s15, s15, (.LBB2_4024-.Lpost_getpc18925)>>32
	s_setpc_b64 s[14:15]
.LBB2_18361:
	s_movk_i32 s4, 0x80
	v_cmp_eq_u16_sdwa s[12:13], v7, s4 src0_sel:BYTE_3 src1_sel:DWORD
	s_mov_b64 s[4:5], -1
                                        ; implicit-def: $sgpr10
	s_and_saveexec_b64 s[8:9], s[12:13]
; %bb.18362:
	s_mov_b32 s10, 0x7f800001
	s_xor_b64 s[4:5], exec, -1
; %bb.18363:
	s_or_b64 exec, exec, s[8:9]
	s_and_b64 s[4:5], s[4:5], exec
	s_or_saveexec_b64 s[6:7], s[6:7]
	v_mov_b32_e32 v2, s10
	s_xor_b64 exec, exec, s[6:7]
	s_cbranch_execnz .LBB2_18364
; %bb.54201:
	s_getpc_b64 s[14:15]
.Lpost_getpc30684:
	s_add_u32 s14, s14, (.LBB2_4026-.Lpost_getpc30684)&4294967295
	s_addc_u32 s15, s15, (.LBB2_4026-.Lpost_getpc30684)>>32
	s_setpc_b64 s[14:15]
.LBB2_18364:
	v_mov_b32_e32 v2, 0
	v_cmp_ne_u16_sdwa s[8:9], v7, v2 src0_sel:BYTE_3 src1_sel:DWORD
	s_andn2_b64 s[4:5], s[4:5], exec
	s_and_b64 s[8:9], s[8:9], exec
	s_or_b64 s[4:5], s[4:5], s[8:9]
	s_or_b64 exec, exec, s[6:7]
	s_and_saveexec_b64 s[6:7], s[4:5]
	s_cbranch_execz .LBB2_30685
; %bb.54203:
	s_getpc_b64 s[14:15]
.Lpost_getpc30685:
	s_add_u32 s14, s14, (.LBB2_4027-.Lpost_getpc30685)&4294967295
	s_addc_u32 s15, s15, (.LBB2_4027-.Lpost_getpc30685)>>32
	s_setpc_b64 s[14:15]
.LBB2_30685:
	s_getpc_b64 s[14:15]
.Lpost_getpc18926:
	s_add_u32 s14, s14, (.LBB2_4028-.Lpost_getpc18926)&4294967295
	s_addc_u32 s15, s15, (.LBB2_4028-.Lpost_getpc18926)>>32
	s_setpc_b64 s[14:15]
.LBB2_18365:
	s_movk_i32 s4, 0x80
	v_cmp_eq_u16_sdwa s[12:13], v3, s4 src0_sel:BYTE_3 src1_sel:DWORD
	s_mov_b64 s[4:5], -1
                                        ; implicit-def: $sgpr10
	s_and_saveexec_b64 s[8:9], s[12:13]
; %bb.18366:
	s_mov_b32 s10, 0x7f800001
	s_xor_b64 s[4:5], exec, -1
; %bb.18367:
	s_or_b64 exec, exec, s[8:9]
	s_and_b64 s[4:5], s[4:5], exec
	s_or_saveexec_b64 s[6:7], s[6:7]
	v_mov_b32_e32 v6, s10
	s_xor_b64 exec, exec, s[6:7]
	s_cbranch_execnz .LBB2_18368
; %bb.54205:
	s_getpc_b64 s[14:15]
.Lpost_getpc30686:
	s_add_u32 s14, s14, (.LBB2_4030-.Lpost_getpc30686)&4294967295
	s_addc_u32 s15, s15, (.LBB2_4030-.Lpost_getpc30686)>>32
	s_setpc_b64 s[14:15]
.LBB2_18368:
	v_mov_b32_e32 v6, 0
	v_cmp_ne_u16_sdwa s[8:9], v3, v6 src0_sel:BYTE_3 src1_sel:DWORD
	s_andn2_b64 s[4:5], s[4:5], exec
	s_and_b64 s[8:9], s[8:9], exec
	s_or_b64 s[4:5], s[4:5], s[8:9]
	s_or_b64 exec, exec, s[6:7]
	s_and_saveexec_b64 s[6:7], s[4:5]
	s_cbranch_execz .LBB2_30687
; %bb.54207:
	s_getpc_b64 s[14:15]
.Lpost_getpc30687:
	s_add_u32 s14, s14, (.LBB2_4031-.Lpost_getpc30687)&4294967295
	s_addc_u32 s15, s15, (.LBB2_4031-.Lpost_getpc30687)>>32
	s_setpc_b64 s[14:15]
.LBB2_30687:
	s_getpc_b64 s[14:15]
.Lpost_getpc18927:
	s_add_u32 s14, s14, (.LBB2_4032-.Lpost_getpc18927)&4294967295
	s_addc_u32 s15, s15, (.LBB2_4032-.Lpost_getpc18927)>>32
	s_setpc_b64 s[14:15]
.LBB2_18369:
	s_movk_i32 s4, 0x80
	v_cmp_eq_u16_sdwa s[12:13], v8, s4 src0_sel:BYTE_0 src1_sel:DWORD
	s_mov_b64 s[4:5], -1
                                        ; implicit-def: $sgpr10
	s_and_saveexec_b64 s[8:9], s[12:13]
; %bb.18370:
	s_mov_b32 s10, 0x7f800001
	s_xor_b64 s[4:5], exec, -1
; %bb.18371:
	s_or_b64 exec, exec, s[8:9]
	s_and_b64 s[4:5], s[4:5], exec
	s_or_saveexec_b64 s[6:7], s[6:7]
	v_mov_b32_e32 v2, s10
	s_xor_b64 exec, exec, s[6:7]
	s_cbranch_execnz .LBB2_18372
; %bb.54209:
	s_getpc_b64 s[14:15]
.Lpost_getpc30688:
	s_add_u32 s14, s14, (.LBB2_4034-.Lpost_getpc30688)&4294967295
	s_addc_u32 s15, s15, (.LBB2_4034-.Lpost_getpc30688)>>32
	s_setpc_b64 s[14:15]
.LBB2_18372:
	v_mov_b32_e32 v2, 0
	v_cmp_ne_u16_sdwa s[8:9], v8, v2 src0_sel:BYTE_0 src1_sel:DWORD
	s_andn2_b64 s[4:5], s[4:5], exec
	s_and_b64 s[8:9], s[8:9], exec
	s_or_b64 s[4:5], s[4:5], s[8:9]
	s_or_b64 exec, exec, s[6:7]
	s_and_saveexec_b64 s[6:7], s[4:5]
	s_cbranch_execz .LBB2_30689
; %bb.54211:
	s_getpc_b64 s[14:15]
.Lpost_getpc30689:
	s_add_u32 s14, s14, (.LBB2_4035-.Lpost_getpc30689)&4294967295
	s_addc_u32 s15, s15, (.LBB2_4035-.Lpost_getpc30689)>>32
	s_setpc_b64 s[14:15]
.LBB2_30689:
	s_getpc_b64 s[14:15]
.Lpost_getpc18928:
	s_add_u32 s14, s14, (.LBB2_4036-.Lpost_getpc18928)&4294967295
	s_addc_u32 s15, s15, (.LBB2_4036-.Lpost_getpc18928)>>32
	s_setpc_b64 s[14:15]
.LBB2_18373:
	s_movk_i32 s4, 0x80
	v_cmp_eq_u16_sdwa s[12:13], v4, s4 src0_sel:BYTE_0 src1_sel:DWORD
	s_mov_b64 s[4:5], -1
                                        ; implicit-def: $sgpr10
	s_and_saveexec_b64 s[8:9], s[12:13]
; %bb.18374:
	s_mov_b32 s10, 0x7f800001
	s_xor_b64 s[4:5], exec, -1
; %bb.18375:
	s_or_b64 exec, exec, s[8:9]
	s_and_b64 s[4:5], s[4:5], exec
	s_or_saveexec_b64 s[6:7], s[6:7]
	v_mov_b32_e32 v3, s10
	s_xor_b64 exec, exec, s[6:7]
	s_cbranch_execnz .LBB2_18376
; %bb.54213:
	s_getpc_b64 s[14:15]
.Lpost_getpc30690:
	s_add_u32 s14, s14, (.LBB2_4038-.Lpost_getpc30690)&4294967295
	s_addc_u32 s15, s15, (.LBB2_4038-.Lpost_getpc30690)>>32
	s_setpc_b64 s[14:15]
.LBB2_18376:
	v_mov_b32_e32 v3, 0
	v_cmp_ne_u16_sdwa s[8:9], v4, v3 src0_sel:BYTE_0 src1_sel:DWORD
	s_andn2_b64 s[4:5], s[4:5], exec
	s_and_b64 s[8:9], s[8:9], exec
	s_or_b64 s[4:5], s[4:5], s[8:9]
	s_or_b64 exec, exec, s[6:7]
	s_and_saveexec_b64 s[6:7], s[4:5]
	s_cbranch_execz .LBB2_30691
; %bb.54215:
	s_getpc_b64 s[14:15]
.Lpost_getpc30691:
	s_add_u32 s14, s14, (.LBB2_4039-.Lpost_getpc30691)&4294967295
	s_addc_u32 s15, s15, (.LBB2_4039-.Lpost_getpc30691)>>32
	s_setpc_b64 s[14:15]
.LBB2_30691:
	s_getpc_b64 s[14:15]
.Lpost_getpc18929:
	s_add_u32 s14, s14, (.LBB2_4040-.Lpost_getpc18929)&4294967295
	s_addc_u32 s15, s15, (.LBB2_4040-.Lpost_getpc18929)>>32
	s_setpc_b64 s[14:15]
.LBB2_18377:
	s_movk_i32 s4, 0x80
	v_cmp_eq_u16_sdwa s[12:13], v3, s4 src0_sel:BYTE_0 src1_sel:DWORD
	s_mov_b64 s[4:5], -1
                                        ; implicit-def: $sgpr10
	s_and_saveexec_b64 s[8:9], s[12:13]
; %bb.18378:
	s_mov_b32 s10, 0x7f800001
	s_xor_b64 s[4:5], exec, -1
; %bb.18379:
	s_or_b64 exec, exec, s[8:9]
	s_and_b64 s[4:5], s[4:5], exec
	s_or_saveexec_b64 s[6:7], s[6:7]
	v_mov_b32_e32 v2, s10
	s_xor_b64 exec, exec, s[6:7]
	s_cbranch_execnz .LBB2_18380
; %bb.54217:
	s_getpc_b64 s[14:15]
.Lpost_getpc30692:
	s_add_u32 s14, s14, (.LBB2_4042-.Lpost_getpc30692)&4294967295
	s_addc_u32 s15, s15, (.LBB2_4042-.Lpost_getpc30692)>>32
	s_setpc_b64 s[14:15]
.LBB2_18380:
	v_mov_b32_e32 v2, 0
	v_cmp_ne_u16_sdwa s[8:9], v3, v2 src0_sel:BYTE_0 src1_sel:DWORD
	s_andn2_b64 s[4:5], s[4:5], exec
	s_and_b64 s[8:9], s[8:9], exec
	s_or_b64 s[4:5], s[4:5], s[8:9]
	s_or_b64 exec, exec, s[6:7]
	s_and_saveexec_b64 s[6:7], s[4:5]
	s_cbranch_execz .LBB2_30693
; %bb.54219:
	s_getpc_b64 s[14:15]
.Lpost_getpc30693:
	s_add_u32 s14, s14, (.LBB2_4043-.Lpost_getpc30693)&4294967295
	s_addc_u32 s15, s15, (.LBB2_4043-.Lpost_getpc30693)>>32
	s_setpc_b64 s[14:15]
.LBB2_30693:
	s_getpc_b64 s[14:15]
.Lpost_getpc18930:
	s_add_u32 s14, s14, (.LBB2_4044-.Lpost_getpc18930)&4294967295
	s_addc_u32 s15, s15, (.LBB2_4044-.Lpost_getpc18930)>>32
	s_setpc_b64 s[14:15]
.LBB2_18381:
	s_movk_i32 s4, 0x80
	v_cmp_eq_u16_sdwa s[12:13], v3, s4 src0_sel:BYTE_0 src1_sel:DWORD
	s_mov_b64 s[4:5], -1
                                        ; implicit-def: $sgpr10
	s_and_saveexec_b64 s[8:9], s[12:13]
; %bb.18382:
	s_mov_b32 s10, 0x7f800001
	s_xor_b64 s[4:5], exec, -1
; %bb.18383:
	s_or_b64 exec, exec, s[8:9]
	s_and_b64 s[4:5], s[4:5], exec
	s_or_saveexec_b64 s[6:7], s[6:7]
	v_mov_b32_e32 v6, s10
	s_xor_b64 exec, exec, s[6:7]
	s_cbranch_execnz .LBB2_18384
; %bb.54221:
	s_getpc_b64 s[14:15]
.Lpost_getpc30694:
	s_add_u32 s14, s14, (.LBB2_4046-.Lpost_getpc30694)&4294967295
	s_addc_u32 s15, s15, (.LBB2_4046-.Lpost_getpc30694)>>32
	s_setpc_b64 s[14:15]
.LBB2_18384:
	v_mov_b32_e32 v6, 0
	v_cmp_ne_u16_sdwa s[8:9], v3, v6 src0_sel:BYTE_0 src1_sel:DWORD
	s_andn2_b64 s[4:5], s[4:5], exec
	s_and_b64 s[8:9], s[8:9], exec
	s_or_b64 s[4:5], s[4:5], s[8:9]
	s_or_b64 exec, exec, s[6:7]
	s_and_saveexec_b64 s[6:7], s[4:5]
	s_cbranch_execz .LBB2_30695
; %bb.54223:
	s_getpc_b64 s[14:15]
.Lpost_getpc30695:
	s_add_u32 s14, s14, (.LBB2_4047-.Lpost_getpc30695)&4294967295
	s_addc_u32 s15, s15, (.LBB2_4047-.Lpost_getpc30695)>>32
	s_setpc_b64 s[14:15]
.LBB2_30695:
	s_getpc_b64 s[14:15]
.Lpost_getpc18931:
	s_add_u32 s14, s14, (.LBB2_4048-.Lpost_getpc18931)&4294967295
	s_addc_u32 s15, s15, (.LBB2_4048-.Lpost_getpc18931)>>32
	s_setpc_b64 s[14:15]
.LBB2_18385:
	s_movk_i32 s4, 0x80
	v_cmp_eq_u16_e32 vcc, s4, v3
	s_mov_b64 s[4:5], -1
                                        ; implicit-def: $sgpr10
	s_and_saveexec_b64 s[8:9], vcc
; %bb.18386:
	s_mov_b32 s10, 0x7f800001
	s_xor_b64 s[4:5], exec, -1
; %bb.18387:
	s_or_b64 exec, exec, s[8:9]
	s_and_b64 s[4:5], s[4:5], exec
                                        ; implicit-def: $vgpr3
	s_or_saveexec_b64 s[6:7], s[6:7]
	v_mov_b32_e32 v2, s10
	s_xor_b64 exec, exec, s[6:7]
	s_cbranch_execnz .LBB2_18388
; %bb.54225:
	s_getpc_b64 s[14:15]
.Lpost_getpc30696:
	s_add_u32 s14, s14, (.LBB2_4050-.Lpost_getpc30696)&4294967295
	s_addc_u32 s15, s15, (.LBB2_4050-.Lpost_getpc30696)>>32
	s_setpc_b64 s[14:15]
.LBB2_18388:
	v_cmp_ne_u16_e32 vcc, 0, v3
	s_andn2_b64 s[4:5], s[4:5], exec
	s_and_b64 s[8:9], vcc, exec
	v_mov_b32_e32 v2, 0
	s_or_b64 s[4:5], s[4:5], s[8:9]
	s_or_b64 exec, exec, s[6:7]
	s_and_saveexec_b64 s[6:7], s[4:5]
	s_cbranch_execz .LBB2_30697
; %bb.54227:
	s_getpc_b64 s[14:15]
.Lpost_getpc30697:
	s_add_u32 s14, s14, (.LBB2_4051-.Lpost_getpc30697)&4294967295
	s_addc_u32 s15, s15, (.LBB2_4051-.Lpost_getpc30697)>>32
	s_setpc_b64 s[14:15]
.LBB2_30697:
	s_getpc_b64 s[14:15]
.Lpost_getpc18932:
	s_add_u32 s14, s14, (.LBB2_4052-.Lpost_getpc18932)&4294967295
	s_addc_u32 s15, s15, (.LBB2_4052-.Lpost_getpc18932)>>32
	s_setpc_b64 s[14:15]
.LBB2_18389:
	s_movk_i32 s4, 0x80
	v_cmp_eq_u16_e32 vcc, s4, v3
	s_mov_b64 s[4:5], -1
                                        ; implicit-def: $sgpr10
	s_and_saveexec_b64 s[8:9], vcc
; %bb.18390:
	s_mov_b32 s10, 0x7f800001
	s_xor_b64 s[4:5], exec, -1
; %bb.18391:
	s_or_b64 exec, exec, s[8:9]
	s_and_b64 s[4:5], s[4:5], exec
                                        ; implicit-def: $vgpr3
	s_or_saveexec_b64 s[6:7], s[6:7]
	v_mov_b32_e32 v6, s10
	s_xor_b64 exec, exec, s[6:7]
	s_cbranch_execnz .LBB2_18392
; %bb.54229:
	s_getpc_b64 s[14:15]
.Lpost_getpc30698:
	s_add_u32 s14, s14, (.LBB2_4054-.Lpost_getpc30698)&4294967295
	s_addc_u32 s15, s15, (.LBB2_4054-.Lpost_getpc30698)>>32
	s_setpc_b64 s[14:15]
.LBB2_18392:
	v_cmp_ne_u16_e32 vcc, 0, v3
	s_andn2_b64 s[4:5], s[4:5], exec
	s_and_b64 s[8:9], vcc, exec
	v_mov_b32_e32 v6, 0
	s_or_b64 s[4:5], s[4:5], s[8:9]
	s_or_b64 exec, exec, s[6:7]
	s_and_saveexec_b64 s[6:7], s[4:5]
	s_cbranch_execz .LBB2_30699
; %bb.54231:
	s_getpc_b64 s[14:15]
.Lpost_getpc30699:
	s_add_u32 s14, s14, (.LBB2_4055-.Lpost_getpc30699)&4294967295
	s_addc_u32 s15, s15, (.LBB2_4055-.Lpost_getpc30699)>>32
	s_setpc_b64 s[14:15]
.LBB2_30699:
	s_getpc_b64 s[14:15]
.Lpost_getpc18933:
	s_add_u32 s14, s14, (.LBB2_4056-.Lpost_getpc18933)&4294967295
	s_addc_u32 s15, s15, (.LBB2_4056-.Lpost_getpc18933)>>32
	s_setpc_b64 s[14:15]
.LBB2_18393:
	s_movk_i32 s4, 0x80
	v_cmp_eq_u16_sdwa s[12:13], v8, s4 src0_sel:BYTE_3 src1_sel:DWORD
	s_mov_b64 s[4:5], -1
                                        ; implicit-def: $sgpr10
	s_and_saveexec_b64 s[8:9], s[12:13]
; %bb.18394:
	s_mov_b32 s10, 0x7f800001
	s_xor_b64 s[4:5], exec, -1
; %bb.18395:
	s_or_b64 exec, exec, s[8:9]
	s_and_b64 s[4:5], s[4:5], exec
	s_or_saveexec_b64 s[6:7], s[6:7]
	v_mov_b32_e32 v2, s10
	s_xor_b64 exec, exec, s[6:7]
	s_cbranch_execnz .LBB2_18396
; %bb.54233:
	s_getpc_b64 s[14:15]
.Lpost_getpc30700:
	s_add_u32 s14, s14, (.LBB2_4058-.Lpost_getpc30700)&4294967295
	s_addc_u32 s15, s15, (.LBB2_4058-.Lpost_getpc30700)>>32
	s_setpc_b64 s[14:15]
.LBB2_18396:
	v_mov_b32_e32 v2, 0
	v_cmp_ne_u16_sdwa s[8:9], v8, v2 src0_sel:BYTE_3 src1_sel:DWORD
	s_andn2_b64 s[4:5], s[4:5], exec
	s_and_b64 s[8:9], s[8:9], exec
	s_or_b64 s[4:5], s[4:5], s[8:9]
	s_or_b64 exec, exec, s[6:7]
	s_and_saveexec_b64 s[6:7], s[4:5]
	s_cbranch_execz .LBB2_30701
; %bb.54235:
	s_getpc_b64 s[14:15]
.Lpost_getpc30701:
	s_add_u32 s14, s14, (.LBB2_4059-.Lpost_getpc30701)&4294967295
	s_addc_u32 s15, s15, (.LBB2_4059-.Lpost_getpc30701)>>32
	s_setpc_b64 s[14:15]
.LBB2_30701:
	s_getpc_b64 s[14:15]
.Lpost_getpc18934:
	s_add_u32 s14, s14, (.LBB2_4060-.Lpost_getpc18934)&4294967295
	s_addc_u32 s15, s15, (.LBB2_4060-.Lpost_getpc18934)>>32
	s_setpc_b64 s[14:15]
.LBB2_18397:
	s_movk_i32 s4, 0x80
	v_cmp_eq_u16_sdwa s[12:13], v4, s4 src0_sel:BYTE_3 src1_sel:DWORD
	s_mov_b64 s[4:5], -1
                                        ; implicit-def: $sgpr10
	s_and_saveexec_b64 s[8:9], s[12:13]
; %bb.18398:
	s_mov_b32 s10, 0x7f800001
	s_xor_b64 s[4:5], exec, -1
; %bb.18399:
	s_or_b64 exec, exec, s[8:9]
	s_and_b64 s[4:5], s[4:5], exec
	s_or_saveexec_b64 s[6:7], s[6:7]
	v_mov_b32_e32 v3, s10
	s_xor_b64 exec, exec, s[6:7]
	s_cbranch_execnz .LBB2_18400
; %bb.54237:
	s_getpc_b64 s[14:15]
.Lpost_getpc30702:
	s_add_u32 s14, s14, (.LBB2_4062-.Lpost_getpc30702)&4294967295
	s_addc_u32 s15, s15, (.LBB2_4062-.Lpost_getpc30702)>>32
	s_setpc_b64 s[14:15]
.LBB2_18400:
	v_mov_b32_e32 v3, 0
	v_cmp_ne_u16_sdwa s[8:9], v4, v3 src0_sel:BYTE_3 src1_sel:DWORD
	s_andn2_b64 s[4:5], s[4:5], exec
	s_and_b64 s[8:9], s[8:9], exec
	s_or_b64 s[4:5], s[4:5], s[8:9]
	s_or_b64 exec, exec, s[6:7]
	s_and_saveexec_b64 s[6:7], s[4:5]
	s_cbranch_execz .LBB2_30703
; %bb.54239:
	s_getpc_b64 s[14:15]
.Lpost_getpc30703:
	s_add_u32 s14, s14, (.LBB2_4063-.Lpost_getpc30703)&4294967295
	s_addc_u32 s15, s15, (.LBB2_4063-.Lpost_getpc30703)>>32
	s_setpc_b64 s[14:15]
.LBB2_30703:
	s_getpc_b64 s[14:15]
.Lpost_getpc18935:
	s_add_u32 s14, s14, (.LBB2_4064-.Lpost_getpc18935)&4294967295
	s_addc_u32 s15, s15, (.LBB2_4064-.Lpost_getpc18935)>>32
	s_setpc_b64 s[14:15]
.LBB2_18401:
	s_movk_i32 s4, 0x80
	v_cmp_eq_u16_sdwa s[12:13], v9, s4 src0_sel:BYTE_0 src1_sel:DWORD
	s_mov_b64 s[4:5], -1
                                        ; implicit-def: $sgpr10
	s_and_saveexec_b64 s[8:9], s[12:13]
; %bb.18402:
	s_mov_b32 s10, 0x7f800001
	s_xor_b64 s[4:5], exec, -1
; %bb.18403:
	s_or_b64 exec, exec, s[8:9]
	s_and_b64 s[4:5], s[4:5], exec
	s_or_saveexec_b64 s[6:7], s[6:7]
	v_mov_b32_e32 v2, s10
	s_xor_b64 exec, exec, s[6:7]
	s_cbranch_execnz .LBB2_18404
; %bb.54241:
	s_getpc_b64 s[14:15]
.Lpost_getpc30704:
	s_add_u32 s14, s14, (.LBB2_4066-.Lpost_getpc30704)&4294967295
	s_addc_u32 s15, s15, (.LBB2_4066-.Lpost_getpc30704)>>32
	s_setpc_b64 s[14:15]
.LBB2_18404:
	v_mov_b32_e32 v2, 0
	v_cmp_ne_u16_sdwa s[8:9], v9, v2 src0_sel:BYTE_0 src1_sel:DWORD
	s_andn2_b64 s[4:5], s[4:5], exec
	s_and_b64 s[8:9], s[8:9], exec
	s_or_b64 s[4:5], s[4:5], s[8:9]
	s_or_b64 exec, exec, s[6:7]
	s_and_saveexec_b64 s[6:7], s[4:5]
	s_cbranch_execz .LBB2_30705
; %bb.54243:
	s_getpc_b64 s[14:15]
.Lpost_getpc30705:
	s_add_u32 s14, s14, (.LBB2_4067-.Lpost_getpc30705)&4294967295
	s_addc_u32 s15, s15, (.LBB2_4067-.Lpost_getpc30705)>>32
	s_setpc_b64 s[14:15]
.LBB2_30705:
	s_getpc_b64 s[14:15]
.Lpost_getpc18936:
	s_add_u32 s14, s14, (.LBB2_4068-.Lpost_getpc18936)&4294967295
	s_addc_u32 s15, s15, (.LBB2_4068-.Lpost_getpc18936)>>32
	s_setpc_b64 s[14:15]
.LBB2_18405:
	s_movk_i32 s4, 0x80
	v_cmp_eq_u16_sdwa s[12:13], v5, s4 src0_sel:BYTE_0 src1_sel:DWORD
	s_mov_b64 s[4:5], -1
                                        ; implicit-def: $sgpr10
	s_and_saveexec_b64 s[8:9], s[12:13]
; %bb.18406:
	s_mov_b32 s10, 0x7f800001
	s_xor_b64 s[4:5], exec, -1
; %bb.18407:
	s_or_b64 exec, exec, s[8:9]
	s_and_b64 s[4:5], s[4:5], exec
	s_or_saveexec_b64 s[6:7], s[6:7]
	v_mov_b32_e32 v3, s10
	s_xor_b64 exec, exec, s[6:7]
	s_cbranch_execnz .LBB2_18408
; %bb.54245:
	s_getpc_b64 s[14:15]
.Lpost_getpc30706:
	s_add_u32 s14, s14, (.LBB2_4070-.Lpost_getpc30706)&4294967295
	s_addc_u32 s15, s15, (.LBB2_4070-.Lpost_getpc30706)>>32
	s_setpc_b64 s[14:15]
.LBB2_18408:
	v_mov_b32_e32 v3, 0
	v_cmp_ne_u16_sdwa s[8:9], v5, v3 src0_sel:BYTE_0 src1_sel:DWORD
	s_andn2_b64 s[4:5], s[4:5], exec
	s_and_b64 s[8:9], s[8:9], exec
	s_or_b64 s[4:5], s[4:5], s[8:9]
	s_or_b64 exec, exec, s[6:7]
	s_and_saveexec_b64 s[6:7], s[4:5]
	s_cbranch_execz .LBB2_30707
; %bb.54247:
	s_getpc_b64 s[14:15]
.Lpost_getpc30707:
	s_add_u32 s14, s14, (.LBB2_4071-.Lpost_getpc30707)&4294967295
	s_addc_u32 s15, s15, (.LBB2_4071-.Lpost_getpc30707)>>32
	s_setpc_b64 s[14:15]
.LBB2_30707:
	s_getpc_b64 s[14:15]
.Lpost_getpc18937:
	s_add_u32 s14, s14, (.LBB2_4072-.Lpost_getpc18937)&4294967295
	s_addc_u32 s15, s15, (.LBB2_4072-.Lpost_getpc18937)>>32
	s_setpc_b64 s[14:15]
.LBB2_18409:
	s_movk_i32 s4, 0x80
	v_cmp_eq_u16_sdwa s[12:13], v3, s4 src0_sel:BYTE_0 src1_sel:DWORD
	s_mov_b64 s[4:5], -1
                                        ; implicit-def: $sgpr10
	s_and_saveexec_b64 s[8:9], s[12:13]
; %bb.18410:
	s_mov_b32 s10, 0x7f800001
	s_xor_b64 s[4:5], exec, -1
; %bb.18411:
	s_or_b64 exec, exec, s[8:9]
	s_and_b64 s[4:5], s[4:5], exec
	s_or_saveexec_b64 s[6:7], s[6:7]
	v_mov_b32_e32 v2, s10
	s_xor_b64 exec, exec, s[6:7]
	s_cbranch_execnz .LBB2_18412
; %bb.54249:
	s_getpc_b64 s[14:15]
.Lpost_getpc30708:
	s_add_u32 s14, s14, (.LBB2_4074-.Lpost_getpc30708)&4294967295
	s_addc_u32 s15, s15, (.LBB2_4074-.Lpost_getpc30708)>>32
	s_setpc_b64 s[14:15]
.LBB2_18412:
	v_mov_b32_e32 v2, 0
	v_cmp_ne_u16_sdwa s[8:9], v3, v2 src0_sel:BYTE_0 src1_sel:DWORD
	s_andn2_b64 s[4:5], s[4:5], exec
	s_and_b64 s[8:9], s[8:9], exec
	s_or_b64 s[4:5], s[4:5], s[8:9]
	s_or_b64 exec, exec, s[6:7]
	s_and_saveexec_b64 s[6:7], s[4:5]
	s_cbranch_execz .LBB2_30709
; %bb.54251:
	s_getpc_b64 s[14:15]
.Lpost_getpc30709:
	s_add_u32 s14, s14, (.LBB2_4075-.Lpost_getpc30709)&4294967295
	s_addc_u32 s15, s15, (.LBB2_4075-.Lpost_getpc30709)>>32
	s_setpc_b64 s[14:15]
.LBB2_30709:
	s_getpc_b64 s[14:15]
.Lpost_getpc18938:
	s_add_u32 s14, s14, (.LBB2_4076-.Lpost_getpc18938)&4294967295
	s_addc_u32 s15, s15, (.LBB2_4076-.Lpost_getpc18938)>>32
	s_setpc_b64 s[14:15]
.LBB2_18413:
	s_movk_i32 s4, 0x80
	v_cmp_eq_u16_sdwa s[12:13], v3, s4 src0_sel:BYTE_0 src1_sel:DWORD
	s_mov_b64 s[4:5], -1
                                        ; implicit-def: $sgpr10
	s_and_saveexec_b64 s[8:9], s[12:13]
; %bb.18414:
	s_mov_b32 s10, 0x7f800001
	s_xor_b64 s[4:5], exec, -1
; %bb.18415:
	s_or_b64 exec, exec, s[8:9]
	s_and_b64 s[4:5], s[4:5], exec
	s_or_saveexec_b64 s[6:7], s[6:7]
	v_mov_b32_e32 v4, s10
	s_xor_b64 exec, exec, s[6:7]
	s_cbranch_execnz .LBB2_18416
; %bb.54253:
	s_getpc_b64 s[14:15]
.Lpost_getpc30710:
	s_add_u32 s14, s14, (.LBB2_4078-.Lpost_getpc30710)&4294967295
	s_addc_u32 s15, s15, (.LBB2_4078-.Lpost_getpc30710)>>32
	s_setpc_b64 s[14:15]
.LBB2_18416:
	v_mov_b32_e32 v4, 0
	v_cmp_ne_u16_sdwa s[8:9], v3, v4 src0_sel:BYTE_0 src1_sel:DWORD
	s_andn2_b64 s[4:5], s[4:5], exec
	s_and_b64 s[8:9], s[8:9], exec
	s_or_b64 s[4:5], s[4:5], s[8:9]
	s_or_b64 exec, exec, s[6:7]
	s_and_saveexec_b64 s[6:7], s[4:5]
	s_cbranch_execz .LBB2_30711
; %bb.54255:
	s_getpc_b64 s[14:15]
.Lpost_getpc30711:
	s_add_u32 s14, s14, (.LBB2_4079-.Lpost_getpc30711)&4294967295
	s_addc_u32 s15, s15, (.LBB2_4079-.Lpost_getpc30711)>>32
	s_setpc_b64 s[14:15]
.LBB2_30711:
	s_getpc_b64 s[14:15]
.Lpost_getpc18939:
	s_add_u32 s14, s14, (.LBB2_4080-.Lpost_getpc18939)&4294967295
	s_addc_u32 s15, s15, (.LBB2_4080-.Lpost_getpc18939)>>32
	s_setpc_b64 s[14:15]
.LBB2_18417:
	s_movk_i32 s4, 0x80
	v_cmp_eq_u16_e32 vcc, s4, v3
	s_mov_b64 s[4:5], -1
                                        ; implicit-def: $sgpr10
	s_and_saveexec_b64 s[8:9], vcc
; %bb.18418:
	s_mov_b32 s10, 0x7f800001
	s_xor_b64 s[4:5], exec, -1
; %bb.18419:
	s_or_b64 exec, exec, s[8:9]
	s_and_b64 s[4:5], s[4:5], exec
                                        ; implicit-def: $vgpr3
	s_or_saveexec_b64 s[6:7], s[6:7]
	v_mov_b32_e32 v2, s10
	s_xor_b64 exec, exec, s[6:7]
	s_cbranch_execnz .LBB2_18420
; %bb.54257:
	s_getpc_b64 s[14:15]
.Lpost_getpc30712:
	s_add_u32 s14, s14, (.LBB2_4082-.Lpost_getpc30712)&4294967295
	s_addc_u32 s15, s15, (.LBB2_4082-.Lpost_getpc30712)>>32
	s_setpc_b64 s[14:15]
.LBB2_18420:
	v_cmp_ne_u16_e32 vcc, 0, v3
	s_andn2_b64 s[4:5], s[4:5], exec
	s_and_b64 s[8:9], vcc, exec
	v_mov_b32_e32 v2, 0
	s_or_b64 s[4:5], s[4:5], s[8:9]
	s_or_b64 exec, exec, s[6:7]
	s_and_saveexec_b64 s[6:7], s[4:5]
	s_cbranch_execz .LBB2_30713
; %bb.54259:
	s_getpc_b64 s[14:15]
.Lpost_getpc30713:
	s_add_u32 s14, s14, (.LBB2_4083-.Lpost_getpc30713)&4294967295
	s_addc_u32 s15, s15, (.LBB2_4083-.Lpost_getpc30713)>>32
	s_setpc_b64 s[14:15]
.LBB2_30713:
	s_getpc_b64 s[14:15]
.Lpost_getpc18940:
	s_add_u32 s14, s14, (.LBB2_4084-.Lpost_getpc18940)&4294967295
	s_addc_u32 s15, s15, (.LBB2_4084-.Lpost_getpc18940)>>32
	s_setpc_b64 s[14:15]
.LBB2_18421:
	s_movk_i32 s4, 0x80
	v_cmp_eq_u16_e32 vcc, s4, v3
	s_mov_b64 s[4:5], -1
                                        ; implicit-def: $sgpr10
	s_and_saveexec_b64 s[8:9], vcc
; %bb.18422:
	s_mov_b32 s10, 0x7f800001
	s_xor_b64 s[4:5], exec, -1
; %bb.18423:
	s_or_b64 exec, exec, s[8:9]
	s_and_b64 s[4:5], s[4:5], exec
                                        ; implicit-def: $vgpr3
	s_or_saveexec_b64 s[6:7], s[6:7]
	v_mov_b32_e32 v4, s10
	s_xor_b64 exec, exec, s[6:7]
	s_cbranch_execnz .LBB2_18424
; %bb.54261:
	s_getpc_b64 s[14:15]
.Lpost_getpc30714:
	s_add_u32 s14, s14, (.LBB2_4086-.Lpost_getpc30714)&4294967295
	s_addc_u32 s15, s15, (.LBB2_4086-.Lpost_getpc30714)>>32
	s_setpc_b64 s[14:15]
.LBB2_18424:
	v_cmp_ne_u16_e32 vcc, 0, v3
	s_andn2_b64 s[4:5], s[4:5], exec
	s_and_b64 s[8:9], vcc, exec
	v_mov_b32_e32 v4, 0
	s_or_b64 s[4:5], s[4:5], s[8:9]
	s_or_b64 exec, exec, s[6:7]
	s_and_saveexec_b64 s[6:7], s[4:5]
	s_cbranch_execz .LBB2_30715
; %bb.54263:
	s_getpc_b64 s[14:15]
.Lpost_getpc30715:
	s_add_u32 s14, s14, (.LBB2_4087-.Lpost_getpc30715)&4294967295
	s_addc_u32 s15, s15, (.LBB2_4087-.Lpost_getpc30715)>>32
	s_setpc_b64 s[14:15]
.LBB2_30715:
	s_getpc_b64 s[14:15]
.Lpost_getpc18941:
	s_add_u32 s14, s14, (.LBB2_4088-.Lpost_getpc18941)&4294967295
	s_addc_u32 s15, s15, (.LBB2_4088-.Lpost_getpc18941)>>32
	s_setpc_b64 s[14:15]
.LBB2_18425:
	s_movk_i32 s4, 0x80
	v_cmp_eq_u16_sdwa s[12:13], v9, s4 src0_sel:BYTE_3 src1_sel:DWORD
	s_mov_b64 s[4:5], -1
                                        ; implicit-def: $sgpr10
	s_and_saveexec_b64 s[8:9], s[12:13]
; %bb.18426:
	s_mov_b32 s10, 0x7f800001
	s_xor_b64 s[4:5], exec, -1
; %bb.18427:
	s_or_b64 exec, exec, s[8:9]
	s_and_b64 s[4:5], s[4:5], exec
	s_or_saveexec_b64 s[6:7], s[6:7]
	v_mov_b32_e32 v2, s10
	s_xor_b64 exec, exec, s[6:7]
	s_cbranch_execnz .LBB2_18428
; %bb.54265:
	s_getpc_b64 s[14:15]
.Lpost_getpc30716:
	s_add_u32 s14, s14, (.LBB2_4090-.Lpost_getpc30716)&4294967295
	s_addc_u32 s15, s15, (.LBB2_4090-.Lpost_getpc30716)>>32
	s_setpc_b64 s[14:15]
.LBB2_18428:
	v_mov_b32_e32 v2, 0
	v_cmp_ne_u16_sdwa s[8:9], v9, v2 src0_sel:BYTE_3 src1_sel:DWORD
	s_andn2_b64 s[4:5], s[4:5], exec
	s_and_b64 s[8:9], s[8:9], exec
	s_or_b64 s[4:5], s[4:5], s[8:9]
	s_or_b64 exec, exec, s[6:7]
	s_and_saveexec_b64 s[6:7], s[4:5]
	s_cbranch_execz .LBB2_30717
; %bb.54267:
	s_getpc_b64 s[14:15]
.Lpost_getpc30717:
	s_add_u32 s14, s14, (.LBB2_4091-.Lpost_getpc30717)&4294967295
	s_addc_u32 s15, s15, (.LBB2_4091-.Lpost_getpc30717)>>32
	s_setpc_b64 s[14:15]
.LBB2_30717:
	s_getpc_b64 s[14:15]
.Lpost_getpc18942:
	s_add_u32 s14, s14, (.LBB2_4092-.Lpost_getpc18942)&4294967295
	s_addc_u32 s15, s15, (.LBB2_4092-.Lpost_getpc18942)>>32
	s_setpc_b64 s[14:15]
.LBB2_18429:
	s_movk_i32 s4, 0x80
	v_cmp_eq_u16_sdwa s[12:13], v5, s4 src0_sel:BYTE_3 src1_sel:DWORD
	s_mov_b64 s[4:5], -1
                                        ; implicit-def: $sgpr10
	s_and_saveexec_b64 s[8:9], s[12:13]
; %bb.18430:
	s_mov_b32 s10, 0x7f800001
	s_xor_b64 s[4:5], exec, -1
; %bb.18431:
	s_or_b64 exec, exec, s[8:9]
	s_and_b64 s[4:5], s[4:5], exec
	s_or_saveexec_b64 s[6:7], s[6:7]
	v_mov_b32_e32 v3, s10
	s_xor_b64 exec, exec, s[6:7]
	s_cbranch_execnz .LBB2_18432
; %bb.54269:
	s_getpc_b64 s[14:15]
.Lpost_getpc30718:
	s_add_u32 s14, s14, (.LBB2_4094-.Lpost_getpc30718)&4294967295
	s_addc_u32 s15, s15, (.LBB2_4094-.Lpost_getpc30718)>>32
	s_setpc_b64 s[14:15]
.LBB2_18432:
	v_mov_b32_e32 v3, 0
	v_cmp_ne_u16_sdwa s[8:9], v5, v3 src0_sel:BYTE_3 src1_sel:DWORD
	s_andn2_b64 s[4:5], s[4:5], exec
	s_and_b64 s[8:9], s[8:9], exec
	s_or_b64 s[4:5], s[4:5], s[8:9]
	s_or_b64 exec, exec, s[6:7]
	s_and_saveexec_b64 s[6:7], s[4:5]
	s_cbranch_execz .LBB2_30719
; %bb.54271:
	s_getpc_b64 s[14:15]
.Lpost_getpc30719:
	s_add_u32 s14, s14, (.LBB2_4095-.Lpost_getpc30719)&4294967295
	s_addc_u32 s15, s15, (.LBB2_4095-.Lpost_getpc30719)>>32
	s_setpc_b64 s[14:15]
.LBB2_30719:
	s_getpc_b64 s[14:15]
.Lpost_getpc18943:
	s_add_u32 s14, s14, (.LBB2_4096-.Lpost_getpc18943)&4294967295
	s_addc_u32 s15, s15, (.LBB2_4096-.Lpost_getpc18943)>>32
	s_setpc_b64 s[14:15]
.LBB2_18433:
	s_movk_i32 s4, 0x80
	v_cmp_eq_u16_sdwa s[12:13], v6, s4 src0_sel:BYTE_0 src1_sel:DWORD
	s_mov_b64 s[4:5], -1
                                        ; implicit-def: $sgpr10
	s_and_saveexec_b64 s[8:9], s[12:13]
; %bb.18434:
	s_mov_b32 s10, 0x7f800001
	s_xor_b64 s[4:5], exec, -1
; %bb.18435:
	s_or_b64 exec, exec, s[8:9]
	s_and_b64 s[4:5], s[4:5], exec
	s_or_saveexec_b64 s[6:7], s[6:7]
	v_mov_b32_e32 v12, s10
	s_xor_b64 exec, exec, s[6:7]
	s_cbranch_execnz .LBB2_18436
; %bb.54273:
	s_getpc_b64 s[14:15]
.Lpost_getpc30720:
	s_add_u32 s14, s14, (.LBB2_4098-.Lpost_getpc30720)&4294967295
	s_addc_u32 s15, s15, (.LBB2_4098-.Lpost_getpc30720)>>32
	s_setpc_b64 s[14:15]
.LBB2_18436:
	v_mov_b32_e32 v12, 0
	v_cmp_ne_u16_sdwa s[8:9], v6, v12 src0_sel:BYTE_0 src1_sel:DWORD
	s_andn2_b64 s[4:5], s[4:5], exec
	s_and_b64 s[8:9], s[8:9], exec
	s_or_b64 s[4:5], s[4:5], s[8:9]
	s_or_b64 exec, exec, s[6:7]
	s_and_saveexec_b64 s[6:7], s[4:5]
	s_cbranch_execz .LBB2_30721
; %bb.54275:
	s_getpc_b64 s[14:15]
.Lpost_getpc30721:
	s_add_u32 s14, s14, (.LBB2_4099-.Lpost_getpc30721)&4294967295
	s_addc_u32 s15, s15, (.LBB2_4099-.Lpost_getpc30721)>>32
	s_setpc_b64 s[14:15]
.LBB2_30721:
	s_getpc_b64 s[14:15]
.Lpost_getpc18944:
	s_add_u32 s14, s14, (.LBB2_4100-.Lpost_getpc18944)&4294967295
	s_addc_u32 s15, s15, (.LBB2_4100-.Lpost_getpc18944)>>32
	s_setpc_b64 s[14:15]
.LBB2_18437:
	s_movk_i32 s4, 0x80
	v_cmp_eq_u16_sdwa s[12:13], v2, s4 src0_sel:BYTE_0 src1_sel:DWORD
	s_mov_b64 s[4:5], -1
                                        ; implicit-def: $sgpr10
	s_and_saveexec_b64 s[8:9], s[12:13]
; %bb.18438:
	s_mov_b32 s10, 0x7f800001
	s_xor_b64 s[4:5], exec, -1
; %bb.18439:
	s_or_b64 exec, exec, s[8:9]
	s_and_b64 s[4:5], s[4:5], exec
	s_or_saveexec_b64 s[6:7], s[6:7]
	v_mov_b32_e32 v13, s10
	s_xor_b64 exec, exec, s[6:7]
	s_cbranch_execnz .LBB2_18440
; %bb.54277:
	s_getpc_b64 s[14:15]
.Lpost_getpc30722:
	s_add_u32 s14, s14, (.LBB2_4102-.Lpost_getpc30722)&4294967295
	s_addc_u32 s15, s15, (.LBB2_4102-.Lpost_getpc30722)>>32
	s_setpc_b64 s[14:15]
.LBB2_18440:
	v_mov_b32_e32 v13, 0
	v_cmp_ne_u16_sdwa s[8:9], v2, v13 src0_sel:BYTE_0 src1_sel:DWORD
	s_andn2_b64 s[4:5], s[4:5], exec
	s_and_b64 s[8:9], s[8:9], exec
	s_or_b64 s[4:5], s[4:5], s[8:9]
	s_or_b64 exec, exec, s[6:7]
	s_and_saveexec_b64 s[6:7], s[4:5]
	s_cbranch_execz .LBB2_30723
; %bb.54279:
	s_getpc_b64 s[14:15]
.Lpost_getpc30723:
	s_add_u32 s14, s14, (.LBB2_4103-.Lpost_getpc30723)&4294967295
	s_addc_u32 s15, s15, (.LBB2_4103-.Lpost_getpc30723)>>32
	s_setpc_b64 s[14:15]
.LBB2_30723:
	s_getpc_b64 s[14:15]
.Lpost_getpc18945:
	s_add_u32 s14, s14, (.LBB2_4104-.Lpost_getpc18945)&4294967295
	s_addc_u32 s15, s15, (.LBB2_4104-.Lpost_getpc18945)>>32
	s_setpc_b64 s[14:15]
.LBB2_18441:
	s_movk_i32 s4, 0x80
	v_cmp_eq_u16_sdwa s[12:13], v13, s4 src0_sel:BYTE_0 src1_sel:DWORD
	s_mov_b64 s[4:5], -1
                                        ; implicit-def: $sgpr10
	s_and_saveexec_b64 s[8:9], s[12:13]
; %bb.18442:
	s_mov_b32 s10, 0x7f800001
	s_xor_b64 s[4:5], exec, -1
; %bb.18443:
	s_or_b64 exec, exec, s[8:9]
	s_and_b64 s[4:5], s[4:5], exec
	s_or_saveexec_b64 s[6:7], s[6:7]
	v_mov_b32_e32 v12, s10
	s_xor_b64 exec, exec, s[6:7]
	s_cbranch_execnz .LBB2_18444
; %bb.54281:
	s_getpc_b64 s[14:15]
.Lpost_getpc30724:
	s_add_u32 s14, s14, (.LBB2_4106-.Lpost_getpc30724)&4294967295
	s_addc_u32 s15, s15, (.LBB2_4106-.Lpost_getpc30724)>>32
	s_setpc_b64 s[14:15]
.LBB2_18444:
	v_mov_b32_e32 v12, 0
	v_cmp_ne_u16_sdwa s[8:9], v13, v12 src0_sel:BYTE_0 src1_sel:DWORD
	s_andn2_b64 s[4:5], s[4:5], exec
	s_and_b64 s[8:9], s[8:9], exec
	s_or_b64 s[4:5], s[4:5], s[8:9]
	s_or_b64 exec, exec, s[6:7]
	s_and_saveexec_b64 s[6:7], s[4:5]
	s_cbranch_execz .LBB2_30725
; %bb.54283:
	s_getpc_b64 s[14:15]
.Lpost_getpc30725:
	s_add_u32 s14, s14, (.LBB2_4107-.Lpost_getpc30725)&4294967295
	s_addc_u32 s15, s15, (.LBB2_4107-.Lpost_getpc30725)>>32
	s_setpc_b64 s[14:15]
.LBB2_30725:
	s_getpc_b64 s[14:15]
.Lpost_getpc18946:
	s_add_u32 s14, s14, (.LBB2_4108-.Lpost_getpc18946)&4294967295
	s_addc_u32 s15, s15, (.LBB2_4108-.Lpost_getpc18946)>>32
	s_setpc_b64 s[14:15]
.LBB2_18445:
	s_movk_i32 s4, 0x80
	v_cmp_eq_u16_sdwa s[12:13], v13, s4 src0_sel:BYTE_0 src1_sel:DWORD
	s_mov_b64 s[4:5], -1
                                        ; implicit-def: $sgpr10
	s_and_saveexec_b64 s[8:9], s[12:13]
; %bb.18446:
	s_mov_b32 s10, 0x7f800001
	s_xor_b64 s[4:5], exec, -1
; %bb.18447:
	s_or_b64 exec, exec, s[8:9]
	s_and_b64 s[4:5], s[4:5], exec
	s_or_saveexec_b64 s[6:7], s[6:7]
	v_mov_b32_e32 v14, s10
	s_xor_b64 exec, exec, s[6:7]
	s_cbranch_execnz .LBB2_18448
; %bb.54285:
	s_getpc_b64 s[14:15]
.Lpost_getpc30726:
	s_add_u32 s14, s14, (.LBB2_4110-.Lpost_getpc30726)&4294967295
	s_addc_u32 s15, s15, (.LBB2_4110-.Lpost_getpc30726)>>32
	s_setpc_b64 s[14:15]
.LBB2_18448:
	v_mov_b32_e32 v14, 0
	v_cmp_ne_u16_sdwa s[8:9], v13, v14 src0_sel:BYTE_0 src1_sel:DWORD
	s_andn2_b64 s[4:5], s[4:5], exec
	s_and_b64 s[8:9], s[8:9], exec
	s_or_b64 s[4:5], s[4:5], s[8:9]
	s_or_b64 exec, exec, s[6:7]
	s_and_saveexec_b64 s[6:7], s[4:5]
	s_cbranch_execz .LBB2_30727
; %bb.54287:
	s_getpc_b64 s[14:15]
.Lpost_getpc30727:
	s_add_u32 s14, s14, (.LBB2_4111-.Lpost_getpc30727)&4294967295
	s_addc_u32 s15, s15, (.LBB2_4111-.Lpost_getpc30727)>>32
	s_setpc_b64 s[14:15]
.LBB2_30727:
	s_getpc_b64 s[14:15]
.Lpost_getpc18947:
	s_add_u32 s14, s14, (.LBB2_4112-.Lpost_getpc18947)&4294967295
	s_addc_u32 s15, s15, (.LBB2_4112-.Lpost_getpc18947)>>32
	s_setpc_b64 s[14:15]
.LBB2_18449:
	s_movk_i32 s4, 0x80
	v_cmp_eq_u16_e32 vcc, s4, v13
	s_mov_b64 s[4:5], -1
                                        ; implicit-def: $sgpr10
	s_and_saveexec_b64 s[8:9], vcc
; %bb.18450:
	s_mov_b32 s10, 0x7f800001
	s_xor_b64 s[4:5], exec, -1
; %bb.18451:
	s_or_b64 exec, exec, s[8:9]
	s_and_b64 s[4:5], s[4:5], exec
                                        ; implicit-def: $vgpr13
	s_or_saveexec_b64 s[6:7], s[6:7]
	v_mov_b32_e32 v12, s10
	s_xor_b64 exec, exec, s[6:7]
	s_cbranch_execnz .LBB2_18452
; %bb.54289:
	s_getpc_b64 s[14:15]
.Lpost_getpc30728:
	s_add_u32 s14, s14, (.LBB2_4114-.Lpost_getpc30728)&4294967295
	s_addc_u32 s15, s15, (.LBB2_4114-.Lpost_getpc30728)>>32
	s_setpc_b64 s[14:15]
.LBB2_18452:
	v_cmp_ne_u16_e32 vcc, 0, v13
	s_andn2_b64 s[4:5], s[4:5], exec
	s_and_b64 s[8:9], vcc, exec
	v_mov_b32_e32 v12, 0
	s_or_b64 s[4:5], s[4:5], s[8:9]
	s_or_b64 exec, exec, s[6:7]
	s_and_saveexec_b64 s[6:7], s[4:5]
	s_cbranch_execz .LBB2_30729
; %bb.54291:
	s_getpc_b64 s[14:15]
.Lpost_getpc30729:
	s_add_u32 s14, s14, (.LBB2_4115-.Lpost_getpc30729)&4294967295
	s_addc_u32 s15, s15, (.LBB2_4115-.Lpost_getpc30729)>>32
	s_setpc_b64 s[14:15]
.LBB2_30729:
	s_getpc_b64 s[14:15]
.Lpost_getpc18948:
	s_add_u32 s14, s14, (.LBB2_4116-.Lpost_getpc18948)&4294967295
	s_addc_u32 s15, s15, (.LBB2_4116-.Lpost_getpc18948)>>32
	s_setpc_b64 s[14:15]
.LBB2_18453:
	s_movk_i32 s4, 0x80
	v_cmp_eq_u16_e32 vcc, s4, v13
	s_mov_b64 s[4:5], -1
                                        ; implicit-def: $sgpr10
	s_and_saveexec_b64 s[8:9], vcc
; %bb.18454:
	s_mov_b32 s10, 0x7f800001
	s_xor_b64 s[4:5], exec, -1
; %bb.18455:
	s_or_b64 exec, exec, s[8:9]
	s_and_b64 s[4:5], s[4:5], exec
                                        ; implicit-def: $vgpr13
	s_or_saveexec_b64 s[6:7], s[6:7]
	v_mov_b32_e32 v14, s10
	s_xor_b64 exec, exec, s[6:7]
	s_cbranch_execnz .LBB2_18456
; %bb.54293:
	s_getpc_b64 s[14:15]
.Lpost_getpc30730:
	s_add_u32 s14, s14, (.LBB2_4118-.Lpost_getpc30730)&4294967295
	s_addc_u32 s15, s15, (.LBB2_4118-.Lpost_getpc30730)>>32
	s_setpc_b64 s[14:15]
.LBB2_18456:
	v_cmp_ne_u16_e32 vcc, 0, v13
	s_andn2_b64 s[4:5], s[4:5], exec
	s_and_b64 s[8:9], vcc, exec
	v_mov_b32_e32 v14, 0
	s_or_b64 s[4:5], s[4:5], s[8:9]
	s_or_b64 exec, exec, s[6:7]
	s_and_saveexec_b64 s[6:7], s[4:5]
	s_cbranch_execz .LBB2_30731
; %bb.54295:
	s_getpc_b64 s[14:15]
.Lpost_getpc30731:
	s_add_u32 s14, s14, (.LBB2_4119-.Lpost_getpc30731)&4294967295
	s_addc_u32 s15, s15, (.LBB2_4119-.Lpost_getpc30731)>>32
	s_setpc_b64 s[14:15]
.LBB2_30731:
	s_getpc_b64 s[14:15]
.Lpost_getpc18949:
	s_add_u32 s14, s14, (.LBB2_4120-.Lpost_getpc18949)&4294967295
	s_addc_u32 s15, s15, (.LBB2_4120-.Lpost_getpc18949)>>32
	s_setpc_b64 s[14:15]
.LBB2_18457:
	s_movk_i32 s4, 0x80
	v_cmp_eq_u16_sdwa s[12:13], v6, s4 src0_sel:BYTE_3 src1_sel:DWORD
	s_mov_b64 s[4:5], -1
                                        ; implicit-def: $sgpr10
	s_and_saveexec_b64 s[8:9], s[12:13]
; %bb.18458:
	s_mov_b32 s10, 0x7f800001
	s_xor_b64 s[4:5], exec, -1
; %bb.18459:
	s_or_b64 exec, exec, s[8:9]
	s_and_b64 s[4:5], s[4:5], exec
	s_or_saveexec_b64 s[6:7], s[6:7]
	v_mov_b32_e32 v12, s10
	s_xor_b64 exec, exec, s[6:7]
	s_cbranch_execnz .LBB2_18460
; %bb.54297:
	s_getpc_b64 s[14:15]
.Lpost_getpc30732:
	s_add_u32 s14, s14, (.LBB2_4122-.Lpost_getpc30732)&4294967295
	s_addc_u32 s15, s15, (.LBB2_4122-.Lpost_getpc30732)>>32
	s_setpc_b64 s[14:15]
.LBB2_18460:
	v_mov_b32_e32 v12, 0
	v_cmp_ne_u16_sdwa s[8:9], v6, v12 src0_sel:BYTE_3 src1_sel:DWORD
	s_andn2_b64 s[4:5], s[4:5], exec
	s_and_b64 s[8:9], s[8:9], exec
	s_or_b64 s[4:5], s[4:5], s[8:9]
	s_or_b64 exec, exec, s[6:7]
	s_and_saveexec_b64 s[6:7], s[4:5]
	s_cbranch_execz .LBB2_30733
; %bb.54299:
	s_getpc_b64 s[14:15]
.Lpost_getpc30733:
	s_add_u32 s14, s14, (.LBB2_4123-.Lpost_getpc30733)&4294967295
	s_addc_u32 s15, s15, (.LBB2_4123-.Lpost_getpc30733)>>32
	s_setpc_b64 s[14:15]
.LBB2_30733:
	s_getpc_b64 s[14:15]
.Lpost_getpc18950:
	s_add_u32 s14, s14, (.LBB2_4124-.Lpost_getpc18950)&4294967295
	s_addc_u32 s15, s15, (.LBB2_4124-.Lpost_getpc18950)>>32
	s_setpc_b64 s[14:15]
.LBB2_18461:
	s_movk_i32 s4, 0x80
	v_cmp_eq_u16_sdwa s[12:13], v2, s4 src0_sel:BYTE_3 src1_sel:DWORD
	s_mov_b64 s[4:5], -1
                                        ; implicit-def: $sgpr10
	s_and_saveexec_b64 s[8:9], s[12:13]
; %bb.18462:
	s_mov_b32 s10, 0x7f800001
	s_xor_b64 s[4:5], exec, -1
; %bb.18463:
	s_or_b64 exec, exec, s[8:9]
	s_and_b64 s[4:5], s[4:5], exec
	s_or_saveexec_b64 s[6:7], s[6:7]
	v_mov_b32_e32 v6, s10
	s_xor_b64 exec, exec, s[6:7]
	s_cbranch_execnz .LBB2_18464
; %bb.54301:
	s_getpc_b64 s[14:15]
.Lpost_getpc30734:
	s_add_u32 s14, s14, (.LBB2_4126-.Lpost_getpc30734)&4294967295
	s_addc_u32 s15, s15, (.LBB2_4126-.Lpost_getpc30734)>>32
	s_setpc_b64 s[14:15]
.LBB2_18464:
	v_mov_b32_e32 v6, 0
	v_cmp_ne_u16_sdwa s[8:9], v2, v6 src0_sel:BYTE_3 src1_sel:DWORD
	s_andn2_b64 s[4:5], s[4:5], exec
	s_and_b64 s[8:9], s[8:9], exec
	s_or_b64 s[4:5], s[4:5], s[8:9]
	s_or_b64 exec, exec, s[6:7]
	s_and_saveexec_b64 s[6:7], s[4:5]
	s_cbranch_execz .LBB2_30735
; %bb.54303:
	s_getpc_b64 s[14:15]
.Lpost_getpc30735:
	s_add_u32 s14, s14, (.LBB2_4127-.Lpost_getpc30735)&4294967295
	s_addc_u32 s15, s15, (.LBB2_4127-.Lpost_getpc30735)>>32
	s_setpc_b64 s[14:15]
.LBB2_30735:
	s_getpc_b64 s[14:15]
.Lpost_getpc18951:
	s_add_u32 s14, s14, (.LBB2_4128-.Lpost_getpc18951)&4294967295
	s_addc_u32 s15, s15, (.LBB2_4128-.Lpost_getpc18951)>>32
	s_setpc_b64 s[14:15]
.LBB2_18465:
	s_movk_i32 s4, 0x80
	v_cmp_eq_u16_sdwa s[12:13], v7, s4 src0_sel:BYTE_0 src1_sel:DWORD
	s_mov_b64 s[4:5], -1
                                        ; implicit-def: $sgpr10
	s_and_saveexec_b64 s[8:9], s[12:13]
; %bb.18466:
	s_mov_b32 s10, 0x7f800001
	s_xor_b64 s[4:5], exec, -1
; %bb.18467:
	s_or_b64 exec, exec, s[8:9]
	s_and_b64 s[4:5], s[4:5], exec
	s_or_saveexec_b64 s[6:7], s[6:7]
	v_mov_b32_e32 v2, s10
	s_xor_b64 exec, exec, s[6:7]
	s_cbranch_execnz .LBB2_18468
; %bb.54305:
	s_getpc_b64 s[14:15]
.Lpost_getpc30736:
	s_add_u32 s14, s14, (.LBB2_4130-.Lpost_getpc30736)&4294967295
	s_addc_u32 s15, s15, (.LBB2_4130-.Lpost_getpc30736)>>32
	s_setpc_b64 s[14:15]
.LBB2_18468:
	v_mov_b32_e32 v2, 0
	v_cmp_ne_u16_sdwa s[8:9], v7, v2 src0_sel:BYTE_0 src1_sel:DWORD
	s_andn2_b64 s[4:5], s[4:5], exec
	s_and_b64 s[8:9], s[8:9], exec
	s_or_b64 s[4:5], s[4:5], s[8:9]
	s_or_b64 exec, exec, s[6:7]
	s_and_saveexec_b64 s[6:7], s[4:5]
	s_cbranch_execz .LBB2_30737
; %bb.54307:
	s_getpc_b64 s[14:15]
.Lpost_getpc30737:
	s_add_u32 s14, s14, (.LBB2_4131-.Lpost_getpc30737)&4294967295
	s_addc_u32 s15, s15, (.LBB2_4131-.Lpost_getpc30737)>>32
	s_setpc_b64 s[14:15]
.LBB2_30737:
	s_getpc_b64 s[14:15]
.Lpost_getpc18952:
	s_add_u32 s14, s14, (.LBB2_4132-.Lpost_getpc18952)&4294967295
	s_addc_u32 s15, s15, (.LBB2_4132-.Lpost_getpc18952)>>32
	s_setpc_b64 s[14:15]
.LBB2_18469:
	s_movk_i32 s4, 0x80
	v_cmp_eq_u16_sdwa s[12:13], v3, s4 src0_sel:BYTE_0 src1_sel:DWORD
	s_mov_b64 s[4:5], -1
                                        ; implicit-def: $sgpr10
	s_and_saveexec_b64 s[8:9], s[12:13]
; %bb.18470:
	s_mov_b32 s10, 0x7f800001
	s_xor_b64 s[4:5], exec, -1
; %bb.18471:
	s_or_b64 exec, exec, s[8:9]
	s_and_b64 s[4:5], s[4:5], exec
	s_or_saveexec_b64 s[6:7], s[6:7]
	v_mov_b32_e32 v6, s10
	s_xor_b64 exec, exec, s[6:7]
	s_cbranch_execnz .LBB2_18472
; %bb.54309:
	s_getpc_b64 s[14:15]
.Lpost_getpc30738:
	s_add_u32 s14, s14, (.LBB2_4134-.Lpost_getpc30738)&4294967295
	s_addc_u32 s15, s15, (.LBB2_4134-.Lpost_getpc30738)>>32
	s_setpc_b64 s[14:15]
.LBB2_18472:
	v_mov_b32_e32 v6, 0
	v_cmp_ne_u16_sdwa s[8:9], v3, v6 src0_sel:BYTE_0 src1_sel:DWORD
	s_andn2_b64 s[4:5], s[4:5], exec
	s_and_b64 s[8:9], s[8:9], exec
	s_or_b64 s[4:5], s[4:5], s[8:9]
	s_or_b64 exec, exec, s[6:7]
	s_and_saveexec_b64 s[6:7], s[4:5]
	s_cbranch_execz .LBB2_30739
; %bb.54311:
	s_getpc_b64 s[14:15]
.Lpost_getpc30739:
	s_add_u32 s14, s14, (.LBB2_4135-.Lpost_getpc30739)&4294967295
	s_addc_u32 s15, s15, (.LBB2_4135-.Lpost_getpc30739)>>32
	s_setpc_b64 s[14:15]
.LBB2_30739:
	s_getpc_b64 s[14:15]
.Lpost_getpc18953:
	s_add_u32 s14, s14, (.LBB2_4136-.Lpost_getpc18953)&4294967295
	s_addc_u32 s15, s15, (.LBB2_4136-.Lpost_getpc18953)>>32
	s_setpc_b64 s[14:15]
.LBB2_18473:
	s_movk_i32 s4, 0x80
	v_cmp_eq_u16_sdwa s[12:13], v6, s4 src0_sel:BYTE_0 src1_sel:DWORD
	s_mov_b64 s[4:5], -1
                                        ; implicit-def: $sgpr10
	s_and_saveexec_b64 s[8:9], s[12:13]
; %bb.18474:
	s_mov_b32 s10, 0x7f800001
	s_xor_b64 s[4:5], exec, -1
; %bb.18475:
	s_or_b64 exec, exec, s[8:9]
	s_and_b64 s[4:5], s[4:5], exec
	s_or_saveexec_b64 s[6:7], s[6:7]
	v_mov_b32_e32 v2, s10
	s_xor_b64 exec, exec, s[6:7]
	s_cbranch_execnz .LBB2_18476
; %bb.54313:
	s_getpc_b64 s[14:15]
.Lpost_getpc30740:
	s_add_u32 s14, s14, (.LBB2_4138-.Lpost_getpc30740)&4294967295
	s_addc_u32 s15, s15, (.LBB2_4138-.Lpost_getpc30740)>>32
	s_setpc_b64 s[14:15]
.LBB2_18476:
	v_mov_b32_e32 v2, 0
	v_cmp_ne_u16_sdwa s[8:9], v6, v2 src0_sel:BYTE_0 src1_sel:DWORD
	s_andn2_b64 s[4:5], s[4:5], exec
	s_and_b64 s[8:9], s[8:9], exec
	s_or_b64 s[4:5], s[4:5], s[8:9]
	s_or_b64 exec, exec, s[6:7]
	s_and_saveexec_b64 s[6:7], s[4:5]
	s_cbranch_execz .LBB2_30741
; %bb.54315:
	s_getpc_b64 s[14:15]
.Lpost_getpc30741:
	s_add_u32 s14, s14, (.LBB2_4139-.Lpost_getpc30741)&4294967295
	s_addc_u32 s15, s15, (.LBB2_4139-.Lpost_getpc30741)>>32
	s_setpc_b64 s[14:15]
.LBB2_30741:
	s_getpc_b64 s[14:15]
.Lpost_getpc18954:
	s_add_u32 s14, s14, (.LBB2_4140-.Lpost_getpc18954)&4294967295
	s_addc_u32 s15, s15, (.LBB2_4140-.Lpost_getpc18954)>>32
	s_setpc_b64 s[14:15]
.LBB2_18477:
	s_movk_i32 s4, 0x80
	v_cmp_eq_u16_sdwa s[12:13], v6, s4 src0_sel:BYTE_0 src1_sel:DWORD
	s_mov_b64 s[4:5], -1
                                        ; implicit-def: $sgpr10
	s_and_saveexec_b64 s[8:9], s[12:13]
; %bb.18478:
	s_mov_b32 s10, 0x7f800001
	s_xor_b64 s[4:5], exec, -1
; %bb.18479:
	s_or_b64 exec, exec, s[8:9]
	s_and_b64 s[4:5], s[4:5], exec
	s_or_saveexec_b64 s[6:7], s[6:7]
	v_mov_b32_e32 v12, s10
	s_xor_b64 exec, exec, s[6:7]
	s_cbranch_execnz .LBB2_18480
; %bb.54317:
	s_getpc_b64 s[14:15]
.Lpost_getpc30742:
	s_add_u32 s14, s14, (.LBB2_4142-.Lpost_getpc30742)&4294967295
	s_addc_u32 s15, s15, (.LBB2_4142-.Lpost_getpc30742)>>32
	s_setpc_b64 s[14:15]
.LBB2_18480:
	v_mov_b32_e32 v12, 0
	v_cmp_ne_u16_sdwa s[8:9], v6, v12 src0_sel:BYTE_0 src1_sel:DWORD
	s_andn2_b64 s[4:5], s[4:5], exec
	s_and_b64 s[8:9], s[8:9], exec
	s_or_b64 s[4:5], s[4:5], s[8:9]
	s_or_b64 exec, exec, s[6:7]
	s_and_saveexec_b64 s[6:7], s[4:5]
	s_cbranch_execz .LBB2_30743
; %bb.54319:
	s_getpc_b64 s[14:15]
.Lpost_getpc30743:
	s_add_u32 s14, s14, (.LBB2_4143-.Lpost_getpc30743)&4294967295
	s_addc_u32 s15, s15, (.LBB2_4143-.Lpost_getpc30743)>>32
	s_setpc_b64 s[14:15]
.LBB2_30743:
	s_getpc_b64 s[14:15]
.Lpost_getpc18955:
	s_add_u32 s14, s14, (.LBB2_4144-.Lpost_getpc18955)&4294967295
	s_addc_u32 s15, s15, (.LBB2_4144-.Lpost_getpc18955)>>32
	s_setpc_b64 s[14:15]
.LBB2_18481:
	s_movk_i32 s4, 0x80
	v_cmp_eq_u16_e32 vcc, s4, v6
	s_mov_b64 s[4:5], -1
                                        ; implicit-def: $sgpr10
	s_and_saveexec_b64 s[8:9], vcc
; %bb.18482:
	s_mov_b32 s10, 0x7f800001
	s_xor_b64 s[4:5], exec, -1
; %bb.18483:
	s_or_b64 exec, exec, s[8:9]
	s_and_b64 s[4:5], s[4:5], exec
                                        ; implicit-def: $vgpr6
	s_or_saveexec_b64 s[6:7], s[6:7]
	v_mov_b32_e32 v2, s10
	s_xor_b64 exec, exec, s[6:7]
	s_cbranch_execnz .LBB2_18484
; %bb.54321:
	s_getpc_b64 s[14:15]
.Lpost_getpc30744:
	s_add_u32 s14, s14, (.LBB2_4146-.Lpost_getpc30744)&4294967295
	s_addc_u32 s15, s15, (.LBB2_4146-.Lpost_getpc30744)>>32
	s_setpc_b64 s[14:15]
.LBB2_18484:
	v_cmp_ne_u16_e32 vcc, 0, v6
	s_andn2_b64 s[4:5], s[4:5], exec
	s_and_b64 s[8:9], vcc, exec
	v_mov_b32_e32 v2, 0
	s_or_b64 s[4:5], s[4:5], s[8:9]
	s_or_b64 exec, exec, s[6:7]
	s_and_saveexec_b64 s[6:7], s[4:5]
	s_cbranch_execz .LBB2_30745
; %bb.54323:
	s_getpc_b64 s[14:15]
.Lpost_getpc30745:
	s_add_u32 s14, s14, (.LBB2_4147-.Lpost_getpc30745)&4294967295
	s_addc_u32 s15, s15, (.LBB2_4147-.Lpost_getpc30745)>>32
	s_setpc_b64 s[14:15]
.LBB2_30745:
	s_getpc_b64 s[14:15]
.Lpost_getpc18956:
	s_add_u32 s14, s14, (.LBB2_4148-.Lpost_getpc18956)&4294967295
	s_addc_u32 s15, s15, (.LBB2_4148-.Lpost_getpc18956)>>32
	s_setpc_b64 s[14:15]
.LBB2_18485:
	s_movk_i32 s4, 0x80
	v_cmp_eq_u16_e32 vcc, s4, v6
	s_mov_b64 s[4:5], -1
                                        ; implicit-def: $sgpr10
	s_and_saveexec_b64 s[8:9], vcc
; %bb.18486:
	s_mov_b32 s10, 0x7f800001
	s_xor_b64 s[4:5], exec, -1
; %bb.18487:
	s_or_b64 exec, exec, s[8:9]
	s_and_b64 s[4:5], s[4:5], exec
                                        ; implicit-def: $vgpr6
	s_or_saveexec_b64 s[6:7], s[6:7]
	v_mov_b32_e32 v12, s10
	s_xor_b64 exec, exec, s[6:7]
	s_cbranch_execnz .LBB2_18488
; %bb.54325:
	s_getpc_b64 s[14:15]
.Lpost_getpc30746:
	s_add_u32 s14, s14, (.LBB2_4150-.Lpost_getpc30746)&4294967295
	s_addc_u32 s15, s15, (.LBB2_4150-.Lpost_getpc30746)>>32
	s_setpc_b64 s[14:15]
.LBB2_18488:
	v_cmp_ne_u16_e32 vcc, 0, v6
	s_andn2_b64 s[4:5], s[4:5], exec
	s_and_b64 s[8:9], vcc, exec
	v_mov_b32_e32 v12, 0
	s_or_b64 s[4:5], s[4:5], s[8:9]
	s_or_b64 exec, exec, s[6:7]
	s_and_saveexec_b64 s[6:7], s[4:5]
	s_cbranch_execz .LBB2_30747
; %bb.54327:
	s_getpc_b64 s[14:15]
.Lpost_getpc30747:
	s_add_u32 s14, s14, (.LBB2_4151-.Lpost_getpc30747)&4294967295
	s_addc_u32 s15, s15, (.LBB2_4151-.Lpost_getpc30747)>>32
	s_setpc_b64 s[14:15]
.LBB2_30747:
	s_getpc_b64 s[14:15]
.Lpost_getpc18957:
	s_add_u32 s14, s14, (.LBB2_4152-.Lpost_getpc18957)&4294967295
	s_addc_u32 s15, s15, (.LBB2_4152-.Lpost_getpc18957)>>32
	s_setpc_b64 s[14:15]
.LBB2_18489:
	s_movk_i32 s4, 0x80
	v_cmp_eq_u16_sdwa s[12:13], v7, s4 src0_sel:BYTE_3 src1_sel:DWORD
	s_mov_b64 s[4:5], -1
                                        ; implicit-def: $sgpr10
	s_and_saveexec_b64 s[8:9], s[12:13]
; %bb.18490:
	s_mov_b32 s10, 0x7f800001
	s_xor_b64 s[4:5], exec, -1
; %bb.18491:
	s_or_b64 exec, exec, s[8:9]
	s_and_b64 s[4:5], s[4:5], exec
	s_or_saveexec_b64 s[6:7], s[6:7]
	v_mov_b32_e32 v2, s10
	s_xor_b64 exec, exec, s[6:7]
	s_cbranch_execnz .LBB2_18492
; %bb.54329:
	s_getpc_b64 s[14:15]
.Lpost_getpc30748:
	s_add_u32 s14, s14, (.LBB2_4154-.Lpost_getpc30748)&4294967295
	s_addc_u32 s15, s15, (.LBB2_4154-.Lpost_getpc30748)>>32
	s_setpc_b64 s[14:15]
.LBB2_18492:
	v_mov_b32_e32 v2, 0
	v_cmp_ne_u16_sdwa s[8:9], v7, v2 src0_sel:BYTE_3 src1_sel:DWORD
	s_andn2_b64 s[4:5], s[4:5], exec
	s_and_b64 s[8:9], s[8:9], exec
	s_or_b64 s[4:5], s[4:5], s[8:9]
	s_or_b64 exec, exec, s[6:7]
	s_and_saveexec_b64 s[6:7], s[4:5]
	s_cbranch_execz .LBB2_30749
; %bb.54331:
	s_getpc_b64 s[14:15]
.Lpost_getpc30749:
	s_add_u32 s14, s14, (.LBB2_4155-.Lpost_getpc30749)&4294967295
	s_addc_u32 s15, s15, (.LBB2_4155-.Lpost_getpc30749)>>32
	s_setpc_b64 s[14:15]
.LBB2_30749:
	s_getpc_b64 s[14:15]
.Lpost_getpc18958:
	s_add_u32 s14, s14, (.LBB2_4156-.Lpost_getpc18958)&4294967295
	s_addc_u32 s15, s15, (.LBB2_4156-.Lpost_getpc18958)>>32
	s_setpc_b64 s[14:15]
.LBB2_18493:
	s_movk_i32 s4, 0x80
	v_cmp_eq_u16_sdwa s[12:13], v3, s4 src0_sel:BYTE_3 src1_sel:DWORD
	s_mov_b64 s[4:5], -1
                                        ; implicit-def: $sgpr10
	s_and_saveexec_b64 s[8:9], s[12:13]
; %bb.18494:
	s_mov_b32 s10, 0x7f800001
	s_xor_b64 s[4:5], exec, -1
; %bb.18495:
	s_or_b64 exec, exec, s[8:9]
	s_and_b64 s[4:5], s[4:5], exec
	s_or_saveexec_b64 s[6:7], s[6:7]
	v_mov_b32_e32 v6, s10
	s_xor_b64 exec, exec, s[6:7]
	s_cbranch_execnz .LBB2_18496
; %bb.54333:
	s_getpc_b64 s[14:15]
.Lpost_getpc30750:
	s_add_u32 s14, s14, (.LBB2_4158-.Lpost_getpc30750)&4294967295
	s_addc_u32 s15, s15, (.LBB2_4158-.Lpost_getpc30750)>>32
	s_setpc_b64 s[14:15]
.LBB2_18496:
	v_mov_b32_e32 v6, 0
	v_cmp_ne_u16_sdwa s[8:9], v3, v6 src0_sel:BYTE_3 src1_sel:DWORD
	s_andn2_b64 s[4:5], s[4:5], exec
	s_and_b64 s[8:9], s[8:9], exec
	s_or_b64 s[4:5], s[4:5], s[8:9]
	s_or_b64 exec, exec, s[6:7]
	s_and_saveexec_b64 s[6:7], s[4:5]
	s_cbranch_execz .LBB2_30751
; %bb.54335:
	s_getpc_b64 s[14:15]
.Lpost_getpc30751:
	s_add_u32 s14, s14, (.LBB2_4159-.Lpost_getpc30751)&4294967295
	s_addc_u32 s15, s15, (.LBB2_4159-.Lpost_getpc30751)>>32
	s_setpc_b64 s[14:15]
.LBB2_30751:
	s_getpc_b64 s[14:15]
.Lpost_getpc18959:
	s_add_u32 s14, s14, (.LBB2_4160-.Lpost_getpc18959)&4294967295
	s_addc_u32 s15, s15, (.LBB2_4160-.Lpost_getpc18959)>>32
	s_setpc_b64 s[14:15]
.LBB2_18497:
	s_movk_i32 s4, 0x80
	v_cmp_eq_u16_sdwa s[12:13], v8, s4 src0_sel:BYTE_0 src1_sel:DWORD
	s_mov_b64 s[4:5], -1
                                        ; implicit-def: $sgpr10
	s_and_saveexec_b64 s[8:9], s[12:13]
; %bb.18498:
	s_mov_b32 s10, 0x7f800001
	s_xor_b64 s[4:5], exec, -1
; %bb.18499:
	s_or_b64 exec, exec, s[8:9]
	s_and_b64 s[4:5], s[4:5], exec
	s_or_saveexec_b64 s[6:7], s[6:7]
	v_mov_b32_e32 v2, s10
	s_xor_b64 exec, exec, s[6:7]
	s_cbranch_execnz .LBB2_18500
; %bb.54337:
	s_getpc_b64 s[14:15]
.Lpost_getpc30752:
	s_add_u32 s14, s14, (.LBB2_4162-.Lpost_getpc30752)&4294967295
	s_addc_u32 s15, s15, (.LBB2_4162-.Lpost_getpc30752)>>32
	s_setpc_b64 s[14:15]
.LBB2_18500:
	v_mov_b32_e32 v2, 0
	v_cmp_ne_u16_sdwa s[8:9], v8, v2 src0_sel:BYTE_0 src1_sel:DWORD
	s_andn2_b64 s[4:5], s[4:5], exec
	s_and_b64 s[8:9], s[8:9], exec
	s_or_b64 s[4:5], s[4:5], s[8:9]
	s_or_b64 exec, exec, s[6:7]
	s_and_saveexec_b64 s[6:7], s[4:5]
	s_cbranch_execz .LBB2_30753
; %bb.54339:
	s_getpc_b64 s[14:15]
.Lpost_getpc30753:
	s_add_u32 s14, s14, (.LBB2_4163-.Lpost_getpc30753)&4294967295
	s_addc_u32 s15, s15, (.LBB2_4163-.Lpost_getpc30753)>>32
	s_setpc_b64 s[14:15]
.LBB2_30753:
	s_getpc_b64 s[14:15]
.Lpost_getpc18960:
	s_add_u32 s14, s14, (.LBB2_4164-.Lpost_getpc18960)&4294967295
	s_addc_u32 s15, s15, (.LBB2_4164-.Lpost_getpc18960)>>32
	s_setpc_b64 s[14:15]
.LBB2_18501:
	s_movk_i32 s4, 0x80
	v_cmp_eq_u16_sdwa s[12:13], v4, s4 src0_sel:BYTE_0 src1_sel:DWORD
	s_mov_b64 s[4:5], -1
                                        ; implicit-def: $sgpr10
	s_and_saveexec_b64 s[8:9], s[12:13]
; %bb.18502:
	s_mov_b32 s10, 0x7f800001
	s_xor_b64 s[4:5], exec, -1
; %bb.18503:
	s_or_b64 exec, exec, s[8:9]
	s_and_b64 s[4:5], s[4:5], exec
	s_or_saveexec_b64 s[6:7], s[6:7]
	v_mov_b32_e32 v3, s10
	s_xor_b64 exec, exec, s[6:7]
	s_cbranch_execnz .LBB2_18504
; %bb.54341:
	s_getpc_b64 s[14:15]
.Lpost_getpc30754:
	s_add_u32 s14, s14, (.LBB2_4166-.Lpost_getpc30754)&4294967295
	s_addc_u32 s15, s15, (.LBB2_4166-.Lpost_getpc30754)>>32
	s_setpc_b64 s[14:15]
.LBB2_18504:
	v_mov_b32_e32 v3, 0
	v_cmp_ne_u16_sdwa s[8:9], v4, v3 src0_sel:BYTE_0 src1_sel:DWORD
	s_andn2_b64 s[4:5], s[4:5], exec
	s_and_b64 s[8:9], s[8:9], exec
	s_or_b64 s[4:5], s[4:5], s[8:9]
	s_or_b64 exec, exec, s[6:7]
	s_and_saveexec_b64 s[6:7], s[4:5]
	s_cbranch_execz .LBB2_30755
; %bb.54343:
	s_getpc_b64 s[14:15]
.Lpost_getpc30755:
	s_add_u32 s14, s14, (.LBB2_4167-.Lpost_getpc30755)&4294967295
	s_addc_u32 s15, s15, (.LBB2_4167-.Lpost_getpc30755)>>32
	s_setpc_b64 s[14:15]
.LBB2_30755:
	s_getpc_b64 s[14:15]
.Lpost_getpc18961:
	s_add_u32 s14, s14, (.LBB2_4168-.Lpost_getpc18961)&4294967295
	s_addc_u32 s15, s15, (.LBB2_4168-.Lpost_getpc18961)>>32
	s_setpc_b64 s[14:15]
.LBB2_18505:
	s_movk_i32 s4, 0x80
	v_cmp_eq_u16_sdwa s[12:13], v3, s4 src0_sel:BYTE_0 src1_sel:DWORD
	s_mov_b64 s[4:5], -1
                                        ; implicit-def: $sgpr10
	s_and_saveexec_b64 s[8:9], s[12:13]
; %bb.18506:
	s_mov_b32 s10, 0x7f800001
	s_xor_b64 s[4:5], exec, -1
; %bb.18507:
	s_or_b64 exec, exec, s[8:9]
	s_and_b64 s[4:5], s[4:5], exec
	s_or_saveexec_b64 s[6:7], s[6:7]
	v_mov_b32_e32 v2, s10
	s_xor_b64 exec, exec, s[6:7]
	s_cbranch_execnz .LBB2_18508
; %bb.54345:
	s_getpc_b64 s[14:15]
.Lpost_getpc30756:
	s_add_u32 s14, s14, (.LBB2_4170-.Lpost_getpc30756)&4294967295
	s_addc_u32 s15, s15, (.LBB2_4170-.Lpost_getpc30756)>>32
	s_setpc_b64 s[14:15]
.LBB2_18508:
	v_mov_b32_e32 v2, 0
	v_cmp_ne_u16_sdwa s[8:9], v3, v2 src0_sel:BYTE_0 src1_sel:DWORD
	s_andn2_b64 s[4:5], s[4:5], exec
	s_and_b64 s[8:9], s[8:9], exec
	s_or_b64 s[4:5], s[4:5], s[8:9]
	s_or_b64 exec, exec, s[6:7]
	s_and_saveexec_b64 s[6:7], s[4:5]
	s_cbranch_execz .LBB2_30757
; %bb.54347:
	s_getpc_b64 s[14:15]
.Lpost_getpc30757:
	s_add_u32 s14, s14, (.LBB2_4171-.Lpost_getpc30757)&4294967295
	s_addc_u32 s15, s15, (.LBB2_4171-.Lpost_getpc30757)>>32
	s_setpc_b64 s[14:15]
.LBB2_30757:
	s_getpc_b64 s[14:15]
.Lpost_getpc18962:
	s_add_u32 s14, s14, (.LBB2_4172-.Lpost_getpc18962)&4294967295
	s_addc_u32 s15, s15, (.LBB2_4172-.Lpost_getpc18962)>>32
	s_setpc_b64 s[14:15]
.LBB2_18509:
	s_movk_i32 s4, 0x80
	v_cmp_eq_u16_sdwa s[12:13], v3, s4 src0_sel:BYTE_0 src1_sel:DWORD
	s_mov_b64 s[4:5], -1
                                        ; implicit-def: $sgpr10
	s_and_saveexec_b64 s[8:9], s[12:13]
; %bb.18510:
	s_mov_b32 s10, 0x7f800001
	s_xor_b64 s[4:5], exec, -1
; %bb.18511:
	s_or_b64 exec, exec, s[8:9]
	s_and_b64 s[4:5], s[4:5], exec
	s_or_saveexec_b64 s[6:7], s[6:7]
	v_mov_b32_e32 v6, s10
	s_xor_b64 exec, exec, s[6:7]
	s_cbranch_execnz .LBB2_18512
; %bb.54349:
	s_getpc_b64 s[14:15]
.Lpost_getpc30758:
	s_add_u32 s14, s14, (.LBB2_4174-.Lpost_getpc30758)&4294967295
	s_addc_u32 s15, s15, (.LBB2_4174-.Lpost_getpc30758)>>32
	s_setpc_b64 s[14:15]
.LBB2_18512:
	v_mov_b32_e32 v6, 0
	v_cmp_ne_u16_sdwa s[8:9], v3, v6 src0_sel:BYTE_0 src1_sel:DWORD
	s_andn2_b64 s[4:5], s[4:5], exec
	s_and_b64 s[8:9], s[8:9], exec
	s_or_b64 s[4:5], s[4:5], s[8:9]
	s_or_b64 exec, exec, s[6:7]
	s_and_saveexec_b64 s[6:7], s[4:5]
	s_cbranch_execz .LBB2_30759
; %bb.54351:
	s_getpc_b64 s[14:15]
.Lpost_getpc30759:
	s_add_u32 s14, s14, (.LBB2_4175-.Lpost_getpc30759)&4294967295
	s_addc_u32 s15, s15, (.LBB2_4175-.Lpost_getpc30759)>>32
	s_setpc_b64 s[14:15]
.LBB2_30759:
	s_getpc_b64 s[14:15]
.Lpost_getpc18963:
	s_add_u32 s14, s14, (.LBB2_4176-.Lpost_getpc18963)&4294967295
	s_addc_u32 s15, s15, (.LBB2_4176-.Lpost_getpc18963)>>32
	s_setpc_b64 s[14:15]
.LBB2_18513:
	s_movk_i32 s4, 0x80
	v_cmp_eq_u16_e32 vcc, s4, v3
	s_mov_b64 s[4:5], -1
                                        ; implicit-def: $sgpr10
	s_and_saveexec_b64 s[8:9], vcc
; %bb.18514:
	s_mov_b32 s10, 0x7f800001
	s_xor_b64 s[4:5], exec, -1
; %bb.18515:
	s_or_b64 exec, exec, s[8:9]
	s_and_b64 s[4:5], s[4:5], exec
                                        ; implicit-def: $vgpr3
	s_or_saveexec_b64 s[6:7], s[6:7]
	v_mov_b32_e32 v2, s10
	s_xor_b64 exec, exec, s[6:7]
	s_cbranch_execnz .LBB2_18516
; %bb.54353:
	s_getpc_b64 s[14:15]
.Lpost_getpc30760:
	s_add_u32 s14, s14, (.LBB2_4178-.Lpost_getpc30760)&4294967295
	s_addc_u32 s15, s15, (.LBB2_4178-.Lpost_getpc30760)>>32
	s_setpc_b64 s[14:15]
.LBB2_18516:
	v_cmp_ne_u16_e32 vcc, 0, v3
	s_andn2_b64 s[4:5], s[4:5], exec
	s_and_b64 s[8:9], vcc, exec
	v_mov_b32_e32 v2, 0
	s_or_b64 s[4:5], s[4:5], s[8:9]
	s_or_b64 exec, exec, s[6:7]
	s_and_saveexec_b64 s[6:7], s[4:5]
	s_cbranch_execz .LBB2_30761
; %bb.54355:
	s_getpc_b64 s[14:15]
.Lpost_getpc30761:
	s_add_u32 s14, s14, (.LBB2_4179-.Lpost_getpc30761)&4294967295
	s_addc_u32 s15, s15, (.LBB2_4179-.Lpost_getpc30761)>>32
	s_setpc_b64 s[14:15]
.LBB2_30761:
	s_getpc_b64 s[14:15]
.Lpost_getpc18964:
	s_add_u32 s14, s14, (.LBB2_4180-.Lpost_getpc18964)&4294967295
	s_addc_u32 s15, s15, (.LBB2_4180-.Lpost_getpc18964)>>32
	s_setpc_b64 s[14:15]
.LBB2_18517:
	s_movk_i32 s4, 0x80
	v_cmp_eq_u16_e32 vcc, s4, v3
	s_mov_b64 s[4:5], -1
                                        ; implicit-def: $sgpr10
	s_and_saveexec_b64 s[8:9], vcc
; %bb.18518:
	s_mov_b32 s10, 0x7f800001
	s_xor_b64 s[4:5], exec, -1
; %bb.18519:
	s_or_b64 exec, exec, s[8:9]
	s_and_b64 s[4:5], s[4:5], exec
                                        ; implicit-def: $vgpr3
	s_or_saveexec_b64 s[6:7], s[6:7]
	v_mov_b32_e32 v6, s10
	s_xor_b64 exec, exec, s[6:7]
	s_cbranch_execnz .LBB2_18520
; %bb.54357:
	s_getpc_b64 s[14:15]
.Lpost_getpc30762:
	s_add_u32 s14, s14, (.LBB2_4182-.Lpost_getpc30762)&4294967295
	s_addc_u32 s15, s15, (.LBB2_4182-.Lpost_getpc30762)>>32
	s_setpc_b64 s[14:15]
.LBB2_18520:
	v_cmp_ne_u16_e32 vcc, 0, v3
	s_andn2_b64 s[4:5], s[4:5], exec
	s_and_b64 s[8:9], vcc, exec
	v_mov_b32_e32 v6, 0
	s_or_b64 s[4:5], s[4:5], s[8:9]
	s_or_b64 exec, exec, s[6:7]
	s_and_saveexec_b64 s[6:7], s[4:5]
	s_cbranch_execz .LBB2_30763
; %bb.54359:
	s_getpc_b64 s[14:15]
.Lpost_getpc30763:
	s_add_u32 s14, s14, (.LBB2_4183-.Lpost_getpc30763)&4294967295
	s_addc_u32 s15, s15, (.LBB2_4183-.Lpost_getpc30763)>>32
	s_setpc_b64 s[14:15]
.LBB2_30763:
	s_getpc_b64 s[14:15]
.Lpost_getpc18965:
	s_add_u32 s14, s14, (.LBB2_4184-.Lpost_getpc18965)&4294967295
	s_addc_u32 s15, s15, (.LBB2_4184-.Lpost_getpc18965)>>32
	s_setpc_b64 s[14:15]
.LBB2_18521:
	s_movk_i32 s4, 0x80
	v_cmp_eq_u16_sdwa s[12:13], v8, s4 src0_sel:BYTE_3 src1_sel:DWORD
	s_mov_b64 s[4:5], -1
                                        ; implicit-def: $sgpr10
	s_and_saveexec_b64 s[8:9], s[12:13]
; %bb.18522:
	s_mov_b32 s10, 0x7f800001
	s_xor_b64 s[4:5], exec, -1
; %bb.18523:
	s_or_b64 exec, exec, s[8:9]
	s_and_b64 s[4:5], s[4:5], exec
	s_or_saveexec_b64 s[6:7], s[6:7]
	v_mov_b32_e32 v2, s10
	s_xor_b64 exec, exec, s[6:7]
	s_cbranch_execnz .LBB2_18524
; %bb.54361:
	s_getpc_b64 s[14:15]
.Lpost_getpc30764:
	s_add_u32 s14, s14, (.LBB2_4186-.Lpost_getpc30764)&4294967295
	s_addc_u32 s15, s15, (.LBB2_4186-.Lpost_getpc30764)>>32
	s_setpc_b64 s[14:15]
.LBB2_18524:
	v_mov_b32_e32 v2, 0
	v_cmp_ne_u16_sdwa s[8:9], v8, v2 src0_sel:BYTE_3 src1_sel:DWORD
	s_andn2_b64 s[4:5], s[4:5], exec
	s_and_b64 s[8:9], s[8:9], exec
	s_or_b64 s[4:5], s[4:5], s[8:9]
	s_or_b64 exec, exec, s[6:7]
	s_and_saveexec_b64 s[6:7], s[4:5]
	s_cbranch_execz .LBB2_30765
; %bb.54363:
	s_getpc_b64 s[14:15]
.Lpost_getpc30765:
	s_add_u32 s14, s14, (.LBB2_4187-.Lpost_getpc30765)&4294967295
	s_addc_u32 s15, s15, (.LBB2_4187-.Lpost_getpc30765)>>32
	s_setpc_b64 s[14:15]
.LBB2_30765:
	s_getpc_b64 s[14:15]
.Lpost_getpc18966:
	s_add_u32 s14, s14, (.LBB2_4188-.Lpost_getpc18966)&4294967295
	s_addc_u32 s15, s15, (.LBB2_4188-.Lpost_getpc18966)>>32
	s_setpc_b64 s[14:15]
.LBB2_18525:
	s_movk_i32 s4, 0x80
	v_cmp_eq_u16_sdwa s[12:13], v4, s4 src0_sel:BYTE_3 src1_sel:DWORD
	s_mov_b64 s[4:5], -1
                                        ; implicit-def: $sgpr10
	s_and_saveexec_b64 s[8:9], s[12:13]
; %bb.18526:
	s_mov_b32 s10, 0x7f800001
	s_xor_b64 s[4:5], exec, -1
; %bb.18527:
	s_or_b64 exec, exec, s[8:9]
	s_and_b64 s[4:5], s[4:5], exec
	s_or_saveexec_b64 s[6:7], s[6:7]
	v_mov_b32_e32 v3, s10
	s_xor_b64 exec, exec, s[6:7]
	s_cbranch_execnz .LBB2_18528
; %bb.54365:
	s_getpc_b64 s[14:15]
.Lpost_getpc30766:
	s_add_u32 s14, s14, (.LBB2_4190-.Lpost_getpc30766)&4294967295
	s_addc_u32 s15, s15, (.LBB2_4190-.Lpost_getpc30766)>>32
	s_setpc_b64 s[14:15]
.LBB2_18528:
	v_mov_b32_e32 v3, 0
	v_cmp_ne_u16_sdwa s[8:9], v4, v3 src0_sel:BYTE_3 src1_sel:DWORD
	s_andn2_b64 s[4:5], s[4:5], exec
	s_and_b64 s[8:9], s[8:9], exec
	s_or_b64 s[4:5], s[4:5], s[8:9]
	s_or_b64 exec, exec, s[6:7]
	s_and_saveexec_b64 s[6:7], s[4:5]
	s_cbranch_execz .LBB2_30767
; %bb.54367:
	s_getpc_b64 s[14:15]
.Lpost_getpc30767:
	s_add_u32 s14, s14, (.LBB2_4191-.Lpost_getpc30767)&4294967295
	s_addc_u32 s15, s15, (.LBB2_4191-.Lpost_getpc30767)>>32
	s_setpc_b64 s[14:15]
.LBB2_30767:
	s_getpc_b64 s[14:15]
.Lpost_getpc18967:
	s_add_u32 s14, s14, (.LBB2_4192-.Lpost_getpc18967)&4294967295
	s_addc_u32 s15, s15, (.LBB2_4192-.Lpost_getpc18967)>>32
	s_setpc_b64 s[14:15]
.LBB2_18529:
	s_movk_i32 s4, 0x80
	v_cmp_eq_u16_sdwa s[12:13], v9, s4 src0_sel:BYTE_0 src1_sel:DWORD
	s_mov_b64 s[4:5], -1
                                        ; implicit-def: $sgpr10
	s_and_saveexec_b64 s[8:9], s[12:13]
; %bb.18530:
	s_mov_b32 s10, 0x7f800001
	s_xor_b64 s[4:5], exec, -1
; %bb.18531:
	s_or_b64 exec, exec, s[8:9]
	s_and_b64 s[4:5], s[4:5], exec
	s_or_saveexec_b64 s[6:7], s[6:7]
	v_mov_b32_e32 v2, s10
	s_xor_b64 exec, exec, s[6:7]
	s_cbranch_execnz .LBB2_18532
; %bb.54369:
	s_getpc_b64 s[14:15]
.Lpost_getpc30768:
	s_add_u32 s14, s14, (.LBB2_4194-.Lpost_getpc30768)&4294967295
	s_addc_u32 s15, s15, (.LBB2_4194-.Lpost_getpc30768)>>32
	s_setpc_b64 s[14:15]
.LBB2_18532:
	v_mov_b32_e32 v2, 0
	v_cmp_ne_u16_sdwa s[8:9], v9, v2 src0_sel:BYTE_0 src1_sel:DWORD
	s_andn2_b64 s[4:5], s[4:5], exec
	s_and_b64 s[8:9], s[8:9], exec
	s_or_b64 s[4:5], s[4:5], s[8:9]
	s_or_b64 exec, exec, s[6:7]
	s_and_saveexec_b64 s[6:7], s[4:5]
	s_cbranch_execz .LBB2_30769
; %bb.54371:
	s_getpc_b64 s[14:15]
.Lpost_getpc30769:
	s_add_u32 s14, s14, (.LBB2_4195-.Lpost_getpc30769)&4294967295
	s_addc_u32 s15, s15, (.LBB2_4195-.Lpost_getpc30769)>>32
	s_setpc_b64 s[14:15]
.LBB2_30769:
	s_getpc_b64 s[14:15]
.Lpost_getpc18968:
	s_add_u32 s14, s14, (.LBB2_4196-.Lpost_getpc18968)&4294967295
	s_addc_u32 s15, s15, (.LBB2_4196-.Lpost_getpc18968)>>32
	s_setpc_b64 s[14:15]
.LBB2_18533:
	s_movk_i32 s4, 0x80
	v_cmp_eq_u16_sdwa s[12:13], v5, s4 src0_sel:BYTE_0 src1_sel:DWORD
	s_mov_b64 s[4:5], -1
                                        ; implicit-def: $sgpr10
	s_and_saveexec_b64 s[8:9], s[12:13]
; %bb.18534:
	s_mov_b32 s10, 0x7f800001
	s_xor_b64 s[4:5], exec, -1
; %bb.18535:
	s_or_b64 exec, exec, s[8:9]
	s_and_b64 s[4:5], s[4:5], exec
	s_or_saveexec_b64 s[6:7], s[6:7]
	v_mov_b32_e32 v3, s10
	s_xor_b64 exec, exec, s[6:7]
	s_cbranch_execnz .LBB2_18536
; %bb.54373:
	s_getpc_b64 s[14:15]
.Lpost_getpc30770:
	s_add_u32 s14, s14, (.LBB2_4198-.Lpost_getpc30770)&4294967295
	s_addc_u32 s15, s15, (.LBB2_4198-.Lpost_getpc30770)>>32
	s_setpc_b64 s[14:15]
.LBB2_18536:
	v_mov_b32_e32 v3, 0
	v_cmp_ne_u16_sdwa s[8:9], v5, v3 src0_sel:BYTE_0 src1_sel:DWORD
	s_andn2_b64 s[4:5], s[4:5], exec
	s_and_b64 s[8:9], s[8:9], exec
	s_or_b64 s[4:5], s[4:5], s[8:9]
	s_or_b64 exec, exec, s[6:7]
	s_and_saveexec_b64 s[6:7], s[4:5]
	s_cbranch_execz .LBB2_30771
; %bb.54375:
	s_getpc_b64 s[14:15]
.Lpost_getpc30771:
	s_add_u32 s14, s14, (.LBB2_4199-.Lpost_getpc30771)&4294967295
	s_addc_u32 s15, s15, (.LBB2_4199-.Lpost_getpc30771)>>32
	s_setpc_b64 s[14:15]
.LBB2_30771:
	s_getpc_b64 s[14:15]
.Lpost_getpc18969:
	s_add_u32 s14, s14, (.LBB2_4200-.Lpost_getpc18969)&4294967295
	s_addc_u32 s15, s15, (.LBB2_4200-.Lpost_getpc18969)>>32
	s_setpc_b64 s[14:15]
.LBB2_18537:
	s_movk_i32 s4, 0x80
	v_cmp_eq_u16_sdwa s[12:13], v3, s4 src0_sel:BYTE_0 src1_sel:DWORD
	s_mov_b64 s[4:5], -1
                                        ; implicit-def: $sgpr10
	s_and_saveexec_b64 s[8:9], s[12:13]
; %bb.18538:
	s_mov_b32 s10, 0x7f800001
	s_xor_b64 s[4:5], exec, -1
; %bb.18539:
	s_or_b64 exec, exec, s[8:9]
	s_and_b64 s[4:5], s[4:5], exec
	s_or_saveexec_b64 s[6:7], s[6:7]
	v_mov_b32_e32 v2, s10
	s_xor_b64 exec, exec, s[6:7]
	s_cbranch_execnz .LBB2_18540
; %bb.54377:
	s_getpc_b64 s[14:15]
.Lpost_getpc30772:
	s_add_u32 s14, s14, (.LBB2_4202-.Lpost_getpc30772)&4294967295
	s_addc_u32 s15, s15, (.LBB2_4202-.Lpost_getpc30772)>>32
	s_setpc_b64 s[14:15]
.LBB2_18540:
	v_mov_b32_e32 v2, 0
	v_cmp_ne_u16_sdwa s[8:9], v3, v2 src0_sel:BYTE_0 src1_sel:DWORD
	s_andn2_b64 s[4:5], s[4:5], exec
	s_and_b64 s[8:9], s[8:9], exec
	s_or_b64 s[4:5], s[4:5], s[8:9]
	s_or_b64 exec, exec, s[6:7]
	s_and_saveexec_b64 s[6:7], s[4:5]
	s_cbranch_execz .LBB2_30773
; %bb.54379:
	s_getpc_b64 s[14:15]
.Lpost_getpc30773:
	s_add_u32 s14, s14, (.LBB2_4203-.Lpost_getpc30773)&4294967295
	s_addc_u32 s15, s15, (.LBB2_4203-.Lpost_getpc30773)>>32
	s_setpc_b64 s[14:15]
.LBB2_30773:
	s_getpc_b64 s[14:15]
.Lpost_getpc18970:
	s_add_u32 s14, s14, (.LBB2_4204-.Lpost_getpc18970)&4294967295
	s_addc_u32 s15, s15, (.LBB2_4204-.Lpost_getpc18970)>>32
	s_setpc_b64 s[14:15]
.LBB2_18541:
	s_movk_i32 s4, 0x80
	v_cmp_eq_u16_sdwa s[12:13], v3, s4 src0_sel:BYTE_0 src1_sel:DWORD
	s_mov_b64 s[4:5], -1
                                        ; implicit-def: $sgpr10
	s_and_saveexec_b64 s[8:9], s[12:13]
; %bb.18542:
	s_mov_b32 s10, 0x7f800001
	s_xor_b64 s[4:5], exec, -1
; %bb.18543:
	s_or_b64 exec, exec, s[8:9]
	s_and_b64 s[4:5], s[4:5], exec
	s_or_saveexec_b64 s[6:7], s[6:7]
	v_mov_b32_e32 v4, s10
	s_xor_b64 exec, exec, s[6:7]
	s_cbranch_execnz .LBB2_18544
; %bb.54381:
	s_getpc_b64 s[14:15]
.Lpost_getpc30774:
	s_add_u32 s14, s14, (.LBB2_4206-.Lpost_getpc30774)&4294967295
	s_addc_u32 s15, s15, (.LBB2_4206-.Lpost_getpc30774)>>32
	s_setpc_b64 s[14:15]
.LBB2_18544:
	v_mov_b32_e32 v4, 0
	v_cmp_ne_u16_sdwa s[8:9], v3, v4 src0_sel:BYTE_0 src1_sel:DWORD
	s_andn2_b64 s[4:5], s[4:5], exec
	s_and_b64 s[8:9], s[8:9], exec
	s_or_b64 s[4:5], s[4:5], s[8:9]
	s_or_b64 exec, exec, s[6:7]
	s_and_saveexec_b64 s[6:7], s[4:5]
	s_cbranch_execz .LBB2_30775
; %bb.54383:
	s_getpc_b64 s[14:15]
.Lpost_getpc30775:
	s_add_u32 s14, s14, (.LBB2_4207-.Lpost_getpc30775)&4294967295
	s_addc_u32 s15, s15, (.LBB2_4207-.Lpost_getpc30775)>>32
	s_setpc_b64 s[14:15]
.LBB2_30775:
	s_getpc_b64 s[14:15]
.Lpost_getpc18971:
	s_add_u32 s14, s14, (.LBB2_4208-.Lpost_getpc18971)&4294967295
	s_addc_u32 s15, s15, (.LBB2_4208-.Lpost_getpc18971)>>32
	s_setpc_b64 s[14:15]
.LBB2_18545:
	s_movk_i32 s4, 0x80
	v_cmp_eq_u16_e32 vcc, s4, v3
	s_mov_b64 s[4:5], -1
                                        ; implicit-def: $sgpr10
	s_and_saveexec_b64 s[8:9], vcc
; %bb.18546:
	s_mov_b32 s10, 0x7f800001
	s_xor_b64 s[4:5], exec, -1
; %bb.18547:
	s_or_b64 exec, exec, s[8:9]
	s_and_b64 s[4:5], s[4:5], exec
                                        ; implicit-def: $vgpr3
	s_or_saveexec_b64 s[6:7], s[6:7]
	v_mov_b32_e32 v2, s10
	s_xor_b64 exec, exec, s[6:7]
	s_cbranch_execnz .LBB2_18548
; %bb.54385:
	s_getpc_b64 s[14:15]
.Lpost_getpc30776:
	s_add_u32 s14, s14, (.LBB2_4210-.Lpost_getpc30776)&4294967295
	s_addc_u32 s15, s15, (.LBB2_4210-.Lpost_getpc30776)>>32
	s_setpc_b64 s[14:15]
.LBB2_18548:
	v_cmp_ne_u16_e32 vcc, 0, v3
	s_andn2_b64 s[4:5], s[4:5], exec
	s_and_b64 s[8:9], vcc, exec
	v_mov_b32_e32 v2, 0
	s_or_b64 s[4:5], s[4:5], s[8:9]
	s_or_b64 exec, exec, s[6:7]
	s_and_saveexec_b64 s[6:7], s[4:5]
	s_cbranch_execz .LBB2_30777
; %bb.54387:
	s_getpc_b64 s[14:15]
.Lpost_getpc30777:
	s_add_u32 s14, s14, (.LBB2_4211-.Lpost_getpc30777)&4294967295
	s_addc_u32 s15, s15, (.LBB2_4211-.Lpost_getpc30777)>>32
	s_setpc_b64 s[14:15]
.LBB2_30777:
	s_getpc_b64 s[14:15]
.Lpost_getpc18972:
	s_add_u32 s14, s14, (.LBB2_4212-.Lpost_getpc18972)&4294967295
	s_addc_u32 s15, s15, (.LBB2_4212-.Lpost_getpc18972)>>32
	s_setpc_b64 s[14:15]
.LBB2_18549:
	s_movk_i32 s4, 0x80
	v_cmp_eq_u16_e32 vcc, s4, v3
	s_mov_b64 s[4:5], -1
                                        ; implicit-def: $sgpr10
	s_and_saveexec_b64 s[8:9], vcc
; %bb.18550:
	s_mov_b32 s10, 0x7f800001
	s_xor_b64 s[4:5], exec, -1
; %bb.18551:
	s_or_b64 exec, exec, s[8:9]
	s_and_b64 s[4:5], s[4:5], exec
                                        ; implicit-def: $vgpr3
	s_or_saveexec_b64 s[6:7], s[6:7]
	v_mov_b32_e32 v4, s10
	s_xor_b64 exec, exec, s[6:7]
	s_cbranch_execnz .LBB2_18552
; %bb.54389:
	s_getpc_b64 s[14:15]
.Lpost_getpc30778:
	s_add_u32 s14, s14, (.LBB2_4214-.Lpost_getpc30778)&4294967295
	s_addc_u32 s15, s15, (.LBB2_4214-.Lpost_getpc30778)>>32
	s_setpc_b64 s[14:15]
.LBB2_18552:
	v_cmp_ne_u16_e32 vcc, 0, v3
	s_andn2_b64 s[4:5], s[4:5], exec
	s_and_b64 s[8:9], vcc, exec
	v_mov_b32_e32 v4, 0
	s_or_b64 s[4:5], s[4:5], s[8:9]
	s_or_b64 exec, exec, s[6:7]
	s_and_saveexec_b64 s[6:7], s[4:5]
	s_cbranch_execz .LBB2_30779
; %bb.54391:
	s_getpc_b64 s[14:15]
.Lpost_getpc30779:
	s_add_u32 s14, s14, (.LBB2_4215-.Lpost_getpc30779)&4294967295
	s_addc_u32 s15, s15, (.LBB2_4215-.Lpost_getpc30779)>>32
	s_setpc_b64 s[14:15]
.LBB2_30779:
	s_getpc_b64 s[14:15]
.Lpost_getpc18973:
	s_add_u32 s14, s14, (.LBB2_4216-.Lpost_getpc18973)&4294967295
	s_addc_u32 s15, s15, (.LBB2_4216-.Lpost_getpc18973)>>32
	s_setpc_b64 s[14:15]
.LBB2_18553:
	s_movk_i32 s4, 0x80
	v_cmp_eq_u16_sdwa s[12:13], v9, s4 src0_sel:BYTE_3 src1_sel:DWORD
	s_mov_b64 s[4:5], -1
                                        ; implicit-def: $sgpr10
	s_and_saveexec_b64 s[8:9], s[12:13]
; %bb.18554:
	s_mov_b32 s10, 0x7f800001
	s_xor_b64 s[4:5], exec, -1
; %bb.18555:
	s_or_b64 exec, exec, s[8:9]
	s_and_b64 s[4:5], s[4:5], exec
	s_or_saveexec_b64 s[6:7], s[6:7]
	v_mov_b32_e32 v2, s10
	s_xor_b64 exec, exec, s[6:7]
	s_cbranch_execnz .LBB2_18556
; %bb.54393:
	s_getpc_b64 s[14:15]
.Lpost_getpc30780:
	s_add_u32 s14, s14, (.LBB2_4218-.Lpost_getpc30780)&4294967295
	s_addc_u32 s15, s15, (.LBB2_4218-.Lpost_getpc30780)>>32
	s_setpc_b64 s[14:15]
.LBB2_18556:
	v_mov_b32_e32 v2, 0
	v_cmp_ne_u16_sdwa s[8:9], v9, v2 src0_sel:BYTE_3 src1_sel:DWORD
	s_andn2_b64 s[4:5], s[4:5], exec
	s_and_b64 s[8:9], s[8:9], exec
	s_or_b64 s[4:5], s[4:5], s[8:9]
	s_or_b64 exec, exec, s[6:7]
	s_and_saveexec_b64 s[6:7], s[4:5]
	s_cbranch_execz .LBB2_30781
; %bb.54395:
	s_getpc_b64 s[14:15]
.Lpost_getpc30781:
	s_add_u32 s14, s14, (.LBB2_4219-.Lpost_getpc30781)&4294967295
	s_addc_u32 s15, s15, (.LBB2_4219-.Lpost_getpc30781)>>32
	s_setpc_b64 s[14:15]
.LBB2_30781:
	s_getpc_b64 s[14:15]
.Lpost_getpc18974:
	s_add_u32 s14, s14, (.LBB2_4220-.Lpost_getpc18974)&4294967295
	s_addc_u32 s15, s15, (.LBB2_4220-.Lpost_getpc18974)>>32
	s_setpc_b64 s[14:15]
.LBB2_18557:
	s_movk_i32 s4, 0x80
	v_cmp_eq_u16_sdwa s[12:13], v5, s4 src0_sel:BYTE_3 src1_sel:DWORD
	s_mov_b64 s[4:5], -1
                                        ; implicit-def: $sgpr10
	s_and_saveexec_b64 s[8:9], s[12:13]
; %bb.18558:
	s_mov_b32 s10, 0x7f800001
	s_xor_b64 s[4:5], exec, -1
; %bb.18559:
	s_or_b64 exec, exec, s[8:9]
	s_and_b64 s[4:5], s[4:5], exec
	s_or_saveexec_b64 s[6:7], s[6:7]
	v_mov_b32_e32 v3, s10
	s_xor_b64 exec, exec, s[6:7]
	s_cbranch_execnz .LBB2_18560
; %bb.54397:
	s_getpc_b64 s[14:15]
.Lpost_getpc30782:
	s_add_u32 s14, s14, (.LBB2_4222-.Lpost_getpc30782)&4294967295
	s_addc_u32 s15, s15, (.LBB2_4222-.Lpost_getpc30782)>>32
	s_setpc_b64 s[14:15]
.LBB2_18560:
	v_mov_b32_e32 v3, 0
	v_cmp_ne_u16_sdwa s[8:9], v5, v3 src0_sel:BYTE_3 src1_sel:DWORD
	s_andn2_b64 s[4:5], s[4:5], exec
	s_and_b64 s[8:9], s[8:9], exec
	s_or_b64 s[4:5], s[4:5], s[8:9]
	s_or_b64 exec, exec, s[6:7]
	s_and_saveexec_b64 s[6:7], s[4:5]
	s_cbranch_execz .LBB2_30783
; %bb.54399:
	s_getpc_b64 s[14:15]
.Lpost_getpc30783:
	s_add_u32 s14, s14, (.LBB2_4223-.Lpost_getpc30783)&4294967295
	s_addc_u32 s15, s15, (.LBB2_4223-.Lpost_getpc30783)>>32
	s_setpc_b64 s[14:15]
.LBB2_30783:
	s_getpc_b64 s[14:15]
.Lpost_getpc18975:
	s_add_u32 s14, s14, (.LBB2_4224-.Lpost_getpc18975)&4294967295
	s_addc_u32 s15, s15, (.LBB2_4224-.Lpost_getpc18975)>>32
	s_setpc_b64 s[14:15]
.LBB2_18561:
	s_movk_i32 s4, 0x80
	v_cmp_eq_u16_sdwa s[12:13], v6, s4 src0_sel:BYTE_0 src1_sel:DWORD
	s_mov_b64 s[4:5], -1
                                        ; implicit-def: $sgpr10
	s_and_saveexec_b64 s[8:9], s[12:13]
; %bb.18562:
	s_mov_b32 s10, 0x7f800001
	s_xor_b64 s[4:5], exec, -1
; %bb.18563:
	s_or_b64 exec, exec, s[8:9]
	s_and_b64 s[4:5], s[4:5], exec
	s_or_saveexec_b64 s[6:7], s[6:7]
	v_mov_b32_e32 v12, s10
	s_xor_b64 exec, exec, s[6:7]
	s_cbranch_execnz .LBB2_18564
; %bb.54401:
	s_getpc_b64 s[14:15]
.Lpost_getpc30784:
	s_add_u32 s14, s14, (.LBB2_4226-.Lpost_getpc30784)&4294967295
	s_addc_u32 s15, s15, (.LBB2_4226-.Lpost_getpc30784)>>32
	s_setpc_b64 s[14:15]
.LBB2_18564:
	v_mov_b32_e32 v12, 0
	v_cmp_ne_u16_sdwa s[8:9], v6, v12 src0_sel:BYTE_0 src1_sel:DWORD
	s_andn2_b64 s[4:5], s[4:5], exec
	s_and_b64 s[8:9], s[8:9], exec
	s_or_b64 s[4:5], s[4:5], s[8:9]
	s_or_b64 exec, exec, s[6:7]
	s_and_saveexec_b64 s[6:7], s[4:5]
	s_cbranch_execz .LBB2_30785
; %bb.54403:
	s_getpc_b64 s[14:15]
.Lpost_getpc30785:
	s_add_u32 s14, s14, (.LBB2_4227-.Lpost_getpc30785)&4294967295
	s_addc_u32 s15, s15, (.LBB2_4227-.Lpost_getpc30785)>>32
	s_setpc_b64 s[14:15]
.LBB2_30785:
	s_getpc_b64 s[14:15]
.Lpost_getpc18976:
	s_add_u32 s14, s14, (.LBB2_4228-.Lpost_getpc18976)&4294967295
	s_addc_u32 s15, s15, (.LBB2_4228-.Lpost_getpc18976)>>32
	s_setpc_b64 s[14:15]
.LBB2_18565:
	s_movk_i32 s4, 0x80
	v_cmp_eq_u16_sdwa s[12:13], v2, s4 src0_sel:BYTE_0 src1_sel:DWORD
	s_mov_b64 s[4:5], -1
                                        ; implicit-def: $sgpr10
	s_and_saveexec_b64 s[8:9], s[12:13]
; %bb.18566:
	s_mov_b32 s10, 0x7f800001
	s_xor_b64 s[4:5], exec, -1
; %bb.18567:
	s_or_b64 exec, exec, s[8:9]
	s_and_b64 s[4:5], s[4:5], exec
	s_or_saveexec_b64 s[6:7], s[6:7]
	v_mov_b32_e32 v13, s10
	s_xor_b64 exec, exec, s[6:7]
	s_cbranch_execnz .LBB2_18568
; %bb.54405:
	s_getpc_b64 s[14:15]
.Lpost_getpc30786:
	s_add_u32 s14, s14, (.LBB2_4230-.Lpost_getpc30786)&4294967295
	s_addc_u32 s15, s15, (.LBB2_4230-.Lpost_getpc30786)>>32
	s_setpc_b64 s[14:15]
.LBB2_18568:
	v_mov_b32_e32 v13, 0
	v_cmp_ne_u16_sdwa s[8:9], v2, v13 src0_sel:BYTE_0 src1_sel:DWORD
	s_andn2_b64 s[4:5], s[4:5], exec
	s_and_b64 s[8:9], s[8:9], exec
	s_or_b64 s[4:5], s[4:5], s[8:9]
	s_or_b64 exec, exec, s[6:7]
	s_and_saveexec_b64 s[6:7], s[4:5]
	s_cbranch_execz .LBB2_30787
; %bb.54407:
	s_getpc_b64 s[14:15]
.Lpost_getpc30787:
	s_add_u32 s14, s14, (.LBB2_4231-.Lpost_getpc30787)&4294967295
	s_addc_u32 s15, s15, (.LBB2_4231-.Lpost_getpc30787)>>32
	s_setpc_b64 s[14:15]
.LBB2_30787:
	s_getpc_b64 s[14:15]
.Lpost_getpc18977:
	s_add_u32 s14, s14, (.LBB2_4232-.Lpost_getpc18977)&4294967295
	s_addc_u32 s15, s15, (.LBB2_4232-.Lpost_getpc18977)>>32
	s_setpc_b64 s[14:15]
.LBB2_18569:
	s_movk_i32 s4, 0x80
	v_cmp_eq_u16_sdwa s[12:13], v13, s4 src0_sel:BYTE_0 src1_sel:DWORD
	s_mov_b64 s[4:5], -1
                                        ; implicit-def: $sgpr10
	s_and_saveexec_b64 s[8:9], s[12:13]
; %bb.18570:
	s_mov_b32 s10, 0x7f800001
	s_xor_b64 s[4:5], exec, -1
; %bb.18571:
	s_or_b64 exec, exec, s[8:9]
	s_and_b64 s[4:5], s[4:5], exec
	s_or_saveexec_b64 s[6:7], s[6:7]
	v_mov_b32_e32 v12, s10
	s_xor_b64 exec, exec, s[6:7]
	s_cbranch_execnz .LBB2_18572
; %bb.54409:
	s_getpc_b64 s[14:15]
.Lpost_getpc30788:
	s_add_u32 s14, s14, (.LBB2_4234-.Lpost_getpc30788)&4294967295
	s_addc_u32 s15, s15, (.LBB2_4234-.Lpost_getpc30788)>>32
	s_setpc_b64 s[14:15]
.LBB2_18572:
	v_mov_b32_e32 v12, 0
	v_cmp_ne_u16_sdwa s[8:9], v13, v12 src0_sel:BYTE_0 src1_sel:DWORD
	s_andn2_b64 s[4:5], s[4:5], exec
	s_and_b64 s[8:9], s[8:9], exec
	s_or_b64 s[4:5], s[4:5], s[8:9]
	s_or_b64 exec, exec, s[6:7]
	s_and_saveexec_b64 s[6:7], s[4:5]
	s_cbranch_execz .LBB2_30789
; %bb.54411:
	s_getpc_b64 s[14:15]
.Lpost_getpc30789:
	s_add_u32 s14, s14, (.LBB2_4235-.Lpost_getpc30789)&4294967295
	s_addc_u32 s15, s15, (.LBB2_4235-.Lpost_getpc30789)>>32
	s_setpc_b64 s[14:15]
.LBB2_30789:
	s_getpc_b64 s[14:15]
.Lpost_getpc18978:
	s_add_u32 s14, s14, (.LBB2_4236-.Lpost_getpc18978)&4294967295
	s_addc_u32 s15, s15, (.LBB2_4236-.Lpost_getpc18978)>>32
	s_setpc_b64 s[14:15]
.LBB2_18573:
	s_movk_i32 s4, 0x80
	v_cmp_eq_u16_sdwa s[12:13], v13, s4 src0_sel:BYTE_0 src1_sel:DWORD
	s_mov_b64 s[4:5], -1
                                        ; implicit-def: $sgpr10
	s_and_saveexec_b64 s[8:9], s[12:13]
; %bb.18574:
	s_mov_b32 s10, 0x7f800001
	s_xor_b64 s[4:5], exec, -1
; %bb.18575:
	s_or_b64 exec, exec, s[8:9]
	s_and_b64 s[4:5], s[4:5], exec
	s_or_saveexec_b64 s[6:7], s[6:7]
	v_mov_b32_e32 v14, s10
	s_xor_b64 exec, exec, s[6:7]
	s_cbranch_execnz .LBB2_18576
; %bb.54413:
	s_getpc_b64 s[14:15]
.Lpost_getpc30790:
	s_add_u32 s14, s14, (.LBB2_4238-.Lpost_getpc30790)&4294967295
	s_addc_u32 s15, s15, (.LBB2_4238-.Lpost_getpc30790)>>32
	s_setpc_b64 s[14:15]
.LBB2_18576:
	v_mov_b32_e32 v14, 0
	v_cmp_ne_u16_sdwa s[8:9], v13, v14 src0_sel:BYTE_0 src1_sel:DWORD
	s_andn2_b64 s[4:5], s[4:5], exec
	s_and_b64 s[8:9], s[8:9], exec
	s_or_b64 s[4:5], s[4:5], s[8:9]
	s_or_b64 exec, exec, s[6:7]
	s_and_saveexec_b64 s[6:7], s[4:5]
	s_cbranch_execz .LBB2_30791
; %bb.54415:
	s_getpc_b64 s[14:15]
.Lpost_getpc30791:
	s_add_u32 s14, s14, (.LBB2_4239-.Lpost_getpc30791)&4294967295
	s_addc_u32 s15, s15, (.LBB2_4239-.Lpost_getpc30791)>>32
	s_setpc_b64 s[14:15]
.LBB2_30791:
	s_getpc_b64 s[14:15]
.Lpost_getpc18979:
	s_add_u32 s14, s14, (.LBB2_4240-.Lpost_getpc18979)&4294967295
	s_addc_u32 s15, s15, (.LBB2_4240-.Lpost_getpc18979)>>32
	s_setpc_b64 s[14:15]
.LBB2_18577:
	s_movk_i32 s4, 0x80
	v_cmp_eq_u16_e32 vcc, s4, v13
	s_mov_b64 s[4:5], -1
                                        ; implicit-def: $sgpr10
	s_and_saveexec_b64 s[8:9], vcc
; %bb.18578:
	s_mov_b32 s10, 0x7f800001
	s_xor_b64 s[4:5], exec, -1
; %bb.18579:
	s_or_b64 exec, exec, s[8:9]
	s_and_b64 s[4:5], s[4:5], exec
                                        ; implicit-def: $vgpr13
	s_or_saveexec_b64 s[6:7], s[6:7]
	v_mov_b32_e32 v12, s10
	s_xor_b64 exec, exec, s[6:7]
	s_cbranch_execnz .LBB2_18580
; %bb.54417:
	s_getpc_b64 s[14:15]
.Lpost_getpc30792:
	s_add_u32 s14, s14, (.LBB2_4242-.Lpost_getpc30792)&4294967295
	s_addc_u32 s15, s15, (.LBB2_4242-.Lpost_getpc30792)>>32
	s_setpc_b64 s[14:15]
.LBB2_18580:
	v_cmp_ne_u16_e32 vcc, 0, v13
	s_andn2_b64 s[4:5], s[4:5], exec
	s_and_b64 s[8:9], vcc, exec
	v_mov_b32_e32 v12, 0
	s_or_b64 s[4:5], s[4:5], s[8:9]
	s_or_b64 exec, exec, s[6:7]
	s_and_saveexec_b64 s[6:7], s[4:5]
	s_cbranch_execz .LBB2_30793
; %bb.54419:
	s_getpc_b64 s[14:15]
.Lpost_getpc30793:
	s_add_u32 s14, s14, (.LBB2_4243-.Lpost_getpc30793)&4294967295
	s_addc_u32 s15, s15, (.LBB2_4243-.Lpost_getpc30793)>>32
	s_setpc_b64 s[14:15]
.LBB2_30793:
	s_getpc_b64 s[14:15]
.Lpost_getpc18980:
	s_add_u32 s14, s14, (.LBB2_4244-.Lpost_getpc18980)&4294967295
	s_addc_u32 s15, s15, (.LBB2_4244-.Lpost_getpc18980)>>32
	s_setpc_b64 s[14:15]
.LBB2_18581:
	s_movk_i32 s4, 0x80
	v_cmp_eq_u16_e32 vcc, s4, v13
	s_mov_b64 s[4:5], -1
                                        ; implicit-def: $sgpr10
	s_and_saveexec_b64 s[8:9], vcc
; %bb.18582:
	s_mov_b32 s10, 0x7f800001
	s_xor_b64 s[4:5], exec, -1
; %bb.18583:
	s_or_b64 exec, exec, s[8:9]
	s_and_b64 s[4:5], s[4:5], exec
                                        ; implicit-def: $vgpr13
	s_or_saveexec_b64 s[6:7], s[6:7]
	v_mov_b32_e32 v14, s10
	s_xor_b64 exec, exec, s[6:7]
	s_cbranch_execnz .LBB2_18584
; %bb.54421:
	s_getpc_b64 s[14:15]
.Lpost_getpc30794:
	s_add_u32 s14, s14, (.LBB2_4246-.Lpost_getpc30794)&4294967295
	s_addc_u32 s15, s15, (.LBB2_4246-.Lpost_getpc30794)>>32
	s_setpc_b64 s[14:15]
.LBB2_18584:
	v_cmp_ne_u16_e32 vcc, 0, v13
	s_andn2_b64 s[4:5], s[4:5], exec
	s_and_b64 s[8:9], vcc, exec
	v_mov_b32_e32 v14, 0
	s_or_b64 s[4:5], s[4:5], s[8:9]
	s_or_b64 exec, exec, s[6:7]
	s_and_saveexec_b64 s[6:7], s[4:5]
	s_cbranch_execz .LBB2_30795
; %bb.54423:
	s_getpc_b64 s[14:15]
.Lpost_getpc30795:
	s_add_u32 s14, s14, (.LBB2_4247-.Lpost_getpc30795)&4294967295
	s_addc_u32 s15, s15, (.LBB2_4247-.Lpost_getpc30795)>>32
	s_setpc_b64 s[14:15]
.LBB2_30795:
	s_getpc_b64 s[14:15]
.Lpost_getpc18981:
	s_add_u32 s14, s14, (.LBB2_4248-.Lpost_getpc18981)&4294967295
	s_addc_u32 s15, s15, (.LBB2_4248-.Lpost_getpc18981)>>32
	s_setpc_b64 s[14:15]
.LBB2_18585:
	s_movk_i32 s4, 0x80
	v_cmp_eq_u16_sdwa s[12:13], v6, s4 src0_sel:BYTE_3 src1_sel:DWORD
	s_mov_b64 s[4:5], -1
                                        ; implicit-def: $sgpr10
	s_and_saveexec_b64 s[8:9], s[12:13]
; %bb.18586:
	s_mov_b32 s10, 0x7f800001
	s_xor_b64 s[4:5], exec, -1
; %bb.18587:
	s_or_b64 exec, exec, s[8:9]
	s_and_b64 s[4:5], s[4:5], exec
	s_or_saveexec_b64 s[6:7], s[6:7]
	v_mov_b32_e32 v12, s10
	s_xor_b64 exec, exec, s[6:7]
	s_cbranch_execnz .LBB2_18588
; %bb.54425:
	s_getpc_b64 s[14:15]
.Lpost_getpc30796:
	s_add_u32 s14, s14, (.LBB2_4250-.Lpost_getpc30796)&4294967295
	s_addc_u32 s15, s15, (.LBB2_4250-.Lpost_getpc30796)>>32
	s_setpc_b64 s[14:15]
.LBB2_18588:
	v_mov_b32_e32 v12, 0
	v_cmp_ne_u16_sdwa s[8:9], v6, v12 src0_sel:BYTE_3 src1_sel:DWORD
	s_andn2_b64 s[4:5], s[4:5], exec
	s_and_b64 s[8:9], s[8:9], exec
	s_or_b64 s[4:5], s[4:5], s[8:9]
	s_or_b64 exec, exec, s[6:7]
	s_and_saveexec_b64 s[6:7], s[4:5]
	s_cbranch_execz .LBB2_30797
; %bb.54427:
	s_getpc_b64 s[14:15]
.Lpost_getpc30797:
	s_add_u32 s14, s14, (.LBB2_4251-.Lpost_getpc30797)&4294967295
	s_addc_u32 s15, s15, (.LBB2_4251-.Lpost_getpc30797)>>32
	s_setpc_b64 s[14:15]
.LBB2_30797:
	s_getpc_b64 s[14:15]
.Lpost_getpc18982:
	s_add_u32 s14, s14, (.LBB2_4252-.Lpost_getpc18982)&4294967295
	s_addc_u32 s15, s15, (.LBB2_4252-.Lpost_getpc18982)>>32
	s_setpc_b64 s[14:15]
.LBB2_18589:
	s_movk_i32 s4, 0x80
	v_cmp_eq_u16_sdwa s[12:13], v2, s4 src0_sel:BYTE_3 src1_sel:DWORD
	s_mov_b64 s[4:5], -1
                                        ; implicit-def: $sgpr10
	s_and_saveexec_b64 s[8:9], s[12:13]
; %bb.18590:
	s_mov_b32 s10, 0x7f800001
	s_xor_b64 s[4:5], exec, -1
; %bb.18591:
	s_or_b64 exec, exec, s[8:9]
	s_and_b64 s[4:5], s[4:5], exec
	s_or_saveexec_b64 s[6:7], s[6:7]
	v_mov_b32_e32 v6, s10
	s_xor_b64 exec, exec, s[6:7]
	s_cbranch_execnz .LBB2_18592
; %bb.54429:
	s_getpc_b64 s[14:15]
.Lpost_getpc30798:
	s_add_u32 s14, s14, (.LBB2_4254-.Lpost_getpc30798)&4294967295
	s_addc_u32 s15, s15, (.LBB2_4254-.Lpost_getpc30798)>>32
	s_setpc_b64 s[14:15]
.LBB2_18592:
	v_mov_b32_e32 v6, 0
	v_cmp_ne_u16_sdwa s[8:9], v2, v6 src0_sel:BYTE_3 src1_sel:DWORD
	s_andn2_b64 s[4:5], s[4:5], exec
	s_and_b64 s[8:9], s[8:9], exec
	s_or_b64 s[4:5], s[4:5], s[8:9]
	s_or_b64 exec, exec, s[6:7]
	s_and_saveexec_b64 s[6:7], s[4:5]
	s_cbranch_execz .LBB2_30799
; %bb.54431:
	s_getpc_b64 s[14:15]
.Lpost_getpc30799:
	s_add_u32 s14, s14, (.LBB2_4255-.Lpost_getpc30799)&4294967295
	s_addc_u32 s15, s15, (.LBB2_4255-.Lpost_getpc30799)>>32
	s_setpc_b64 s[14:15]
.LBB2_30799:
	s_getpc_b64 s[14:15]
.Lpost_getpc18983:
	s_add_u32 s14, s14, (.LBB2_4256-.Lpost_getpc18983)&4294967295
	s_addc_u32 s15, s15, (.LBB2_4256-.Lpost_getpc18983)>>32
	s_setpc_b64 s[14:15]
.LBB2_18593:
	s_movk_i32 s4, 0x80
	v_cmp_eq_u16_sdwa s[12:13], v7, s4 src0_sel:BYTE_0 src1_sel:DWORD
	s_mov_b64 s[4:5], -1
                                        ; implicit-def: $sgpr10
	s_and_saveexec_b64 s[8:9], s[12:13]
; %bb.18594:
	s_mov_b32 s10, 0x7f800001
	s_xor_b64 s[4:5], exec, -1
; %bb.18595:
	s_or_b64 exec, exec, s[8:9]
	s_and_b64 s[4:5], s[4:5], exec
	s_or_saveexec_b64 s[6:7], s[6:7]
	v_mov_b32_e32 v2, s10
	s_xor_b64 exec, exec, s[6:7]
	s_cbranch_execnz .LBB2_18596
; %bb.54433:
	s_getpc_b64 s[14:15]
.Lpost_getpc30800:
	s_add_u32 s14, s14, (.LBB2_4258-.Lpost_getpc30800)&4294967295
	s_addc_u32 s15, s15, (.LBB2_4258-.Lpost_getpc30800)>>32
	s_setpc_b64 s[14:15]
.LBB2_18596:
	v_mov_b32_e32 v2, 0
	v_cmp_ne_u16_sdwa s[8:9], v7, v2 src0_sel:BYTE_0 src1_sel:DWORD
	s_andn2_b64 s[4:5], s[4:5], exec
	s_and_b64 s[8:9], s[8:9], exec
	s_or_b64 s[4:5], s[4:5], s[8:9]
	s_or_b64 exec, exec, s[6:7]
	s_and_saveexec_b64 s[6:7], s[4:5]
	s_cbranch_execz .LBB2_30801
; %bb.54435:
	s_getpc_b64 s[14:15]
.Lpost_getpc30801:
	s_add_u32 s14, s14, (.LBB2_4259-.Lpost_getpc30801)&4294967295
	s_addc_u32 s15, s15, (.LBB2_4259-.Lpost_getpc30801)>>32
	s_setpc_b64 s[14:15]
.LBB2_30801:
	s_getpc_b64 s[14:15]
.Lpost_getpc18984:
	s_add_u32 s14, s14, (.LBB2_4260-.Lpost_getpc18984)&4294967295
	s_addc_u32 s15, s15, (.LBB2_4260-.Lpost_getpc18984)>>32
	s_setpc_b64 s[14:15]
.LBB2_18597:
	s_movk_i32 s4, 0x80
	v_cmp_eq_u16_sdwa s[12:13], v3, s4 src0_sel:BYTE_0 src1_sel:DWORD
	s_mov_b64 s[4:5], -1
                                        ; implicit-def: $sgpr10
	s_and_saveexec_b64 s[8:9], s[12:13]
; %bb.18598:
	s_mov_b32 s10, 0x7f800001
	s_xor_b64 s[4:5], exec, -1
; %bb.18599:
	s_or_b64 exec, exec, s[8:9]
	s_and_b64 s[4:5], s[4:5], exec
	s_or_saveexec_b64 s[6:7], s[6:7]
	v_mov_b32_e32 v6, s10
	s_xor_b64 exec, exec, s[6:7]
	s_cbranch_execnz .LBB2_18600
; %bb.54437:
	s_getpc_b64 s[14:15]
.Lpost_getpc30802:
	s_add_u32 s14, s14, (.LBB2_4262-.Lpost_getpc30802)&4294967295
	s_addc_u32 s15, s15, (.LBB2_4262-.Lpost_getpc30802)>>32
	s_setpc_b64 s[14:15]
.LBB2_18600:
	v_mov_b32_e32 v6, 0
	v_cmp_ne_u16_sdwa s[8:9], v3, v6 src0_sel:BYTE_0 src1_sel:DWORD
	s_andn2_b64 s[4:5], s[4:5], exec
	s_and_b64 s[8:9], s[8:9], exec
	s_or_b64 s[4:5], s[4:5], s[8:9]
	s_or_b64 exec, exec, s[6:7]
	s_and_saveexec_b64 s[6:7], s[4:5]
	s_cbranch_execz .LBB2_30803
; %bb.54439:
	s_getpc_b64 s[14:15]
.Lpost_getpc30803:
	s_add_u32 s14, s14, (.LBB2_4263-.Lpost_getpc30803)&4294967295
	s_addc_u32 s15, s15, (.LBB2_4263-.Lpost_getpc30803)>>32
	s_setpc_b64 s[14:15]
.LBB2_30803:
	s_getpc_b64 s[14:15]
.Lpost_getpc18985:
	s_add_u32 s14, s14, (.LBB2_4264-.Lpost_getpc18985)&4294967295
	s_addc_u32 s15, s15, (.LBB2_4264-.Lpost_getpc18985)>>32
	s_setpc_b64 s[14:15]
.LBB2_18601:
	s_movk_i32 s4, 0x80
	v_cmp_eq_u16_sdwa s[12:13], v6, s4 src0_sel:BYTE_0 src1_sel:DWORD
	s_mov_b64 s[4:5], -1
                                        ; implicit-def: $sgpr10
	s_and_saveexec_b64 s[8:9], s[12:13]
; %bb.18602:
	s_mov_b32 s10, 0x7f800001
	s_xor_b64 s[4:5], exec, -1
; %bb.18603:
	s_or_b64 exec, exec, s[8:9]
	s_and_b64 s[4:5], s[4:5], exec
	s_or_saveexec_b64 s[6:7], s[6:7]
	v_mov_b32_e32 v2, s10
	s_xor_b64 exec, exec, s[6:7]
	s_cbranch_execnz .LBB2_18604
; %bb.54441:
	s_getpc_b64 s[14:15]
.Lpost_getpc30804:
	s_add_u32 s14, s14, (.LBB2_4266-.Lpost_getpc30804)&4294967295
	s_addc_u32 s15, s15, (.LBB2_4266-.Lpost_getpc30804)>>32
	s_setpc_b64 s[14:15]
.LBB2_18604:
	v_mov_b32_e32 v2, 0
	v_cmp_ne_u16_sdwa s[8:9], v6, v2 src0_sel:BYTE_0 src1_sel:DWORD
	s_andn2_b64 s[4:5], s[4:5], exec
	s_and_b64 s[8:9], s[8:9], exec
	s_or_b64 s[4:5], s[4:5], s[8:9]
	s_or_b64 exec, exec, s[6:7]
	s_and_saveexec_b64 s[6:7], s[4:5]
	s_cbranch_execz .LBB2_30805
; %bb.54443:
	s_getpc_b64 s[14:15]
.Lpost_getpc30805:
	s_add_u32 s14, s14, (.LBB2_4267-.Lpost_getpc30805)&4294967295
	s_addc_u32 s15, s15, (.LBB2_4267-.Lpost_getpc30805)>>32
	s_setpc_b64 s[14:15]
.LBB2_30805:
	s_getpc_b64 s[14:15]
.Lpost_getpc18986:
	s_add_u32 s14, s14, (.LBB2_4268-.Lpost_getpc18986)&4294967295
	s_addc_u32 s15, s15, (.LBB2_4268-.Lpost_getpc18986)>>32
	s_setpc_b64 s[14:15]
.LBB2_18605:
	s_movk_i32 s4, 0x80
	v_cmp_eq_u16_sdwa s[12:13], v6, s4 src0_sel:BYTE_0 src1_sel:DWORD
	s_mov_b64 s[4:5], -1
                                        ; implicit-def: $sgpr10
	s_and_saveexec_b64 s[8:9], s[12:13]
; %bb.18606:
	s_mov_b32 s10, 0x7f800001
	s_xor_b64 s[4:5], exec, -1
; %bb.18607:
	s_or_b64 exec, exec, s[8:9]
	s_and_b64 s[4:5], s[4:5], exec
	s_or_saveexec_b64 s[6:7], s[6:7]
	v_mov_b32_e32 v12, s10
	s_xor_b64 exec, exec, s[6:7]
	s_cbranch_execnz .LBB2_18608
; %bb.54445:
	s_getpc_b64 s[14:15]
.Lpost_getpc30806:
	s_add_u32 s14, s14, (.LBB2_4270-.Lpost_getpc30806)&4294967295
	s_addc_u32 s15, s15, (.LBB2_4270-.Lpost_getpc30806)>>32
	s_setpc_b64 s[14:15]
.LBB2_18608:
	v_mov_b32_e32 v12, 0
	v_cmp_ne_u16_sdwa s[8:9], v6, v12 src0_sel:BYTE_0 src1_sel:DWORD
	s_andn2_b64 s[4:5], s[4:5], exec
	s_and_b64 s[8:9], s[8:9], exec
	s_or_b64 s[4:5], s[4:5], s[8:9]
	s_or_b64 exec, exec, s[6:7]
	s_and_saveexec_b64 s[6:7], s[4:5]
	s_cbranch_execz .LBB2_30807
; %bb.54447:
	s_getpc_b64 s[14:15]
.Lpost_getpc30807:
	s_add_u32 s14, s14, (.LBB2_4271-.Lpost_getpc30807)&4294967295
	s_addc_u32 s15, s15, (.LBB2_4271-.Lpost_getpc30807)>>32
	s_setpc_b64 s[14:15]
.LBB2_30807:
	s_getpc_b64 s[14:15]
.Lpost_getpc18987:
	s_add_u32 s14, s14, (.LBB2_4272-.Lpost_getpc18987)&4294967295
	s_addc_u32 s15, s15, (.LBB2_4272-.Lpost_getpc18987)>>32
	s_setpc_b64 s[14:15]
.LBB2_18609:
	s_movk_i32 s4, 0x80
	v_cmp_eq_u16_e32 vcc, s4, v6
	s_mov_b64 s[4:5], -1
                                        ; implicit-def: $sgpr10
	s_and_saveexec_b64 s[8:9], vcc
; %bb.18610:
	s_mov_b32 s10, 0x7f800001
	s_xor_b64 s[4:5], exec, -1
; %bb.18611:
	s_or_b64 exec, exec, s[8:9]
	s_and_b64 s[4:5], s[4:5], exec
                                        ; implicit-def: $vgpr6
	s_or_saveexec_b64 s[6:7], s[6:7]
	v_mov_b32_e32 v2, s10
	s_xor_b64 exec, exec, s[6:7]
	s_cbranch_execnz .LBB2_18612
; %bb.54449:
	s_getpc_b64 s[14:15]
.Lpost_getpc30808:
	s_add_u32 s14, s14, (.LBB2_4274-.Lpost_getpc30808)&4294967295
	s_addc_u32 s15, s15, (.LBB2_4274-.Lpost_getpc30808)>>32
	s_setpc_b64 s[14:15]
.LBB2_18612:
	v_cmp_ne_u16_e32 vcc, 0, v6
	s_andn2_b64 s[4:5], s[4:5], exec
	s_and_b64 s[8:9], vcc, exec
	v_mov_b32_e32 v2, 0
	s_or_b64 s[4:5], s[4:5], s[8:9]
	s_or_b64 exec, exec, s[6:7]
	s_and_saveexec_b64 s[6:7], s[4:5]
	s_cbranch_execz .LBB2_30809
; %bb.54451:
	s_getpc_b64 s[14:15]
.Lpost_getpc30809:
	s_add_u32 s14, s14, (.LBB2_4275-.Lpost_getpc30809)&4294967295
	s_addc_u32 s15, s15, (.LBB2_4275-.Lpost_getpc30809)>>32
	s_setpc_b64 s[14:15]
.LBB2_30809:
	s_getpc_b64 s[14:15]
.Lpost_getpc18988:
	s_add_u32 s14, s14, (.LBB2_4276-.Lpost_getpc18988)&4294967295
	s_addc_u32 s15, s15, (.LBB2_4276-.Lpost_getpc18988)>>32
	s_setpc_b64 s[14:15]
.LBB2_18613:
	s_movk_i32 s4, 0x80
	v_cmp_eq_u16_e32 vcc, s4, v6
	s_mov_b64 s[4:5], -1
                                        ; implicit-def: $sgpr10
	s_and_saveexec_b64 s[8:9], vcc
; %bb.18614:
	s_mov_b32 s10, 0x7f800001
	s_xor_b64 s[4:5], exec, -1
; %bb.18615:
	s_or_b64 exec, exec, s[8:9]
	s_and_b64 s[4:5], s[4:5], exec
                                        ; implicit-def: $vgpr6
	s_or_saveexec_b64 s[6:7], s[6:7]
	v_mov_b32_e32 v12, s10
	s_xor_b64 exec, exec, s[6:7]
	s_cbranch_execnz .LBB2_18616
; %bb.54453:
	s_getpc_b64 s[14:15]
.Lpost_getpc30810:
	s_add_u32 s14, s14, (.LBB2_4278-.Lpost_getpc30810)&4294967295
	s_addc_u32 s15, s15, (.LBB2_4278-.Lpost_getpc30810)>>32
	s_setpc_b64 s[14:15]
.LBB2_18616:
	v_cmp_ne_u16_e32 vcc, 0, v6
	s_andn2_b64 s[4:5], s[4:5], exec
	s_and_b64 s[8:9], vcc, exec
	v_mov_b32_e32 v12, 0
	s_or_b64 s[4:5], s[4:5], s[8:9]
	s_or_b64 exec, exec, s[6:7]
	s_and_saveexec_b64 s[6:7], s[4:5]
	s_cbranch_execz .LBB2_30811
; %bb.54455:
	s_getpc_b64 s[14:15]
.Lpost_getpc30811:
	s_add_u32 s14, s14, (.LBB2_4279-.Lpost_getpc30811)&4294967295
	s_addc_u32 s15, s15, (.LBB2_4279-.Lpost_getpc30811)>>32
	s_setpc_b64 s[14:15]
.LBB2_30811:
	s_getpc_b64 s[14:15]
.Lpost_getpc18989:
	s_add_u32 s14, s14, (.LBB2_4280-.Lpost_getpc18989)&4294967295
	s_addc_u32 s15, s15, (.LBB2_4280-.Lpost_getpc18989)>>32
	s_setpc_b64 s[14:15]
.LBB2_18617:
	s_movk_i32 s4, 0x80
	v_cmp_eq_u16_sdwa s[12:13], v7, s4 src0_sel:BYTE_3 src1_sel:DWORD
	s_mov_b64 s[4:5], -1
                                        ; implicit-def: $sgpr10
	s_and_saveexec_b64 s[8:9], s[12:13]
; %bb.18618:
	s_mov_b32 s10, 0x7f800001
	s_xor_b64 s[4:5], exec, -1
; %bb.18619:
	s_or_b64 exec, exec, s[8:9]
	s_and_b64 s[4:5], s[4:5], exec
	s_or_saveexec_b64 s[6:7], s[6:7]
	v_mov_b32_e32 v2, s10
	s_xor_b64 exec, exec, s[6:7]
	s_cbranch_execnz .LBB2_18620
; %bb.54457:
	s_getpc_b64 s[14:15]
.Lpost_getpc30812:
	s_add_u32 s14, s14, (.LBB2_4282-.Lpost_getpc30812)&4294967295
	s_addc_u32 s15, s15, (.LBB2_4282-.Lpost_getpc30812)>>32
	s_setpc_b64 s[14:15]
.LBB2_18620:
	v_mov_b32_e32 v2, 0
	v_cmp_ne_u16_sdwa s[8:9], v7, v2 src0_sel:BYTE_3 src1_sel:DWORD
	s_andn2_b64 s[4:5], s[4:5], exec
	s_and_b64 s[8:9], s[8:9], exec
	s_or_b64 s[4:5], s[4:5], s[8:9]
	s_or_b64 exec, exec, s[6:7]
	s_and_saveexec_b64 s[6:7], s[4:5]
	s_cbranch_execz .LBB2_30813
; %bb.54459:
	s_getpc_b64 s[14:15]
.Lpost_getpc30813:
	s_add_u32 s14, s14, (.LBB2_4283-.Lpost_getpc30813)&4294967295
	s_addc_u32 s15, s15, (.LBB2_4283-.Lpost_getpc30813)>>32
	s_setpc_b64 s[14:15]
.LBB2_30813:
	s_getpc_b64 s[14:15]
.Lpost_getpc18990:
	s_add_u32 s14, s14, (.LBB2_4284-.Lpost_getpc18990)&4294967295
	s_addc_u32 s15, s15, (.LBB2_4284-.Lpost_getpc18990)>>32
	s_setpc_b64 s[14:15]
.LBB2_18621:
	s_movk_i32 s4, 0x80
	v_cmp_eq_u16_sdwa s[12:13], v3, s4 src0_sel:BYTE_3 src1_sel:DWORD
	s_mov_b64 s[4:5], -1
                                        ; implicit-def: $sgpr10
	s_and_saveexec_b64 s[8:9], s[12:13]
; %bb.18622:
	s_mov_b32 s10, 0x7f800001
	s_xor_b64 s[4:5], exec, -1
; %bb.18623:
	s_or_b64 exec, exec, s[8:9]
	s_and_b64 s[4:5], s[4:5], exec
	s_or_saveexec_b64 s[6:7], s[6:7]
	v_mov_b32_e32 v6, s10
	s_xor_b64 exec, exec, s[6:7]
	s_cbranch_execnz .LBB2_18624
; %bb.54461:
	s_getpc_b64 s[14:15]
.Lpost_getpc30814:
	s_add_u32 s14, s14, (.LBB2_4286-.Lpost_getpc30814)&4294967295
	s_addc_u32 s15, s15, (.LBB2_4286-.Lpost_getpc30814)>>32
	s_setpc_b64 s[14:15]
.LBB2_18624:
	v_mov_b32_e32 v6, 0
	v_cmp_ne_u16_sdwa s[8:9], v3, v6 src0_sel:BYTE_3 src1_sel:DWORD
	s_andn2_b64 s[4:5], s[4:5], exec
	s_and_b64 s[8:9], s[8:9], exec
	s_or_b64 s[4:5], s[4:5], s[8:9]
	s_or_b64 exec, exec, s[6:7]
	s_and_saveexec_b64 s[6:7], s[4:5]
	s_cbranch_execz .LBB2_30815
; %bb.54463:
	s_getpc_b64 s[14:15]
.Lpost_getpc30815:
	s_add_u32 s14, s14, (.LBB2_4287-.Lpost_getpc30815)&4294967295
	s_addc_u32 s15, s15, (.LBB2_4287-.Lpost_getpc30815)>>32
	s_setpc_b64 s[14:15]
.LBB2_30815:
	s_getpc_b64 s[14:15]
.Lpost_getpc18991:
	s_add_u32 s14, s14, (.LBB2_4288-.Lpost_getpc18991)&4294967295
	s_addc_u32 s15, s15, (.LBB2_4288-.Lpost_getpc18991)>>32
	s_setpc_b64 s[14:15]
.LBB2_18625:
	s_movk_i32 s4, 0x80
	v_cmp_eq_u16_sdwa s[12:13], v8, s4 src0_sel:BYTE_0 src1_sel:DWORD
	s_mov_b64 s[4:5], -1
                                        ; implicit-def: $sgpr10
	s_and_saveexec_b64 s[8:9], s[12:13]
; %bb.18626:
	s_mov_b32 s10, 0x7f800001
	s_xor_b64 s[4:5], exec, -1
; %bb.18627:
	s_or_b64 exec, exec, s[8:9]
	s_and_b64 s[4:5], s[4:5], exec
	s_or_saveexec_b64 s[6:7], s[6:7]
	v_mov_b32_e32 v2, s10
	s_xor_b64 exec, exec, s[6:7]
	s_cbranch_execnz .LBB2_18628
; %bb.54465:
	s_getpc_b64 s[14:15]
.Lpost_getpc30816:
	s_add_u32 s14, s14, (.LBB2_4290-.Lpost_getpc30816)&4294967295
	s_addc_u32 s15, s15, (.LBB2_4290-.Lpost_getpc30816)>>32
	s_setpc_b64 s[14:15]
.LBB2_18628:
	v_mov_b32_e32 v2, 0
	v_cmp_ne_u16_sdwa s[8:9], v8, v2 src0_sel:BYTE_0 src1_sel:DWORD
	s_andn2_b64 s[4:5], s[4:5], exec
	s_and_b64 s[8:9], s[8:9], exec
	s_or_b64 s[4:5], s[4:5], s[8:9]
	s_or_b64 exec, exec, s[6:7]
	s_and_saveexec_b64 s[6:7], s[4:5]
	s_cbranch_execz .LBB2_30817
; %bb.54467:
	s_getpc_b64 s[14:15]
.Lpost_getpc30817:
	s_add_u32 s14, s14, (.LBB2_4291-.Lpost_getpc30817)&4294967295
	s_addc_u32 s15, s15, (.LBB2_4291-.Lpost_getpc30817)>>32
	s_setpc_b64 s[14:15]
.LBB2_30817:
	s_getpc_b64 s[14:15]
.Lpost_getpc18992:
	s_add_u32 s14, s14, (.LBB2_4292-.Lpost_getpc18992)&4294967295
	s_addc_u32 s15, s15, (.LBB2_4292-.Lpost_getpc18992)>>32
	s_setpc_b64 s[14:15]
.LBB2_18629:
	s_movk_i32 s4, 0x80
	v_cmp_eq_u16_sdwa s[12:13], v4, s4 src0_sel:BYTE_0 src1_sel:DWORD
	s_mov_b64 s[4:5], -1
                                        ; implicit-def: $sgpr10
	s_and_saveexec_b64 s[8:9], s[12:13]
; %bb.18630:
	s_mov_b32 s10, 0x7f800001
	s_xor_b64 s[4:5], exec, -1
; %bb.18631:
	s_or_b64 exec, exec, s[8:9]
	s_and_b64 s[4:5], s[4:5], exec
	s_or_saveexec_b64 s[6:7], s[6:7]
	v_mov_b32_e32 v3, s10
	s_xor_b64 exec, exec, s[6:7]
	s_cbranch_execnz .LBB2_18632
; %bb.54469:
	s_getpc_b64 s[14:15]
.Lpost_getpc30818:
	s_add_u32 s14, s14, (.LBB2_4294-.Lpost_getpc30818)&4294967295
	s_addc_u32 s15, s15, (.LBB2_4294-.Lpost_getpc30818)>>32
	s_setpc_b64 s[14:15]
.LBB2_18632:
	v_mov_b32_e32 v3, 0
	v_cmp_ne_u16_sdwa s[8:9], v4, v3 src0_sel:BYTE_0 src1_sel:DWORD
	s_andn2_b64 s[4:5], s[4:5], exec
	s_and_b64 s[8:9], s[8:9], exec
	s_or_b64 s[4:5], s[4:5], s[8:9]
	s_or_b64 exec, exec, s[6:7]
	s_and_saveexec_b64 s[6:7], s[4:5]
	s_cbranch_execz .LBB2_30819
; %bb.54471:
	s_getpc_b64 s[14:15]
.Lpost_getpc30819:
	s_add_u32 s14, s14, (.LBB2_4295-.Lpost_getpc30819)&4294967295
	s_addc_u32 s15, s15, (.LBB2_4295-.Lpost_getpc30819)>>32
	s_setpc_b64 s[14:15]
.LBB2_30819:
	s_getpc_b64 s[14:15]
.Lpost_getpc18993:
	s_add_u32 s14, s14, (.LBB2_4296-.Lpost_getpc18993)&4294967295
	s_addc_u32 s15, s15, (.LBB2_4296-.Lpost_getpc18993)>>32
	s_setpc_b64 s[14:15]
.LBB2_18633:
	s_movk_i32 s4, 0x80
	v_cmp_eq_u16_sdwa s[12:13], v3, s4 src0_sel:BYTE_0 src1_sel:DWORD
	s_mov_b64 s[4:5], -1
                                        ; implicit-def: $sgpr10
	s_and_saveexec_b64 s[8:9], s[12:13]
; %bb.18634:
	s_mov_b32 s10, 0x7f800001
	s_xor_b64 s[4:5], exec, -1
; %bb.18635:
	s_or_b64 exec, exec, s[8:9]
	s_and_b64 s[4:5], s[4:5], exec
	s_or_saveexec_b64 s[6:7], s[6:7]
	v_mov_b32_e32 v2, s10
	s_xor_b64 exec, exec, s[6:7]
	s_cbranch_execnz .LBB2_18636
; %bb.54473:
	s_getpc_b64 s[14:15]
.Lpost_getpc30820:
	s_add_u32 s14, s14, (.LBB2_4298-.Lpost_getpc30820)&4294967295
	s_addc_u32 s15, s15, (.LBB2_4298-.Lpost_getpc30820)>>32
	s_setpc_b64 s[14:15]
.LBB2_18636:
	v_mov_b32_e32 v2, 0
	v_cmp_ne_u16_sdwa s[8:9], v3, v2 src0_sel:BYTE_0 src1_sel:DWORD
	s_andn2_b64 s[4:5], s[4:5], exec
	s_and_b64 s[8:9], s[8:9], exec
	s_or_b64 s[4:5], s[4:5], s[8:9]
	s_or_b64 exec, exec, s[6:7]
	s_and_saveexec_b64 s[6:7], s[4:5]
	s_cbranch_execz .LBB2_30821
; %bb.54475:
	s_getpc_b64 s[14:15]
.Lpost_getpc30821:
	s_add_u32 s14, s14, (.LBB2_4299-.Lpost_getpc30821)&4294967295
	s_addc_u32 s15, s15, (.LBB2_4299-.Lpost_getpc30821)>>32
	s_setpc_b64 s[14:15]
.LBB2_30821:
	s_getpc_b64 s[14:15]
.Lpost_getpc18994:
	s_add_u32 s14, s14, (.LBB2_4300-.Lpost_getpc18994)&4294967295
	s_addc_u32 s15, s15, (.LBB2_4300-.Lpost_getpc18994)>>32
	s_setpc_b64 s[14:15]
.LBB2_18637:
	s_movk_i32 s4, 0x80
	v_cmp_eq_u16_sdwa s[12:13], v3, s4 src0_sel:BYTE_0 src1_sel:DWORD
	s_mov_b64 s[4:5], -1
                                        ; implicit-def: $sgpr10
	s_and_saveexec_b64 s[8:9], s[12:13]
; %bb.18638:
	s_mov_b32 s10, 0x7f800001
	s_xor_b64 s[4:5], exec, -1
; %bb.18639:
	s_or_b64 exec, exec, s[8:9]
	s_and_b64 s[4:5], s[4:5], exec
	s_or_saveexec_b64 s[6:7], s[6:7]
	v_mov_b32_e32 v6, s10
	s_xor_b64 exec, exec, s[6:7]
	s_cbranch_execnz .LBB2_18640
; %bb.54477:
	s_getpc_b64 s[14:15]
.Lpost_getpc30822:
	s_add_u32 s14, s14, (.LBB2_4302-.Lpost_getpc30822)&4294967295
	s_addc_u32 s15, s15, (.LBB2_4302-.Lpost_getpc30822)>>32
	s_setpc_b64 s[14:15]
.LBB2_18640:
	v_mov_b32_e32 v6, 0
	v_cmp_ne_u16_sdwa s[8:9], v3, v6 src0_sel:BYTE_0 src1_sel:DWORD
	s_andn2_b64 s[4:5], s[4:5], exec
	s_and_b64 s[8:9], s[8:9], exec
	s_or_b64 s[4:5], s[4:5], s[8:9]
	s_or_b64 exec, exec, s[6:7]
	s_and_saveexec_b64 s[6:7], s[4:5]
	s_cbranch_execz .LBB2_30823
; %bb.54479:
	s_getpc_b64 s[14:15]
.Lpost_getpc30823:
	s_add_u32 s14, s14, (.LBB2_4303-.Lpost_getpc30823)&4294967295
	s_addc_u32 s15, s15, (.LBB2_4303-.Lpost_getpc30823)>>32
	s_setpc_b64 s[14:15]
.LBB2_30823:
	s_getpc_b64 s[14:15]
.Lpost_getpc18995:
	s_add_u32 s14, s14, (.LBB2_4304-.Lpost_getpc18995)&4294967295
	s_addc_u32 s15, s15, (.LBB2_4304-.Lpost_getpc18995)>>32
	s_setpc_b64 s[14:15]
.LBB2_18641:
	s_movk_i32 s4, 0x80
	v_cmp_eq_u16_e32 vcc, s4, v3
	s_mov_b64 s[4:5], -1
                                        ; implicit-def: $sgpr10
	s_and_saveexec_b64 s[8:9], vcc
; %bb.18642:
	s_mov_b32 s10, 0x7f800001
	s_xor_b64 s[4:5], exec, -1
; %bb.18643:
	s_or_b64 exec, exec, s[8:9]
	s_and_b64 s[4:5], s[4:5], exec
                                        ; implicit-def: $vgpr3
	s_or_saveexec_b64 s[6:7], s[6:7]
	v_mov_b32_e32 v2, s10
	s_xor_b64 exec, exec, s[6:7]
	s_cbranch_execnz .LBB2_18644
; %bb.54481:
	s_getpc_b64 s[14:15]
.Lpost_getpc30824:
	s_add_u32 s14, s14, (.LBB2_4306-.Lpost_getpc30824)&4294967295
	s_addc_u32 s15, s15, (.LBB2_4306-.Lpost_getpc30824)>>32
	s_setpc_b64 s[14:15]
.LBB2_18644:
	v_cmp_ne_u16_e32 vcc, 0, v3
	s_andn2_b64 s[4:5], s[4:5], exec
	s_and_b64 s[8:9], vcc, exec
	v_mov_b32_e32 v2, 0
	s_or_b64 s[4:5], s[4:5], s[8:9]
	s_or_b64 exec, exec, s[6:7]
	s_and_saveexec_b64 s[6:7], s[4:5]
	s_cbranch_execz .LBB2_30825
; %bb.54483:
	s_getpc_b64 s[14:15]
.Lpost_getpc30825:
	s_add_u32 s14, s14, (.LBB2_4307-.Lpost_getpc30825)&4294967295
	s_addc_u32 s15, s15, (.LBB2_4307-.Lpost_getpc30825)>>32
	s_setpc_b64 s[14:15]
.LBB2_30825:
	s_getpc_b64 s[14:15]
.Lpost_getpc18996:
	s_add_u32 s14, s14, (.LBB2_4308-.Lpost_getpc18996)&4294967295
	s_addc_u32 s15, s15, (.LBB2_4308-.Lpost_getpc18996)>>32
	s_setpc_b64 s[14:15]
.LBB2_18645:
	s_movk_i32 s4, 0x80
	v_cmp_eq_u16_e32 vcc, s4, v3
	s_mov_b64 s[4:5], -1
                                        ; implicit-def: $sgpr10
	s_and_saveexec_b64 s[8:9], vcc
; %bb.18646:
	s_mov_b32 s10, 0x7f800001
	s_xor_b64 s[4:5], exec, -1
; %bb.18647:
	s_or_b64 exec, exec, s[8:9]
	s_and_b64 s[4:5], s[4:5], exec
                                        ; implicit-def: $vgpr3
	s_or_saveexec_b64 s[6:7], s[6:7]
	v_mov_b32_e32 v6, s10
	s_xor_b64 exec, exec, s[6:7]
	s_cbranch_execnz .LBB2_18648
; %bb.54485:
	s_getpc_b64 s[14:15]
.Lpost_getpc30826:
	s_add_u32 s14, s14, (.LBB2_4310-.Lpost_getpc30826)&4294967295
	s_addc_u32 s15, s15, (.LBB2_4310-.Lpost_getpc30826)>>32
	s_setpc_b64 s[14:15]
.LBB2_18648:
	v_cmp_ne_u16_e32 vcc, 0, v3
	s_andn2_b64 s[4:5], s[4:5], exec
	s_and_b64 s[8:9], vcc, exec
	v_mov_b32_e32 v6, 0
	s_or_b64 s[4:5], s[4:5], s[8:9]
	s_or_b64 exec, exec, s[6:7]
	s_and_saveexec_b64 s[6:7], s[4:5]
	s_cbranch_execz .LBB2_30827
; %bb.54487:
	s_getpc_b64 s[14:15]
.Lpost_getpc30827:
	s_add_u32 s14, s14, (.LBB2_4311-.Lpost_getpc30827)&4294967295
	s_addc_u32 s15, s15, (.LBB2_4311-.Lpost_getpc30827)>>32
	s_setpc_b64 s[14:15]
.LBB2_30827:
	s_getpc_b64 s[14:15]
.Lpost_getpc18997:
	s_add_u32 s14, s14, (.LBB2_4312-.Lpost_getpc18997)&4294967295
	s_addc_u32 s15, s15, (.LBB2_4312-.Lpost_getpc18997)>>32
	s_setpc_b64 s[14:15]
.LBB2_18649:
	s_movk_i32 s4, 0x80
	v_cmp_eq_u16_sdwa s[12:13], v8, s4 src0_sel:BYTE_3 src1_sel:DWORD
	s_mov_b64 s[4:5], -1
                                        ; implicit-def: $sgpr10
	s_and_saveexec_b64 s[8:9], s[12:13]
; %bb.18650:
	s_mov_b32 s10, 0x7f800001
	s_xor_b64 s[4:5], exec, -1
; %bb.18651:
	s_or_b64 exec, exec, s[8:9]
	s_and_b64 s[4:5], s[4:5], exec
	s_or_saveexec_b64 s[6:7], s[6:7]
	v_mov_b32_e32 v2, s10
	s_xor_b64 exec, exec, s[6:7]
	s_cbranch_execnz .LBB2_18652
; %bb.54489:
	s_getpc_b64 s[14:15]
.Lpost_getpc30828:
	s_add_u32 s14, s14, (.LBB2_4314-.Lpost_getpc30828)&4294967295
	s_addc_u32 s15, s15, (.LBB2_4314-.Lpost_getpc30828)>>32
	s_setpc_b64 s[14:15]
.LBB2_18652:
	v_mov_b32_e32 v2, 0
	v_cmp_ne_u16_sdwa s[8:9], v8, v2 src0_sel:BYTE_3 src1_sel:DWORD
	s_andn2_b64 s[4:5], s[4:5], exec
	s_and_b64 s[8:9], s[8:9], exec
	s_or_b64 s[4:5], s[4:5], s[8:9]
	s_or_b64 exec, exec, s[6:7]
	s_and_saveexec_b64 s[6:7], s[4:5]
	s_cbranch_execz .LBB2_30829
; %bb.54491:
	s_getpc_b64 s[14:15]
.Lpost_getpc30829:
	s_add_u32 s14, s14, (.LBB2_4315-.Lpost_getpc30829)&4294967295
	s_addc_u32 s15, s15, (.LBB2_4315-.Lpost_getpc30829)>>32
	s_setpc_b64 s[14:15]
.LBB2_30829:
	s_getpc_b64 s[14:15]
.Lpost_getpc18998:
	s_add_u32 s14, s14, (.LBB2_4316-.Lpost_getpc18998)&4294967295
	s_addc_u32 s15, s15, (.LBB2_4316-.Lpost_getpc18998)>>32
	s_setpc_b64 s[14:15]
.LBB2_18653:
	s_movk_i32 s4, 0x80
	v_cmp_eq_u16_sdwa s[12:13], v4, s4 src0_sel:BYTE_3 src1_sel:DWORD
	s_mov_b64 s[4:5], -1
                                        ; implicit-def: $sgpr10
	s_and_saveexec_b64 s[8:9], s[12:13]
; %bb.18654:
	s_mov_b32 s10, 0x7f800001
	s_xor_b64 s[4:5], exec, -1
; %bb.18655:
	s_or_b64 exec, exec, s[8:9]
	s_and_b64 s[4:5], s[4:5], exec
	s_or_saveexec_b64 s[6:7], s[6:7]
	v_mov_b32_e32 v3, s10
	s_xor_b64 exec, exec, s[6:7]
	s_cbranch_execnz .LBB2_18656
; %bb.54493:
	s_getpc_b64 s[14:15]
.Lpost_getpc30830:
	s_add_u32 s14, s14, (.LBB2_4318-.Lpost_getpc30830)&4294967295
	s_addc_u32 s15, s15, (.LBB2_4318-.Lpost_getpc30830)>>32
	s_setpc_b64 s[14:15]
.LBB2_18656:
	v_mov_b32_e32 v3, 0
	v_cmp_ne_u16_sdwa s[8:9], v4, v3 src0_sel:BYTE_3 src1_sel:DWORD
	s_andn2_b64 s[4:5], s[4:5], exec
	s_and_b64 s[8:9], s[8:9], exec
	s_or_b64 s[4:5], s[4:5], s[8:9]
	s_or_b64 exec, exec, s[6:7]
	s_and_saveexec_b64 s[6:7], s[4:5]
	s_cbranch_execz .LBB2_30831
; %bb.54495:
	s_getpc_b64 s[14:15]
.Lpost_getpc30831:
	s_add_u32 s14, s14, (.LBB2_4319-.Lpost_getpc30831)&4294967295
	s_addc_u32 s15, s15, (.LBB2_4319-.Lpost_getpc30831)>>32
	s_setpc_b64 s[14:15]
.LBB2_30831:
	s_getpc_b64 s[14:15]
.Lpost_getpc18999:
	s_add_u32 s14, s14, (.LBB2_4320-.Lpost_getpc18999)&4294967295
	s_addc_u32 s15, s15, (.LBB2_4320-.Lpost_getpc18999)>>32
	s_setpc_b64 s[14:15]
.LBB2_18657:
	s_movk_i32 s4, 0x80
	v_cmp_eq_u16_sdwa s[12:13], v9, s4 src0_sel:BYTE_0 src1_sel:DWORD
	s_mov_b64 s[4:5], -1
                                        ; implicit-def: $sgpr10
	s_and_saveexec_b64 s[8:9], s[12:13]
; %bb.18658:
	s_mov_b32 s10, 0x7f800001
	s_xor_b64 s[4:5], exec, -1
; %bb.18659:
	s_or_b64 exec, exec, s[8:9]
	s_and_b64 s[4:5], s[4:5], exec
	s_or_saveexec_b64 s[6:7], s[6:7]
	v_mov_b32_e32 v2, s10
	s_xor_b64 exec, exec, s[6:7]
	s_cbranch_execnz .LBB2_18660
; %bb.54497:
	s_getpc_b64 s[14:15]
.Lpost_getpc30832:
	s_add_u32 s14, s14, (.LBB2_4322-.Lpost_getpc30832)&4294967295
	s_addc_u32 s15, s15, (.LBB2_4322-.Lpost_getpc30832)>>32
	s_setpc_b64 s[14:15]
.LBB2_18660:
	v_mov_b32_e32 v2, 0
	v_cmp_ne_u16_sdwa s[8:9], v9, v2 src0_sel:BYTE_0 src1_sel:DWORD
	s_andn2_b64 s[4:5], s[4:5], exec
	s_and_b64 s[8:9], s[8:9], exec
	s_or_b64 s[4:5], s[4:5], s[8:9]
	s_or_b64 exec, exec, s[6:7]
	s_and_saveexec_b64 s[6:7], s[4:5]
	s_cbranch_execz .LBB2_30833
; %bb.54499:
	s_getpc_b64 s[14:15]
.Lpost_getpc30833:
	s_add_u32 s14, s14, (.LBB2_4323-.Lpost_getpc30833)&4294967295
	s_addc_u32 s15, s15, (.LBB2_4323-.Lpost_getpc30833)>>32
	s_setpc_b64 s[14:15]
.LBB2_30833:
	s_getpc_b64 s[14:15]
.Lpost_getpc19000:
	s_add_u32 s14, s14, (.LBB2_4324-.Lpost_getpc19000)&4294967295
	s_addc_u32 s15, s15, (.LBB2_4324-.Lpost_getpc19000)>>32
	s_setpc_b64 s[14:15]
.LBB2_18661:
	s_movk_i32 s4, 0x80
	v_cmp_eq_u16_sdwa s[12:13], v5, s4 src0_sel:BYTE_0 src1_sel:DWORD
	s_mov_b64 s[4:5], -1
                                        ; implicit-def: $sgpr10
	s_and_saveexec_b64 s[8:9], s[12:13]
; %bb.18662:
	s_mov_b32 s10, 0x7f800001
	s_xor_b64 s[4:5], exec, -1
; %bb.18663:
	s_or_b64 exec, exec, s[8:9]
	s_and_b64 s[4:5], s[4:5], exec
	s_or_saveexec_b64 s[6:7], s[6:7]
	v_mov_b32_e32 v3, s10
	s_xor_b64 exec, exec, s[6:7]
	s_cbranch_execnz .LBB2_18664
; %bb.54501:
	s_getpc_b64 s[14:15]
.Lpost_getpc30834:
	s_add_u32 s14, s14, (.LBB2_4326-.Lpost_getpc30834)&4294967295
	s_addc_u32 s15, s15, (.LBB2_4326-.Lpost_getpc30834)>>32
	s_setpc_b64 s[14:15]
.LBB2_18664:
	v_mov_b32_e32 v3, 0
	v_cmp_ne_u16_sdwa s[8:9], v5, v3 src0_sel:BYTE_0 src1_sel:DWORD
	s_andn2_b64 s[4:5], s[4:5], exec
	s_and_b64 s[8:9], s[8:9], exec
	s_or_b64 s[4:5], s[4:5], s[8:9]
	s_or_b64 exec, exec, s[6:7]
	s_and_saveexec_b64 s[6:7], s[4:5]
	s_cbranch_execz .LBB2_30835
; %bb.54503:
	s_getpc_b64 s[14:15]
.Lpost_getpc30835:
	s_add_u32 s14, s14, (.LBB2_4327-.Lpost_getpc30835)&4294967295
	s_addc_u32 s15, s15, (.LBB2_4327-.Lpost_getpc30835)>>32
	s_setpc_b64 s[14:15]
.LBB2_30835:
	s_getpc_b64 s[14:15]
.Lpost_getpc19001:
	s_add_u32 s14, s14, (.LBB2_4328-.Lpost_getpc19001)&4294967295
	s_addc_u32 s15, s15, (.LBB2_4328-.Lpost_getpc19001)>>32
	s_setpc_b64 s[14:15]
.LBB2_18665:
	s_movk_i32 s4, 0x80
	v_cmp_eq_u16_sdwa s[12:13], v3, s4 src0_sel:BYTE_0 src1_sel:DWORD
	s_mov_b64 s[4:5], -1
                                        ; implicit-def: $sgpr10
	s_and_saveexec_b64 s[8:9], s[12:13]
; %bb.18666:
	s_mov_b32 s10, 0x7f800001
	s_xor_b64 s[4:5], exec, -1
; %bb.18667:
	s_or_b64 exec, exec, s[8:9]
	s_and_b64 s[4:5], s[4:5], exec
	s_or_saveexec_b64 s[6:7], s[6:7]
	v_mov_b32_e32 v2, s10
	s_xor_b64 exec, exec, s[6:7]
	s_cbranch_execnz .LBB2_18668
; %bb.54505:
	s_getpc_b64 s[14:15]
.Lpost_getpc30836:
	s_add_u32 s14, s14, (.LBB2_4330-.Lpost_getpc30836)&4294967295
	s_addc_u32 s15, s15, (.LBB2_4330-.Lpost_getpc30836)>>32
	s_setpc_b64 s[14:15]
.LBB2_18668:
	v_mov_b32_e32 v2, 0
	v_cmp_ne_u16_sdwa s[8:9], v3, v2 src0_sel:BYTE_0 src1_sel:DWORD
	s_andn2_b64 s[4:5], s[4:5], exec
	s_and_b64 s[8:9], s[8:9], exec
	s_or_b64 s[4:5], s[4:5], s[8:9]
	s_or_b64 exec, exec, s[6:7]
	s_and_saveexec_b64 s[6:7], s[4:5]
	s_cbranch_execz .LBB2_30837
; %bb.54507:
	s_getpc_b64 s[14:15]
.Lpost_getpc30837:
	s_add_u32 s14, s14, (.LBB2_4331-.Lpost_getpc30837)&4294967295
	s_addc_u32 s15, s15, (.LBB2_4331-.Lpost_getpc30837)>>32
	s_setpc_b64 s[14:15]
.LBB2_30837:
	s_getpc_b64 s[14:15]
.Lpost_getpc19002:
	s_add_u32 s14, s14, (.LBB2_4332-.Lpost_getpc19002)&4294967295
	s_addc_u32 s15, s15, (.LBB2_4332-.Lpost_getpc19002)>>32
	s_setpc_b64 s[14:15]
.LBB2_18669:
	s_movk_i32 s4, 0x80
	v_cmp_eq_u16_sdwa s[12:13], v3, s4 src0_sel:BYTE_0 src1_sel:DWORD
	s_mov_b64 s[4:5], -1
                                        ; implicit-def: $sgpr10
	s_and_saveexec_b64 s[8:9], s[12:13]
; %bb.18670:
	s_mov_b32 s10, 0x7f800001
	s_xor_b64 s[4:5], exec, -1
; %bb.18671:
	s_or_b64 exec, exec, s[8:9]
	s_and_b64 s[4:5], s[4:5], exec
	s_or_saveexec_b64 s[6:7], s[6:7]
	v_mov_b32_e32 v4, s10
	s_xor_b64 exec, exec, s[6:7]
	s_cbranch_execnz .LBB2_18672
; %bb.54509:
	s_getpc_b64 s[14:15]
.Lpost_getpc30838:
	s_add_u32 s14, s14, (.LBB2_4334-.Lpost_getpc30838)&4294967295
	s_addc_u32 s15, s15, (.LBB2_4334-.Lpost_getpc30838)>>32
	s_setpc_b64 s[14:15]
.LBB2_18672:
	v_mov_b32_e32 v4, 0
	v_cmp_ne_u16_sdwa s[8:9], v3, v4 src0_sel:BYTE_0 src1_sel:DWORD
	s_andn2_b64 s[4:5], s[4:5], exec
	s_and_b64 s[8:9], s[8:9], exec
	s_or_b64 s[4:5], s[4:5], s[8:9]
	s_or_b64 exec, exec, s[6:7]
	s_and_saveexec_b64 s[6:7], s[4:5]
	s_cbranch_execz .LBB2_30839
; %bb.54511:
	s_getpc_b64 s[14:15]
.Lpost_getpc30839:
	s_add_u32 s14, s14, (.LBB2_4335-.Lpost_getpc30839)&4294967295
	s_addc_u32 s15, s15, (.LBB2_4335-.Lpost_getpc30839)>>32
	s_setpc_b64 s[14:15]
.LBB2_30839:
	s_getpc_b64 s[14:15]
.Lpost_getpc19003:
	s_add_u32 s14, s14, (.LBB2_4336-.Lpost_getpc19003)&4294967295
	s_addc_u32 s15, s15, (.LBB2_4336-.Lpost_getpc19003)>>32
	s_setpc_b64 s[14:15]
.LBB2_18673:
	s_movk_i32 s4, 0x80
	v_cmp_eq_u16_e32 vcc, s4, v3
	s_mov_b64 s[4:5], -1
                                        ; implicit-def: $sgpr10
	s_and_saveexec_b64 s[8:9], vcc
; %bb.18674:
	s_mov_b32 s10, 0x7f800001
	s_xor_b64 s[4:5], exec, -1
; %bb.18675:
	s_or_b64 exec, exec, s[8:9]
	s_and_b64 s[4:5], s[4:5], exec
                                        ; implicit-def: $vgpr3
	s_or_saveexec_b64 s[6:7], s[6:7]
	v_mov_b32_e32 v2, s10
	s_xor_b64 exec, exec, s[6:7]
	s_cbranch_execnz .LBB2_18676
; %bb.54513:
	s_getpc_b64 s[14:15]
.Lpost_getpc30840:
	s_add_u32 s14, s14, (.LBB2_4338-.Lpost_getpc30840)&4294967295
	s_addc_u32 s15, s15, (.LBB2_4338-.Lpost_getpc30840)>>32
	s_setpc_b64 s[14:15]
.LBB2_18676:
	v_cmp_ne_u16_e32 vcc, 0, v3
	s_andn2_b64 s[4:5], s[4:5], exec
	s_and_b64 s[8:9], vcc, exec
	v_mov_b32_e32 v2, 0
	s_or_b64 s[4:5], s[4:5], s[8:9]
	s_or_b64 exec, exec, s[6:7]
	s_and_saveexec_b64 s[6:7], s[4:5]
	s_cbranch_execz .LBB2_30841
; %bb.54515:
	s_getpc_b64 s[14:15]
.Lpost_getpc30841:
	s_add_u32 s14, s14, (.LBB2_4339-.Lpost_getpc30841)&4294967295
	s_addc_u32 s15, s15, (.LBB2_4339-.Lpost_getpc30841)>>32
	s_setpc_b64 s[14:15]
.LBB2_30841:
	s_getpc_b64 s[14:15]
.Lpost_getpc19004:
	s_add_u32 s14, s14, (.LBB2_4340-.Lpost_getpc19004)&4294967295
	s_addc_u32 s15, s15, (.LBB2_4340-.Lpost_getpc19004)>>32
	s_setpc_b64 s[14:15]
.LBB2_18677:
	s_movk_i32 s4, 0x80
	v_cmp_eq_u16_e32 vcc, s4, v3
	s_mov_b64 s[4:5], -1
                                        ; implicit-def: $sgpr10
	s_and_saveexec_b64 s[8:9], vcc
; %bb.18678:
	s_mov_b32 s10, 0x7f800001
	s_xor_b64 s[4:5], exec, -1
; %bb.18679:
	s_or_b64 exec, exec, s[8:9]
	s_and_b64 s[4:5], s[4:5], exec
                                        ; implicit-def: $vgpr3
	s_or_saveexec_b64 s[6:7], s[6:7]
	v_mov_b32_e32 v4, s10
	s_xor_b64 exec, exec, s[6:7]
	s_cbranch_execnz .LBB2_18680
; %bb.54517:
	s_getpc_b64 s[14:15]
.Lpost_getpc30842:
	s_add_u32 s14, s14, (.LBB2_4342-.Lpost_getpc30842)&4294967295
	s_addc_u32 s15, s15, (.LBB2_4342-.Lpost_getpc30842)>>32
	s_setpc_b64 s[14:15]
.LBB2_18680:
	v_cmp_ne_u16_e32 vcc, 0, v3
	s_andn2_b64 s[4:5], s[4:5], exec
	s_and_b64 s[8:9], vcc, exec
	v_mov_b32_e32 v4, 0
	s_or_b64 s[4:5], s[4:5], s[8:9]
	s_or_b64 exec, exec, s[6:7]
	s_and_saveexec_b64 s[6:7], s[4:5]
	s_cbranch_execz .LBB2_30843
; %bb.54519:
	s_getpc_b64 s[14:15]
.Lpost_getpc30843:
	s_add_u32 s14, s14, (.LBB2_4343-.Lpost_getpc30843)&4294967295
	s_addc_u32 s15, s15, (.LBB2_4343-.Lpost_getpc30843)>>32
	s_setpc_b64 s[14:15]
.LBB2_30843:
	s_getpc_b64 s[14:15]
.Lpost_getpc19005:
	s_add_u32 s14, s14, (.LBB2_4344-.Lpost_getpc19005)&4294967295
	s_addc_u32 s15, s15, (.LBB2_4344-.Lpost_getpc19005)>>32
	s_setpc_b64 s[14:15]
.LBB2_18681:
	s_movk_i32 s4, 0x80
	v_cmp_eq_u16_sdwa s[12:13], v9, s4 src0_sel:BYTE_3 src1_sel:DWORD
	s_mov_b64 s[4:5], -1
                                        ; implicit-def: $sgpr10
	s_and_saveexec_b64 s[8:9], s[12:13]
; %bb.18682:
	s_mov_b32 s10, 0x7f800001
	s_xor_b64 s[4:5], exec, -1
; %bb.18683:
	s_or_b64 exec, exec, s[8:9]
	s_and_b64 s[4:5], s[4:5], exec
	s_or_saveexec_b64 s[6:7], s[6:7]
	v_mov_b32_e32 v2, s10
	s_xor_b64 exec, exec, s[6:7]
	s_cbranch_execnz .LBB2_18684
; %bb.54521:
	s_getpc_b64 s[14:15]
.Lpost_getpc30844:
	s_add_u32 s14, s14, (.LBB2_4346-.Lpost_getpc30844)&4294967295
	s_addc_u32 s15, s15, (.LBB2_4346-.Lpost_getpc30844)>>32
	s_setpc_b64 s[14:15]
.LBB2_18684:
	v_mov_b32_e32 v2, 0
	v_cmp_ne_u16_sdwa s[8:9], v9, v2 src0_sel:BYTE_3 src1_sel:DWORD
	s_andn2_b64 s[4:5], s[4:5], exec
	s_and_b64 s[8:9], s[8:9], exec
	s_or_b64 s[4:5], s[4:5], s[8:9]
	s_or_b64 exec, exec, s[6:7]
	s_and_saveexec_b64 s[6:7], s[4:5]
	s_cbranch_execz .LBB2_30845
; %bb.54523:
	s_getpc_b64 s[14:15]
.Lpost_getpc30845:
	s_add_u32 s14, s14, (.LBB2_4347-.Lpost_getpc30845)&4294967295
	s_addc_u32 s15, s15, (.LBB2_4347-.Lpost_getpc30845)>>32
	s_setpc_b64 s[14:15]
.LBB2_30845:
	s_getpc_b64 s[14:15]
.Lpost_getpc19006:
	s_add_u32 s14, s14, (.LBB2_4348-.Lpost_getpc19006)&4294967295
	s_addc_u32 s15, s15, (.LBB2_4348-.Lpost_getpc19006)>>32
	s_setpc_b64 s[14:15]
.LBB2_18685:
	s_movk_i32 s4, 0x80
	v_cmp_eq_u16_sdwa s[12:13], v5, s4 src0_sel:BYTE_3 src1_sel:DWORD
	s_mov_b64 s[4:5], -1
                                        ; implicit-def: $sgpr10
	s_and_saveexec_b64 s[8:9], s[12:13]
; %bb.18686:
	s_mov_b32 s10, 0x7f800001
	s_xor_b64 s[4:5], exec, -1
; %bb.18687:
	s_or_b64 exec, exec, s[8:9]
	s_and_b64 s[4:5], s[4:5], exec
	s_or_saveexec_b64 s[6:7], s[6:7]
	v_mov_b32_e32 v3, s10
	s_xor_b64 exec, exec, s[6:7]
	s_cbranch_execnz .LBB2_18688
; %bb.54525:
	s_getpc_b64 s[14:15]
.Lpost_getpc30846:
	s_add_u32 s14, s14, (.LBB2_4350-.Lpost_getpc30846)&4294967295
	s_addc_u32 s15, s15, (.LBB2_4350-.Lpost_getpc30846)>>32
	s_setpc_b64 s[14:15]
.LBB2_18688:
	v_mov_b32_e32 v3, 0
	v_cmp_ne_u16_sdwa s[8:9], v5, v3 src0_sel:BYTE_3 src1_sel:DWORD
	s_andn2_b64 s[4:5], s[4:5], exec
	s_and_b64 s[8:9], s[8:9], exec
	s_or_b64 s[4:5], s[4:5], s[8:9]
	s_or_b64 exec, exec, s[6:7]
	s_and_saveexec_b64 s[6:7], s[4:5]
	s_cbranch_execz .LBB2_30847
; %bb.54527:
	s_getpc_b64 s[14:15]
.Lpost_getpc30847:
	s_add_u32 s14, s14, (.LBB2_4351-.Lpost_getpc30847)&4294967295
	s_addc_u32 s15, s15, (.LBB2_4351-.Lpost_getpc30847)>>32
	s_setpc_b64 s[14:15]
.LBB2_30847:
	s_getpc_b64 s[14:15]
.Lpost_getpc19007:
	s_add_u32 s14, s14, (.LBB2_4352-.Lpost_getpc19007)&4294967295
	s_addc_u32 s15, s15, (.LBB2_4352-.Lpost_getpc19007)>>32
	s_setpc_b64 s[14:15]
.LBB2_18689:
	s_movk_i32 s4, 0x80
	v_cmp_eq_u16_sdwa s[12:13], v6, s4 src0_sel:BYTE_0 src1_sel:DWORD
	s_mov_b64 s[4:5], -1
                                        ; implicit-def: $sgpr10
	s_and_saveexec_b64 s[8:9], s[12:13]
; %bb.18690:
	s_mov_b32 s10, 0x7f800001
	s_xor_b64 s[4:5], exec, -1
; %bb.18691:
	s_or_b64 exec, exec, s[8:9]
	s_and_b64 s[4:5], s[4:5], exec
	s_or_saveexec_b64 s[6:7], s[6:7]
	v_mov_b32_e32 v12, s10
	s_xor_b64 exec, exec, s[6:7]
	s_cbranch_execnz .LBB2_18692
; %bb.54529:
	s_getpc_b64 s[14:15]
.Lpost_getpc30848:
	s_add_u32 s14, s14, (.LBB2_4354-.Lpost_getpc30848)&4294967295
	s_addc_u32 s15, s15, (.LBB2_4354-.Lpost_getpc30848)>>32
	s_setpc_b64 s[14:15]
.LBB2_18692:
	v_mov_b32_e32 v12, 0
	v_cmp_ne_u16_sdwa s[8:9], v6, v12 src0_sel:BYTE_0 src1_sel:DWORD
	s_andn2_b64 s[4:5], s[4:5], exec
	s_and_b64 s[8:9], s[8:9], exec
	s_or_b64 s[4:5], s[4:5], s[8:9]
	s_or_b64 exec, exec, s[6:7]
	s_and_saveexec_b64 s[6:7], s[4:5]
	s_cbranch_execz .LBB2_30849
; %bb.54531:
	s_getpc_b64 s[14:15]
.Lpost_getpc30849:
	s_add_u32 s14, s14, (.LBB2_4355-.Lpost_getpc30849)&4294967295
	s_addc_u32 s15, s15, (.LBB2_4355-.Lpost_getpc30849)>>32
	s_setpc_b64 s[14:15]
.LBB2_30849:
	s_getpc_b64 s[14:15]
.Lpost_getpc19008:
	s_add_u32 s14, s14, (.LBB2_4356-.Lpost_getpc19008)&4294967295
	s_addc_u32 s15, s15, (.LBB2_4356-.Lpost_getpc19008)>>32
	s_setpc_b64 s[14:15]
.LBB2_18693:
	s_movk_i32 s4, 0x80
	v_cmp_eq_u16_sdwa s[12:13], v2, s4 src0_sel:BYTE_0 src1_sel:DWORD
	s_mov_b64 s[4:5], -1
                                        ; implicit-def: $sgpr10
	s_and_saveexec_b64 s[8:9], s[12:13]
; %bb.18694:
	s_mov_b32 s10, 0x7f800001
	s_xor_b64 s[4:5], exec, -1
; %bb.18695:
	s_or_b64 exec, exec, s[8:9]
	s_and_b64 s[4:5], s[4:5], exec
	s_or_saveexec_b64 s[6:7], s[6:7]
	v_mov_b32_e32 v13, s10
	s_xor_b64 exec, exec, s[6:7]
	s_cbranch_execnz .LBB2_18696
; %bb.54533:
	s_getpc_b64 s[14:15]
.Lpost_getpc30850:
	s_add_u32 s14, s14, (.LBB2_4358-.Lpost_getpc30850)&4294967295
	s_addc_u32 s15, s15, (.LBB2_4358-.Lpost_getpc30850)>>32
	s_setpc_b64 s[14:15]
.LBB2_18696:
	v_mov_b32_e32 v13, 0
	v_cmp_ne_u16_sdwa s[8:9], v2, v13 src0_sel:BYTE_0 src1_sel:DWORD
	s_andn2_b64 s[4:5], s[4:5], exec
	s_and_b64 s[8:9], s[8:9], exec
	s_or_b64 s[4:5], s[4:5], s[8:9]
	s_or_b64 exec, exec, s[6:7]
	s_and_saveexec_b64 s[6:7], s[4:5]
	s_cbranch_execz .LBB2_30851
; %bb.54535:
	s_getpc_b64 s[14:15]
.Lpost_getpc30851:
	s_add_u32 s14, s14, (.LBB2_4359-.Lpost_getpc30851)&4294967295
	s_addc_u32 s15, s15, (.LBB2_4359-.Lpost_getpc30851)>>32
	s_setpc_b64 s[14:15]
.LBB2_30851:
	s_getpc_b64 s[14:15]
.Lpost_getpc19009:
	s_add_u32 s14, s14, (.LBB2_4360-.Lpost_getpc19009)&4294967295
	s_addc_u32 s15, s15, (.LBB2_4360-.Lpost_getpc19009)>>32
	s_setpc_b64 s[14:15]
.LBB2_18697:
	s_movk_i32 s4, 0x80
	v_cmp_eq_u16_sdwa s[12:13], v13, s4 src0_sel:BYTE_0 src1_sel:DWORD
	s_mov_b64 s[4:5], -1
                                        ; implicit-def: $sgpr10
	s_and_saveexec_b64 s[8:9], s[12:13]
; %bb.18698:
	s_mov_b32 s10, 0x7f800001
	s_xor_b64 s[4:5], exec, -1
; %bb.18699:
	s_or_b64 exec, exec, s[8:9]
	s_and_b64 s[4:5], s[4:5], exec
	s_or_saveexec_b64 s[6:7], s[6:7]
	v_mov_b32_e32 v12, s10
	s_xor_b64 exec, exec, s[6:7]
	s_cbranch_execnz .LBB2_18700
; %bb.54537:
	s_getpc_b64 s[14:15]
.Lpost_getpc30852:
	s_add_u32 s14, s14, (.LBB2_4362-.Lpost_getpc30852)&4294967295
	s_addc_u32 s15, s15, (.LBB2_4362-.Lpost_getpc30852)>>32
	s_setpc_b64 s[14:15]
.LBB2_18700:
	v_mov_b32_e32 v12, 0
	v_cmp_ne_u16_sdwa s[8:9], v13, v12 src0_sel:BYTE_0 src1_sel:DWORD
	s_andn2_b64 s[4:5], s[4:5], exec
	s_and_b64 s[8:9], s[8:9], exec
	s_or_b64 s[4:5], s[4:5], s[8:9]
	s_or_b64 exec, exec, s[6:7]
	s_and_saveexec_b64 s[6:7], s[4:5]
	s_cbranch_execz .LBB2_30853
; %bb.54539:
	s_getpc_b64 s[14:15]
.Lpost_getpc30853:
	s_add_u32 s14, s14, (.LBB2_4363-.Lpost_getpc30853)&4294967295
	s_addc_u32 s15, s15, (.LBB2_4363-.Lpost_getpc30853)>>32
	s_setpc_b64 s[14:15]
.LBB2_30853:
	s_getpc_b64 s[14:15]
.Lpost_getpc19010:
	s_add_u32 s14, s14, (.LBB2_4364-.Lpost_getpc19010)&4294967295
	s_addc_u32 s15, s15, (.LBB2_4364-.Lpost_getpc19010)>>32
	s_setpc_b64 s[14:15]
.LBB2_18701:
	s_movk_i32 s4, 0x80
	v_cmp_eq_u16_sdwa s[12:13], v13, s4 src0_sel:BYTE_0 src1_sel:DWORD
	s_mov_b64 s[4:5], -1
                                        ; implicit-def: $sgpr10
	s_and_saveexec_b64 s[8:9], s[12:13]
; %bb.18702:
	s_mov_b32 s10, 0x7f800001
	s_xor_b64 s[4:5], exec, -1
; %bb.18703:
	s_or_b64 exec, exec, s[8:9]
	s_and_b64 s[4:5], s[4:5], exec
	s_or_saveexec_b64 s[6:7], s[6:7]
	v_mov_b32_e32 v14, s10
	s_xor_b64 exec, exec, s[6:7]
	s_cbranch_execnz .LBB2_18704
; %bb.54541:
	s_getpc_b64 s[14:15]
.Lpost_getpc30854:
	s_add_u32 s14, s14, (.LBB2_4366-.Lpost_getpc30854)&4294967295
	s_addc_u32 s15, s15, (.LBB2_4366-.Lpost_getpc30854)>>32
	s_setpc_b64 s[14:15]
.LBB2_18704:
	v_mov_b32_e32 v14, 0
	v_cmp_ne_u16_sdwa s[8:9], v13, v14 src0_sel:BYTE_0 src1_sel:DWORD
	s_andn2_b64 s[4:5], s[4:5], exec
	s_and_b64 s[8:9], s[8:9], exec
	s_or_b64 s[4:5], s[4:5], s[8:9]
	s_or_b64 exec, exec, s[6:7]
	s_and_saveexec_b64 s[6:7], s[4:5]
	s_cbranch_execz .LBB2_30855
; %bb.54543:
	s_getpc_b64 s[14:15]
.Lpost_getpc30855:
	s_add_u32 s14, s14, (.LBB2_4367-.Lpost_getpc30855)&4294967295
	s_addc_u32 s15, s15, (.LBB2_4367-.Lpost_getpc30855)>>32
	s_setpc_b64 s[14:15]
.LBB2_30855:
	s_getpc_b64 s[14:15]
.Lpost_getpc19011:
	s_add_u32 s14, s14, (.LBB2_4368-.Lpost_getpc19011)&4294967295
	s_addc_u32 s15, s15, (.LBB2_4368-.Lpost_getpc19011)>>32
	s_setpc_b64 s[14:15]
.LBB2_18705:
	s_movk_i32 s4, 0x80
	v_cmp_eq_u16_e32 vcc, s4, v13
	s_mov_b64 s[4:5], -1
                                        ; implicit-def: $sgpr10
	s_and_saveexec_b64 s[8:9], vcc
; %bb.18706:
	s_mov_b32 s10, 0x7f800001
	s_xor_b64 s[4:5], exec, -1
; %bb.18707:
	s_or_b64 exec, exec, s[8:9]
	s_and_b64 s[4:5], s[4:5], exec
                                        ; implicit-def: $vgpr13
	s_or_saveexec_b64 s[6:7], s[6:7]
	v_mov_b32_e32 v12, s10
	s_xor_b64 exec, exec, s[6:7]
	s_cbranch_execnz .LBB2_18708
; %bb.54545:
	s_getpc_b64 s[14:15]
.Lpost_getpc30856:
	s_add_u32 s14, s14, (.LBB2_4370-.Lpost_getpc30856)&4294967295
	s_addc_u32 s15, s15, (.LBB2_4370-.Lpost_getpc30856)>>32
	s_setpc_b64 s[14:15]
.LBB2_18708:
	v_cmp_ne_u16_e32 vcc, 0, v13
	s_andn2_b64 s[4:5], s[4:5], exec
	s_and_b64 s[8:9], vcc, exec
	v_mov_b32_e32 v12, 0
	s_or_b64 s[4:5], s[4:5], s[8:9]
	s_or_b64 exec, exec, s[6:7]
	s_and_saveexec_b64 s[6:7], s[4:5]
	s_cbranch_execz .LBB2_30857
; %bb.54547:
	s_getpc_b64 s[14:15]
.Lpost_getpc30857:
	s_add_u32 s14, s14, (.LBB2_4371-.Lpost_getpc30857)&4294967295
	s_addc_u32 s15, s15, (.LBB2_4371-.Lpost_getpc30857)>>32
	s_setpc_b64 s[14:15]
.LBB2_30857:
	s_getpc_b64 s[14:15]
.Lpost_getpc19012:
	s_add_u32 s14, s14, (.LBB2_4372-.Lpost_getpc19012)&4294967295
	s_addc_u32 s15, s15, (.LBB2_4372-.Lpost_getpc19012)>>32
	s_setpc_b64 s[14:15]
.LBB2_18709:
	s_movk_i32 s4, 0x80
	v_cmp_eq_u16_e32 vcc, s4, v13
	s_mov_b64 s[4:5], -1
                                        ; implicit-def: $sgpr10
	s_and_saveexec_b64 s[8:9], vcc
; %bb.18710:
	s_mov_b32 s10, 0x7f800001
	s_xor_b64 s[4:5], exec, -1
; %bb.18711:
	s_or_b64 exec, exec, s[8:9]
	s_and_b64 s[4:5], s[4:5], exec
                                        ; implicit-def: $vgpr13
	s_or_saveexec_b64 s[6:7], s[6:7]
	v_mov_b32_e32 v14, s10
	s_xor_b64 exec, exec, s[6:7]
	s_cbranch_execnz .LBB2_18712
; %bb.54549:
	s_getpc_b64 s[14:15]
.Lpost_getpc30858:
	s_add_u32 s14, s14, (.LBB2_4374-.Lpost_getpc30858)&4294967295
	s_addc_u32 s15, s15, (.LBB2_4374-.Lpost_getpc30858)>>32
	s_setpc_b64 s[14:15]
.LBB2_18712:
	v_cmp_ne_u16_e32 vcc, 0, v13
	s_andn2_b64 s[4:5], s[4:5], exec
	s_and_b64 s[8:9], vcc, exec
	v_mov_b32_e32 v14, 0
	s_or_b64 s[4:5], s[4:5], s[8:9]
	s_or_b64 exec, exec, s[6:7]
	s_and_saveexec_b64 s[6:7], s[4:5]
	s_cbranch_execz .LBB2_30859
; %bb.54551:
	s_getpc_b64 s[14:15]
.Lpost_getpc30859:
	s_add_u32 s14, s14, (.LBB2_4375-.Lpost_getpc30859)&4294967295
	s_addc_u32 s15, s15, (.LBB2_4375-.Lpost_getpc30859)>>32
	s_setpc_b64 s[14:15]
.LBB2_30859:
	s_getpc_b64 s[14:15]
.Lpost_getpc19013:
	s_add_u32 s14, s14, (.LBB2_4376-.Lpost_getpc19013)&4294967295
	s_addc_u32 s15, s15, (.LBB2_4376-.Lpost_getpc19013)>>32
	s_setpc_b64 s[14:15]
.LBB2_18713:
	s_movk_i32 s4, 0x80
	v_cmp_eq_u16_sdwa s[12:13], v6, s4 src0_sel:BYTE_3 src1_sel:DWORD
	s_mov_b64 s[4:5], -1
                                        ; implicit-def: $sgpr10
	s_and_saveexec_b64 s[8:9], s[12:13]
; %bb.18714:
	s_mov_b32 s10, 0x7f800001
	s_xor_b64 s[4:5], exec, -1
; %bb.18715:
	s_or_b64 exec, exec, s[8:9]
	s_and_b64 s[4:5], s[4:5], exec
	s_or_saveexec_b64 s[6:7], s[6:7]
	v_mov_b32_e32 v12, s10
	s_xor_b64 exec, exec, s[6:7]
	s_cbranch_execnz .LBB2_18716
; %bb.54553:
	s_getpc_b64 s[14:15]
.Lpost_getpc30860:
	s_add_u32 s14, s14, (.LBB2_4378-.Lpost_getpc30860)&4294967295
	s_addc_u32 s15, s15, (.LBB2_4378-.Lpost_getpc30860)>>32
	s_setpc_b64 s[14:15]
.LBB2_18716:
	v_mov_b32_e32 v12, 0
	v_cmp_ne_u16_sdwa s[8:9], v6, v12 src0_sel:BYTE_3 src1_sel:DWORD
	s_andn2_b64 s[4:5], s[4:5], exec
	s_and_b64 s[8:9], s[8:9], exec
	s_or_b64 s[4:5], s[4:5], s[8:9]
	s_or_b64 exec, exec, s[6:7]
	s_and_saveexec_b64 s[6:7], s[4:5]
	s_cbranch_execz .LBB2_30861
; %bb.54555:
	s_getpc_b64 s[14:15]
.Lpost_getpc30861:
	s_add_u32 s14, s14, (.LBB2_4379-.Lpost_getpc30861)&4294967295
	s_addc_u32 s15, s15, (.LBB2_4379-.Lpost_getpc30861)>>32
	s_setpc_b64 s[14:15]
.LBB2_30861:
	s_getpc_b64 s[14:15]
.Lpost_getpc19014:
	s_add_u32 s14, s14, (.LBB2_4380-.Lpost_getpc19014)&4294967295
	s_addc_u32 s15, s15, (.LBB2_4380-.Lpost_getpc19014)>>32
	s_setpc_b64 s[14:15]
.LBB2_18717:
	s_movk_i32 s4, 0x80
	v_cmp_eq_u16_sdwa s[12:13], v2, s4 src0_sel:BYTE_3 src1_sel:DWORD
	s_mov_b64 s[4:5], -1
                                        ; implicit-def: $sgpr10
	s_and_saveexec_b64 s[8:9], s[12:13]
; %bb.18718:
	s_mov_b32 s10, 0x7f800001
	s_xor_b64 s[4:5], exec, -1
; %bb.18719:
	s_or_b64 exec, exec, s[8:9]
	s_and_b64 s[4:5], s[4:5], exec
	s_or_saveexec_b64 s[6:7], s[6:7]
	v_mov_b32_e32 v6, s10
	s_xor_b64 exec, exec, s[6:7]
	s_cbranch_execnz .LBB2_18720
; %bb.54557:
	s_getpc_b64 s[14:15]
.Lpost_getpc30862:
	s_add_u32 s14, s14, (.LBB2_4382-.Lpost_getpc30862)&4294967295
	s_addc_u32 s15, s15, (.LBB2_4382-.Lpost_getpc30862)>>32
	s_setpc_b64 s[14:15]
.LBB2_18720:
	v_mov_b32_e32 v6, 0
	v_cmp_ne_u16_sdwa s[8:9], v2, v6 src0_sel:BYTE_3 src1_sel:DWORD
	s_andn2_b64 s[4:5], s[4:5], exec
	s_and_b64 s[8:9], s[8:9], exec
	s_or_b64 s[4:5], s[4:5], s[8:9]
	s_or_b64 exec, exec, s[6:7]
	s_and_saveexec_b64 s[6:7], s[4:5]
	s_cbranch_execz .LBB2_30863
; %bb.54559:
	s_getpc_b64 s[14:15]
.Lpost_getpc30863:
	s_add_u32 s14, s14, (.LBB2_4383-.Lpost_getpc30863)&4294967295
	s_addc_u32 s15, s15, (.LBB2_4383-.Lpost_getpc30863)>>32
	s_setpc_b64 s[14:15]
.LBB2_30863:
	s_getpc_b64 s[14:15]
.Lpost_getpc19015:
	s_add_u32 s14, s14, (.LBB2_4384-.Lpost_getpc19015)&4294967295
	s_addc_u32 s15, s15, (.LBB2_4384-.Lpost_getpc19015)>>32
	s_setpc_b64 s[14:15]
.LBB2_18721:
	s_movk_i32 s4, 0x80
	v_cmp_eq_u16_sdwa s[12:13], v7, s4 src0_sel:BYTE_0 src1_sel:DWORD
	s_mov_b64 s[4:5], -1
                                        ; implicit-def: $sgpr10
	s_and_saveexec_b64 s[8:9], s[12:13]
; %bb.18722:
	s_mov_b32 s10, 0x7f800001
	s_xor_b64 s[4:5], exec, -1
; %bb.18723:
	s_or_b64 exec, exec, s[8:9]
	s_and_b64 s[4:5], s[4:5], exec
	s_or_saveexec_b64 s[6:7], s[6:7]
	v_mov_b32_e32 v2, s10
	s_xor_b64 exec, exec, s[6:7]
	s_cbranch_execnz .LBB2_18724
; %bb.54561:
	s_getpc_b64 s[14:15]
.Lpost_getpc30864:
	s_add_u32 s14, s14, (.LBB2_4386-.Lpost_getpc30864)&4294967295
	s_addc_u32 s15, s15, (.LBB2_4386-.Lpost_getpc30864)>>32
	s_setpc_b64 s[14:15]
.LBB2_18724:
	v_mov_b32_e32 v2, 0
	v_cmp_ne_u16_sdwa s[8:9], v7, v2 src0_sel:BYTE_0 src1_sel:DWORD
	s_andn2_b64 s[4:5], s[4:5], exec
	s_and_b64 s[8:9], s[8:9], exec
	s_or_b64 s[4:5], s[4:5], s[8:9]
	s_or_b64 exec, exec, s[6:7]
	s_and_saveexec_b64 s[6:7], s[4:5]
	s_cbranch_execz .LBB2_30865
; %bb.54563:
	s_getpc_b64 s[14:15]
.Lpost_getpc30865:
	s_add_u32 s14, s14, (.LBB2_4387-.Lpost_getpc30865)&4294967295
	s_addc_u32 s15, s15, (.LBB2_4387-.Lpost_getpc30865)>>32
	s_setpc_b64 s[14:15]
.LBB2_30865:
	s_getpc_b64 s[14:15]
.Lpost_getpc19016:
	s_add_u32 s14, s14, (.LBB2_4388-.Lpost_getpc19016)&4294967295
	s_addc_u32 s15, s15, (.LBB2_4388-.Lpost_getpc19016)>>32
	s_setpc_b64 s[14:15]
.LBB2_18725:
	s_movk_i32 s4, 0x80
	v_cmp_eq_u16_sdwa s[12:13], v3, s4 src0_sel:BYTE_0 src1_sel:DWORD
	s_mov_b64 s[4:5], -1
                                        ; implicit-def: $sgpr10
	s_and_saveexec_b64 s[8:9], s[12:13]
; %bb.18726:
	s_mov_b32 s10, 0x7f800001
	s_xor_b64 s[4:5], exec, -1
; %bb.18727:
	s_or_b64 exec, exec, s[8:9]
	s_and_b64 s[4:5], s[4:5], exec
	s_or_saveexec_b64 s[6:7], s[6:7]
	v_mov_b32_e32 v6, s10
	s_xor_b64 exec, exec, s[6:7]
	s_cbranch_execnz .LBB2_18728
; %bb.54565:
	s_getpc_b64 s[14:15]
.Lpost_getpc30866:
	s_add_u32 s14, s14, (.LBB2_4390-.Lpost_getpc30866)&4294967295
	s_addc_u32 s15, s15, (.LBB2_4390-.Lpost_getpc30866)>>32
	s_setpc_b64 s[14:15]
.LBB2_18728:
	v_mov_b32_e32 v6, 0
	v_cmp_ne_u16_sdwa s[8:9], v3, v6 src0_sel:BYTE_0 src1_sel:DWORD
	s_andn2_b64 s[4:5], s[4:5], exec
	s_and_b64 s[8:9], s[8:9], exec
	s_or_b64 s[4:5], s[4:5], s[8:9]
	s_or_b64 exec, exec, s[6:7]
	s_and_saveexec_b64 s[6:7], s[4:5]
	s_cbranch_execz .LBB2_30867
; %bb.54567:
	s_getpc_b64 s[14:15]
.Lpost_getpc30867:
	s_add_u32 s14, s14, (.LBB2_4391-.Lpost_getpc30867)&4294967295
	s_addc_u32 s15, s15, (.LBB2_4391-.Lpost_getpc30867)>>32
	s_setpc_b64 s[14:15]
.LBB2_30867:
	s_getpc_b64 s[14:15]
.Lpost_getpc19017:
	s_add_u32 s14, s14, (.LBB2_4392-.Lpost_getpc19017)&4294967295
	s_addc_u32 s15, s15, (.LBB2_4392-.Lpost_getpc19017)>>32
	s_setpc_b64 s[14:15]
.LBB2_18729:
	s_movk_i32 s4, 0x80
	v_cmp_eq_u16_sdwa s[12:13], v6, s4 src0_sel:BYTE_0 src1_sel:DWORD
	s_mov_b64 s[4:5], -1
                                        ; implicit-def: $sgpr10
	s_and_saveexec_b64 s[8:9], s[12:13]
; %bb.18730:
	s_mov_b32 s10, 0x7f800001
	s_xor_b64 s[4:5], exec, -1
; %bb.18731:
	s_or_b64 exec, exec, s[8:9]
	s_and_b64 s[4:5], s[4:5], exec
	s_or_saveexec_b64 s[6:7], s[6:7]
	v_mov_b32_e32 v2, s10
	s_xor_b64 exec, exec, s[6:7]
	s_cbranch_execnz .LBB2_18732
; %bb.54569:
	s_getpc_b64 s[14:15]
.Lpost_getpc30868:
	s_add_u32 s14, s14, (.LBB2_4394-.Lpost_getpc30868)&4294967295
	s_addc_u32 s15, s15, (.LBB2_4394-.Lpost_getpc30868)>>32
	s_setpc_b64 s[14:15]
.LBB2_18732:
	v_mov_b32_e32 v2, 0
	v_cmp_ne_u16_sdwa s[8:9], v6, v2 src0_sel:BYTE_0 src1_sel:DWORD
	s_andn2_b64 s[4:5], s[4:5], exec
	s_and_b64 s[8:9], s[8:9], exec
	s_or_b64 s[4:5], s[4:5], s[8:9]
	s_or_b64 exec, exec, s[6:7]
	s_and_saveexec_b64 s[6:7], s[4:5]
	s_cbranch_execz .LBB2_30869
; %bb.54571:
	s_getpc_b64 s[14:15]
.Lpost_getpc30869:
	s_add_u32 s14, s14, (.LBB2_4395-.Lpost_getpc30869)&4294967295
	s_addc_u32 s15, s15, (.LBB2_4395-.Lpost_getpc30869)>>32
	s_setpc_b64 s[14:15]
.LBB2_30869:
	s_getpc_b64 s[14:15]
.Lpost_getpc19018:
	s_add_u32 s14, s14, (.LBB2_4396-.Lpost_getpc19018)&4294967295
	s_addc_u32 s15, s15, (.LBB2_4396-.Lpost_getpc19018)>>32
	s_setpc_b64 s[14:15]
.LBB2_18733:
	s_movk_i32 s4, 0x80
	v_cmp_eq_u16_sdwa s[12:13], v6, s4 src0_sel:BYTE_0 src1_sel:DWORD
	s_mov_b64 s[4:5], -1
                                        ; implicit-def: $sgpr10
	s_and_saveexec_b64 s[8:9], s[12:13]
; %bb.18734:
	s_mov_b32 s10, 0x7f800001
	s_xor_b64 s[4:5], exec, -1
; %bb.18735:
	s_or_b64 exec, exec, s[8:9]
	s_and_b64 s[4:5], s[4:5], exec
	s_or_saveexec_b64 s[6:7], s[6:7]
	v_mov_b32_e32 v12, s10
	s_xor_b64 exec, exec, s[6:7]
	s_cbranch_execnz .LBB2_18736
; %bb.54573:
	s_getpc_b64 s[14:15]
.Lpost_getpc30870:
	s_add_u32 s14, s14, (.LBB2_4398-.Lpost_getpc30870)&4294967295
	s_addc_u32 s15, s15, (.LBB2_4398-.Lpost_getpc30870)>>32
	s_setpc_b64 s[14:15]
.LBB2_18736:
	v_mov_b32_e32 v12, 0
	v_cmp_ne_u16_sdwa s[8:9], v6, v12 src0_sel:BYTE_0 src1_sel:DWORD
	s_andn2_b64 s[4:5], s[4:5], exec
	s_and_b64 s[8:9], s[8:9], exec
	s_or_b64 s[4:5], s[4:5], s[8:9]
	s_or_b64 exec, exec, s[6:7]
	s_and_saveexec_b64 s[6:7], s[4:5]
	s_cbranch_execz .LBB2_30871
; %bb.54575:
	s_getpc_b64 s[14:15]
.Lpost_getpc30871:
	s_add_u32 s14, s14, (.LBB2_4399-.Lpost_getpc30871)&4294967295
	s_addc_u32 s15, s15, (.LBB2_4399-.Lpost_getpc30871)>>32
	s_setpc_b64 s[14:15]
.LBB2_30871:
	s_getpc_b64 s[14:15]
.Lpost_getpc19019:
	s_add_u32 s14, s14, (.LBB2_4400-.Lpost_getpc19019)&4294967295
	s_addc_u32 s15, s15, (.LBB2_4400-.Lpost_getpc19019)>>32
	s_setpc_b64 s[14:15]
.LBB2_18737:
	s_movk_i32 s4, 0x80
	v_cmp_eq_u16_e32 vcc, s4, v6
	s_mov_b64 s[4:5], -1
                                        ; implicit-def: $sgpr10
	s_and_saveexec_b64 s[8:9], vcc
; %bb.18738:
	s_mov_b32 s10, 0x7f800001
	s_xor_b64 s[4:5], exec, -1
; %bb.18739:
	s_or_b64 exec, exec, s[8:9]
	s_and_b64 s[4:5], s[4:5], exec
                                        ; implicit-def: $vgpr6
	s_or_saveexec_b64 s[6:7], s[6:7]
	v_mov_b32_e32 v2, s10
	s_xor_b64 exec, exec, s[6:7]
	s_cbranch_execnz .LBB2_18740
; %bb.54577:
	s_getpc_b64 s[14:15]
.Lpost_getpc30872:
	s_add_u32 s14, s14, (.LBB2_4402-.Lpost_getpc30872)&4294967295
	s_addc_u32 s15, s15, (.LBB2_4402-.Lpost_getpc30872)>>32
	s_setpc_b64 s[14:15]
.LBB2_18740:
	v_cmp_ne_u16_e32 vcc, 0, v6
	s_andn2_b64 s[4:5], s[4:5], exec
	s_and_b64 s[8:9], vcc, exec
	v_mov_b32_e32 v2, 0
	s_or_b64 s[4:5], s[4:5], s[8:9]
	s_or_b64 exec, exec, s[6:7]
	s_and_saveexec_b64 s[6:7], s[4:5]
	s_cbranch_execz .LBB2_30873
; %bb.54579:
	s_getpc_b64 s[14:15]
.Lpost_getpc30873:
	s_add_u32 s14, s14, (.LBB2_4403-.Lpost_getpc30873)&4294967295
	s_addc_u32 s15, s15, (.LBB2_4403-.Lpost_getpc30873)>>32
	s_setpc_b64 s[14:15]
.LBB2_30873:
	s_getpc_b64 s[14:15]
.Lpost_getpc19020:
	s_add_u32 s14, s14, (.LBB2_4404-.Lpost_getpc19020)&4294967295
	s_addc_u32 s15, s15, (.LBB2_4404-.Lpost_getpc19020)>>32
	s_setpc_b64 s[14:15]
.LBB2_18741:
	s_movk_i32 s4, 0x80
	v_cmp_eq_u16_e32 vcc, s4, v6
	s_mov_b64 s[4:5], -1
                                        ; implicit-def: $sgpr10
	s_and_saveexec_b64 s[8:9], vcc
; %bb.18742:
	s_mov_b32 s10, 0x7f800001
	s_xor_b64 s[4:5], exec, -1
; %bb.18743:
	s_or_b64 exec, exec, s[8:9]
	s_and_b64 s[4:5], s[4:5], exec
                                        ; implicit-def: $vgpr6
	s_or_saveexec_b64 s[6:7], s[6:7]
	v_mov_b32_e32 v12, s10
	s_xor_b64 exec, exec, s[6:7]
	s_cbranch_execnz .LBB2_18744
; %bb.54581:
	s_getpc_b64 s[14:15]
.Lpost_getpc30874:
	s_add_u32 s14, s14, (.LBB2_4406-.Lpost_getpc30874)&4294967295
	s_addc_u32 s15, s15, (.LBB2_4406-.Lpost_getpc30874)>>32
	s_setpc_b64 s[14:15]
.LBB2_18744:
	v_cmp_ne_u16_e32 vcc, 0, v6
	s_andn2_b64 s[4:5], s[4:5], exec
	s_and_b64 s[8:9], vcc, exec
	v_mov_b32_e32 v12, 0
	s_or_b64 s[4:5], s[4:5], s[8:9]
	s_or_b64 exec, exec, s[6:7]
	s_and_saveexec_b64 s[6:7], s[4:5]
	s_cbranch_execz .LBB2_30875
; %bb.54583:
	s_getpc_b64 s[14:15]
.Lpost_getpc30875:
	s_add_u32 s14, s14, (.LBB2_4407-.Lpost_getpc30875)&4294967295
	s_addc_u32 s15, s15, (.LBB2_4407-.Lpost_getpc30875)>>32
	s_setpc_b64 s[14:15]
.LBB2_30875:
	s_getpc_b64 s[14:15]
.Lpost_getpc19021:
	s_add_u32 s14, s14, (.LBB2_4408-.Lpost_getpc19021)&4294967295
	s_addc_u32 s15, s15, (.LBB2_4408-.Lpost_getpc19021)>>32
	s_setpc_b64 s[14:15]
.LBB2_18745:
	s_movk_i32 s4, 0x80
	v_cmp_eq_u16_sdwa s[12:13], v7, s4 src0_sel:BYTE_3 src1_sel:DWORD
	s_mov_b64 s[4:5], -1
                                        ; implicit-def: $sgpr10
	s_and_saveexec_b64 s[8:9], s[12:13]
; %bb.18746:
	s_mov_b32 s10, 0x7f800001
	s_xor_b64 s[4:5], exec, -1
; %bb.18747:
	s_or_b64 exec, exec, s[8:9]
	s_and_b64 s[4:5], s[4:5], exec
	s_or_saveexec_b64 s[6:7], s[6:7]
	v_mov_b32_e32 v2, s10
	s_xor_b64 exec, exec, s[6:7]
	s_cbranch_execnz .LBB2_18748
; %bb.54585:
	s_getpc_b64 s[14:15]
.Lpost_getpc30876:
	s_add_u32 s14, s14, (.LBB2_4410-.Lpost_getpc30876)&4294967295
	s_addc_u32 s15, s15, (.LBB2_4410-.Lpost_getpc30876)>>32
	s_setpc_b64 s[14:15]
.LBB2_18748:
	v_mov_b32_e32 v2, 0
	v_cmp_ne_u16_sdwa s[8:9], v7, v2 src0_sel:BYTE_3 src1_sel:DWORD
	s_andn2_b64 s[4:5], s[4:5], exec
	s_and_b64 s[8:9], s[8:9], exec
	s_or_b64 s[4:5], s[4:5], s[8:9]
	s_or_b64 exec, exec, s[6:7]
	s_and_saveexec_b64 s[6:7], s[4:5]
	s_cbranch_execz .LBB2_30877
; %bb.54587:
	s_getpc_b64 s[14:15]
.Lpost_getpc30877:
	s_add_u32 s14, s14, (.LBB2_4411-.Lpost_getpc30877)&4294967295
	s_addc_u32 s15, s15, (.LBB2_4411-.Lpost_getpc30877)>>32
	s_setpc_b64 s[14:15]
.LBB2_30877:
	s_getpc_b64 s[14:15]
.Lpost_getpc19022:
	s_add_u32 s14, s14, (.LBB2_4412-.Lpost_getpc19022)&4294967295
	s_addc_u32 s15, s15, (.LBB2_4412-.Lpost_getpc19022)>>32
	s_setpc_b64 s[14:15]
.LBB2_18749:
	s_movk_i32 s4, 0x80
	v_cmp_eq_u16_sdwa s[12:13], v3, s4 src0_sel:BYTE_3 src1_sel:DWORD
	s_mov_b64 s[4:5], -1
                                        ; implicit-def: $sgpr10
	s_and_saveexec_b64 s[8:9], s[12:13]
; %bb.18750:
	s_mov_b32 s10, 0x7f800001
	s_xor_b64 s[4:5], exec, -1
; %bb.18751:
	s_or_b64 exec, exec, s[8:9]
	s_and_b64 s[4:5], s[4:5], exec
	s_or_saveexec_b64 s[6:7], s[6:7]
	v_mov_b32_e32 v6, s10
	s_xor_b64 exec, exec, s[6:7]
	s_cbranch_execnz .LBB2_18752
; %bb.54589:
	s_getpc_b64 s[14:15]
.Lpost_getpc30878:
	s_add_u32 s14, s14, (.LBB2_4414-.Lpost_getpc30878)&4294967295
	s_addc_u32 s15, s15, (.LBB2_4414-.Lpost_getpc30878)>>32
	s_setpc_b64 s[14:15]
.LBB2_18752:
	v_mov_b32_e32 v6, 0
	v_cmp_ne_u16_sdwa s[8:9], v3, v6 src0_sel:BYTE_3 src1_sel:DWORD
	s_andn2_b64 s[4:5], s[4:5], exec
	s_and_b64 s[8:9], s[8:9], exec
	s_or_b64 s[4:5], s[4:5], s[8:9]
	s_or_b64 exec, exec, s[6:7]
	s_and_saveexec_b64 s[6:7], s[4:5]
	s_cbranch_execz .LBB2_30879
; %bb.54591:
	s_getpc_b64 s[14:15]
.Lpost_getpc30879:
	s_add_u32 s14, s14, (.LBB2_4415-.Lpost_getpc30879)&4294967295
	s_addc_u32 s15, s15, (.LBB2_4415-.Lpost_getpc30879)>>32
	s_setpc_b64 s[14:15]
.LBB2_30879:
	s_getpc_b64 s[14:15]
.Lpost_getpc19023:
	s_add_u32 s14, s14, (.LBB2_4416-.Lpost_getpc19023)&4294967295
	s_addc_u32 s15, s15, (.LBB2_4416-.Lpost_getpc19023)>>32
	s_setpc_b64 s[14:15]
.LBB2_18753:
	s_movk_i32 s4, 0x80
	v_cmp_eq_u16_sdwa s[12:13], v8, s4 src0_sel:BYTE_0 src1_sel:DWORD
	s_mov_b64 s[4:5], -1
                                        ; implicit-def: $sgpr10
	s_and_saveexec_b64 s[8:9], s[12:13]
; %bb.18754:
	s_mov_b32 s10, 0x7f800001
	s_xor_b64 s[4:5], exec, -1
; %bb.18755:
	s_or_b64 exec, exec, s[8:9]
	s_and_b64 s[4:5], s[4:5], exec
	s_or_saveexec_b64 s[6:7], s[6:7]
	v_mov_b32_e32 v2, s10
	s_xor_b64 exec, exec, s[6:7]
	s_cbranch_execnz .LBB2_18756
; %bb.54593:
	s_getpc_b64 s[14:15]
.Lpost_getpc30880:
	s_add_u32 s14, s14, (.LBB2_4418-.Lpost_getpc30880)&4294967295
	s_addc_u32 s15, s15, (.LBB2_4418-.Lpost_getpc30880)>>32
	s_setpc_b64 s[14:15]
.LBB2_18756:
	v_mov_b32_e32 v2, 0
	v_cmp_ne_u16_sdwa s[8:9], v8, v2 src0_sel:BYTE_0 src1_sel:DWORD
	s_andn2_b64 s[4:5], s[4:5], exec
	s_and_b64 s[8:9], s[8:9], exec
	s_or_b64 s[4:5], s[4:5], s[8:9]
	s_or_b64 exec, exec, s[6:7]
	s_and_saveexec_b64 s[6:7], s[4:5]
	s_cbranch_execz .LBB2_30881
; %bb.54595:
	s_getpc_b64 s[14:15]
.Lpost_getpc30881:
	s_add_u32 s14, s14, (.LBB2_4419-.Lpost_getpc30881)&4294967295
	s_addc_u32 s15, s15, (.LBB2_4419-.Lpost_getpc30881)>>32
	s_setpc_b64 s[14:15]
.LBB2_30881:
	s_getpc_b64 s[14:15]
.Lpost_getpc19024:
	s_add_u32 s14, s14, (.LBB2_4420-.Lpost_getpc19024)&4294967295
	s_addc_u32 s15, s15, (.LBB2_4420-.Lpost_getpc19024)>>32
	s_setpc_b64 s[14:15]
.LBB2_18757:
	s_movk_i32 s4, 0x80
	v_cmp_eq_u16_sdwa s[12:13], v4, s4 src0_sel:BYTE_0 src1_sel:DWORD
	s_mov_b64 s[4:5], -1
                                        ; implicit-def: $sgpr10
	s_and_saveexec_b64 s[8:9], s[12:13]
; %bb.18758:
	s_mov_b32 s10, 0x7f800001
	s_xor_b64 s[4:5], exec, -1
; %bb.18759:
	s_or_b64 exec, exec, s[8:9]
	s_and_b64 s[4:5], s[4:5], exec
	s_or_saveexec_b64 s[6:7], s[6:7]
	v_mov_b32_e32 v3, s10
	s_xor_b64 exec, exec, s[6:7]
	s_cbranch_execnz .LBB2_18760
; %bb.54597:
	s_getpc_b64 s[14:15]
.Lpost_getpc30882:
	s_add_u32 s14, s14, (.LBB2_4422-.Lpost_getpc30882)&4294967295
	s_addc_u32 s15, s15, (.LBB2_4422-.Lpost_getpc30882)>>32
	s_setpc_b64 s[14:15]
.LBB2_18760:
	v_mov_b32_e32 v3, 0
	v_cmp_ne_u16_sdwa s[8:9], v4, v3 src0_sel:BYTE_0 src1_sel:DWORD
	s_andn2_b64 s[4:5], s[4:5], exec
	s_and_b64 s[8:9], s[8:9], exec
	s_or_b64 s[4:5], s[4:5], s[8:9]
	s_or_b64 exec, exec, s[6:7]
	s_and_saveexec_b64 s[6:7], s[4:5]
	s_cbranch_execz .LBB2_30883
; %bb.54599:
	s_getpc_b64 s[14:15]
.Lpost_getpc30883:
	s_add_u32 s14, s14, (.LBB2_4423-.Lpost_getpc30883)&4294967295
	s_addc_u32 s15, s15, (.LBB2_4423-.Lpost_getpc30883)>>32
	s_setpc_b64 s[14:15]
.LBB2_30883:
	s_getpc_b64 s[14:15]
.Lpost_getpc19025:
	s_add_u32 s14, s14, (.LBB2_4424-.Lpost_getpc19025)&4294967295
	s_addc_u32 s15, s15, (.LBB2_4424-.Lpost_getpc19025)>>32
	s_setpc_b64 s[14:15]
.LBB2_18761:
	s_movk_i32 s4, 0x80
	v_cmp_eq_u16_sdwa s[12:13], v3, s4 src0_sel:BYTE_0 src1_sel:DWORD
	s_mov_b64 s[4:5], -1
                                        ; implicit-def: $sgpr10
	s_and_saveexec_b64 s[8:9], s[12:13]
; %bb.18762:
	s_mov_b32 s10, 0x7f800001
	s_xor_b64 s[4:5], exec, -1
; %bb.18763:
	s_or_b64 exec, exec, s[8:9]
	s_and_b64 s[4:5], s[4:5], exec
	s_or_saveexec_b64 s[6:7], s[6:7]
	v_mov_b32_e32 v2, s10
	s_xor_b64 exec, exec, s[6:7]
	s_cbranch_execnz .LBB2_18764
; %bb.54601:
	s_getpc_b64 s[14:15]
.Lpost_getpc30884:
	s_add_u32 s14, s14, (.LBB2_4426-.Lpost_getpc30884)&4294967295
	s_addc_u32 s15, s15, (.LBB2_4426-.Lpost_getpc30884)>>32
	s_setpc_b64 s[14:15]
.LBB2_18764:
	v_mov_b32_e32 v2, 0
	v_cmp_ne_u16_sdwa s[8:9], v3, v2 src0_sel:BYTE_0 src1_sel:DWORD
	s_andn2_b64 s[4:5], s[4:5], exec
	s_and_b64 s[8:9], s[8:9], exec
	s_or_b64 s[4:5], s[4:5], s[8:9]
	s_or_b64 exec, exec, s[6:7]
	s_and_saveexec_b64 s[6:7], s[4:5]
	s_cbranch_execz .LBB2_30885
; %bb.54603:
	s_getpc_b64 s[14:15]
.Lpost_getpc30885:
	s_add_u32 s14, s14, (.LBB2_4427-.Lpost_getpc30885)&4294967295
	s_addc_u32 s15, s15, (.LBB2_4427-.Lpost_getpc30885)>>32
	s_setpc_b64 s[14:15]
.LBB2_30885:
	s_getpc_b64 s[14:15]
.Lpost_getpc19026:
	s_add_u32 s14, s14, (.LBB2_4428-.Lpost_getpc19026)&4294967295
	s_addc_u32 s15, s15, (.LBB2_4428-.Lpost_getpc19026)>>32
	s_setpc_b64 s[14:15]
.LBB2_18765:
	s_movk_i32 s4, 0x80
	v_cmp_eq_u16_sdwa s[12:13], v3, s4 src0_sel:BYTE_0 src1_sel:DWORD
	s_mov_b64 s[4:5], -1
                                        ; implicit-def: $sgpr10
	s_and_saveexec_b64 s[8:9], s[12:13]
; %bb.18766:
	s_mov_b32 s10, 0x7f800001
	s_xor_b64 s[4:5], exec, -1
; %bb.18767:
	s_or_b64 exec, exec, s[8:9]
	s_and_b64 s[4:5], s[4:5], exec
	s_or_saveexec_b64 s[6:7], s[6:7]
	v_mov_b32_e32 v6, s10
	s_xor_b64 exec, exec, s[6:7]
	s_cbranch_execnz .LBB2_18768
; %bb.54605:
	s_getpc_b64 s[14:15]
.Lpost_getpc30886:
	s_add_u32 s14, s14, (.LBB2_4430-.Lpost_getpc30886)&4294967295
	s_addc_u32 s15, s15, (.LBB2_4430-.Lpost_getpc30886)>>32
	s_setpc_b64 s[14:15]
.LBB2_18768:
	v_mov_b32_e32 v6, 0
	v_cmp_ne_u16_sdwa s[8:9], v3, v6 src0_sel:BYTE_0 src1_sel:DWORD
	s_andn2_b64 s[4:5], s[4:5], exec
	s_and_b64 s[8:9], s[8:9], exec
	s_or_b64 s[4:5], s[4:5], s[8:9]
	s_or_b64 exec, exec, s[6:7]
	s_and_saveexec_b64 s[6:7], s[4:5]
	s_cbranch_execz .LBB2_30887
; %bb.54607:
	s_getpc_b64 s[14:15]
.Lpost_getpc30887:
	s_add_u32 s14, s14, (.LBB2_4431-.Lpost_getpc30887)&4294967295
	s_addc_u32 s15, s15, (.LBB2_4431-.Lpost_getpc30887)>>32
	s_setpc_b64 s[14:15]
.LBB2_30887:
	s_getpc_b64 s[14:15]
.Lpost_getpc19027:
	s_add_u32 s14, s14, (.LBB2_4432-.Lpost_getpc19027)&4294967295
	s_addc_u32 s15, s15, (.LBB2_4432-.Lpost_getpc19027)>>32
	s_setpc_b64 s[14:15]
.LBB2_18769:
	s_movk_i32 s4, 0x80
	v_cmp_eq_u16_e32 vcc, s4, v3
	s_mov_b64 s[4:5], -1
                                        ; implicit-def: $sgpr10
	s_and_saveexec_b64 s[8:9], vcc
; %bb.18770:
	s_mov_b32 s10, 0x7f800001
	s_xor_b64 s[4:5], exec, -1
; %bb.18771:
	s_or_b64 exec, exec, s[8:9]
	s_and_b64 s[4:5], s[4:5], exec
                                        ; implicit-def: $vgpr3
	s_or_saveexec_b64 s[6:7], s[6:7]
	v_mov_b32_e32 v2, s10
	s_xor_b64 exec, exec, s[6:7]
	s_cbranch_execnz .LBB2_18772
; %bb.54609:
	s_getpc_b64 s[14:15]
.Lpost_getpc30888:
	s_add_u32 s14, s14, (.LBB2_4434-.Lpost_getpc30888)&4294967295
	s_addc_u32 s15, s15, (.LBB2_4434-.Lpost_getpc30888)>>32
	s_setpc_b64 s[14:15]
.LBB2_18772:
	v_cmp_ne_u16_e32 vcc, 0, v3
	s_andn2_b64 s[4:5], s[4:5], exec
	s_and_b64 s[8:9], vcc, exec
	v_mov_b32_e32 v2, 0
	s_or_b64 s[4:5], s[4:5], s[8:9]
	s_or_b64 exec, exec, s[6:7]
	s_and_saveexec_b64 s[6:7], s[4:5]
	s_cbranch_execz .LBB2_30889
; %bb.54611:
	s_getpc_b64 s[14:15]
.Lpost_getpc30889:
	s_add_u32 s14, s14, (.LBB2_4435-.Lpost_getpc30889)&4294967295
	s_addc_u32 s15, s15, (.LBB2_4435-.Lpost_getpc30889)>>32
	s_setpc_b64 s[14:15]
.LBB2_30889:
	s_getpc_b64 s[14:15]
.Lpost_getpc19028:
	s_add_u32 s14, s14, (.LBB2_4436-.Lpost_getpc19028)&4294967295
	s_addc_u32 s15, s15, (.LBB2_4436-.Lpost_getpc19028)>>32
	s_setpc_b64 s[14:15]
.LBB2_18773:
	s_movk_i32 s4, 0x80
	v_cmp_eq_u16_e32 vcc, s4, v3
	s_mov_b64 s[4:5], -1
                                        ; implicit-def: $sgpr10
	s_and_saveexec_b64 s[8:9], vcc
; %bb.18774:
	s_mov_b32 s10, 0x7f800001
	s_xor_b64 s[4:5], exec, -1
; %bb.18775:
	s_or_b64 exec, exec, s[8:9]
	s_and_b64 s[4:5], s[4:5], exec
                                        ; implicit-def: $vgpr3
	s_or_saveexec_b64 s[6:7], s[6:7]
	v_mov_b32_e32 v6, s10
	s_xor_b64 exec, exec, s[6:7]
	s_cbranch_execnz .LBB2_18776
; %bb.54613:
	s_getpc_b64 s[14:15]
.Lpost_getpc30890:
	s_add_u32 s14, s14, (.LBB2_4438-.Lpost_getpc30890)&4294967295
	s_addc_u32 s15, s15, (.LBB2_4438-.Lpost_getpc30890)>>32
	s_setpc_b64 s[14:15]
.LBB2_18776:
	v_cmp_ne_u16_e32 vcc, 0, v3
	s_andn2_b64 s[4:5], s[4:5], exec
	s_and_b64 s[8:9], vcc, exec
	v_mov_b32_e32 v6, 0
	s_or_b64 s[4:5], s[4:5], s[8:9]
	s_or_b64 exec, exec, s[6:7]
	s_and_saveexec_b64 s[6:7], s[4:5]
	s_cbranch_execz .LBB2_30891
; %bb.54615:
	s_getpc_b64 s[14:15]
.Lpost_getpc30891:
	s_add_u32 s14, s14, (.LBB2_4439-.Lpost_getpc30891)&4294967295
	s_addc_u32 s15, s15, (.LBB2_4439-.Lpost_getpc30891)>>32
	s_setpc_b64 s[14:15]
.LBB2_30891:
	s_getpc_b64 s[14:15]
.Lpost_getpc19029:
	s_add_u32 s14, s14, (.LBB2_4440-.Lpost_getpc19029)&4294967295
	s_addc_u32 s15, s15, (.LBB2_4440-.Lpost_getpc19029)>>32
	s_setpc_b64 s[14:15]
.LBB2_18777:
	s_movk_i32 s4, 0x80
	v_cmp_eq_u16_sdwa s[12:13], v8, s4 src0_sel:BYTE_3 src1_sel:DWORD
	s_mov_b64 s[4:5], -1
                                        ; implicit-def: $sgpr10
	s_and_saveexec_b64 s[8:9], s[12:13]
; %bb.18778:
	s_mov_b32 s10, 0x7f800001
	s_xor_b64 s[4:5], exec, -1
; %bb.18779:
	s_or_b64 exec, exec, s[8:9]
	s_and_b64 s[4:5], s[4:5], exec
	s_or_saveexec_b64 s[6:7], s[6:7]
	v_mov_b32_e32 v2, s10
	s_xor_b64 exec, exec, s[6:7]
	s_cbranch_execnz .LBB2_18780
; %bb.54617:
	s_getpc_b64 s[14:15]
.Lpost_getpc30892:
	s_add_u32 s14, s14, (.LBB2_4442-.Lpost_getpc30892)&4294967295
	s_addc_u32 s15, s15, (.LBB2_4442-.Lpost_getpc30892)>>32
	s_setpc_b64 s[14:15]
.LBB2_18780:
	v_mov_b32_e32 v2, 0
	v_cmp_ne_u16_sdwa s[8:9], v8, v2 src0_sel:BYTE_3 src1_sel:DWORD
	s_andn2_b64 s[4:5], s[4:5], exec
	s_and_b64 s[8:9], s[8:9], exec
	s_or_b64 s[4:5], s[4:5], s[8:9]
	s_or_b64 exec, exec, s[6:7]
	s_and_saveexec_b64 s[6:7], s[4:5]
	s_cbranch_execz .LBB2_30893
; %bb.54619:
	s_getpc_b64 s[14:15]
.Lpost_getpc30893:
	s_add_u32 s14, s14, (.LBB2_4443-.Lpost_getpc30893)&4294967295
	s_addc_u32 s15, s15, (.LBB2_4443-.Lpost_getpc30893)>>32
	s_setpc_b64 s[14:15]
.LBB2_30893:
	s_getpc_b64 s[14:15]
.Lpost_getpc19030:
	s_add_u32 s14, s14, (.LBB2_4444-.Lpost_getpc19030)&4294967295
	s_addc_u32 s15, s15, (.LBB2_4444-.Lpost_getpc19030)>>32
	s_setpc_b64 s[14:15]
.LBB2_18781:
	s_movk_i32 s4, 0x80
	v_cmp_eq_u16_sdwa s[12:13], v4, s4 src0_sel:BYTE_3 src1_sel:DWORD
	s_mov_b64 s[4:5], -1
                                        ; implicit-def: $sgpr10
	s_and_saveexec_b64 s[8:9], s[12:13]
; %bb.18782:
	s_mov_b32 s10, 0x7f800001
	s_xor_b64 s[4:5], exec, -1
; %bb.18783:
	s_or_b64 exec, exec, s[8:9]
	s_and_b64 s[4:5], s[4:5], exec
	s_or_saveexec_b64 s[6:7], s[6:7]
	v_mov_b32_e32 v3, s10
	s_xor_b64 exec, exec, s[6:7]
	s_cbranch_execnz .LBB2_18784
; %bb.54621:
	s_getpc_b64 s[14:15]
.Lpost_getpc30894:
	s_add_u32 s14, s14, (.LBB2_4446-.Lpost_getpc30894)&4294967295
	s_addc_u32 s15, s15, (.LBB2_4446-.Lpost_getpc30894)>>32
	s_setpc_b64 s[14:15]
.LBB2_18784:
	v_mov_b32_e32 v3, 0
	v_cmp_ne_u16_sdwa s[8:9], v4, v3 src0_sel:BYTE_3 src1_sel:DWORD
	s_andn2_b64 s[4:5], s[4:5], exec
	s_and_b64 s[8:9], s[8:9], exec
	s_or_b64 s[4:5], s[4:5], s[8:9]
	s_or_b64 exec, exec, s[6:7]
	s_and_saveexec_b64 s[6:7], s[4:5]
	s_cbranch_execz .LBB2_30895
; %bb.54623:
	s_getpc_b64 s[14:15]
.Lpost_getpc30895:
	s_add_u32 s14, s14, (.LBB2_4447-.Lpost_getpc30895)&4294967295
	s_addc_u32 s15, s15, (.LBB2_4447-.Lpost_getpc30895)>>32
	s_setpc_b64 s[14:15]
.LBB2_30895:
	s_getpc_b64 s[14:15]
.Lpost_getpc19031:
	s_add_u32 s14, s14, (.LBB2_4448-.Lpost_getpc19031)&4294967295
	s_addc_u32 s15, s15, (.LBB2_4448-.Lpost_getpc19031)>>32
	s_setpc_b64 s[14:15]
.LBB2_18785:
	s_movk_i32 s4, 0x80
	v_cmp_eq_u16_sdwa s[12:13], v9, s4 src0_sel:BYTE_0 src1_sel:DWORD
	s_mov_b64 s[4:5], -1
                                        ; implicit-def: $sgpr10
	s_and_saveexec_b64 s[8:9], s[12:13]
; %bb.18786:
	s_mov_b32 s10, 0x7f800001
	s_xor_b64 s[4:5], exec, -1
; %bb.18787:
	s_or_b64 exec, exec, s[8:9]
	s_and_b64 s[4:5], s[4:5], exec
	s_or_saveexec_b64 s[6:7], s[6:7]
	v_mov_b32_e32 v2, s10
	s_xor_b64 exec, exec, s[6:7]
	s_cbranch_execnz .LBB2_18788
; %bb.54625:
	s_getpc_b64 s[14:15]
.Lpost_getpc30896:
	s_add_u32 s14, s14, (.LBB2_4450-.Lpost_getpc30896)&4294967295
	s_addc_u32 s15, s15, (.LBB2_4450-.Lpost_getpc30896)>>32
	s_setpc_b64 s[14:15]
.LBB2_18788:
	v_mov_b32_e32 v2, 0
	v_cmp_ne_u16_sdwa s[8:9], v9, v2 src0_sel:BYTE_0 src1_sel:DWORD
	s_andn2_b64 s[4:5], s[4:5], exec
	s_and_b64 s[8:9], s[8:9], exec
	s_or_b64 s[4:5], s[4:5], s[8:9]
	s_or_b64 exec, exec, s[6:7]
	s_and_saveexec_b64 s[6:7], s[4:5]
	s_cbranch_execz .LBB2_30897
; %bb.54627:
	s_getpc_b64 s[14:15]
.Lpost_getpc30897:
	s_add_u32 s14, s14, (.LBB2_4451-.Lpost_getpc30897)&4294967295
	s_addc_u32 s15, s15, (.LBB2_4451-.Lpost_getpc30897)>>32
	s_setpc_b64 s[14:15]
.LBB2_30897:
	s_getpc_b64 s[14:15]
.Lpost_getpc19032:
	s_add_u32 s14, s14, (.LBB2_4452-.Lpost_getpc19032)&4294967295
	s_addc_u32 s15, s15, (.LBB2_4452-.Lpost_getpc19032)>>32
	s_setpc_b64 s[14:15]
.LBB2_18789:
	s_movk_i32 s4, 0x80
	v_cmp_eq_u16_sdwa s[12:13], v5, s4 src0_sel:BYTE_0 src1_sel:DWORD
	s_mov_b64 s[4:5], -1
                                        ; implicit-def: $sgpr10
	s_and_saveexec_b64 s[8:9], s[12:13]
; %bb.18790:
	s_mov_b32 s10, 0x7f800001
	s_xor_b64 s[4:5], exec, -1
; %bb.18791:
	s_or_b64 exec, exec, s[8:9]
	s_and_b64 s[4:5], s[4:5], exec
	s_or_saveexec_b64 s[6:7], s[6:7]
	v_mov_b32_e32 v3, s10
	s_xor_b64 exec, exec, s[6:7]
	s_cbranch_execnz .LBB2_18792
; %bb.54629:
	s_getpc_b64 s[14:15]
.Lpost_getpc30898:
	s_add_u32 s14, s14, (.LBB2_4454-.Lpost_getpc30898)&4294967295
	s_addc_u32 s15, s15, (.LBB2_4454-.Lpost_getpc30898)>>32
	s_setpc_b64 s[14:15]
.LBB2_18792:
	v_mov_b32_e32 v3, 0
	v_cmp_ne_u16_sdwa s[8:9], v5, v3 src0_sel:BYTE_0 src1_sel:DWORD
	s_andn2_b64 s[4:5], s[4:5], exec
	s_and_b64 s[8:9], s[8:9], exec
	s_or_b64 s[4:5], s[4:5], s[8:9]
	s_or_b64 exec, exec, s[6:7]
	s_and_saveexec_b64 s[6:7], s[4:5]
	s_cbranch_execz .LBB2_30899
; %bb.54631:
	s_getpc_b64 s[14:15]
.Lpost_getpc30899:
	s_add_u32 s14, s14, (.LBB2_4455-.Lpost_getpc30899)&4294967295
	s_addc_u32 s15, s15, (.LBB2_4455-.Lpost_getpc30899)>>32
	s_setpc_b64 s[14:15]
.LBB2_30899:
	s_getpc_b64 s[14:15]
.Lpost_getpc19033:
	s_add_u32 s14, s14, (.LBB2_4456-.Lpost_getpc19033)&4294967295
	s_addc_u32 s15, s15, (.LBB2_4456-.Lpost_getpc19033)>>32
	s_setpc_b64 s[14:15]
.LBB2_18793:
	s_movk_i32 s4, 0x80
	v_cmp_eq_u16_sdwa s[12:13], v3, s4 src0_sel:BYTE_0 src1_sel:DWORD
	s_mov_b64 s[4:5], -1
                                        ; implicit-def: $sgpr10
	s_and_saveexec_b64 s[8:9], s[12:13]
; %bb.18794:
	s_mov_b32 s10, 0x7f800001
	s_xor_b64 s[4:5], exec, -1
; %bb.18795:
	s_or_b64 exec, exec, s[8:9]
	s_and_b64 s[4:5], s[4:5], exec
	s_or_saveexec_b64 s[6:7], s[6:7]
	v_mov_b32_e32 v2, s10
	s_xor_b64 exec, exec, s[6:7]
	s_cbranch_execnz .LBB2_18796
; %bb.54633:
	s_getpc_b64 s[14:15]
.Lpost_getpc30900:
	s_add_u32 s14, s14, (.LBB2_4458-.Lpost_getpc30900)&4294967295
	s_addc_u32 s15, s15, (.LBB2_4458-.Lpost_getpc30900)>>32
	s_setpc_b64 s[14:15]
.LBB2_18796:
	v_mov_b32_e32 v2, 0
	v_cmp_ne_u16_sdwa s[8:9], v3, v2 src0_sel:BYTE_0 src1_sel:DWORD
	s_andn2_b64 s[4:5], s[4:5], exec
	s_and_b64 s[8:9], s[8:9], exec
	s_or_b64 s[4:5], s[4:5], s[8:9]
	s_or_b64 exec, exec, s[6:7]
	s_and_saveexec_b64 s[6:7], s[4:5]
	s_cbranch_execz .LBB2_30901
; %bb.54635:
	s_getpc_b64 s[14:15]
.Lpost_getpc30901:
	s_add_u32 s14, s14, (.LBB2_4459-.Lpost_getpc30901)&4294967295
	s_addc_u32 s15, s15, (.LBB2_4459-.Lpost_getpc30901)>>32
	s_setpc_b64 s[14:15]
.LBB2_30901:
	s_getpc_b64 s[14:15]
.Lpost_getpc19034:
	s_add_u32 s14, s14, (.LBB2_4460-.Lpost_getpc19034)&4294967295
	s_addc_u32 s15, s15, (.LBB2_4460-.Lpost_getpc19034)>>32
	s_setpc_b64 s[14:15]
.LBB2_18797:
	s_movk_i32 s4, 0x80
	v_cmp_eq_u16_sdwa s[12:13], v3, s4 src0_sel:BYTE_0 src1_sel:DWORD
	s_mov_b64 s[4:5], -1
                                        ; implicit-def: $sgpr10
	s_and_saveexec_b64 s[8:9], s[12:13]
; %bb.18798:
	s_mov_b32 s10, 0x7f800001
	s_xor_b64 s[4:5], exec, -1
; %bb.18799:
	s_or_b64 exec, exec, s[8:9]
	s_and_b64 s[4:5], s[4:5], exec
	s_or_saveexec_b64 s[6:7], s[6:7]
	v_mov_b32_e32 v4, s10
	s_xor_b64 exec, exec, s[6:7]
	s_cbranch_execnz .LBB2_18800
; %bb.54637:
	s_getpc_b64 s[14:15]
.Lpost_getpc30902:
	s_add_u32 s14, s14, (.LBB2_4462-.Lpost_getpc30902)&4294967295
	s_addc_u32 s15, s15, (.LBB2_4462-.Lpost_getpc30902)>>32
	s_setpc_b64 s[14:15]
.LBB2_18800:
	v_mov_b32_e32 v4, 0
	v_cmp_ne_u16_sdwa s[8:9], v3, v4 src0_sel:BYTE_0 src1_sel:DWORD
	s_andn2_b64 s[4:5], s[4:5], exec
	s_and_b64 s[8:9], s[8:9], exec
	s_or_b64 s[4:5], s[4:5], s[8:9]
	s_or_b64 exec, exec, s[6:7]
	s_and_saveexec_b64 s[6:7], s[4:5]
	s_cbranch_execz .LBB2_30903
; %bb.54639:
	s_getpc_b64 s[14:15]
.Lpost_getpc30903:
	s_add_u32 s14, s14, (.LBB2_4463-.Lpost_getpc30903)&4294967295
	s_addc_u32 s15, s15, (.LBB2_4463-.Lpost_getpc30903)>>32
	s_setpc_b64 s[14:15]
.LBB2_30903:
	s_getpc_b64 s[14:15]
.Lpost_getpc19035:
	s_add_u32 s14, s14, (.LBB2_4464-.Lpost_getpc19035)&4294967295
	s_addc_u32 s15, s15, (.LBB2_4464-.Lpost_getpc19035)>>32
	s_setpc_b64 s[14:15]
.LBB2_18801:
	s_movk_i32 s4, 0x80
	v_cmp_eq_u16_e32 vcc, s4, v3
	s_mov_b64 s[4:5], -1
                                        ; implicit-def: $sgpr10
	s_and_saveexec_b64 s[8:9], vcc
; %bb.18802:
	s_mov_b32 s10, 0x7f800001
	s_xor_b64 s[4:5], exec, -1
; %bb.18803:
	s_or_b64 exec, exec, s[8:9]
	s_and_b64 s[4:5], s[4:5], exec
                                        ; implicit-def: $vgpr3
	s_or_saveexec_b64 s[6:7], s[6:7]
	v_mov_b32_e32 v2, s10
	s_xor_b64 exec, exec, s[6:7]
	s_cbranch_execnz .LBB2_18804
; %bb.54641:
	s_getpc_b64 s[14:15]
.Lpost_getpc30904:
	s_add_u32 s14, s14, (.LBB2_4466-.Lpost_getpc30904)&4294967295
	s_addc_u32 s15, s15, (.LBB2_4466-.Lpost_getpc30904)>>32
	s_setpc_b64 s[14:15]
.LBB2_18804:
	v_cmp_ne_u16_e32 vcc, 0, v3
	s_andn2_b64 s[4:5], s[4:5], exec
	s_and_b64 s[8:9], vcc, exec
	v_mov_b32_e32 v2, 0
	s_or_b64 s[4:5], s[4:5], s[8:9]
	s_or_b64 exec, exec, s[6:7]
	s_and_saveexec_b64 s[6:7], s[4:5]
	s_cbranch_execz .LBB2_30905
; %bb.54643:
	s_getpc_b64 s[14:15]
.Lpost_getpc30905:
	s_add_u32 s14, s14, (.LBB2_4467-.Lpost_getpc30905)&4294967295
	s_addc_u32 s15, s15, (.LBB2_4467-.Lpost_getpc30905)>>32
	s_setpc_b64 s[14:15]
.LBB2_30905:
	s_getpc_b64 s[14:15]
.Lpost_getpc19036:
	s_add_u32 s14, s14, (.LBB2_4468-.Lpost_getpc19036)&4294967295
	s_addc_u32 s15, s15, (.LBB2_4468-.Lpost_getpc19036)>>32
	s_setpc_b64 s[14:15]
.LBB2_18805:
	s_movk_i32 s4, 0x80
	v_cmp_eq_u16_e32 vcc, s4, v3
	s_mov_b64 s[4:5], -1
                                        ; implicit-def: $sgpr10
	s_and_saveexec_b64 s[8:9], vcc
; %bb.18806:
	s_mov_b32 s10, 0x7f800001
	s_xor_b64 s[4:5], exec, -1
; %bb.18807:
	s_or_b64 exec, exec, s[8:9]
	s_and_b64 s[4:5], s[4:5], exec
                                        ; implicit-def: $vgpr3
	s_or_saveexec_b64 s[6:7], s[6:7]
	v_mov_b32_e32 v4, s10
	s_xor_b64 exec, exec, s[6:7]
	s_cbranch_execnz .LBB2_18808
; %bb.54645:
	s_getpc_b64 s[14:15]
.Lpost_getpc30906:
	s_add_u32 s14, s14, (.LBB2_4470-.Lpost_getpc30906)&4294967295
	s_addc_u32 s15, s15, (.LBB2_4470-.Lpost_getpc30906)>>32
	s_setpc_b64 s[14:15]
.LBB2_18808:
	v_cmp_ne_u16_e32 vcc, 0, v3
	s_andn2_b64 s[4:5], s[4:5], exec
	s_and_b64 s[8:9], vcc, exec
	v_mov_b32_e32 v4, 0
	s_or_b64 s[4:5], s[4:5], s[8:9]
	s_or_b64 exec, exec, s[6:7]
	s_and_saveexec_b64 s[6:7], s[4:5]
	s_cbranch_execz .LBB2_30907
; %bb.54647:
	s_getpc_b64 s[14:15]
.Lpost_getpc30907:
	s_add_u32 s14, s14, (.LBB2_4471-.Lpost_getpc30907)&4294967295
	s_addc_u32 s15, s15, (.LBB2_4471-.Lpost_getpc30907)>>32
	s_setpc_b64 s[14:15]
.LBB2_30907:
	s_getpc_b64 s[14:15]
.Lpost_getpc19037:
	s_add_u32 s14, s14, (.LBB2_4472-.Lpost_getpc19037)&4294967295
	s_addc_u32 s15, s15, (.LBB2_4472-.Lpost_getpc19037)>>32
	s_setpc_b64 s[14:15]
.LBB2_18809:
	s_movk_i32 s4, 0x80
	v_cmp_eq_u16_sdwa s[12:13], v9, s4 src0_sel:BYTE_3 src1_sel:DWORD
	s_mov_b64 s[4:5], -1
                                        ; implicit-def: $sgpr10
	s_and_saveexec_b64 s[8:9], s[12:13]
; %bb.18810:
	s_mov_b32 s10, 0x7f800001
	s_xor_b64 s[4:5], exec, -1
; %bb.18811:
	s_or_b64 exec, exec, s[8:9]
	s_and_b64 s[4:5], s[4:5], exec
	s_or_saveexec_b64 s[6:7], s[6:7]
	v_mov_b32_e32 v2, s10
	s_xor_b64 exec, exec, s[6:7]
	s_cbranch_execnz .LBB2_18812
; %bb.54649:
	s_getpc_b64 s[14:15]
.Lpost_getpc30908:
	s_add_u32 s14, s14, (.LBB2_4474-.Lpost_getpc30908)&4294967295
	s_addc_u32 s15, s15, (.LBB2_4474-.Lpost_getpc30908)>>32
	s_setpc_b64 s[14:15]
.LBB2_18812:
	v_mov_b32_e32 v2, 0
	v_cmp_ne_u16_sdwa s[8:9], v9, v2 src0_sel:BYTE_3 src1_sel:DWORD
	s_andn2_b64 s[4:5], s[4:5], exec
	s_and_b64 s[8:9], s[8:9], exec
	s_or_b64 s[4:5], s[4:5], s[8:9]
	s_or_b64 exec, exec, s[6:7]
	s_and_saveexec_b64 s[6:7], s[4:5]
	s_cbranch_execz .LBB2_30909
; %bb.54651:
	s_getpc_b64 s[14:15]
.Lpost_getpc30909:
	s_add_u32 s14, s14, (.LBB2_4475-.Lpost_getpc30909)&4294967295
	s_addc_u32 s15, s15, (.LBB2_4475-.Lpost_getpc30909)>>32
	s_setpc_b64 s[14:15]
.LBB2_30909:
	s_getpc_b64 s[14:15]
.Lpost_getpc19038:
	s_add_u32 s14, s14, (.LBB2_4476-.Lpost_getpc19038)&4294967295
	s_addc_u32 s15, s15, (.LBB2_4476-.Lpost_getpc19038)>>32
	s_setpc_b64 s[14:15]
.LBB2_18813:
	s_movk_i32 s4, 0x80
	v_cmp_eq_u16_sdwa s[12:13], v5, s4 src0_sel:BYTE_3 src1_sel:DWORD
	s_mov_b64 s[4:5], -1
                                        ; implicit-def: $sgpr10
	s_and_saveexec_b64 s[8:9], s[12:13]
; %bb.18814:
	s_mov_b32 s10, 0x7f800001
	s_xor_b64 s[4:5], exec, -1
; %bb.18815:
	s_or_b64 exec, exec, s[8:9]
	s_and_b64 s[4:5], s[4:5], exec
	s_or_saveexec_b64 s[6:7], s[6:7]
	v_mov_b32_e32 v3, s10
	s_xor_b64 exec, exec, s[6:7]
	s_cbranch_execnz .LBB2_18816
; %bb.54653:
	s_getpc_b64 s[14:15]
.Lpost_getpc30910:
	s_add_u32 s14, s14, (.LBB2_4478-.Lpost_getpc30910)&4294967295
	s_addc_u32 s15, s15, (.LBB2_4478-.Lpost_getpc30910)>>32
	s_setpc_b64 s[14:15]
.LBB2_18816:
	v_mov_b32_e32 v3, 0
	v_cmp_ne_u16_sdwa s[8:9], v5, v3 src0_sel:BYTE_3 src1_sel:DWORD
	s_andn2_b64 s[4:5], s[4:5], exec
	s_and_b64 s[8:9], s[8:9], exec
	s_or_b64 s[4:5], s[4:5], s[8:9]
	s_or_b64 exec, exec, s[6:7]
	s_and_saveexec_b64 s[6:7], s[4:5]
	s_cbranch_execz .LBB2_30911
; %bb.54655:
	s_getpc_b64 s[14:15]
.Lpost_getpc30911:
	s_add_u32 s14, s14, (.LBB2_4479-.Lpost_getpc30911)&4294967295
	s_addc_u32 s15, s15, (.LBB2_4479-.Lpost_getpc30911)>>32
	s_setpc_b64 s[14:15]
.LBB2_30911:
	s_getpc_b64 s[14:15]
.Lpost_getpc19039:
	s_add_u32 s14, s14, (.LBB2_4480-.Lpost_getpc19039)&4294967295
	s_addc_u32 s15, s15, (.LBB2_4480-.Lpost_getpc19039)>>32
	s_setpc_b64 s[14:15]
.LBB2_18817:
	s_movk_i32 s4, 0x80
	v_cmp_eq_u16_sdwa s[12:13], v6, s4 src0_sel:BYTE_0 src1_sel:DWORD
	s_mov_b64 s[4:5], -1
                                        ; implicit-def: $sgpr10
	s_and_saveexec_b64 s[8:9], s[12:13]
; %bb.18818:
	s_mov_b32 s10, 0x7f800001
	s_xor_b64 s[4:5], exec, -1
; %bb.18819:
	s_or_b64 exec, exec, s[8:9]
	s_and_b64 s[4:5], s[4:5], exec
	s_or_saveexec_b64 s[6:7], s[6:7]
	v_mov_b32_e32 v12, s10
	s_xor_b64 exec, exec, s[6:7]
	s_cbranch_execnz .LBB2_18820
; %bb.54657:
	s_getpc_b64 s[14:15]
.Lpost_getpc30912:
	s_add_u32 s14, s14, (.LBB2_4482-.Lpost_getpc30912)&4294967295
	s_addc_u32 s15, s15, (.LBB2_4482-.Lpost_getpc30912)>>32
	s_setpc_b64 s[14:15]
.LBB2_18820:
	v_mov_b32_e32 v12, 0
	v_cmp_ne_u16_sdwa s[8:9], v6, v12 src0_sel:BYTE_0 src1_sel:DWORD
	s_andn2_b64 s[4:5], s[4:5], exec
	s_and_b64 s[8:9], s[8:9], exec
	s_or_b64 s[4:5], s[4:5], s[8:9]
	s_or_b64 exec, exec, s[6:7]
	s_and_saveexec_b64 s[6:7], s[4:5]
	s_cbranch_execz .LBB2_30913
; %bb.54659:
	s_getpc_b64 s[14:15]
.Lpost_getpc30913:
	s_add_u32 s14, s14, (.LBB2_4483-.Lpost_getpc30913)&4294967295
	s_addc_u32 s15, s15, (.LBB2_4483-.Lpost_getpc30913)>>32
	s_setpc_b64 s[14:15]
.LBB2_30913:
	s_getpc_b64 s[14:15]
.Lpost_getpc19040:
	s_add_u32 s14, s14, (.LBB2_4484-.Lpost_getpc19040)&4294967295
	s_addc_u32 s15, s15, (.LBB2_4484-.Lpost_getpc19040)>>32
	s_setpc_b64 s[14:15]
.LBB2_18821:
	s_movk_i32 s4, 0x80
	v_cmp_eq_u16_sdwa s[12:13], v2, s4 src0_sel:BYTE_0 src1_sel:DWORD
	s_mov_b64 s[4:5], -1
                                        ; implicit-def: $sgpr10
	s_and_saveexec_b64 s[8:9], s[12:13]
; %bb.18822:
	s_mov_b32 s10, 0x7f800001
	s_xor_b64 s[4:5], exec, -1
; %bb.18823:
	s_or_b64 exec, exec, s[8:9]
	s_and_b64 s[4:5], s[4:5], exec
	s_or_saveexec_b64 s[6:7], s[6:7]
	v_mov_b32_e32 v13, s10
	s_xor_b64 exec, exec, s[6:7]
	s_cbranch_execnz .LBB2_18824
; %bb.54661:
	s_getpc_b64 s[14:15]
.Lpost_getpc30914:
	s_add_u32 s14, s14, (.LBB2_4486-.Lpost_getpc30914)&4294967295
	s_addc_u32 s15, s15, (.LBB2_4486-.Lpost_getpc30914)>>32
	s_setpc_b64 s[14:15]
.LBB2_18824:
	v_mov_b32_e32 v13, 0
	v_cmp_ne_u16_sdwa s[8:9], v2, v13 src0_sel:BYTE_0 src1_sel:DWORD
	s_andn2_b64 s[4:5], s[4:5], exec
	s_and_b64 s[8:9], s[8:9], exec
	s_or_b64 s[4:5], s[4:5], s[8:9]
	s_or_b64 exec, exec, s[6:7]
	s_and_saveexec_b64 s[6:7], s[4:5]
	s_cbranch_execz .LBB2_30915
; %bb.54663:
	s_getpc_b64 s[14:15]
.Lpost_getpc30915:
	s_add_u32 s14, s14, (.LBB2_4487-.Lpost_getpc30915)&4294967295
	s_addc_u32 s15, s15, (.LBB2_4487-.Lpost_getpc30915)>>32
	s_setpc_b64 s[14:15]
.LBB2_30915:
	s_getpc_b64 s[14:15]
.Lpost_getpc19041:
	s_add_u32 s14, s14, (.LBB2_4488-.Lpost_getpc19041)&4294967295
	s_addc_u32 s15, s15, (.LBB2_4488-.Lpost_getpc19041)>>32
	s_setpc_b64 s[14:15]
.LBB2_18825:
	s_movk_i32 s4, 0x80
	v_cmp_eq_u16_sdwa s[12:13], v13, s4 src0_sel:BYTE_0 src1_sel:DWORD
	s_mov_b64 s[4:5], -1
                                        ; implicit-def: $sgpr10
	s_and_saveexec_b64 s[8:9], s[12:13]
; %bb.18826:
	s_mov_b32 s10, 0x7f800001
	s_xor_b64 s[4:5], exec, -1
; %bb.18827:
	s_or_b64 exec, exec, s[8:9]
	s_and_b64 s[4:5], s[4:5], exec
	s_or_saveexec_b64 s[6:7], s[6:7]
	v_mov_b32_e32 v12, s10
	s_xor_b64 exec, exec, s[6:7]
	s_cbranch_execnz .LBB2_18828
; %bb.54665:
	s_getpc_b64 s[14:15]
.Lpost_getpc30916:
	s_add_u32 s14, s14, (.LBB2_4490-.Lpost_getpc30916)&4294967295
	s_addc_u32 s15, s15, (.LBB2_4490-.Lpost_getpc30916)>>32
	s_setpc_b64 s[14:15]
.LBB2_18828:
	v_mov_b32_e32 v12, 0
	v_cmp_ne_u16_sdwa s[8:9], v13, v12 src0_sel:BYTE_0 src1_sel:DWORD
	s_andn2_b64 s[4:5], s[4:5], exec
	s_and_b64 s[8:9], s[8:9], exec
	s_or_b64 s[4:5], s[4:5], s[8:9]
	s_or_b64 exec, exec, s[6:7]
	s_and_saveexec_b64 s[6:7], s[4:5]
	s_cbranch_execz .LBB2_30917
; %bb.54667:
	s_getpc_b64 s[14:15]
.Lpost_getpc30917:
	s_add_u32 s14, s14, (.LBB2_4491-.Lpost_getpc30917)&4294967295
	s_addc_u32 s15, s15, (.LBB2_4491-.Lpost_getpc30917)>>32
	s_setpc_b64 s[14:15]
.LBB2_30917:
	s_getpc_b64 s[14:15]
.Lpost_getpc19042:
	s_add_u32 s14, s14, (.LBB2_4492-.Lpost_getpc19042)&4294967295
	s_addc_u32 s15, s15, (.LBB2_4492-.Lpost_getpc19042)>>32
	s_setpc_b64 s[14:15]
.LBB2_18829:
	s_movk_i32 s4, 0x80
	v_cmp_eq_u16_sdwa s[12:13], v13, s4 src0_sel:BYTE_0 src1_sel:DWORD
	s_mov_b64 s[4:5], -1
                                        ; implicit-def: $sgpr10
	s_and_saveexec_b64 s[8:9], s[12:13]
; %bb.18830:
	s_mov_b32 s10, 0x7f800001
	s_xor_b64 s[4:5], exec, -1
; %bb.18831:
	s_or_b64 exec, exec, s[8:9]
	s_and_b64 s[4:5], s[4:5], exec
	s_or_saveexec_b64 s[6:7], s[6:7]
	v_mov_b32_e32 v14, s10
	s_xor_b64 exec, exec, s[6:7]
	s_cbranch_execnz .LBB2_18832
; %bb.54669:
	s_getpc_b64 s[14:15]
.Lpost_getpc30918:
	s_add_u32 s14, s14, (.LBB2_4494-.Lpost_getpc30918)&4294967295
	s_addc_u32 s15, s15, (.LBB2_4494-.Lpost_getpc30918)>>32
	s_setpc_b64 s[14:15]
.LBB2_18832:
	v_mov_b32_e32 v14, 0
	v_cmp_ne_u16_sdwa s[8:9], v13, v14 src0_sel:BYTE_0 src1_sel:DWORD
	s_andn2_b64 s[4:5], s[4:5], exec
	s_and_b64 s[8:9], s[8:9], exec
	s_or_b64 s[4:5], s[4:5], s[8:9]
	s_or_b64 exec, exec, s[6:7]
	s_and_saveexec_b64 s[6:7], s[4:5]
	s_cbranch_execz .LBB2_30919
; %bb.54671:
	s_getpc_b64 s[14:15]
.Lpost_getpc30919:
	s_add_u32 s14, s14, (.LBB2_4495-.Lpost_getpc30919)&4294967295
	s_addc_u32 s15, s15, (.LBB2_4495-.Lpost_getpc30919)>>32
	s_setpc_b64 s[14:15]
.LBB2_30919:
	s_getpc_b64 s[14:15]
.Lpost_getpc19043:
	s_add_u32 s14, s14, (.LBB2_4496-.Lpost_getpc19043)&4294967295
	s_addc_u32 s15, s15, (.LBB2_4496-.Lpost_getpc19043)>>32
	s_setpc_b64 s[14:15]
.LBB2_18833:
	s_movk_i32 s4, 0x80
	v_cmp_eq_u16_e32 vcc, s4, v13
	s_mov_b64 s[4:5], -1
                                        ; implicit-def: $sgpr10
	s_and_saveexec_b64 s[8:9], vcc
; %bb.18834:
	s_mov_b32 s10, 0x7f800001
	s_xor_b64 s[4:5], exec, -1
; %bb.18835:
	s_or_b64 exec, exec, s[8:9]
	s_and_b64 s[4:5], s[4:5], exec
                                        ; implicit-def: $vgpr13
	s_or_saveexec_b64 s[6:7], s[6:7]
	v_mov_b32_e32 v12, s10
	s_xor_b64 exec, exec, s[6:7]
	s_cbranch_execnz .LBB2_18836
; %bb.54673:
	s_getpc_b64 s[14:15]
.Lpost_getpc30920:
	s_add_u32 s14, s14, (.LBB2_4498-.Lpost_getpc30920)&4294967295
	s_addc_u32 s15, s15, (.LBB2_4498-.Lpost_getpc30920)>>32
	s_setpc_b64 s[14:15]
.LBB2_18836:
	v_cmp_ne_u16_e32 vcc, 0, v13
	s_andn2_b64 s[4:5], s[4:5], exec
	s_and_b64 s[8:9], vcc, exec
	v_mov_b32_e32 v12, 0
	s_or_b64 s[4:5], s[4:5], s[8:9]
	s_or_b64 exec, exec, s[6:7]
	s_and_saveexec_b64 s[6:7], s[4:5]
	s_cbranch_execz .LBB2_30921
; %bb.54675:
	s_getpc_b64 s[14:15]
.Lpost_getpc30921:
	s_add_u32 s14, s14, (.LBB2_4499-.Lpost_getpc30921)&4294967295
	s_addc_u32 s15, s15, (.LBB2_4499-.Lpost_getpc30921)>>32
	s_setpc_b64 s[14:15]
.LBB2_30921:
	s_getpc_b64 s[14:15]
.Lpost_getpc19044:
	s_add_u32 s14, s14, (.LBB2_4500-.Lpost_getpc19044)&4294967295
	s_addc_u32 s15, s15, (.LBB2_4500-.Lpost_getpc19044)>>32
	s_setpc_b64 s[14:15]
.LBB2_18837:
	s_movk_i32 s4, 0x80
	v_cmp_eq_u16_e32 vcc, s4, v13
	s_mov_b64 s[4:5], -1
                                        ; implicit-def: $sgpr10
	s_and_saveexec_b64 s[8:9], vcc
; %bb.18838:
	s_mov_b32 s10, 0x7f800001
	s_xor_b64 s[4:5], exec, -1
; %bb.18839:
	s_or_b64 exec, exec, s[8:9]
	s_and_b64 s[4:5], s[4:5], exec
                                        ; implicit-def: $vgpr13
	s_or_saveexec_b64 s[6:7], s[6:7]
	v_mov_b32_e32 v14, s10
	s_xor_b64 exec, exec, s[6:7]
	s_cbranch_execnz .LBB2_18840
; %bb.54677:
	s_getpc_b64 s[14:15]
.Lpost_getpc30922:
	s_add_u32 s14, s14, (.LBB2_4502-.Lpost_getpc30922)&4294967295
	s_addc_u32 s15, s15, (.LBB2_4502-.Lpost_getpc30922)>>32
	s_setpc_b64 s[14:15]
.LBB2_18840:
	v_cmp_ne_u16_e32 vcc, 0, v13
	s_andn2_b64 s[4:5], s[4:5], exec
	s_and_b64 s[8:9], vcc, exec
	v_mov_b32_e32 v14, 0
	s_or_b64 s[4:5], s[4:5], s[8:9]
	s_or_b64 exec, exec, s[6:7]
	s_and_saveexec_b64 s[6:7], s[4:5]
	s_cbranch_execz .LBB2_30923
; %bb.54679:
	s_getpc_b64 s[14:15]
.Lpost_getpc30923:
	s_add_u32 s14, s14, (.LBB2_4503-.Lpost_getpc30923)&4294967295
	s_addc_u32 s15, s15, (.LBB2_4503-.Lpost_getpc30923)>>32
	s_setpc_b64 s[14:15]
.LBB2_30923:
	s_getpc_b64 s[14:15]
.Lpost_getpc19045:
	s_add_u32 s14, s14, (.LBB2_4504-.Lpost_getpc19045)&4294967295
	s_addc_u32 s15, s15, (.LBB2_4504-.Lpost_getpc19045)>>32
	s_setpc_b64 s[14:15]
.LBB2_18841:
	s_movk_i32 s4, 0x80
	v_cmp_eq_u16_sdwa s[12:13], v6, s4 src0_sel:BYTE_3 src1_sel:DWORD
	s_mov_b64 s[4:5], -1
                                        ; implicit-def: $sgpr10
	s_and_saveexec_b64 s[8:9], s[12:13]
; %bb.18842:
	s_mov_b32 s10, 0x7f800001
	s_xor_b64 s[4:5], exec, -1
; %bb.18843:
	s_or_b64 exec, exec, s[8:9]
	s_and_b64 s[4:5], s[4:5], exec
	s_or_saveexec_b64 s[6:7], s[6:7]
	v_mov_b32_e32 v12, s10
	s_xor_b64 exec, exec, s[6:7]
	s_cbranch_execnz .LBB2_18844
; %bb.54681:
	s_getpc_b64 s[14:15]
.Lpost_getpc30924:
	s_add_u32 s14, s14, (.LBB2_4506-.Lpost_getpc30924)&4294967295
	s_addc_u32 s15, s15, (.LBB2_4506-.Lpost_getpc30924)>>32
	s_setpc_b64 s[14:15]
.LBB2_18844:
	v_mov_b32_e32 v12, 0
	v_cmp_ne_u16_sdwa s[8:9], v6, v12 src0_sel:BYTE_3 src1_sel:DWORD
	s_andn2_b64 s[4:5], s[4:5], exec
	s_and_b64 s[8:9], s[8:9], exec
	s_or_b64 s[4:5], s[4:5], s[8:9]
	s_or_b64 exec, exec, s[6:7]
	s_and_saveexec_b64 s[6:7], s[4:5]
	s_cbranch_execz .LBB2_30925
; %bb.54683:
	s_getpc_b64 s[14:15]
.Lpost_getpc30925:
	s_add_u32 s14, s14, (.LBB2_4507-.Lpost_getpc30925)&4294967295
	s_addc_u32 s15, s15, (.LBB2_4507-.Lpost_getpc30925)>>32
	s_setpc_b64 s[14:15]
.LBB2_30925:
	s_getpc_b64 s[14:15]
.Lpost_getpc19046:
	s_add_u32 s14, s14, (.LBB2_4508-.Lpost_getpc19046)&4294967295
	s_addc_u32 s15, s15, (.LBB2_4508-.Lpost_getpc19046)>>32
	s_setpc_b64 s[14:15]
.LBB2_18845:
	s_movk_i32 s4, 0x80
	v_cmp_eq_u16_sdwa s[12:13], v2, s4 src0_sel:BYTE_3 src1_sel:DWORD
	s_mov_b64 s[4:5], -1
                                        ; implicit-def: $sgpr10
	s_and_saveexec_b64 s[8:9], s[12:13]
; %bb.18846:
	s_mov_b32 s10, 0x7f800001
	s_xor_b64 s[4:5], exec, -1
; %bb.18847:
	s_or_b64 exec, exec, s[8:9]
	s_and_b64 s[4:5], s[4:5], exec
	s_or_saveexec_b64 s[6:7], s[6:7]
	v_mov_b32_e32 v6, s10
	s_xor_b64 exec, exec, s[6:7]
	s_cbranch_execnz .LBB2_18848
; %bb.54685:
	s_getpc_b64 s[14:15]
.Lpost_getpc30926:
	s_add_u32 s14, s14, (.LBB2_4510-.Lpost_getpc30926)&4294967295
	s_addc_u32 s15, s15, (.LBB2_4510-.Lpost_getpc30926)>>32
	s_setpc_b64 s[14:15]
.LBB2_18848:
	v_mov_b32_e32 v6, 0
	v_cmp_ne_u16_sdwa s[8:9], v2, v6 src0_sel:BYTE_3 src1_sel:DWORD
	s_andn2_b64 s[4:5], s[4:5], exec
	s_and_b64 s[8:9], s[8:9], exec
	s_or_b64 s[4:5], s[4:5], s[8:9]
	s_or_b64 exec, exec, s[6:7]
	s_and_saveexec_b64 s[6:7], s[4:5]
	s_cbranch_execz .LBB2_30927
; %bb.54687:
	s_getpc_b64 s[14:15]
.Lpost_getpc30927:
	s_add_u32 s14, s14, (.LBB2_4511-.Lpost_getpc30927)&4294967295
	s_addc_u32 s15, s15, (.LBB2_4511-.Lpost_getpc30927)>>32
	s_setpc_b64 s[14:15]
.LBB2_30927:
	s_getpc_b64 s[14:15]
.Lpost_getpc19047:
	s_add_u32 s14, s14, (.LBB2_4512-.Lpost_getpc19047)&4294967295
	s_addc_u32 s15, s15, (.LBB2_4512-.Lpost_getpc19047)>>32
	s_setpc_b64 s[14:15]
.LBB2_18849:
	s_movk_i32 s4, 0x80
	v_cmp_eq_u16_sdwa s[12:13], v7, s4 src0_sel:BYTE_0 src1_sel:DWORD
	s_mov_b64 s[4:5], -1
                                        ; implicit-def: $sgpr10
	s_and_saveexec_b64 s[8:9], s[12:13]
; %bb.18850:
	s_mov_b32 s10, 0x7f800001
	s_xor_b64 s[4:5], exec, -1
; %bb.18851:
	s_or_b64 exec, exec, s[8:9]
	s_and_b64 s[4:5], s[4:5], exec
	s_or_saveexec_b64 s[6:7], s[6:7]
	v_mov_b32_e32 v2, s10
	s_xor_b64 exec, exec, s[6:7]
	s_cbranch_execnz .LBB2_18852
; %bb.54689:
	s_getpc_b64 s[14:15]
.Lpost_getpc30928:
	s_add_u32 s14, s14, (.LBB2_4514-.Lpost_getpc30928)&4294967295
	s_addc_u32 s15, s15, (.LBB2_4514-.Lpost_getpc30928)>>32
	s_setpc_b64 s[14:15]
.LBB2_18852:
	v_mov_b32_e32 v2, 0
	v_cmp_ne_u16_sdwa s[8:9], v7, v2 src0_sel:BYTE_0 src1_sel:DWORD
	s_andn2_b64 s[4:5], s[4:5], exec
	s_and_b64 s[8:9], s[8:9], exec
	s_or_b64 s[4:5], s[4:5], s[8:9]
	s_or_b64 exec, exec, s[6:7]
	s_and_saveexec_b64 s[6:7], s[4:5]
	s_cbranch_execz .LBB2_30929
; %bb.54691:
	s_getpc_b64 s[14:15]
.Lpost_getpc30929:
	s_add_u32 s14, s14, (.LBB2_4515-.Lpost_getpc30929)&4294967295
	s_addc_u32 s15, s15, (.LBB2_4515-.Lpost_getpc30929)>>32
	s_setpc_b64 s[14:15]
.LBB2_30929:
	s_getpc_b64 s[14:15]
.Lpost_getpc19048:
	s_add_u32 s14, s14, (.LBB2_4516-.Lpost_getpc19048)&4294967295
	s_addc_u32 s15, s15, (.LBB2_4516-.Lpost_getpc19048)>>32
	s_setpc_b64 s[14:15]
.LBB2_18853:
	s_movk_i32 s4, 0x80
	v_cmp_eq_u16_sdwa s[12:13], v3, s4 src0_sel:BYTE_0 src1_sel:DWORD
	s_mov_b64 s[4:5], -1
                                        ; implicit-def: $sgpr10
	s_and_saveexec_b64 s[8:9], s[12:13]
; %bb.18854:
	s_mov_b32 s10, 0x7f800001
	s_xor_b64 s[4:5], exec, -1
; %bb.18855:
	s_or_b64 exec, exec, s[8:9]
	s_and_b64 s[4:5], s[4:5], exec
	s_or_saveexec_b64 s[6:7], s[6:7]
	v_mov_b32_e32 v6, s10
	s_xor_b64 exec, exec, s[6:7]
	s_cbranch_execnz .LBB2_18856
; %bb.54693:
	s_getpc_b64 s[14:15]
.Lpost_getpc30930:
	s_add_u32 s14, s14, (.LBB2_4518-.Lpost_getpc30930)&4294967295
	s_addc_u32 s15, s15, (.LBB2_4518-.Lpost_getpc30930)>>32
	s_setpc_b64 s[14:15]
.LBB2_18856:
	v_mov_b32_e32 v6, 0
	v_cmp_ne_u16_sdwa s[8:9], v3, v6 src0_sel:BYTE_0 src1_sel:DWORD
	s_andn2_b64 s[4:5], s[4:5], exec
	s_and_b64 s[8:9], s[8:9], exec
	s_or_b64 s[4:5], s[4:5], s[8:9]
	s_or_b64 exec, exec, s[6:7]
	s_and_saveexec_b64 s[6:7], s[4:5]
	s_cbranch_execz .LBB2_30931
; %bb.54695:
	s_getpc_b64 s[14:15]
.Lpost_getpc30931:
	s_add_u32 s14, s14, (.LBB2_4519-.Lpost_getpc30931)&4294967295
	s_addc_u32 s15, s15, (.LBB2_4519-.Lpost_getpc30931)>>32
	s_setpc_b64 s[14:15]
.LBB2_30931:
	s_getpc_b64 s[14:15]
.Lpost_getpc19049:
	s_add_u32 s14, s14, (.LBB2_4520-.Lpost_getpc19049)&4294967295
	s_addc_u32 s15, s15, (.LBB2_4520-.Lpost_getpc19049)>>32
	s_setpc_b64 s[14:15]
.LBB2_18857:
	s_movk_i32 s4, 0x80
	v_cmp_eq_u16_sdwa s[12:13], v6, s4 src0_sel:BYTE_0 src1_sel:DWORD
	s_mov_b64 s[4:5], -1
                                        ; implicit-def: $sgpr10
	s_and_saveexec_b64 s[8:9], s[12:13]
; %bb.18858:
	s_mov_b32 s10, 0x7f800001
	s_xor_b64 s[4:5], exec, -1
; %bb.18859:
	s_or_b64 exec, exec, s[8:9]
	s_and_b64 s[4:5], s[4:5], exec
	s_or_saveexec_b64 s[6:7], s[6:7]
	v_mov_b32_e32 v2, s10
	s_xor_b64 exec, exec, s[6:7]
	s_cbranch_execnz .LBB2_18860
; %bb.54697:
	s_getpc_b64 s[14:15]
.Lpost_getpc30932:
	s_add_u32 s14, s14, (.LBB2_4522-.Lpost_getpc30932)&4294967295
	s_addc_u32 s15, s15, (.LBB2_4522-.Lpost_getpc30932)>>32
	s_setpc_b64 s[14:15]
.LBB2_18860:
	v_mov_b32_e32 v2, 0
	v_cmp_ne_u16_sdwa s[8:9], v6, v2 src0_sel:BYTE_0 src1_sel:DWORD
	s_andn2_b64 s[4:5], s[4:5], exec
	s_and_b64 s[8:9], s[8:9], exec
	s_or_b64 s[4:5], s[4:5], s[8:9]
	s_or_b64 exec, exec, s[6:7]
	s_and_saveexec_b64 s[6:7], s[4:5]
	s_cbranch_execz .LBB2_30933
; %bb.54699:
	s_getpc_b64 s[14:15]
.Lpost_getpc30933:
	s_add_u32 s14, s14, (.LBB2_4523-.Lpost_getpc30933)&4294967295
	s_addc_u32 s15, s15, (.LBB2_4523-.Lpost_getpc30933)>>32
	s_setpc_b64 s[14:15]
.LBB2_30933:
	s_getpc_b64 s[14:15]
.Lpost_getpc19050:
	s_add_u32 s14, s14, (.LBB2_4524-.Lpost_getpc19050)&4294967295
	s_addc_u32 s15, s15, (.LBB2_4524-.Lpost_getpc19050)>>32
	s_setpc_b64 s[14:15]
.LBB2_18861:
	s_movk_i32 s4, 0x80
	v_cmp_eq_u16_sdwa s[12:13], v6, s4 src0_sel:BYTE_0 src1_sel:DWORD
	s_mov_b64 s[4:5], -1
                                        ; implicit-def: $sgpr10
	s_and_saveexec_b64 s[8:9], s[12:13]
; %bb.18862:
	s_mov_b32 s10, 0x7f800001
	s_xor_b64 s[4:5], exec, -1
; %bb.18863:
	s_or_b64 exec, exec, s[8:9]
	s_and_b64 s[4:5], s[4:5], exec
	s_or_saveexec_b64 s[6:7], s[6:7]
	v_mov_b32_e32 v12, s10
	s_xor_b64 exec, exec, s[6:7]
	s_cbranch_execnz .LBB2_18864
; %bb.54701:
	s_getpc_b64 s[14:15]
.Lpost_getpc30934:
	s_add_u32 s14, s14, (.LBB2_4526-.Lpost_getpc30934)&4294967295
	s_addc_u32 s15, s15, (.LBB2_4526-.Lpost_getpc30934)>>32
	s_setpc_b64 s[14:15]
.LBB2_18864:
	v_mov_b32_e32 v12, 0
	v_cmp_ne_u16_sdwa s[8:9], v6, v12 src0_sel:BYTE_0 src1_sel:DWORD
	s_andn2_b64 s[4:5], s[4:5], exec
	s_and_b64 s[8:9], s[8:9], exec
	s_or_b64 s[4:5], s[4:5], s[8:9]
	s_or_b64 exec, exec, s[6:7]
	s_and_saveexec_b64 s[6:7], s[4:5]
	s_cbranch_execz .LBB2_30935
; %bb.54703:
	s_getpc_b64 s[14:15]
.Lpost_getpc30935:
	s_add_u32 s14, s14, (.LBB2_4527-.Lpost_getpc30935)&4294967295
	s_addc_u32 s15, s15, (.LBB2_4527-.Lpost_getpc30935)>>32
	s_setpc_b64 s[14:15]
.LBB2_30935:
	s_getpc_b64 s[14:15]
.Lpost_getpc19051:
	s_add_u32 s14, s14, (.LBB2_4528-.Lpost_getpc19051)&4294967295
	s_addc_u32 s15, s15, (.LBB2_4528-.Lpost_getpc19051)>>32
	s_setpc_b64 s[14:15]
.LBB2_18865:
	s_movk_i32 s4, 0x80
	v_cmp_eq_u16_e32 vcc, s4, v6
	s_mov_b64 s[4:5], -1
                                        ; implicit-def: $sgpr10
	s_and_saveexec_b64 s[8:9], vcc
; %bb.18866:
	s_mov_b32 s10, 0x7f800001
	s_xor_b64 s[4:5], exec, -1
; %bb.18867:
	s_or_b64 exec, exec, s[8:9]
	s_and_b64 s[4:5], s[4:5], exec
                                        ; implicit-def: $vgpr6
	s_or_saveexec_b64 s[6:7], s[6:7]
	v_mov_b32_e32 v2, s10
	s_xor_b64 exec, exec, s[6:7]
	s_cbranch_execnz .LBB2_18868
; %bb.54705:
	s_getpc_b64 s[14:15]
.Lpost_getpc30936:
	s_add_u32 s14, s14, (.LBB2_4530-.Lpost_getpc30936)&4294967295
	s_addc_u32 s15, s15, (.LBB2_4530-.Lpost_getpc30936)>>32
	s_setpc_b64 s[14:15]
.LBB2_18868:
	v_cmp_ne_u16_e32 vcc, 0, v6
	s_andn2_b64 s[4:5], s[4:5], exec
	s_and_b64 s[8:9], vcc, exec
	v_mov_b32_e32 v2, 0
	s_or_b64 s[4:5], s[4:5], s[8:9]
	s_or_b64 exec, exec, s[6:7]
	s_and_saveexec_b64 s[6:7], s[4:5]
	s_cbranch_execz .LBB2_30937
; %bb.54707:
	s_getpc_b64 s[14:15]
.Lpost_getpc30937:
	s_add_u32 s14, s14, (.LBB2_4531-.Lpost_getpc30937)&4294967295
	s_addc_u32 s15, s15, (.LBB2_4531-.Lpost_getpc30937)>>32
	s_setpc_b64 s[14:15]
.LBB2_30937:
	s_getpc_b64 s[14:15]
.Lpost_getpc19052:
	s_add_u32 s14, s14, (.LBB2_4532-.Lpost_getpc19052)&4294967295
	s_addc_u32 s15, s15, (.LBB2_4532-.Lpost_getpc19052)>>32
	s_setpc_b64 s[14:15]
.LBB2_18869:
	s_movk_i32 s4, 0x80
	v_cmp_eq_u16_e32 vcc, s4, v6
	s_mov_b64 s[4:5], -1
                                        ; implicit-def: $sgpr10
	s_and_saveexec_b64 s[8:9], vcc
; %bb.18870:
	s_mov_b32 s10, 0x7f800001
	s_xor_b64 s[4:5], exec, -1
; %bb.18871:
	s_or_b64 exec, exec, s[8:9]
	s_and_b64 s[4:5], s[4:5], exec
                                        ; implicit-def: $vgpr6
	s_or_saveexec_b64 s[6:7], s[6:7]
	v_mov_b32_e32 v12, s10
	s_xor_b64 exec, exec, s[6:7]
	s_cbranch_execnz .LBB2_18872
; %bb.54709:
	s_getpc_b64 s[14:15]
.Lpost_getpc30938:
	s_add_u32 s14, s14, (.LBB2_4534-.Lpost_getpc30938)&4294967295
	s_addc_u32 s15, s15, (.LBB2_4534-.Lpost_getpc30938)>>32
	s_setpc_b64 s[14:15]
.LBB2_18872:
	v_cmp_ne_u16_e32 vcc, 0, v6
	s_andn2_b64 s[4:5], s[4:5], exec
	s_and_b64 s[8:9], vcc, exec
	v_mov_b32_e32 v12, 0
	s_or_b64 s[4:5], s[4:5], s[8:9]
	s_or_b64 exec, exec, s[6:7]
	s_and_saveexec_b64 s[6:7], s[4:5]
	s_cbranch_execz .LBB2_30939
; %bb.54711:
	s_getpc_b64 s[14:15]
.Lpost_getpc30939:
	s_add_u32 s14, s14, (.LBB2_4535-.Lpost_getpc30939)&4294967295
	s_addc_u32 s15, s15, (.LBB2_4535-.Lpost_getpc30939)>>32
	s_setpc_b64 s[14:15]
.LBB2_30939:
	s_getpc_b64 s[14:15]
.Lpost_getpc19053:
	s_add_u32 s14, s14, (.LBB2_4536-.Lpost_getpc19053)&4294967295
	s_addc_u32 s15, s15, (.LBB2_4536-.Lpost_getpc19053)>>32
	s_setpc_b64 s[14:15]
.LBB2_18873:
	s_movk_i32 s4, 0x80
	v_cmp_eq_u16_sdwa s[12:13], v7, s4 src0_sel:BYTE_3 src1_sel:DWORD
	s_mov_b64 s[4:5], -1
                                        ; implicit-def: $sgpr10
	s_and_saveexec_b64 s[8:9], s[12:13]
; %bb.18874:
	s_mov_b32 s10, 0x7f800001
	s_xor_b64 s[4:5], exec, -1
; %bb.18875:
	s_or_b64 exec, exec, s[8:9]
	s_and_b64 s[4:5], s[4:5], exec
	s_or_saveexec_b64 s[6:7], s[6:7]
	v_mov_b32_e32 v2, s10
	s_xor_b64 exec, exec, s[6:7]
	s_cbranch_execnz .LBB2_18876
; %bb.54713:
	s_getpc_b64 s[14:15]
.Lpost_getpc30940:
	s_add_u32 s14, s14, (.LBB2_4538-.Lpost_getpc30940)&4294967295
	s_addc_u32 s15, s15, (.LBB2_4538-.Lpost_getpc30940)>>32
	s_setpc_b64 s[14:15]
.LBB2_18876:
	v_mov_b32_e32 v2, 0
	v_cmp_ne_u16_sdwa s[8:9], v7, v2 src0_sel:BYTE_3 src1_sel:DWORD
	s_andn2_b64 s[4:5], s[4:5], exec
	s_and_b64 s[8:9], s[8:9], exec
	s_or_b64 s[4:5], s[4:5], s[8:9]
	s_or_b64 exec, exec, s[6:7]
	s_and_saveexec_b64 s[6:7], s[4:5]
	s_cbranch_execz .LBB2_30941
; %bb.54715:
	s_getpc_b64 s[14:15]
.Lpost_getpc30941:
	s_add_u32 s14, s14, (.LBB2_4539-.Lpost_getpc30941)&4294967295
	s_addc_u32 s15, s15, (.LBB2_4539-.Lpost_getpc30941)>>32
	s_setpc_b64 s[14:15]
.LBB2_30941:
	s_getpc_b64 s[14:15]
.Lpost_getpc19054:
	s_add_u32 s14, s14, (.LBB2_4540-.Lpost_getpc19054)&4294967295
	s_addc_u32 s15, s15, (.LBB2_4540-.Lpost_getpc19054)>>32
	s_setpc_b64 s[14:15]
.LBB2_18877:
	s_movk_i32 s4, 0x80
	v_cmp_eq_u16_sdwa s[12:13], v3, s4 src0_sel:BYTE_3 src1_sel:DWORD
	s_mov_b64 s[4:5], -1
                                        ; implicit-def: $sgpr10
	s_and_saveexec_b64 s[8:9], s[12:13]
; %bb.18878:
	s_mov_b32 s10, 0x7f800001
	s_xor_b64 s[4:5], exec, -1
; %bb.18879:
	s_or_b64 exec, exec, s[8:9]
	s_and_b64 s[4:5], s[4:5], exec
	s_or_saveexec_b64 s[6:7], s[6:7]
	v_mov_b32_e32 v6, s10
	s_xor_b64 exec, exec, s[6:7]
	s_cbranch_execnz .LBB2_18880
; %bb.54717:
	s_getpc_b64 s[14:15]
.Lpost_getpc30942:
	s_add_u32 s14, s14, (.LBB2_4542-.Lpost_getpc30942)&4294967295
	s_addc_u32 s15, s15, (.LBB2_4542-.Lpost_getpc30942)>>32
	s_setpc_b64 s[14:15]
.LBB2_18880:
	v_mov_b32_e32 v6, 0
	v_cmp_ne_u16_sdwa s[8:9], v3, v6 src0_sel:BYTE_3 src1_sel:DWORD
	s_andn2_b64 s[4:5], s[4:5], exec
	s_and_b64 s[8:9], s[8:9], exec
	s_or_b64 s[4:5], s[4:5], s[8:9]
	s_or_b64 exec, exec, s[6:7]
	s_and_saveexec_b64 s[6:7], s[4:5]
	s_cbranch_execz .LBB2_30943
; %bb.54719:
	s_getpc_b64 s[14:15]
.Lpost_getpc30943:
	s_add_u32 s14, s14, (.LBB2_4543-.Lpost_getpc30943)&4294967295
	s_addc_u32 s15, s15, (.LBB2_4543-.Lpost_getpc30943)>>32
	s_setpc_b64 s[14:15]
.LBB2_30943:
	s_getpc_b64 s[14:15]
.Lpost_getpc19055:
	s_add_u32 s14, s14, (.LBB2_4544-.Lpost_getpc19055)&4294967295
	s_addc_u32 s15, s15, (.LBB2_4544-.Lpost_getpc19055)>>32
	s_setpc_b64 s[14:15]
.LBB2_18881:
	s_movk_i32 s4, 0x80
	v_cmp_eq_u16_sdwa s[12:13], v8, s4 src0_sel:BYTE_0 src1_sel:DWORD
	s_mov_b64 s[4:5], -1
                                        ; implicit-def: $sgpr10
	s_and_saveexec_b64 s[8:9], s[12:13]
; %bb.18882:
	s_mov_b32 s10, 0x7f800001
	s_xor_b64 s[4:5], exec, -1
; %bb.18883:
	s_or_b64 exec, exec, s[8:9]
	s_and_b64 s[4:5], s[4:5], exec
	s_or_saveexec_b64 s[6:7], s[6:7]
	v_mov_b32_e32 v2, s10
	s_xor_b64 exec, exec, s[6:7]
	s_cbranch_execnz .LBB2_18884
; %bb.54721:
	s_getpc_b64 s[14:15]
.Lpost_getpc30944:
	s_add_u32 s14, s14, (.LBB2_4546-.Lpost_getpc30944)&4294967295
	s_addc_u32 s15, s15, (.LBB2_4546-.Lpost_getpc30944)>>32
	s_setpc_b64 s[14:15]
.LBB2_18884:
	v_mov_b32_e32 v2, 0
	v_cmp_ne_u16_sdwa s[8:9], v8, v2 src0_sel:BYTE_0 src1_sel:DWORD
	s_andn2_b64 s[4:5], s[4:5], exec
	s_and_b64 s[8:9], s[8:9], exec
	s_or_b64 s[4:5], s[4:5], s[8:9]
	s_or_b64 exec, exec, s[6:7]
	s_and_saveexec_b64 s[6:7], s[4:5]
	s_cbranch_execz .LBB2_30945
; %bb.54723:
	s_getpc_b64 s[14:15]
.Lpost_getpc30945:
	s_add_u32 s14, s14, (.LBB2_4547-.Lpost_getpc30945)&4294967295
	s_addc_u32 s15, s15, (.LBB2_4547-.Lpost_getpc30945)>>32
	s_setpc_b64 s[14:15]
.LBB2_30945:
	s_getpc_b64 s[14:15]
.Lpost_getpc19056:
	s_add_u32 s14, s14, (.LBB2_4548-.Lpost_getpc19056)&4294967295
	s_addc_u32 s15, s15, (.LBB2_4548-.Lpost_getpc19056)>>32
	s_setpc_b64 s[14:15]
.LBB2_18885:
	s_movk_i32 s4, 0x80
	v_cmp_eq_u16_sdwa s[12:13], v4, s4 src0_sel:BYTE_0 src1_sel:DWORD
	s_mov_b64 s[4:5], -1
                                        ; implicit-def: $sgpr10
	s_and_saveexec_b64 s[8:9], s[12:13]
; %bb.18886:
	s_mov_b32 s10, 0x7f800001
	s_xor_b64 s[4:5], exec, -1
; %bb.18887:
	s_or_b64 exec, exec, s[8:9]
	s_and_b64 s[4:5], s[4:5], exec
	s_or_saveexec_b64 s[6:7], s[6:7]
	v_mov_b32_e32 v3, s10
	s_xor_b64 exec, exec, s[6:7]
	s_cbranch_execnz .LBB2_18888
; %bb.54725:
	s_getpc_b64 s[14:15]
.Lpost_getpc30946:
	s_add_u32 s14, s14, (.LBB2_4550-.Lpost_getpc30946)&4294967295
	s_addc_u32 s15, s15, (.LBB2_4550-.Lpost_getpc30946)>>32
	s_setpc_b64 s[14:15]
.LBB2_18888:
	v_mov_b32_e32 v3, 0
	v_cmp_ne_u16_sdwa s[8:9], v4, v3 src0_sel:BYTE_0 src1_sel:DWORD
	s_andn2_b64 s[4:5], s[4:5], exec
	s_and_b64 s[8:9], s[8:9], exec
	s_or_b64 s[4:5], s[4:5], s[8:9]
	s_or_b64 exec, exec, s[6:7]
	s_and_saveexec_b64 s[6:7], s[4:5]
	s_cbranch_execz .LBB2_30947
; %bb.54727:
	s_getpc_b64 s[14:15]
.Lpost_getpc30947:
	s_add_u32 s14, s14, (.LBB2_4551-.Lpost_getpc30947)&4294967295
	s_addc_u32 s15, s15, (.LBB2_4551-.Lpost_getpc30947)>>32
	s_setpc_b64 s[14:15]
.LBB2_30947:
	s_getpc_b64 s[14:15]
.Lpost_getpc19057:
	s_add_u32 s14, s14, (.LBB2_4552-.Lpost_getpc19057)&4294967295
	s_addc_u32 s15, s15, (.LBB2_4552-.Lpost_getpc19057)>>32
	s_setpc_b64 s[14:15]
.LBB2_18889:
	s_movk_i32 s4, 0x80
	v_cmp_eq_u16_sdwa s[12:13], v3, s4 src0_sel:BYTE_0 src1_sel:DWORD
	s_mov_b64 s[4:5], -1
                                        ; implicit-def: $sgpr10
	s_and_saveexec_b64 s[8:9], s[12:13]
; %bb.18890:
	s_mov_b32 s10, 0x7f800001
	s_xor_b64 s[4:5], exec, -1
; %bb.18891:
	s_or_b64 exec, exec, s[8:9]
	s_and_b64 s[4:5], s[4:5], exec
	s_or_saveexec_b64 s[6:7], s[6:7]
	v_mov_b32_e32 v2, s10
	s_xor_b64 exec, exec, s[6:7]
	s_cbranch_execnz .LBB2_18892
; %bb.54729:
	s_getpc_b64 s[14:15]
.Lpost_getpc30948:
	s_add_u32 s14, s14, (.LBB2_4554-.Lpost_getpc30948)&4294967295
	s_addc_u32 s15, s15, (.LBB2_4554-.Lpost_getpc30948)>>32
	s_setpc_b64 s[14:15]
.LBB2_18892:
	v_mov_b32_e32 v2, 0
	v_cmp_ne_u16_sdwa s[8:9], v3, v2 src0_sel:BYTE_0 src1_sel:DWORD
	s_andn2_b64 s[4:5], s[4:5], exec
	s_and_b64 s[8:9], s[8:9], exec
	s_or_b64 s[4:5], s[4:5], s[8:9]
	s_or_b64 exec, exec, s[6:7]
	s_and_saveexec_b64 s[6:7], s[4:5]
	s_cbranch_execz .LBB2_30949
; %bb.54731:
	s_getpc_b64 s[14:15]
.Lpost_getpc30949:
	s_add_u32 s14, s14, (.LBB2_4555-.Lpost_getpc30949)&4294967295
	s_addc_u32 s15, s15, (.LBB2_4555-.Lpost_getpc30949)>>32
	s_setpc_b64 s[14:15]
.LBB2_30949:
	s_getpc_b64 s[14:15]
.Lpost_getpc19058:
	s_add_u32 s14, s14, (.LBB2_4556-.Lpost_getpc19058)&4294967295
	s_addc_u32 s15, s15, (.LBB2_4556-.Lpost_getpc19058)>>32
	s_setpc_b64 s[14:15]
.LBB2_18893:
	s_movk_i32 s4, 0x80
	v_cmp_eq_u16_sdwa s[12:13], v3, s4 src0_sel:BYTE_0 src1_sel:DWORD
	s_mov_b64 s[4:5], -1
                                        ; implicit-def: $sgpr10
	s_and_saveexec_b64 s[8:9], s[12:13]
; %bb.18894:
	s_mov_b32 s10, 0x7f800001
	s_xor_b64 s[4:5], exec, -1
; %bb.18895:
	s_or_b64 exec, exec, s[8:9]
	s_and_b64 s[4:5], s[4:5], exec
	s_or_saveexec_b64 s[6:7], s[6:7]
	v_mov_b32_e32 v6, s10
	s_xor_b64 exec, exec, s[6:7]
	s_cbranch_execnz .LBB2_18896
; %bb.54733:
	s_getpc_b64 s[14:15]
.Lpost_getpc30950:
	s_add_u32 s14, s14, (.LBB2_4558-.Lpost_getpc30950)&4294967295
	s_addc_u32 s15, s15, (.LBB2_4558-.Lpost_getpc30950)>>32
	s_setpc_b64 s[14:15]
.LBB2_18896:
	v_mov_b32_e32 v6, 0
	v_cmp_ne_u16_sdwa s[8:9], v3, v6 src0_sel:BYTE_0 src1_sel:DWORD
	s_andn2_b64 s[4:5], s[4:5], exec
	s_and_b64 s[8:9], s[8:9], exec
	s_or_b64 s[4:5], s[4:5], s[8:9]
	s_or_b64 exec, exec, s[6:7]
	s_and_saveexec_b64 s[6:7], s[4:5]
	s_cbranch_execz .LBB2_30951
; %bb.54735:
	s_getpc_b64 s[14:15]
.Lpost_getpc30951:
	s_add_u32 s14, s14, (.LBB2_4559-.Lpost_getpc30951)&4294967295
	s_addc_u32 s15, s15, (.LBB2_4559-.Lpost_getpc30951)>>32
	s_setpc_b64 s[14:15]
.LBB2_30951:
	s_getpc_b64 s[14:15]
.Lpost_getpc19059:
	s_add_u32 s14, s14, (.LBB2_4560-.Lpost_getpc19059)&4294967295
	s_addc_u32 s15, s15, (.LBB2_4560-.Lpost_getpc19059)>>32
	s_setpc_b64 s[14:15]
.LBB2_18897:
	s_movk_i32 s4, 0x80
	v_cmp_eq_u16_e32 vcc, s4, v3
	s_mov_b64 s[4:5], -1
                                        ; implicit-def: $sgpr10
	s_and_saveexec_b64 s[8:9], vcc
; %bb.18898:
	s_mov_b32 s10, 0x7f800001
	s_xor_b64 s[4:5], exec, -1
; %bb.18899:
	s_or_b64 exec, exec, s[8:9]
	s_and_b64 s[4:5], s[4:5], exec
                                        ; implicit-def: $vgpr3
	s_or_saveexec_b64 s[6:7], s[6:7]
	v_mov_b32_e32 v2, s10
	s_xor_b64 exec, exec, s[6:7]
	s_cbranch_execnz .LBB2_18900
; %bb.54737:
	s_getpc_b64 s[14:15]
.Lpost_getpc30952:
	s_add_u32 s14, s14, (.LBB2_4562-.Lpost_getpc30952)&4294967295
	s_addc_u32 s15, s15, (.LBB2_4562-.Lpost_getpc30952)>>32
	s_setpc_b64 s[14:15]
.LBB2_18900:
	v_cmp_ne_u16_e32 vcc, 0, v3
	s_andn2_b64 s[4:5], s[4:5], exec
	s_and_b64 s[8:9], vcc, exec
	v_mov_b32_e32 v2, 0
	s_or_b64 s[4:5], s[4:5], s[8:9]
	s_or_b64 exec, exec, s[6:7]
	s_and_saveexec_b64 s[6:7], s[4:5]
	s_cbranch_execz .LBB2_30953
; %bb.54739:
	s_getpc_b64 s[14:15]
.Lpost_getpc30953:
	s_add_u32 s14, s14, (.LBB2_4563-.Lpost_getpc30953)&4294967295
	s_addc_u32 s15, s15, (.LBB2_4563-.Lpost_getpc30953)>>32
	s_setpc_b64 s[14:15]
.LBB2_30953:
	s_getpc_b64 s[14:15]
.Lpost_getpc19060:
	s_add_u32 s14, s14, (.LBB2_4564-.Lpost_getpc19060)&4294967295
	s_addc_u32 s15, s15, (.LBB2_4564-.Lpost_getpc19060)>>32
	s_setpc_b64 s[14:15]
.LBB2_18901:
	s_movk_i32 s4, 0x80
	v_cmp_eq_u16_e32 vcc, s4, v3
	s_mov_b64 s[4:5], -1
                                        ; implicit-def: $sgpr10
	s_and_saveexec_b64 s[8:9], vcc
; %bb.18902:
	s_mov_b32 s10, 0x7f800001
	s_xor_b64 s[4:5], exec, -1
; %bb.18903:
	s_or_b64 exec, exec, s[8:9]
	s_and_b64 s[4:5], s[4:5], exec
                                        ; implicit-def: $vgpr3
	s_or_saveexec_b64 s[6:7], s[6:7]
	v_mov_b32_e32 v6, s10
	s_xor_b64 exec, exec, s[6:7]
	s_cbranch_execnz .LBB2_18904
; %bb.54741:
	s_getpc_b64 s[14:15]
.Lpost_getpc30954:
	s_add_u32 s14, s14, (.LBB2_4566-.Lpost_getpc30954)&4294967295
	s_addc_u32 s15, s15, (.LBB2_4566-.Lpost_getpc30954)>>32
	s_setpc_b64 s[14:15]
.LBB2_18904:
	v_cmp_ne_u16_e32 vcc, 0, v3
	s_andn2_b64 s[4:5], s[4:5], exec
	s_and_b64 s[8:9], vcc, exec
	v_mov_b32_e32 v6, 0
	s_or_b64 s[4:5], s[4:5], s[8:9]
	s_or_b64 exec, exec, s[6:7]
	s_and_saveexec_b64 s[6:7], s[4:5]
	s_cbranch_execz .LBB2_30955
; %bb.54743:
	s_getpc_b64 s[14:15]
.Lpost_getpc30955:
	s_add_u32 s14, s14, (.LBB2_4567-.Lpost_getpc30955)&4294967295
	s_addc_u32 s15, s15, (.LBB2_4567-.Lpost_getpc30955)>>32
	s_setpc_b64 s[14:15]
.LBB2_30955:
	s_getpc_b64 s[14:15]
.Lpost_getpc19061:
	s_add_u32 s14, s14, (.LBB2_4568-.Lpost_getpc19061)&4294967295
	s_addc_u32 s15, s15, (.LBB2_4568-.Lpost_getpc19061)>>32
	s_setpc_b64 s[14:15]
.LBB2_18905:
	s_movk_i32 s4, 0x80
	v_cmp_eq_u16_sdwa s[12:13], v8, s4 src0_sel:BYTE_3 src1_sel:DWORD
	s_mov_b64 s[4:5], -1
                                        ; implicit-def: $sgpr10
	s_and_saveexec_b64 s[8:9], s[12:13]
; %bb.18906:
	s_mov_b32 s10, 0x7f800001
	s_xor_b64 s[4:5], exec, -1
; %bb.18907:
	s_or_b64 exec, exec, s[8:9]
	s_and_b64 s[4:5], s[4:5], exec
	s_or_saveexec_b64 s[6:7], s[6:7]
	v_mov_b32_e32 v2, s10
	s_xor_b64 exec, exec, s[6:7]
	s_cbranch_execnz .LBB2_18908
; %bb.54745:
	s_getpc_b64 s[14:15]
.Lpost_getpc30956:
	s_add_u32 s14, s14, (.LBB2_4570-.Lpost_getpc30956)&4294967295
	s_addc_u32 s15, s15, (.LBB2_4570-.Lpost_getpc30956)>>32
	s_setpc_b64 s[14:15]
.LBB2_18908:
	v_mov_b32_e32 v2, 0
	v_cmp_ne_u16_sdwa s[8:9], v8, v2 src0_sel:BYTE_3 src1_sel:DWORD
	s_andn2_b64 s[4:5], s[4:5], exec
	s_and_b64 s[8:9], s[8:9], exec
	s_or_b64 s[4:5], s[4:5], s[8:9]
	s_or_b64 exec, exec, s[6:7]
	s_and_saveexec_b64 s[6:7], s[4:5]
	s_cbranch_execz .LBB2_30957
; %bb.54747:
	s_getpc_b64 s[14:15]
.Lpost_getpc30957:
	s_add_u32 s14, s14, (.LBB2_4571-.Lpost_getpc30957)&4294967295
	s_addc_u32 s15, s15, (.LBB2_4571-.Lpost_getpc30957)>>32
	s_setpc_b64 s[14:15]
.LBB2_30957:
	s_getpc_b64 s[14:15]
.Lpost_getpc19062:
	s_add_u32 s14, s14, (.LBB2_4572-.Lpost_getpc19062)&4294967295
	s_addc_u32 s15, s15, (.LBB2_4572-.Lpost_getpc19062)>>32
	s_setpc_b64 s[14:15]
.LBB2_18909:
	s_movk_i32 s4, 0x80
	v_cmp_eq_u16_sdwa s[12:13], v4, s4 src0_sel:BYTE_3 src1_sel:DWORD
	s_mov_b64 s[4:5], -1
                                        ; implicit-def: $sgpr10
	s_and_saveexec_b64 s[8:9], s[12:13]
; %bb.18910:
	s_mov_b32 s10, 0x7f800001
	s_xor_b64 s[4:5], exec, -1
; %bb.18911:
	s_or_b64 exec, exec, s[8:9]
	s_and_b64 s[4:5], s[4:5], exec
	s_or_saveexec_b64 s[6:7], s[6:7]
	v_mov_b32_e32 v3, s10
	s_xor_b64 exec, exec, s[6:7]
	s_cbranch_execnz .LBB2_18912
; %bb.54749:
	s_getpc_b64 s[14:15]
.Lpost_getpc30958:
	s_add_u32 s14, s14, (.LBB2_4574-.Lpost_getpc30958)&4294967295
	s_addc_u32 s15, s15, (.LBB2_4574-.Lpost_getpc30958)>>32
	s_setpc_b64 s[14:15]
.LBB2_18912:
	v_mov_b32_e32 v3, 0
	v_cmp_ne_u16_sdwa s[8:9], v4, v3 src0_sel:BYTE_3 src1_sel:DWORD
	s_andn2_b64 s[4:5], s[4:5], exec
	s_and_b64 s[8:9], s[8:9], exec
	s_or_b64 s[4:5], s[4:5], s[8:9]
	s_or_b64 exec, exec, s[6:7]
	s_and_saveexec_b64 s[6:7], s[4:5]
	s_cbranch_execz .LBB2_30959
; %bb.54751:
	s_getpc_b64 s[14:15]
.Lpost_getpc30959:
	s_add_u32 s14, s14, (.LBB2_4575-.Lpost_getpc30959)&4294967295
	s_addc_u32 s15, s15, (.LBB2_4575-.Lpost_getpc30959)>>32
	s_setpc_b64 s[14:15]
.LBB2_30959:
	s_getpc_b64 s[14:15]
.Lpost_getpc19063:
	s_add_u32 s14, s14, (.LBB2_4576-.Lpost_getpc19063)&4294967295
	s_addc_u32 s15, s15, (.LBB2_4576-.Lpost_getpc19063)>>32
	s_setpc_b64 s[14:15]
.LBB2_18913:
	s_movk_i32 s4, 0x80
	v_cmp_eq_u16_sdwa s[12:13], v9, s4 src0_sel:BYTE_0 src1_sel:DWORD
	s_mov_b64 s[4:5], -1
                                        ; implicit-def: $sgpr10
	s_and_saveexec_b64 s[8:9], s[12:13]
; %bb.18914:
	s_mov_b32 s10, 0x7f800001
	s_xor_b64 s[4:5], exec, -1
; %bb.18915:
	s_or_b64 exec, exec, s[8:9]
	s_and_b64 s[4:5], s[4:5], exec
	s_or_saveexec_b64 s[6:7], s[6:7]
	v_mov_b32_e32 v2, s10
	s_xor_b64 exec, exec, s[6:7]
	s_cbranch_execnz .LBB2_18916
; %bb.54753:
	s_getpc_b64 s[14:15]
.Lpost_getpc30960:
	s_add_u32 s14, s14, (.LBB2_4578-.Lpost_getpc30960)&4294967295
	s_addc_u32 s15, s15, (.LBB2_4578-.Lpost_getpc30960)>>32
	s_setpc_b64 s[14:15]
.LBB2_18916:
	v_mov_b32_e32 v2, 0
	v_cmp_ne_u16_sdwa s[8:9], v9, v2 src0_sel:BYTE_0 src1_sel:DWORD
	s_andn2_b64 s[4:5], s[4:5], exec
	s_and_b64 s[8:9], s[8:9], exec
	s_or_b64 s[4:5], s[4:5], s[8:9]
	s_or_b64 exec, exec, s[6:7]
	s_and_saveexec_b64 s[6:7], s[4:5]
	s_cbranch_execz .LBB2_30961
; %bb.54755:
	s_getpc_b64 s[14:15]
.Lpost_getpc30961:
	s_add_u32 s14, s14, (.LBB2_4579-.Lpost_getpc30961)&4294967295
	s_addc_u32 s15, s15, (.LBB2_4579-.Lpost_getpc30961)>>32
	s_setpc_b64 s[14:15]
.LBB2_30961:
	s_getpc_b64 s[14:15]
.Lpost_getpc19064:
	s_add_u32 s14, s14, (.LBB2_4580-.Lpost_getpc19064)&4294967295
	s_addc_u32 s15, s15, (.LBB2_4580-.Lpost_getpc19064)>>32
	s_setpc_b64 s[14:15]
.LBB2_18917:
	s_movk_i32 s4, 0x80
	v_cmp_eq_u16_sdwa s[12:13], v5, s4 src0_sel:BYTE_0 src1_sel:DWORD
	s_mov_b64 s[4:5], -1
                                        ; implicit-def: $sgpr10
	s_and_saveexec_b64 s[8:9], s[12:13]
; %bb.18918:
	s_mov_b32 s10, 0x7f800001
	s_xor_b64 s[4:5], exec, -1
; %bb.18919:
	s_or_b64 exec, exec, s[8:9]
	s_and_b64 s[4:5], s[4:5], exec
	s_or_saveexec_b64 s[6:7], s[6:7]
	v_mov_b32_e32 v3, s10
	s_xor_b64 exec, exec, s[6:7]
	s_cbranch_execnz .LBB2_18920
; %bb.54757:
	s_getpc_b64 s[14:15]
.Lpost_getpc30962:
	s_add_u32 s14, s14, (.LBB2_4582-.Lpost_getpc30962)&4294967295
	s_addc_u32 s15, s15, (.LBB2_4582-.Lpost_getpc30962)>>32
	s_setpc_b64 s[14:15]
.LBB2_18920:
	v_mov_b32_e32 v3, 0
	v_cmp_ne_u16_sdwa s[8:9], v5, v3 src0_sel:BYTE_0 src1_sel:DWORD
	s_andn2_b64 s[4:5], s[4:5], exec
	s_and_b64 s[8:9], s[8:9], exec
	s_or_b64 s[4:5], s[4:5], s[8:9]
	s_or_b64 exec, exec, s[6:7]
	s_and_saveexec_b64 s[6:7], s[4:5]
	s_cbranch_execz .LBB2_30963
; %bb.54759:
	s_getpc_b64 s[14:15]
.Lpost_getpc30963:
	s_add_u32 s14, s14, (.LBB2_4583-.Lpost_getpc30963)&4294967295
	s_addc_u32 s15, s15, (.LBB2_4583-.Lpost_getpc30963)>>32
	s_setpc_b64 s[14:15]
.LBB2_30963:
	s_getpc_b64 s[14:15]
.Lpost_getpc19065:
	s_add_u32 s14, s14, (.LBB2_4584-.Lpost_getpc19065)&4294967295
	s_addc_u32 s15, s15, (.LBB2_4584-.Lpost_getpc19065)>>32
	s_setpc_b64 s[14:15]
.LBB2_18921:
	s_movk_i32 s4, 0x80
	v_cmp_eq_u16_sdwa s[12:13], v3, s4 src0_sel:BYTE_0 src1_sel:DWORD
	s_mov_b64 s[4:5], -1
                                        ; implicit-def: $sgpr10
	s_and_saveexec_b64 s[8:9], s[12:13]
; %bb.18922:
	s_mov_b32 s10, 0x7f800001
	s_xor_b64 s[4:5], exec, -1
; %bb.18923:
	s_or_b64 exec, exec, s[8:9]
	s_and_b64 s[4:5], s[4:5], exec
	s_or_saveexec_b64 s[6:7], s[6:7]
	v_mov_b32_e32 v2, s10
	s_xor_b64 exec, exec, s[6:7]
	s_cbranch_execnz .LBB2_18924
; %bb.54761:
	s_getpc_b64 s[14:15]
.Lpost_getpc30964:
	s_add_u32 s14, s14, (.LBB2_4586-.Lpost_getpc30964)&4294967295
	s_addc_u32 s15, s15, (.LBB2_4586-.Lpost_getpc30964)>>32
	s_setpc_b64 s[14:15]
.LBB2_18924:
	v_mov_b32_e32 v2, 0
	v_cmp_ne_u16_sdwa s[8:9], v3, v2 src0_sel:BYTE_0 src1_sel:DWORD
	s_andn2_b64 s[4:5], s[4:5], exec
	s_and_b64 s[8:9], s[8:9], exec
	s_or_b64 s[4:5], s[4:5], s[8:9]
	s_or_b64 exec, exec, s[6:7]
	s_and_saveexec_b64 s[6:7], s[4:5]
	s_cbranch_execz .LBB2_30965
; %bb.54763:
	s_getpc_b64 s[14:15]
.Lpost_getpc30965:
	s_add_u32 s14, s14, (.LBB2_4587-.Lpost_getpc30965)&4294967295
	s_addc_u32 s15, s15, (.LBB2_4587-.Lpost_getpc30965)>>32
	s_setpc_b64 s[14:15]
.LBB2_30965:
	s_getpc_b64 s[14:15]
.Lpost_getpc19066:
	s_add_u32 s14, s14, (.LBB2_4588-.Lpost_getpc19066)&4294967295
	s_addc_u32 s15, s15, (.LBB2_4588-.Lpost_getpc19066)>>32
	s_setpc_b64 s[14:15]
.LBB2_18925:
	s_movk_i32 s4, 0x80
	v_cmp_eq_u16_sdwa s[12:13], v3, s4 src0_sel:BYTE_0 src1_sel:DWORD
	s_mov_b64 s[4:5], -1
                                        ; implicit-def: $sgpr10
	s_and_saveexec_b64 s[8:9], s[12:13]
; %bb.18926:
	s_mov_b32 s10, 0x7f800001
	s_xor_b64 s[4:5], exec, -1
; %bb.18927:
	s_or_b64 exec, exec, s[8:9]
	s_and_b64 s[4:5], s[4:5], exec
	s_or_saveexec_b64 s[6:7], s[6:7]
	v_mov_b32_e32 v4, s10
	s_xor_b64 exec, exec, s[6:7]
	s_cbranch_execnz .LBB2_18928
; %bb.54765:
	s_getpc_b64 s[14:15]
.Lpost_getpc30966:
	s_add_u32 s14, s14, (.LBB2_4590-.Lpost_getpc30966)&4294967295
	s_addc_u32 s15, s15, (.LBB2_4590-.Lpost_getpc30966)>>32
	s_setpc_b64 s[14:15]
.LBB2_18928:
	v_mov_b32_e32 v4, 0
	v_cmp_ne_u16_sdwa s[8:9], v3, v4 src0_sel:BYTE_0 src1_sel:DWORD
	s_andn2_b64 s[4:5], s[4:5], exec
	s_and_b64 s[8:9], s[8:9], exec
	s_or_b64 s[4:5], s[4:5], s[8:9]
	s_or_b64 exec, exec, s[6:7]
	s_and_saveexec_b64 s[6:7], s[4:5]
	s_cbranch_execz .LBB2_30967
; %bb.54767:
	s_getpc_b64 s[14:15]
.Lpost_getpc30967:
	s_add_u32 s14, s14, (.LBB2_4591-.Lpost_getpc30967)&4294967295
	s_addc_u32 s15, s15, (.LBB2_4591-.Lpost_getpc30967)>>32
	s_setpc_b64 s[14:15]
.LBB2_30967:
	s_getpc_b64 s[14:15]
.Lpost_getpc19067:
	s_add_u32 s14, s14, (.LBB2_4592-.Lpost_getpc19067)&4294967295
	s_addc_u32 s15, s15, (.LBB2_4592-.Lpost_getpc19067)>>32
	s_setpc_b64 s[14:15]
.LBB2_18929:
	s_movk_i32 s4, 0x80
	v_cmp_eq_u16_e32 vcc, s4, v3
	s_mov_b64 s[4:5], -1
                                        ; implicit-def: $sgpr10
	s_and_saveexec_b64 s[8:9], vcc
; %bb.18930:
	s_mov_b32 s10, 0x7f800001
	s_xor_b64 s[4:5], exec, -1
; %bb.18931:
	s_or_b64 exec, exec, s[8:9]
	s_and_b64 s[4:5], s[4:5], exec
                                        ; implicit-def: $vgpr3
	s_or_saveexec_b64 s[6:7], s[6:7]
	v_mov_b32_e32 v2, s10
	s_xor_b64 exec, exec, s[6:7]
	s_cbranch_execnz .LBB2_18932
; %bb.54769:
	s_getpc_b64 s[14:15]
.Lpost_getpc30968:
	s_add_u32 s14, s14, (.LBB2_4594-.Lpost_getpc30968)&4294967295
	s_addc_u32 s15, s15, (.LBB2_4594-.Lpost_getpc30968)>>32
	s_setpc_b64 s[14:15]
.LBB2_18932:
	v_cmp_ne_u16_e32 vcc, 0, v3
	s_andn2_b64 s[4:5], s[4:5], exec
	s_and_b64 s[8:9], vcc, exec
	v_mov_b32_e32 v2, 0
	s_or_b64 s[4:5], s[4:5], s[8:9]
	s_or_b64 exec, exec, s[6:7]
	s_and_saveexec_b64 s[6:7], s[4:5]
	s_cbranch_execz .LBB2_30969
; %bb.54771:
	s_getpc_b64 s[14:15]
.Lpost_getpc30969:
	s_add_u32 s14, s14, (.LBB2_4595-.Lpost_getpc30969)&4294967295
	s_addc_u32 s15, s15, (.LBB2_4595-.Lpost_getpc30969)>>32
	s_setpc_b64 s[14:15]
.LBB2_30969:
	s_getpc_b64 s[14:15]
.Lpost_getpc19068:
	s_add_u32 s14, s14, (.LBB2_4596-.Lpost_getpc19068)&4294967295
	s_addc_u32 s15, s15, (.LBB2_4596-.Lpost_getpc19068)>>32
	s_setpc_b64 s[14:15]
.LBB2_18933:
	s_movk_i32 s4, 0x80
	v_cmp_eq_u16_e32 vcc, s4, v3
	s_mov_b64 s[4:5], -1
                                        ; implicit-def: $sgpr10
	s_and_saveexec_b64 s[8:9], vcc
; %bb.18934:
	s_mov_b32 s10, 0x7f800001
	s_xor_b64 s[4:5], exec, -1
; %bb.18935:
	s_or_b64 exec, exec, s[8:9]
	s_and_b64 s[4:5], s[4:5], exec
                                        ; implicit-def: $vgpr3
	s_or_saveexec_b64 s[6:7], s[6:7]
	v_mov_b32_e32 v4, s10
	s_xor_b64 exec, exec, s[6:7]
	s_cbranch_execnz .LBB2_18936
; %bb.54773:
	s_getpc_b64 s[14:15]
.Lpost_getpc30970:
	s_add_u32 s14, s14, (.LBB2_4598-.Lpost_getpc30970)&4294967295
	s_addc_u32 s15, s15, (.LBB2_4598-.Lpost_getpc30970)>>32
	s_setpc_b64 s[14:15]
.LBB2_18936:
	v_cmp_ne_u16_e32 vcc, 0, v3
	s_andn2_b64 s[4:5], s[4:5], exec
	s_and_b64 s[8:9], vcc, exec
	v_mov_b32_e32 v4, 0
	s_or_b64 s[4:5], s[4:5], s[8:9]
	s_or_b64 exec, exec, s[6:7]
	s_and_saveexec_b64 s[6:7], s[4:5]
	s_cbranch_execz .LBB2_30971
; %bb.54775:
	s_getpc_b64 s[14:15]
.Lpost_getpc30971:
	s_add_u32 s14, s14, (.LBB2_4599-.Lpost_getpc30971)&4294967295
	s_addc_u32 s15, s15, (.LBB2_4599-.Lpost_getpc30971)>>32
	s_setpc_b64 s[14:15]
.LBB2_30971:
	s_getpc_b64 s[14:15]
.Lpost_getpc19069:
	s_add_u32 s14, s14, (.LBB2_4600-.Lpost_getpc19069)&4294967295
	s_addc_u32 s15, s15, (.LBB2_4600-.Lpost_getpc19069)>>32
	s_setpc_b64 s[14:15]
.LBB2_18937:
	s_movk_i32 s4, 0x80
	v_cmp_eq_u16_sdwa s[12:13], v9, s4 src0_sel:BYTE_3 src1_sel:DWORD
	s_mov_b64 s[4:5], -1
                                        ; implicit-def: $sgpr10
	s_and_saveexec_b64 s[8:9], s[12:13]
; %bb.18938:
	s_mov_b32 s10, 0x7f800001
	s_xor_b64 s[4:5], exec, -1
; %bb.18939:
	s_or_b64 exec, exec, s[8:9]
	s_and_b64 s[4:5], s[4:5], exec
	s_or_saveexec_b64 s[6:7], s[6:7]
	v_mov_b32_e32 v2, s10
	s_xor_b64 exec, exec, s[6:7]
	s_cbranch_execnz .LBB2_18940
; %bb.54777:
	s_getpc_b64 s[14:15]
.Lpost_getpc30972:
	s_add_u32 s14, s14, (.LBB2_4602-.Lpost_getpc30972)&4294967295
	s_addc_u32 s15, s15, (.LBB2_4602-.Lpost_getpc30972)>>32
	s_setpc_b64 s[14:15]
.LBB2_18940:
	v_mov_b32_e32 v2, 0
	v_cmp_ne_u16_sdwa s[8:9], v9, v2 src0_sel:BYTE_3 src1_sel:DWORD
	s_andn2_b64 s[4:5], s[4:5], exec
	s_and_b64 s[8:9], s[8:9], exec
	s_or_b64 s[4:5], s[4:5], s[8:9]
	s_or_b64 exec, exec, s[6:7]
	s_and_saveexec_b64 s[6:7], s[4:5]
	s_cbranch_execz .LBB2_30973
; %bb.54779:
	s_getpc_b64 s[14:15]
.Lpost_getpc30973:
	s_add_u32 s14, s14, (.LBB2_4603-.Lpost_getpc30973)&4294967295
	s_addc_u32 s15, s15, (.LBB2_4603-.Lpost_getpc30973)>>32
	s_setpc_b64 s[14:15]
.LBB2_30973:
	s_getpc_b64 s[14:15]
.Lpost_getpc19070:
	s_add_u32 s14, s14, (.LBB2_4604-.Lpost_getpc19070)&4294967295
	s_addc_u32 s15, s15, (.LBB2_4604-.Lpost_getpc19070)>>32
	s_setpc_b64 s[14:15]
.LBB2_18941:
	s_movk_i32 s4, 0x80
	v_cmp_eq_u16_sdwa s[12:13], v5, s4 src0_sel:BYTE_3 src1_sel:DWORD
	s_mov_b64 s[4:5], -1
                                        ; implicit-def: $sgpr10
	s_and_saveexec_b64 s[8:9], s[12:13]
; %bb.18942:
	s_mov_b32 s10, 0x7f800001
	s_xor_b64 s[4:5], exec, -1
; %bb.18943:
	s_or_b64 exec, exec, s[8:9]
	s_and_b64 s[4:5], s[4:5], exec
	s_or_saveexec_b64 s[6:7], s[6:7]
	v_mov_b32_e32 v3, s10
	s_xor_b64 exec, exec, s[6:7]
	s_cbranch_execnz .LBB2_18944
; %bb.54781:
	s_getpc_b64 s[14:15]
.Lpost_getpc30974:
	s_add_u32 s14, s14, (.LBB2_4606-.Lpost_getpc30974)&4294967295
	s_addc_u32 s15, s15, (.LBB2_4606-.Lpost_getpc30974)>>32
	s_setpc_b64 s[14:15]
.LBB2_18944:
	v_mov_b32_e32 v3, 0
	v_cmp_ne_u16_sdwa s[8:9], v5, v3 src0_sel:BYTE_3 src1_sel:DWORD
	s_andn2_b64 s[4:5], s[4:5], exec
	s_and_b64 s[8:9], s[8:9], exec
	s_or_b64 s[4:5], s[4:5], s[8:9]
	s_or_b64 exec, exec, s[6:7]
	s_and_saveexec_b64 s[6:7], s[4:5]
	s_cbranch_execz .LBB2_30975
; %bb.54783:
	s_getpc_b64 s[14:15]
.Lpost_getpc30975:
	s_add_u32 s14, s14, (.LBB2_4607-.Lpost_getpc30975)&4294967295
	s_addc_u32 s15, s15, (.LBB2_4607-.Lpost_getpc30975)>>32
	s_setpc_b64 s[14:15]
.LBB2_30975:
	s_getpc_b64 s[14:15]
.Lpost_getpc19071:
	s_add_u32 s14, s14, (.LBB2_4608-.Lpost_getpc19071)&4294967295
	s_addc_u32 s15, s15, (.LBB2_4608-.Lpost_getpc19071)>>32
	s_setpc_b64 s[14:15]
.LBB2_18945:
	s_movk_i32 s4, 0x80
	v_cmp_eq_u16_sdwa s[12:13], v6, s4 src0_sel:BYTE_0 src1_sel:DWORD
	s_mov_b64 s[4:5], -1
                                        ; implicit-def: $sgpr10
	s_and_saveexec_b64 s[8:9], s[12:13]
; %bb.18946:
	s_mov_b32 s10, 0x7f800001
	s_xor_b64 s[4:5], exec, -1
; %bb.18947:
	s_or_b64 exec, exec, s[8:9]
	s_and_b64 s[4:5], s[4:5], exec
	s_or_saveexec_b64 s[6:7], s[6:7]
	v_mov_b32_e32 v12, s10
	s_xor_b64 exec, exec, s[6:7]
	s_cbranch_execnz .LBB2_18948
; %bb.54785:
	s_getpc_b64 s[14:15]
.Lpost_getpc30976:
	s_add_u32 s14, s14, (.LBB2_4610-.Lpost_getpc30976)&4294967295
	s_addc_u32 s15, s15, (.LBB2_4610-.Lpost_getpc30976)>>32
	s_setpc_b64 s[14:15]
.LBB2_18948:
	v_mov_b32_e32 v12, 0
	v_cmp_ne_u16_sdwa s[8:9], v6, v12 src0_sel:BYTE_0 src1_sel:DWORD
	s_andn2_b64 s[4:5], s[4:5], exec
	s_and_b64 s[8:9], s[8:9], exec
	s_or_b64 s[4:5], s[4:5], s[8:9]
	s_or_b64 exec, exec, s[6:7]
	s_and_saveexec_b64 s[6:7], s[4:5]
	s_cbranch_execz .LBB2_30977
; %bb.54787:
	s_getpc_b64 s[14:15]
.Lpost_getpc30977:
	s_add_u32 s14, s14, (.LBB2_4611-.Lpost_getpc30977)&4294967295
	s_addc_u32 s15, s15, (.LBB2_4611-.Lpost_getpc30977)>>32
	s_setpc_b64 s[14:15]
.LBB2_30977:
	s_getpc_b64 s[14:15]
.Lpost_getpc19072:
	s_add_u32 s14, s14, (.LBB2_4612-.Lpost_getpc19072)&4294967295
	s_addc_u32 s15, s15, (.LBB2_4612-.Lpost_getpc19072)>>32
	s_setpc_b64 s[14:15]
.LBB2_18949:
	s_movk_i32 s4, 0x80
	v_cmp_eq_u16_sdwa s[12:13], v2, s4 src0_sel:BYTE_0 src1_sel:DWORD
	s_mov_b64 s[4:5], -1
                                        ; implicit-def: $sgpr10
	s_and_saveexec_b64 s[8:9], s[12:13]
; %bb.18950:
	s_mov_b32 s10, 0x7f800001
	s_xor_b64 s[4:5], exec, -1
; %bb.18951:
	s_or_b64 exec, exec, s[8:9]
	s_and_b64 s[4:5], s[4:5], exec
	s_or_saveexec_b64 s[6:7], s[6:7]
	v_mov_b32_e32 v13, s10
	s_xor_b64 exec, exec, s[6:7]
	s_cbranch_execnz .LBB2_18952
; %bb.54789:
	s_getpc_b64 s[14:15]
.Lpost_getpc30978:
	s_add_u32 s14, s14, (.LBB2_4614-.Lpost_getpc30978)&4294967295
	s_addc_u32 s15, s15, (.LBB2_4614-.Lpost_getpc30978)>>32
	s_setpc_b64 s[14:15]
.LBB2_18952:
	v_mov_b32_e32 v13, 0
	v_cmp_ne_u16_sdwa s[8:9], v2, v13 src0_sel:BYTE_0 src1_sel:DWORD
	s_andn2_b64 s[4:5], s[4:5], exec
	s_and_b64 s[8:9], s[8:9], exec
	s_or_b64 s[4:5], s[4:5], s[8:9]
	s_or_b64 exec, exec, s[6:7]
	s_and_saveexec_b64 s[6:7], s[4:5]
	s_cbranch_execz .LBB2_30979
; %bb.54791:
	s_getpc_b64 s[14:15]
.Lpost_getpc30979:
	s_add_u32 s14, s14, (.LBB2_4615-.Lpost_getpc30979)&4294967295
	s_addc_u32 s15, s15, (.LBB2_4615-.Lpost_getpc30979)>>32
	s_setpc_b64 s[14:15]
.LBB2_30979:
	s_getpc_b64 s[14:15]
.Lpost_getpc19073:
	s_add_u32 s14, s14, (.LBB2_4616-.Lpost_getpc19073)&4294967295
	s_addc_u32 s15, s15, (.LBB2_4616-.Lpost_getpc19073)>>32
	s_setpc_b64 s[14:15]
.LBB2_18953:
	s_movk_i32 s4, 0x80
	v_cmp_eq_u16_sdwa s[12:13], v13, s4 src0_sel:BYTE_0 src1_sel:DWORD
	s_mov_b64 s[4:5], -1
                                        ; implicit-def: $sgpr10
	s_and_saveexec_b64 s[8:9], s[12:13]
; %bb.18954:
	s_mov_b32 s10, 0x7f800001
	s_xor_b64 s[4:5], exec, -1
; %bb.18955:
	s_or_b64 exec, exec, s[8:9]
	s_and_b64 s[4:5], s[4:5], exec
	s_or_saveexec_b64 s[6:7], s[6:7]
	v_mov_b32_e32 v12, s10
	s_xor_b64 exec, exec, s[6:7]
	s_cbranch_execnz .LBB2_18956
; %bb.54793:
	s_getpc_b64 s[14:15]
.Lpost_getpc30980:
	s_add_u32 s14, s14, (.LBB2_4618-.Lpost_getpc30980)&4294967295
	s_addc_u32 s15, s15, (.LBB2_4618-.Lpost_getpc30980)>>32
	s_setpc_b64 s[14:15]
.LBB2_18956:
	v_mov_b32_e32 v12, 0
	v_cmp_ne_u16_sdwa s[8:9], v13, v12 src0_sel:BYTE_0 src1_sel:DWORD
	s_andn2_b64 s[4:5], s[4:5], exec
	s_and_b64 s[8:9], s[8:9], exec
	s_or_b64 s[4:5], s[4:5], s[8:9]
	s_or_b64 exec, exec, s[6:7]
	s_and_saveexec_b64 s[6:7], s[4:5]
	s_cbranch_execz .LBB2_30981
; %bb.54795:
	s_getpc_b64 s[14:15]
.Lpost_getpc30981:
	s_add_u32 s14, s14, (.LBB2_4619-.Lpost_getpc30981)&4294967295
	s_addc_u32 s15, s15, (.LBB2_4619-.Lpost_getpc30981)>>32
	s_setpc_b64 s[14:15]
.LBB2_30981:
	s_getpc_b64 s[14:15]
.Lpost_getpc19074:
	s_add_u32 s14, s14, (.LBB2_4620-.Lpost_getpc19074)&4294967295
	s_addc_u32 s15, s15, (.LBB2_4620-.Lpost_getpc19074)>>32
	s_setpc_b64 s[14:15]
.LBB2_18957:
	s_movk_i32 s4, 0x80
	v_cmp_eq_u16_sdwa s[12:13], v13, s4 src0_sel:BYTE_0 src1_sel:DWORD
	s_mov_b64 s[4:5], -1
                                        ; implicit-def: $sgpr10
	s_and_saveexec_b64 s[8:9], s[12:13]
; %bb.18958:
	s_mov_b32 s10, 0x7f800001
	s_xor_b64 s[4:5], exec, -1
; %bb.18959:
	s_or_b64 exec, exec, s[8:9]
	s_and_b64 s[4:5], s[4:5], exec
	s_or_saveexec_b64 s[6:7], s[6:7]
	v_mov_b32_e32 v14, s10
	s_xor_b64 exec, exec, s[6:7]
	s_cbranch_execnz .LBB2_18960
; %bb.54797:
	s_getpc_b64 s[14:15]
.Lpost_getpc30982:
	s_add_u32 s14, s14, (.LBB2_4622-.Lpost_getpc30982)&4294967295
	s_addc_u32 s15, s15, (.LBB2_4622-.Lpost_getpc30982)>>32
	s_setpc_b64 s[14:15]
.LBB2_18960:
	v_mov_b32_e32 v14, 0
	v_cmp_ne_u16_sdwa s[8:9], v13, v14 src0_sel:BYTE_0 src1_sel:DWORD
	s_andn2_b64 s[4:5], s[4:5], exec
	s_and_b64 s[8:9], s[8:9], exec
	s_or_b64 s[4:5], s[4:5], s[8:9]
	s_or_b64 exec, exec, s[6:7]
	s_and_saveexec_b64 s[6:7], s[4:5]
	s_cbranch_execz .LBB2_30983
; %bb.54799:
	s_getpc_b64 s[14:15]
.Lpost_getpc30983:
	s_add_u32 s14, s14, (.LBB2_4623-.Lpost_getpc30983)&4294967295
	s_addc_u32 s15, s15, (.LBB2_4623-.Lpost_getpc30983)>>32
	s_setpc_b64 s[14:15]
.LBB2_30983:
	s_getpc_b64 s[14:15]
.Lpost_getpc19075:
	s_add_u32 s14, s14, (.LBB2_4624-.Lpost_getpc19075)&4294967295
	s_addc_u32 s15, s15, (.LBB2_4624-.Lpost_getpc19075)>>32
	s_setpc_b64 s[14:15]
.LBB2_18961:
	s_movk_i32 s4, 0x80
	v_cmp_eq_u16_e32 vcc, s4, v13
	s_mov_b64 s[4:5], -1
                                        ; implicit-def: $sgpr10
	s_and_saveexec_b64 s[8:9], vcc
; %bb.18962:
	s_mov_b32 s10, 0x7f800001
	s_xor_b64 s[4:5], exec, -1
; %bb.18963:
	s_or_b64 exec, exec, s[8:9]
	s_and_b64 s[4:5], s[4:5], exec
                                        ; implicit-def: $vgpr13
	s_or_saveexec_b64 s[6:7], s[6:7]
	v_mov_b32_e32 v12, s10
	s_xor_b64 exec, exec, s[6:7]
	s_cbranch_execnz .LBB2_18964
; %bb.54801:
	s_getpc_b64 s[14:15]
.Lpost_getpc30984:
	s_add_u32 s14, s14, (.LBB2_4626-.Lpost_getpc30984)&4294967295
	s_addc_u32 s15, s15, (.LBB2_4626-.Lpost_getpc30984)>>32
	s_setpc_b64 s[14:15]
.LBB2_18964:
	v_cmp_ne_u16_e32 vcc, 0, v13
	s_andn2_b64 s[4:5], s[4:5], exec
	s_and_b64 s[8:9], vcc, exec
	v_mov_b32_e32 v12, 0
	s_or_b64 s[4:5], s[4:5], s[8:9]
	s_or_b64 exec, exec, s[6:7]
	s_and_saveexec_b64 s[6:7], s[4:5]
	s_cbranch_execz .LBB2_30985
; %bb.54803:
	s_getpc_b64 s[14:15]
.Lpost_getpc30985:
	s_add_u32 s14, s14, (.LBB2_4627-.Lpost_getpc30985)&4294967295
	s_addc_u32 s15, s15, (.LBB2_4627-.Lpost_getpc30985)>>32
	s_setpc_b64 s[14:15]
.LBB2_30985:
	s_getpc_b64 s[14:15]
.Lpost_getpc19076:
	s_add_u32 s14, s14, (.LBB2_4628-.Lpost_getpc19076)&4294967295
	s_addc_u32 s15, s15, (.LBB2_4628-.Lpost_getpc19076)>>32
	s_setpc_b64 s[14:15]
.LBB2_18965:
	s_movk_i32 s4, 0x80
	v_cmp_eq_u16_e32 vcc, s4, v13
	s_mov_b64 s[4:5], -1
                                        ; implicit-def: $sgpr10
	s_and_saveexec_b64 s[8:9], vcc
; %bb.18966:
	s_mov_b32 s10, 0x7f800001
	s_xor_b64 s[4:5], exec, -1
; %bb.18967:
	s_or_b64 exec, exec, s[8:9]
	s_and_b64 s[4:5], s[4:5], exec
                                        ; implicit-def: $vgpr13
	s_or_saveexec_b64 s[6:7], s[6:7]
	v_mov_b32_e32 v14, s10
	s_xor_b64 exec, exec, s[6:7]
	s_cbranch_execnz .LBB2_18968
; %bb.54805:
	s_getpc_b64 s[14:15]
.Lpost_getpc30986:
	s_add_u32 s14, s14, (.LBB2_4630-.Lpost_getpc30986)&4294967295
	s_addc_u32 s15, s15, (.LBB2_4630-.Lpost_getpc30986)>>32
	s_setpc_b64 s[14:15]
.LBB2_18968:
	v_cmp_ne_u16_e32 vcc, 0, v13
	s_andn2_b64 s[4:5], s[4:5], exec
	s_and_b64 s[8:9], vcc, exec
	v_mov_b32_e32 v14, 0
	s_or_b64 s[4:5], s[4:5], s[8:9]
	s_or_b64 exec, exec, s[6:7]
	s_and_saveexec_b64 s[6:7], s[4:5]
	s_cbranch_execz .LBB2_30987
; %bb.54807:
	s_getpc_b64 s[14:15]
.Lpost_getpc30987:
	s_add_u32 s14, s14, (.LBB2_4631-.Lpost_getpc30987)&4294967295
	s_addc_u32 s15, s15, (.LBB2_4631-.Lpost_getpc30987)>>32
	s_setpc_b64 s[14:15]
.LBB2_30987:
	s_getpc_b64 s[14:15]
.Lpost_getpc19077:
	s_add_u32 s14, s14, (.LBB2_4632-.Lpost_getpc19077)&4294967295
	s_addc_u32 s15, s15, (.LBB2_4632-.Lpost_getpc19077)>>32
	s_setpc_b64 s[14:15]
.LBB2_18969:
	s_movk_i32 s4, 0x80
	v_cmp_eq_u16_sdwa s[12:13], v6, s4 src0_sel:BYTE_3 src1_sel:DWORD
	s_mov_b64 s[4:5], -1
                                        ; implicit-def: $sgpr10
	s_and_saveexec_b64 s[8:9], s[12:13]
; %bb.18970:
	s_mov_b32 s10, 0x7f800001
	s_xor_b64 s[4:5], exec, -1
; %bb.18971:
	s_or_b64 exec, exec, s[8:9]
	s_and_b64 s[4:5], s[4:5], exec
	s_or_saveexec_b64 s[6:7], s[6:7]
	v_mov_b32_e32 v12, s10
	s_xor_b64 exec, exec, s[6:7]
	s_cbranch_execnz .LBB2_18972
; %bb.54809:
	s_getpc_b64 s[14:15]
.Lpost_getpc30988:
	s_add_u32 s14, s14, (.LBB2_4634-.Lpost_getpc30988)&4294967295
	s_addc_u32 s15, s15, (.LBB2_4634-.Lpost_getpc30988)>>32
	s_setpc_b64 s[14:15]
.LBB2_18972:
	v_mov_b32_e32 v12, 0
	v_cmp_ne_u16_sdwa s[8:9], v6, v12 src0_sel:BYTE_3 src1_sel:DWORD
	s_andn2_b64 s[4:5], s[4:5], exec
	s_and_b64 s[8:9], s[8:9], exec
	s_or_b64 s[4:5], s[4:5], s[8:9]
	s_or_b64 exec, exec, s[6:7]
	s_and_saveexec_b64 s[6:7], s[4:5]
	s_cbranch_execz .LBB2_30989
; %bb.54811:
	s_getpc_b64 s[14:15]
.Lpost_getpc30989:
	s_add_u32 s14, s14, (.LBB2_4635-.Lpost_getpc30989)&4294967295
	s_addc_u32 s15, s15, (.LBB2_4635-.Lpost_getpc30989)>>32
	s_setpc_b64 s[14:15]
.LBB2_30989:
	s_getpc_b64 s[14:15]
.Lpost_getpc19078:
	s_add_u32 s14, s14, (.LBB2_4636-.Lpost_getpc19078)&4294967295
	s_addc_u32 s15, s15, (.LBB2_4636-.Lpost_getpc19078)>>32
	s_setpc_b64 s[14:15]
.LBB2_18973:
	s_movk_i32 s4, 0x80
	v_cmp_eq_u16_sdwa s[12:13], v2, s4 src0_sel:BYTE_3 src1_sel:DWORD
	s_mov_b64 s[4:5], -1
                                        ; implicit-def: $sgpr10
	s_and_saveexec_b64 s[8:9], s[12:13]
; %bb.18974:
	s_mov_b32 s10, 0x7f800001
	s_xor_b64 s[4:5], exec, -1
; %bb.18975:
	s_or_b64 exec, exec, s[8:9]
	s_and_b64 s[4:5], s[4:5], exec
	s_or_saveexec_b64 s[6:7], s[6:7]
	v_mov_b32_e32 v6, s10
	s_xor_b64 exec, exec, s[6:7]
	s_cbranch_execnz .LBB2_18976
; %bb.54813:
	s_getpc_b64 s[14:15]
.Lpost_getpc30990:
	s_add_u32 s14, s14, (.LBB2_4638-.Lpost_getpc30990)&4294967295
	s_addc_u32 s15, s15, (.LBB2_4638-.Lpost_getpc30990)>>32
	s_setpc_b64 s[14:15]
.LBB2_18976:
	v_mov_b32_e32 v6, 0
	v_cmp_ne_u16_sdwa s[8:9], v2, v6 src0_sel:BYTE_3 src1_sel:DWORD
	s_andn2_b64 s[4:5], s[4:5], exec
	s_and_b64 s[8:9], s[8:9], exec
	s_or_b64 s[4:5], s[4:5], s[8:9]
	s_or_b64 exec, exec, s[6:7]
	s_and_saveexec_b64 s[6:7], s[4:5]
	s_cbranch_execz .LBB2_30991
; %bb.54815:
	s_getpc_b64 s[14:15]
.Lpost_getpc30991:
	s_add_u32 s14, s14, (.LBB2_4639-.Lpost_getpc30991)&4294967295
	s_addc_u32 s15, s15, (.LBB2_4639-.Lpost_getpc30991)>>32
	s_setpc_b64 s[14:15]
.LBB2_30991:
	s_getpc_b64 s[14:15]
.Lpost_getpc19079:
	s_add_u32 s14, s14, (.LBB2_4640-.Lpost_getpc19079)&4294967295
	s_addc_u32 s15, s15, (.LBB2_4640-.Lpost_getpc19079)>>32
	s_setpc_b64 s[14:15]
.LBB2_18977:
	s_movk_i32 s4, 0x80
	v_cmp_eq_u16_sdwa s[12:13], v7, s4 src0_sel:BYTE_0 src1_sel:DWORD
	s_mov_b64 s[4:5], -1
                                        ; implicit-def: $sgpr10
	s_and_saveexec_b64 s[8:9], s[12:13]
; %bb.18978:
	s_mov_b32 s10, 0x7f800001
	s_xor_b64 s[4:5], exec, -1
; %bb.18979:
	s_or_b64 exec, exec, s[8:9]
	s_and_b64 s[4:5], s[4:5], exec
	s_or_saveexec_b64 s[6:7], s[6:7]
	v_mov_b32_e32 v2, s10
	s_xor_b64 exec, exec, s[6:7]
	s_cbranch_execnz .LBB2_18980
; %bb.54817:
	s_getpc_b64 s[14:15]
.Lpost_getpc30992:
	s_add_u32 s14, s14, (.LBB2_4642-.Lpost_getpc30992)&4294967295
	s_addc_u32 s15, s15, (.LBB2_4642-.Lpost_getpc30992)>>32
	s_setpc_b64 s[14:15]
.LBB2_18980:
	v_mov_b32_e32 v2, 0
	v_cmp_ne_u16_sdwa s[8:9], v7, v2 src0_sel:BYTE_0 src1_sel:DWORD
	s_andn2_b64 s[4:5], s[4:5], exec
	s_and_b64 s[8:9], s[8:9], exec
	s_or_b64 s[4:5], s[4:5], s[8:9]
	s_or_b64 exec, exec, s[6:7]
	s_and_saveexec_b64 s[6:7], s[4:5]
	s_cbranch_execz .LBB2_30993
; %bb.54819:
	s_getpc_b64 s[14:15]
.Lpost_getpc30993:
	s_add_u32 s14, s14, (.LBB2_4643-.Lpost_getpc30993)&4294967295
	s_addc_u32 s15, s15, (.LBB2_4643-.Lpost_getpc30993)>>32
	s_setpc_b64 s[14:15]
.LBB2_30993:
	s_getpc_b64 s[14:15]
.Lpost_getpc19080:
	s_add_u32 s14, s14, (.LBB2_4644-.Lpost_getpc19080)&4294967295
	s_addc_u32 s15, s15, (.LBB2_4644-.Lpost_getpc19080)>>32
	s_setpc_b64 s[14:15]
.LBB2_18981:
	s_movk_i32 s4, 0x80
	v_cmp_eq_u16_sdwa s[12:13], v3, s4 src0_sel:BYTE_0 src1_sel:DWORD
	s_mov_b64 s[4:5], -1
                                        ; implicit-def: $sgpr10
	s_and_saveexec_b64 s[8:9], s[12:13]
; %bb.18982:
	s_mov_b32 s10, 0x7f800001
	s_xor_b64 s[4:5], exec, -1
; %bb.18983:
	s_or_b64 exec, exec, s[8:9]
	s_and_b64 s[4:5], s[4:5], exec
	s_or_saveexec_b64 s[6:7], s[6:7]
	v_mov_b32_e32 v6, s10
	s_xor_b64 exec, exec, s[6:7]
	s_cbranch_execnz .LBB2_18984
; %bb.54821:
	s_getpc_b64 s[14:15]
.Lpost_getpc30994:
	s_add_u32 s14, s14, (.LBB2_4646-.Lpost_getpc30994)&4294967295
	s_addc_u32 s15, s15, (.LBB2_4646-.Lpost_getpc30994)>>32
	s_setpc_b64 s[14:15]
.LBB2_18984:
	v_mov_b32_e32 v6, 0
	v_cmp_ne_u16_sdwa s[8:9], v3, v6 src0_sel:BYTE_0 src1_sel:DWORD
	s_andn2_b64 s[4:5], s[4:5], exec
	s_and_b64 s[8:9], s[8:9], exec
	s_or_b64 s[4:5], s[4:5], s[8:9]
	s_or_b64 exec, exec, s[6:7]
	s_and_saveexec_b64 s[6:7], s[4:5]
	s_cbranch_execz .LBB2_30995
; %bb.54823:
	s_getpc_b64 s[14:15]
.Lpost_getpc30995:
	s_add_u32 s14, s14, (.LBB2_4647-.Lpost_getpc30995)&4294967295
	s_addc_u32 s15, s15, (.LBB2_4647-.Lpost_getpc30995)>>32
	s_setpc_b64 s[14:15]
.LBB2_30995:
	s_getpc_b64 s[14:15]
.Lpost_getpc19081:
	s_add_u32 s14, s14, (.LBB2_4648-.Lpost_getpc19081)&4294967295
	s_addc_u32 s15, s15, (.LBB2_4648-.Lpost_getpc19081)>>32
	s_setpc_b64 s[14:15]
.LBB2_18985:
	s_movk_i32 s4, 0x80
	v_cmp_eq_u16_sdwa s[12:13], v6, s4 src0_sel:BYTE_0 src1_sel:DWORD
	s_mov_b64 s[4:5], -1
                                        ; implicit-def: $sgpr10
	s_and_saveexec_b64 s[8:9], s[12:13]
; %bb.18986:
	s_mov_b32 s10, 0x7f800001
	s_xor_b64 s[4:5], exec, -1
; %bb.18987:
	s_or_b64 exec, exec, s[8:9]
	s_and_b64 s[4:5], s[4:5], exec
	s_or_saveexec_b64 s[6:7], s[6:7]
	v_mov_b32_e32 v2, s10
	s_xor_b64 exec, exec, s[6:7]
	s_cbranch_execnz .LBB2_18988
; %bb.54825:
	s_getpc_b64 s[14:15]
.Lpost_getpc30996:
	s_add_u32 s14, s14, (.LBB2_4650-.Lpost_getpc30996)&4294967295
	s_addc_u32 s15, s15, (.LBB2_4650-.Lpost_getpc30996)>>32
	s_setpc_b64 s[14:15]
.LBB2_18988:
	v_mov_b32_e32 v2, 0
	v_cmp_ne_u16_sdwa s[8:9], v6, v2 src0_sel:BYTE_0 src1_sel:DWORD
	s_andn2_b64 s[4:5], s[4:5], exec
	s_and_b64 s[8:9], s[8:9], exec
	s_or_b64 s[4:5], s[4:5], s[8:9]
	s_or_b64 exec, exec, s[6:7]
	s_and_saveexec_b64 s[6:7], s[4:5]
	s_cbranch_execz .LBB2_30997
; %bb.54827:
	s_getpc_b64 s[14:15]
.Lpost_getpc30997:
	s_add_u32 s14, s14, (.LBB2_4651-.Lpost_getpc30997)&4294967295
	s_addc_u32 s15, s15, (.LBB2_4651-.Lpost_getpc30997)>>32
	s_setpc_b64 s[14:15]
.LBB2_30997:
	s_getpc_b64 s[14:15]
.Lpost_getpc19082:
	s_add_u32 s14, s14, (.LBB2_4652-.Lpost_getpc19082)&4294967295
	s_addc_u32 s15, s15, (.LBB2_4652-.Lpost_getpc19082)>>32
	s_setpc_b64 s[14:15]
.LBB2_18989:
	s_movk_i32 s4, 0x80
	v_cmp_eq_u16_sdwa s[12:13], v6, s4 src0_sel:BYTE_0 src1_sel:DWORD
	s_mov_b64 s[4:5], -1
                                        ; implicit-def: $sgpr10
	s_and_saveexec_b64 s[8:9], s[12:13]
; %bb.18990:
	s_mov_b32 s10, 0x7f800001
	s_xor_b64 s[4:5], exec, -1
; %bb.18991:
	s_or_b64 exec, exec, s[8:9]
	s_and_b64 s[4:5], s[4:5], exec
	s_or_saveexec_b64 s[6:7], s[6:7]
	v_mov_b32_e32 v12, s10
	s_xor_b64 exec, exec, s[6:7]
	s_cbranch_execnz .LBB2_18992
; %bb.54829:
	s_getpc_b64 s[14:15]
.Lpost_getpc30998:
	s_add_u32 s14, s14, (.LBB2_4654-.Lpost_getpc30998)&4294967295
	s_addc_u32 s15, s15, (.LBB2_4654-.Lpost_getpc30998)>>32
	s_setpc_b64 s[14:15]
.LBB2_18992:
	v_mov_b32_e32 v12, 0
	v_cmp_ne_u16_sdwa s[8:9], v6, v12 src0_sel:BYTE_0 src1_sel:DWORD
	s_andn2_b64 s[4:5], s[4:5], exec
	s_and_b64 s[8:9], s[8:9], exec
	s_or_b64 s[4:5], s[4:5], s[8:9]
	s_or_b64 exec, exec, s[6:7]
	s_and_saveexec_b64 s[6:7], s[4:5]
	s_cbranch_execz .LBB2_30999
; %bb.54831:
	s_getpc_b64 s[14:15]
.Lpost_getpc30999:
	s_add_u32 s14, s14, (.LBB2_4655-.Lpost_getpc30999)&4294967295
	s_addc_u32 s15, s15, (.LBB2_4655-.Lpost_getpc30999)>>32
	s_setpc_b64 s[14:15]
.LBB2_30999:
	s_getpc_b64 s[14:15]
.Lpost_getpc19083:
	s_add_u32 s14, s14, (.LBB2_4656-.Lpost_getpc19083)&4294967295
	s_addc_u32 s15, s15, (.LBB2_4656-.Lpost_getpc19083)>>32
	s_setpc_b64 s[14:15]
.LBB2_18993:
	s_movk_i32 s4, 0x80
	v_cmp_eq_u16_e32 vcc, s4, v6
	s_mov_b64 s[4:5], -1
                                        ; implicit-def: $sgpr10
	s_and_saveexec_b64 s[8:9], vcc
; %bb.18994:
	s_mov_b32 s10, 0x7f800001
	s_xor_b64 s[4:5], exec, -1
; %bb.18995:
	s_or_b64 exec, exec, s[8:9]
	s_and_b64 s[4:5], s[4:5], exec
                                        ; implicit-def: $vgpr6
	s_or_saveexec_b64 s[6:7], s[6:7]
	v_mov_b32_e32 v2, s10
	s_xor_b64 exec, exec, s[6:7]
	s_cbranch_execnz .LBB2_18996
; %bb.54833:
	s_getpc_b64 s[14:15]
.Lpost_getpc31000:
	s_add_u32 s14, s14, (.LBB2_4658-.Lpost_getpc31000)&4294967295
	s_addc_u32 s15, s15, (.LBB2_4658-.Lpost_getpc31000)>>32
	s_setpc_b64 s[14:15]
.LBB2_18996:
	v_cmp_ne_u16_e32 vcc, 0, v6
	s_andn2_b64 s[4:5], s[4:5], exec
	s_and_b64 s[8:9], vcc, exec
	v_mov_b32_e32 v2, 0
	s_or_b64 s[4:5], s[4:5], s[8:9]
	s_or_b64 exec, exec, s[6:7]
	s_and_saveexec_b64 s[6:7], s[4:5]
	s_cbranch_execz .LBB2_31001
; %bb.54835:
	s_getpc_b64 s[14:15]
.Lpost_getpc31001:
	s_add_u32 s14, s14, (.LBB2_4659-.Lpost_getpc31001)&4294967295
	s_addc_u32 s15, s15, (.LBB2_4659-.Lpost_getpc31001)>>32
	s_setpc_b64 s[14:15]
.LBB2_31001:
	s_getpc_b64 s[14:15]
.Lpost_getpc19084:
	s_add_u32 s14, s14, (.LBB2_4660-.Lpost_getpc19084)&4294967295
	s_addc_u32 s15, s15, (.LBB2_4660-.Lpost_getpc19084)>>32
	s_setpc_b64 s[14:15]
.LBB2_18997:
	s_movk_i32 s4, 0x80
	v_cmp_eq_u16_e32 vcc, s4, v6
	s_mov_b64 s[4:5], -1
                                        ; implicit-def: $sgpr10
	s_and_saveexec_b64 s[8:9], vcc
; %bb.18998:
	s_mov_b32 s10, 0x7f800001
	s_xor_b64 s[4:5], exec, -1
; %bb.18999:
	s_or_b64 exec, exec, s[8:9]
	s_and_b64 s[4:5], s[4:5], exec
                                        ; implicit-def: $vgpr6
	s_or_saveexec_b64 s[6:7], s[6:7]
	v_mov_b32_e32 v12, s10
	s_xor_b64 exec, exec, s[6:7]
	s_cbranch_execnz .LBB2_19000
; %bb.54837:
	s_getpc_b64 s[14:15]
.Lpost_getpc31002:
	s_add_u32 s14, s14, (.LBB2_4662-.Lpost_getpc31002)&4294967295
	s_addc_u32 s15, s15, (.LBB2_4662-.Lpost_getpc31002)>>32
	s_setpc_b64 s[14:15]
.LBB2_19000:
	v_cmp_ne_u16_e32 vcc, 0, v6
	s_andn2_b64 s[4:5], s[4:5], exec
	s_and_b64 s[8:9], vcc, exec
	v_mov_b32_e32 v12, 0
	s_or_b64 s[4:5], s[4:5], s[8:9]
	s_or_b64 exec, exec, s[6:7]
	s_and_saveexec_b64 s[6:7], s[4:5]
	s_cbranch_execz .LBB2_31003
; %bb.54839:
	s_getpc_b64 s[14:15]
.Lpost_getpc31003:
	s_add_u32 s14, s14, (.LBB2_4663-.Lpost_getpc31003)&4294967295
	s_addc_u32 s15, s15, (.LBB2_4663-.Lpost_getpc31003)>>32
	s_setpc_b64 s[14:15]
.LBB2_31003:
	s_getpc_b64 s[14:15]
.Lpost_getpc19085:
	s_add_u32 s14, s14, (.LBB2_4664-.Lpost_getpc19085)&4294967295
	s_addc_u32 s15, s15, (.LBB2_4664-.Lpost_getpc19085)>>32
	s_setpc_b64 s[14:15]
.LBB2_19001:
	s_movk_i32 s4, 0x80
	v_cmp_eq_u16_sdwa s[12:13], v7, s4 src0_sel:BYTE_3 src1_sel:DWORD
	s_mov_b64 s[4:5], -1
                                        ; implicit-def: $sgpr10
	s_and_saveexec_b64 s[8:9], s[12:13]
; %bb.19002:
	s_mov_b32 s10, 0x7f800001
	s_xor_b64 s[4:5], exec, -1
; %bb.19003:
	s_or_b64 exec, exec, s[8:9]
	s_and_b64 s[4:5], s[4:5], exec
	s_or_saveexec_b64 s[6:7], s[6:7]
	v_mov_b32_e32 v2, s10
	s_xor_b64 exec, exec, s[6:7]
	s_cbranch_execnz .LBB2_19004
; %bb.54841:
	s_getpc_b64 s[14:15]
.Lpost_getpc31004:
	s_add_u32 s14, s14, (.LBB2_4666-.Lpost_getpc31004)&4294967295
	s_addc_u32 s15, s15, (.LBB2_4666-.Lpost_getpc31004)>>32
	s_setpc_b64 s[14:15]
.LBB2_19004:
	v_mov_b32_e32 v2, 0
	v_cmp_ne_u16_sdwa s[8:9], v7, v2 src0_sel:BYTE_3 src1_sel:DWORD
	s_andn2_b64 s[4:5], s[4:5], exec
	s_and_b64 s[8:9], s[8:9], exec
	s_or_b64 s[4:5], s[4:5], s[8:9]
	s_or_b64 exec, exec, s[6:7]
	s_and_saveexec_b64 s[6:7], s[4:5]
	s_cbranch_execz .LBB2_31005
; %bb.54843:
	s_getpc_b64 s[14:15]
.Lpost_getpc31005:
	s_add_u32 s14, s14, (.LBB2_4667-.Lpost_getpc31005)&4294967295
	s_addc_u32 s15, s15, (.LBB2_4667-.Lpost_getpc31005)>>32
	s_setpc_b64 s[14:15]
.LBB2_31005:
	s_getpc_b64 s[14:15]
.Lpost_getpc19086:
	s_add_u32 s14, s14, (.LBB2_4668-.Lpost_getpc19086)&4294967295
	s_addc_u32 s15, s15, (.LBB2_4668-.Lpost_getpc19086)>>32
	s_setpc_b64 s[14:15]
.LBB2_19005:
	s_movk_i32 s4, 0x80
	v_cmp_eq_u16_sdwa s[12:13], v3, s4 src0_sel:BYTE_3 src1_sel:DWORD
	s_mov_b64 s[4:5], -1
                                        ; implicit-def: $sgpr10
	s_and_saveexec_b64 s[8:9], s[12:13]
; %bb.19006:
	s_mov_b32 s10, 0x7f800001
	s_xor_b64 s[4:5], exec, -1
; %bb.19007:
	s_or_b64 exec, exec, s[8:9]
	s_and_b64 s[4:5], s[4:5], exec
	s_or_saveexec_b64 s[6:7], s[6:7]
	v_mov_b32_e32 v6, s10
	s_xor_b64 exec, exec, s[6:7]
	s_cbranch_execnz .LBB2_19008
; %bb.54845:
	s_getpc_b64 s[14:15]
.Lpost_getpc31006:
	s_add_u32 s14, s14, (.LBB2_4670-.Lpost_getpc31006)&4294967295
	s_addc_u32 s15, s15, (.LBB2_4670-.Lpost_getpc31006)>>32
	s_setpc_b64 s[14:15]
.LBB2_19008:
	v_mov_b32_e32 v6, 0
	v_cmp_ne_u16_sdwa s[8:9], v3, v6 src0_sel:BYTE_3 src1_sel:DWORD
	s_andn2_b64 s[4:5], s[4:5], exec
	s_and_b64 s[8:9], s[8:9], exec
	s_or_b64 s[4:5], s[4:5], s[8:9]
	s_or_b64 exec, exec, s[6:7]
	s_and_saveexec_b64 s[6:7], s[4:5]
	s_cbranch_execz .LBB2_31007
; %bb.54847:
	s_getpc_b64 s[14:15]
.Lpost_getpc31007:
	s_add_u32 s14, s14, (.LBB2_4671-.Lpost_getpc31007)&4294967295
	s_addc_u32 s15, s15, (.LBB2_4671-.Lpost_getpc31007)>>32
	s_setpc_b64 s[14:15]
.LBB2_31007:
	s_getpc_b64 s[14:15]
.Lpost_getpc19087:
	s_add_u32 s14, s14, (.LBB2_4672-.Lpost_getpc19087)&4294967295
	s_addc_u32 s15, s15, (.LBB2_4672-.Lpost_getpc19087)>>32
	s_setpc_b64 s[14:15]
.LBB2_19009:
	s_movk_i32 s4, 0x80
	v_cmp_eq_u16_sdwa s[12:13], v8, s4 src0_sel:BYTE_0 src1_sel:DWORD
	s_mov_b64 s[4:5], -1
                                        ; implicit-def: $sgpr10
	s_and_saveexec_b64 s[8:9], s[12:13]
; %bb.19010:
	s_mov_b32 s10, 0x7f800001
	s_xor_b64 s[4:5], exec, -1
; %bb.19011:
	s_or_b64 exec, exec, s[8:9]
	s_and_b64 s[4:5], s[4:5], exec
	s_or_saveexec_b64 s[6:7], s[6:7]
	v_mov_b32_e32 v2, s10
	s_xor_b64 exec, exec, s[6:7]
	s_cbranch_execnz .LBB2_19012
; %bb.54849:
	s_getpc_b64 s[14:15]
.Lpost_getpc31008:
	s_add_u32 s14, s14, (.LBB2_4674-.Lpost_getpc31008)&4294967295
	s_addc_u32 s15, s15, (.LBB2_4674-.Lpost_getpc31008)>>32
	s_setpc_b64 s[14:15]
.LBB2_19012:
	v_mov_b32_e32 v2, 0
	v_cmp_ne_u16_sdwa s[8:9], v8, v2 src0_sel:BYTE_0 src1_sel:DWORD
	s_andn2_b64 s[4:5], s[4:5], exec
	s_and_b64 s[8:9], s[8:9], exec
	s_or_b64 s[4:5], s[4:5], s[8:9]
	s_or_b64 exec, exec, s[6:7]
	s_and_saveexec_b64 s[6:7], s[4:5]
	s_cbranch_execz .LBB2_31009
; %bb.54851:
	s_getpc_b64 s[14:15]
.Lpost_getpc31009:
	s_add_u32 s14, s14, (.LBB2_4675-.Lpost_getpc31009)&4294967295
	s_addc_u32 s15, s15, (.LBB2_4675-.Lpost_getpc31009)>>32
	s_setpc_b64 s[14:15]
.LBB2_31009:
	s_getpc_b64 s[14:15]
.Lpost_getpc19088:
	s_add_u32 s14, s14, (.LBB2_4676-.Lpost_getpc19088)&4294967295
	s_addc_u32 s15, s15, (.LBB2_4676-.Lpost_getpc19088)>>32
	s_setpc_b64 s[14:15]
.LBB2_19013:
	s_movk_i32 s4, 0x80
	v_cmp_eq_u16_sdwa s[12:13], v4, s4 src0_sel:BYTE_0 src1_sel:DWORD
	s_mov_b64 s[4:5], -1
                                        ; implicit-def: $sgpr10
	s_and_saveexec_b64 s[8:9], s[12:13]
; %bb.19014:
	s_mov_b32 s10, 0x7f800001
	s_xor_b64 s[4:5], exec, -1
; %bb.19015:
	s_or_b64 exec, exec, s[8:9]
	s_and_b64 s[4:5], s[4:5], exec
	s_or_saveexec_b64 s[6:7], s[6:7]
	v_mov_b32_e32 v3, s10
	s_xor_b64 exec, exec, s[6:7]
	s_cbranch_execnz .LBB2_19016
; %bb.54853:
	s_getpc_b64 s[14:15]
.Lpost_getpc31010:
	s_add_u32 s14, s14, (.LBB2_4678-.Lpost_getpc31010)&4294967295
	s_addc_u32 s15, s15, (.LBB2_4678-.Lpost_getpc31010)>>32
	s_setpc_b64 s[14:15]
.LBB2_19016:
	v_mov_b32_e32 v3, 0
	v_cmp_ne_u16_sdwa s[8:9], v4, v3 src0_sel:BYTE_0 src1_sel:DWORD
	s_andn2_b64 s[4:5], s[4:5], exec
	s_and_b64 s[8:9], s[8:9], exec
	s_or_b64 s[4:5], s[4:5], s[8:9]
	s_or_b64 exec, exec, s[6:7]
	s_and_saveexec_b64 s[6:7], s[4:5]
	s_cbranch_execz .LBB2_31011
; %bb.54855:
	s_getpc_b64 s[14:15]
.Lpost_getpc31011:
	s_add_u32 s14, s14, (.LBB2_4679-.Lpost_getpc31011)&4294967295
	s_addc_u32 s15, s15, (.LBB2_4679-.Lpost_getpc31011)>>32
	s_setpc_b64 s[14:15]
.LBB2_31011:
	s_getpc_b64 s[14:15]
.Lpost_getpc19089:
	s_add_u32 s14, s14, (.LBB2_4680-.Lpost_getpc19089)&4294967295
	s_addc_u32 s15, s15, (.LBB2_4680-.Lpost_getpc19089)>>32
	s_setpc_b64 s[14:15]
.LBB2_19017:
	s_movk_i32 s4, 0x80
	v_cmp_eq_u16_sdwa s[12:13], v3, s4 src0_sel:BYTE_0 src1_sel:DWORD
	s_mov_b64 s[4:5], -1
                                        ; implicit-def: $sgpr10
	s_and_saveexec_b64 s[8:9], s[12:13]
; %bb.19018:
	s_mov_b32 s10, 0x7f800001
	s_xor_b64 s[4:5], exec, -1
; %bb.19019:
	s_or_b64 exec, exec, s[8:9]
	s_and_b64 s[4:5], s[4:5], exec
	s_or_saveexec_b64 s[6:7], s[6:7]
	v_mov_b32_e32 v2, s10
	s_xor_b64 exec, exec, s[6:7]
	s_cbranch_execnz .LBB2_19020
; %bb.54857:
	s_getpc_b64 s[14:15]
.Lpost_getpc31012:
	s_add_u32 s14, s14, (.LBB2_4682-.Lpost_getpc31012)&4294967295
	s_addc_u32 s15, s15, (.LBB2_4682-.Lpost_getpc31012)>>32
	s_setpc_b64 s[14:15]
.LBB2_19020:
	v_mov_b32_e32 v2, 0
	v_cmp_ne_u16_sdwa s[8:9], v3, v2 src0_sel:BYTE_0 src1_sel:DWORD
	s_andn2_b64 s[4:5], s[4:5], exec
	s_and_b64 s[8:9], s[8:9], exec
	s_or_b64 s[4:5], s[4:5], s[8:9]
	s_or_b64 exec, exec, s[6:7]
	s_and_saveexec_b64 s[6:7], s[4:5]
	s_cbranch_execz .LBB2_31013
; %bb.54859:
	s_getpc_b64 s[14:15]
.Lpost_getpc31013:
	s_add_u32 s14, s14, (.LBB2_4683-.Lpost_getpc31013)&4294967295
	s_addc_u32 s15, s15, (.LBB2_4683-.Lpost_getpc31013)>>32
	s_setpc_b64 s[14:15]
.LBB2_31013:
	s_getpc_b64 s[14:15]
.Lpost_getpc19090:
	s_add_u32 s14, s14, (.LBB2_4684-.Lpost_getpc19090)&4294967295
	s_addc_u32 s15, s15, (.LBB2_4684-.Lpost_getpc19090)>>32
	s_setpc_b64 s[14:15]
.LBB2_19021:
	s_movk_i32 s4, 0x80
	v_cmp_eq_u16_sdwa s[12:13], v3, s4 src0_sel:BYTE_0 src1_sel:DWORD
	s_mov_b64 s[4:5], -1
                                        ; implicit-def: $sgpr10
	s_and_saveexec_b64 s[8:9], s[12:13]
; %bb.19022:
	s_mov_b32 s10, 0x7f800001
	s_xor_b64 s[4:5], exec, -1
; %bb.19023:
	s_or_b64 exec, exec, s[8:9]
	s_and_b64 s[4:5], s[4:5], exec
	s_or_saveexec_b64 s[6:7], s[6:7]
	v_mov_b32_e32 v6, s10
	s_xor_b64 exec, exec, s[6:7]
	s_cbranch_execnz .LBB2_19024
; %bb.54861:
	s_getpc_b64 s[14:15]
.Lpost_getpc31014:
	s_add_u32 s14, s14, (.LBB2_4686-.Lpost_getpc31014)&4294967295
	s_addc_u32 s15, s15, (.LBB2_4686-.Lpost_getpc31014)>>32
	s_setpc_b64 s[14:15]
.LBB2_19024:
	v_mov_b32_e32 v6, 0
	v_cmp_ne_u16_sdwa s[8:9], v3, v6 src0_sel:BYTE_0 src1_sel:DWORD
	s_andn2_b64 s[4:5], s[4:5], exec
	s_and_b64 s[8:9], s[8:9], exec
	s_or_b64 s[4:5], s[4:5], s[8:9]
	s_or_b64 exec, exec, s[6:7]
	s_and_saveexec_b64 s[6:7], s[4:5]
	s_cbranch_execz .LBB2_31015
; %bb.54863:
	s_getpc_b64 s[14:15]
.Lpost_getpc31015:
	s_add_u32 s14, s14, (.LBB2_4687-.Lpost_getpc31015)&4294967295
	s_addc_u32 s15, s15, (.LBB2_4687-.Lpost_getpc31015)>>32
	s_setpc_b64 s[14:15]
.LBB2_31015:
	s_getpc_b64 s[14:15]
.Lpost_getpc19091:
	s_add_u32 s14, s14, (.LBB2_4688-.Lpost_getpc19091)&4294967295
	s_addc_u32 s15, s15, (.LBB2_4688-.Lpost_getpc19091)>>32
	s_setpc_b64 s[14:15]
.LBB2_19025:
	s_movk_i32 s4, 0x80
	v_cmp_eq_u16_e32 vcc, s4, v3
	s_mov_b64 s[4:5], -1
                                        ; implicit-def: $sgpr10
	s_and_saveexec_b64 s[8:9], vcc
; %bb.19026:
	s_mov_b32 s10, 0x7f800001
	s_xor_b64 s[4:5], exec, -1
; %bb.19027:
	s_or_b64 exec, exec, s[8:9]
	s_and_b64 s[4:5], s[4:5], exec
                                        ; implicit-def: $vgpr3
	s_or_saveexec_b64 s[6:7], s[6:7]
	v_mov_b32_e32 v2, s10
	s_xor_b64 exec, exec, s[6:7]
	s_cbranch_execnz .LBB2_19028
; %bb.54865:
	s_getpc_b64 s[14:15]
.Lpost_getpc31016:
	s_add_u32 s14, s14, (.LBB2_4690-.Lpost_getpc31016)&4294967295
	s_addc_u32 s15, s15, (.LBB2_4690-.Lpost_getpc31016)>>32
	s_setpc_b64 s[14:15]
.LBB2_19028:
	v_cmp_ne_u16_e32 vcc, 0, v3
	s_andn2_b64 s[4:5], s[4:5], exec
	s_and_b64 s[8:9], vcc, exec
	v_mov_b32_e32 v2, 0
	s_or_b64 s[4:5], s[4:5], s[8:9]
	s_or_b64 exec, exec, s[6:7]
	s_and_saveexec_b64 s[6:7], s[4:5]
	s_cbranch_execz .LBB2_31017
; %bb.54867:
	s_getpc_b64 s[14:15]
.Lpost_getpc31017:
	s_add_u32 s14, s14, (.LBB2_4691-.Lpost_getpc31017)&4294967295
	s_addc_u32 s15, s15, (.LBB2_4691-.Lpost_getpc31017)>>32
	s_setpc_b64 s[14:15]
.LBB2_31017:
	s_getpc_b64 s[14:15]
.Lpost_getpc19092:
	s_add_u32 s14, s14, (.LBB2_4692-.Lpost_getpc19092)&4294967295
	s_addc_u32 s15, s15, (.LBB2_4692-.Lpost_getpc19092)>>32
	s_setpc_b64 s[14:15]
.LBB2_19029:
	s_movk_i32 s4, 0x80
	v_cmp_eq_u16_e32 vcc, s4, v3
	s_mov_b64 s[4:5], -1
                                        ; implicit-def: $sgpr10
	s_and_saveexec_b64 s[8:9], vcc
; %bb.19030:
	s_mov_b32 s10, 0x7f800001
	s_xor_b64 s[4:5], exec, -1
; %bb.19031:
	s_or_b64 exec, exec, s[8:9]
	s_and_b64 s[4:5], s[4:5], exec
                                        ; implicit-def: $vgpr3
	s_or_saveexec_b64 s[6:7], s[6:7]
	v_mov_b32_e32 v6, s10
	s_xor_b64 exec, exec, s[6:7]
	s_cbranch_execnz .LBB2_19032
; %bb.54869:
	s_getpc_b64 s[14:15]
.Lpost_getpc31018:
	s_add_u32 s14, s14, (.LBB2_4694-.Lpost_getpc31018)&4294967295
	s_addc_u32 s15, s15, (.LBB2_4694-.Lpost_getpc31018)>>32
	s_setpc_b64 s[14:15]
.LBB2_19032:
	v_cmp_ne_u16_e32 vcc, 0, v3
	s_andn2_b64 s[4:5], s[4:5], exec
	s_and_b64 s[8:9], vcc, exec
	v_mov_b32_e32 v6, 0
	s_or_b64 s[4:5], s[4:5], s[8:9]
	s_or_b64 exec, exec, s[6:7]
	s_and_saveexec_b64 s[6:7], s[4:5]
	s_cbranch_execz .LBB2_31019
; %bb.54871:
	s_getpc_b64 s[14:15]
.Lpost_getpc31019:
	s_add_u32 s14, s14, (.LBB2_4695-.Lpost_getpc31019)&4294967295
	s_addc_u32 s15, s15, (.LBB2_4695-.Lpost_getpc31019)>>32
	s_setpc_b64 s[14:15]
.LBB2_31019:
	s_getpc_b64 s[14:15]
.Lpost_getpc19093:
	s_add_u32 s14, s14, (.LBB2_4696-.Lpost_getpc19093)&4294967295
	s_addc_u32 s15, s15, (.LBB2_4696-.Lpost_getpc19093)>>32
	s_setpc_b64 s[14:15]
.LBB2_19033:
	s_movk_i32 s4, 0x80
	v_cmp_eq_u16_sdwa s[12:13], v8, s4 src0_sel:BYTE_3 src1_sel:DWORD
	s_mov_b64 s[4:5], -1
                                        ; implicit-def: $sgpr10
	s_and_saveexec_b64 s[8:9], s[12:13]
; %bb.19034:
	s_mov_b32 s10, 0x7f800001
	s_xor_b64 s[4:5], exec, -1
; %bb.19035:
	s_or_b64 exec, exec, s[8:9]
	s_and_b64 s[4:5], s[4:5], exec
	s_or_saveexec_b64 s[6:7], s[6:7]
	v_mov_b32_e32 v2, s10
	s_xor_b64 exec, exec, s[6:7]
	s_cbranch_execnz .LBB2_19036
; %bb.54873:
	s_getpc_b64 s[14:15]
.Lpost_getpc31020:
	s_add_u32 s14, s14, (.LBB2_4698-.Lpost_getpc31020)&4294967295
	s_addc_u32 s15, s15, (.LBB2_4698-.Lpost_getpc31020)>>32
	s_setpc_b64 s[14:15]
.LBB2_19036:
	v_mov_b32_e32 v2, 0
	v_cmp_ne_u16_sdwa s[8:9], v8, v2 src0_sel:BYTE_3 src1_sel:DWORD
	s_andn2_b64 s[4:5], s[4:5], exec
	s_and_b64 s[8:9], s[8:9], exec
	s_or_b64 s[4:5], s[4:5], s[8:9]
	s_or_b64 exec, exec, s[6:7]
	s_and_saveexec_b64 s[6:7], s[4:5]
	s_cbranch_execz .LBB2_31021
; %bb.54875:
	s_getpc_b64 s[14:15]
.Lpost_getpc31021:
	s_add_u32 s14, s14, (.LBB2_4699-.Lpost_getpc31021)&4294967295
	s_addc_u32 s15, s15, (.LBB2_4699-.Lpost_getpc31021)>>32
	s_setpc_b64 s[14:15]
.LBB2_31021:
	s_getpc_b64 s[14:15]
.Lpost_getpc19094:
	s_add_u32 s14, s14, (.LBB2_4700-.Lpost_getpc19094)&4294967295
	s_addc_u32 s15, s15, (.LBB2_4700-.Lpost_getpc19094)>>32
	s_setpc_b64 s[14:15]
.LBB2_19037:
	s_movk_i32 s4, 0x80
	v_cmp_eq_u16_sdwa s[12:13], v4, s4 src0_sel:BYTE_3 src1_sel:DWORD
	s_mov_b64 s[4:5], -1
                                        ; implicit-def: $sgpr10
	s_and_saveexec_b64 s[8:9], s[12:13]
; %bb.19038:
	s_mov_b32 s10, 0x7f800001
	s_xor_b64 s[4:5], exec, -1
; %bb.19039:
	s_or_b64 exec, exec, s[8:9]
	s_and_b64 s[4:5], s[4:5], exec
	s_or_saveexec_b64 s[6:7], s[6:7]
	v_mov_b32_e32 v3, s10
	s_xor_b64 exec, exec, s[6:7]
	s_cbranch_execnz .LBB2_19040
; %bb.54877:
	s_getpc_b64 s[14:15]
.Lpost_getpc31022:
	s_add_u32 s14, s14, (.LBB2_4702-.Lpost_getpc31022)&4294967295
	s_addc_u32 s15, s15, (.LBB2_4702-.Lpost_getpc31022)>>32
	s_setpc_b64 s[14:15]
.LBB2_19040:
	v_mov_b32_e32 v3, 0
	v_cmp_ne_u16_sdwa s[8:9], v4, v3 src0_sel:BYTE_3 src1_sel:DWORD
	s_andn2_b64 s[4:5], s[4:5], exec
	s_and_b64 s[8:9], s[8:9], exec
	s_or_b64 s[4:5], s[4:5], s[8:9]
	s_or_b64 exec, exec, s[6:7]
	s_and_saveexec_b64 s[6:7], s[4:5]
	s_cbranch_execz .LBB2_31023
; %bb.54879:
	s_getpc_b64 s[14:15]
.Lpost_getpc31023:
	s_add_u32 s14, s14, (.LBB2_4703-.Lpost_getpc31023)&4294967295
	s_addc_u32 s15, s15, (.LBB2_4703-.Lpost_getpc31023)>>32
	s_setpc_b64 s[14:15]
.LBB2_31023:
	s_getpc_b64 s[14:15]
.Lpost_getpc19095:
	s_add_u32 s14, s14, (.LBB2_4704-.Lpost_getpc19095)&4294967295
	s_addc_u32 s15, s15, (.LBB2_4704-.Lpost_getpc19095)>>32
	s_setpc_b64 s[14:15]
.LBB2_19041:
	s_movk_i32 s4, 0x80
	v_cmp_eq_u16_sdwa s[12:13], v9, s4 src0_sel:BYTE_0 src1_sel:DWORD
	s_mov_b64 s[4:5], -1
                                        ; implicit-def: $sgpr10
	s_and_saveexec_b64 s[8:9], s[12:13]
; %bb.19042:
	s_mov_b32 s10, 0x7f800001
	s_xor_b64 s[4:5], exec, -1
; %bb.19043:
	s_or_b64 exec, exec, s[8:9]
	s_and_b64 s[4:5], s[4:5], exec
	s_or_saveexec_b64 s[6:7], s[6:7]
	v_mov_b32_e32 v2, s10
	s_xor_b64 exec, exec, s[6:7]
	s_cbranch_execnz .LBB2_19044
; %bb.54881:
	s_getpc_b64 s[14:15]
.Lpost_getpc31024:
	s_add_u32 s14, s14, (.LBB2_4706-.Lpost_getpc31024)&4294967295
	s_addc_u32 s15, s15, (.LBB2_4706-.Lpost_getpc31024)>>32
	s_setpc_b64 s[14:15]
.LBB2_19044:
	v_mov_b32_e32 v2, 0
	v_cmp_ne_u16_sdwa s[8:9], v9, v2 src0_sel:BYTE_0 src1_sel:DWORD
	s_andn2_b64 s[4:5], s[4:5], exec
	s_and_b64 s[8:9], s[8:9], exec
	s_or_b64 s[4:5], s[4:5], s[8:9]
	s_or_b64 exec, exec, s[6:7]
	s_and_saveexec_b64 s[6:7], s[4:5]
	s_cbranch_execz .LBB2_31025
; %bb.54883:
	s_getpc_b64 s[14:15]
.Lpost_getpc31025:
	s_add_u32 s14, s14, (.LBB2_4707-.Lpost_getpc31025)&4294967295
	s_addc_u32 s15, s15, (.LBB2_4707-.Lpost_getpc31025)>>32
	s_setpc_b64 s[14:15]
.LBB2_31025:
	s_getpc_b64 s[14:15]
.Lpost_getpc19096:
	s_add_u32 s14, s14, (.LBB2_4708-.Lpost_getpc19096)&4294967295
	s_addc_u32 s15, s15, (.LBB2_4708-.Lpost_getpc19096)>>32
	s_setpc_b64 s[14:15]
.LBB2_19045:
	s_movk_i32 s4, 0x80
	v_cmp_eq_u16_sdwa s[12:13], v5, s4 src0_sel:BYTE_0 src1_sel:DWORD
	s_mov_b64 s[4:5], -1
                                        ; implicit-def: $sgpr10
	s_and_saveexec_b64 s[8:9], s[12:13]
; %bb.19046:
	s_mov_b32 s10, 0x7f800001
	s_xor_b64 s[4:5], exec, -1
; %bb.19047:
	s_or_b64 exec, exec, s[8:9]
	s_and_b64 s[4:5], s[4:5], exec
	s_or_saveexec_b64 s[6:7], s[6:7]
	v_mov_b32_e32 v3, s10
	s_xor_b64 exec, exec, s[6:7]
	s_cbranch_execnz .LBB2_19048
; %bb.54885:
	s_getpc_b64 s[14:15]
.Lpost_getpc31026:
	s_add_u32 s14, s14, (.LBB2_4710-.Lpost_getpc31026)&4294967295
	s_addc_u32 s15, s15, (.LBB2_4710-.Lpost_getpc31026)>>32
	s_setpc_b64 s[14:15]
.LBB2_19048:
	v_mov_b32_e32 v3, 0
	v_cmp_ne_u16_sdwa s[8:9], v5, v3 src0_sel:BYTE_0 src1_sel:DWORD
	s_andn2_b64 s[4:5], s[4:5], exec
	s_and_b64 s[8:9], s[8:9], exec
	s_or_b64 s[4:5], s[4:5], s[8:9]
	s_or_b64 exec, exec, s[6:7]
	s_and_saveexec_b64 s[6:7], s[4:5]
	s_cbranch_execz .LBB2_31027
; %bb.54887:
	s_getpc_b64 s[14:15]
.Lpost_getpc31027:
	s_add_u32 s14, s14, (.LBB2_4711-.Lpost_getpc31027)&4294967295
	s_addc_u32 s15, s15, (.LBB2_4711-.Lpost_getpc31027)>>32
	s_setpc_b64 s[14:15]
.LBB2_31027:
	s_getpc_b64 s[14:15]
.Lpost_getpc19097:
	s_add_u32 s14, s14, (.LBB2_4712-.Lpost_getpc19097)&4294967295
	s_addc_u32 s15, s15, (.LBB2_4712-.Lpost_getpc19097)>>32
	s_setpc_b64 s[14:15]
.LBB2_19049:
	s_movk_i32 s4, 0x80
	v_cmp_eq_u16_sdwa s[12:13], v3, s4 src0_sel:BYTE_0 src1_sel:DWORD
	s_mov_b64 s[4:5], -1
                                        ; implicit-def: $sgpr10
	s_and_saveexec_b64 s[8:9], s[12:13]
; %bb.19050:
	s_mov_b32 s10, 0x7f800001
	s_xor_b64 s[4:5], exec, -1
; %bb.19051:
	s_or_b64 exec, exec, s[8:9]
	s_and_b64 s[4:5], s[4:5], exec
	s_or_saveexec_b64 s[6:7], s[6:7]
	v_mov_b32_e32 v2, s10
	s_xor_b64 exec, exec, s[6:7]
	s_cbranch_execnz .LBB2_19052
; %bb.54889:
	s_getpc_b64 s[14:15]
.Lpost_getpc31028:
	s_add_u32 s14, s14, (.LBB2_4714-.Lpost_getpc31028)&4294967295
	s_addc_u32 s15, s15, (.LBB2_4714-.Lpost_getpc31028)>>32
	s_setpc_b64 s[14:15]
.LBB2_19052:
	v_mov_b32_e32 v2, 0
	v_cmp_ne_u16_sdwa s[8:9], v3, v2 src0_sel:BYTE_0 src1_sel:DWORD
	s_andn2_b64 s[4:5], s[4:5], exec
	s_and_b64 s[8:9], s[8:9], exec
	s_or_b64 s[4:5], s[4:5], s[8:9]
	s_or_b64 exec, exec, s[6:7]
	s_and_saveexec_b64 s[6:7], s[4:5]
	s_cbranch_execz .LBB2_31029
; %bb.54891:
	s_getpc_b64 s[14:15]
.Lpost_getpc31029:
	s_add_u32 s14, s14, (.LBB2_4715-.Lpost_getpc31029)&4294967295
	s_addc_u32 s15, s15, (.LBB2_4715-.Lpost_getpc31029)>>32
	s_setpc_b64 s[14:15]
.LBB2_31029:
	s_getpc_b64 s[14:15]
.Lpost_getpc19098:
	s_add_u32 s14, s14, (.LBB2_4716-.Lpost_getpc19098)&4294967295
	s_addc_u32 s15, s15, (.LBB2_4716-.Lpost_getpc19098)>>32
	s_setpc_b64 s[14:15]
.LBB2_19053:
	s_movk_i32 s4, 0x80
	v_cmp_eq_u16_sdwa s[12:13], v3, s4 src0_sel:BYTE_0 src1_sel:DWORD
	s_mov_b64 s[4:5], -1
                                        ; implicit-def: $sgpr10
	s_and_saveexec_b64 s[8:9], s[12:13]
; %bb.19054:
	s_mov_b32 s10, 0x7f800001
	s_xor_b64 s[4:5], exec, -1
; %bb.19055:
	s_or_b64 exec, exec, s[8:9]
	s_and_b64 s[4:5], s[4:5], exec
	s_or_saveexec_b64 s[6:7], s[6:7]
	v_mov_b32_e32 v4, s10
	s_xor_b64 exec, exec, s[6:7]
	s_cbranch_execnz .LBB2_19056
; %bb.54893:
	s_getpc_b64 s[14:15]
.Lpost_getpc31030:
	s_add_u32 s14, s14, (.LBB2_4718-.Lpost_getpc31030)&4294967295
	s_addc_u32 s15, s15, (.LBB2_4718-.Lpost_getpc31030)>>32
	s_setpc_b64 s[14:15]
.LBB2_19056:
	v_mov_b32_e32 v4, 0
	v_cmp_ne_u16_sdwa s[8:9], v3, v4 src0_sel:BYTE_0 src1_sel:DWORD
	s_andn2_b64 s[4:5], s[4:5], exec
	s_and_b64 s[8:9], s[8:9], exec
	s_or_b64 s[4:5], s[4:5], s[8:9]
	s_or_b64 exec, exec, s[6:7]
	s_and_saveexec_b64 s[6:7], s[4:5]
	s_cbranch_execz .LBB2_31031
; %bb.54895:
	s_getpc_b64 s[14:15]
.Lpost_getpc31031:
	s_add_u32 s14, s14, (.LBB2_4719-.Lpost_getpc31031)&4294967295
	s_addc_u32 s15, s15, (.LBB2_4719-.Lpost_getpc31031)>>32
	s_setpc_b64 s[14:15]
.LBB2_31031:
	s_getpc_b64 s[14:15]
.Lpost_getpc19099:
	s_add_u32 s14, s14, (.LBB2_4720-.Lpost_getpc19099)&4294967295
	s_addc_u32 s15, s15, (.LBB2_4720-.Lpost_getpc19099)>>32
	s_setpc_b64 s[14:15]
.LBB2_19057:
	s_movk_i32 s4, 0x80
	v_cmp_eq_u16_e32 vcc, s4, v3
	s_mov_b64 s[4:5], -1
                                        ; implicit-def: $sgpr10
	s_and_saveexec_b64 s[8:9], vcc
; %bb.19058:
	s_mov_b32 s10, 0x7f800001
	s_xor_b64 s[4:5], exec, -1
; %bb.19059:
	s_or_b64 exec, exec, s[8:9]
	s_and_b64 s[4:5], s[4:5], exec
                                        ; implicit-def: $vgpr3
	s_or_saveexec_b64 s[6:7], s[6:7]
	v_mov_b32_e32 v2, s10
	s_xor_b64 exec, exec, s[6:7]
	s_cbranch_execnz .LBB2_19060
; %bb.54897:
	s_getpc_b64 s[14:15]
.Lpost_getpc31032:
	s_add_u32 s14, s14, (.LBB2_4722-.Lpost_getpc31032)&4294967295
	s_addc_u32 s15, s15, (.LBB2_4722-.Lpost_getpc31032)>>32
	s_setpc_b64 s[14:15]
.LBB2_19060:
	v_cmp_ne_u16_e32 vcc, 0, v3
	s_andn2_b64 s[4:5], s[4:5], exec
	s_and_b64 s[8:9], vcc, exec
	v_mov_b32_e32 v2, 0
	s_or_b64 s[4:5], s[4:5], s[8:9]
	s_or_b64 exec, exec, s[6:7]
	s_and_saveexec_b64 s[6:7], s[4:5]
	s_cbranch_execz .LBB2_31033
; %bb.54899:
	s_getpc_b64 s[14:15]
.Lpost_getpc31033:
	s_add_u32 s14, s14, (.LBB2_4723-.Lpost_getpc31033)&4294967295
	s_addc_u32 s15, s15, (.LBB2_4723-.Lpost_getpc31033)>>32
	s_setpc_b64 s[14:15]
.LBB2_31033:
	s_getpc_b64 s[14:15]
.Lpost_getpc19100:
	s_add_u32 s14, s14, (.LBB2_4724-.Lpost_getpc19100)&4294967295
	s_addc_u32 s15, s15, (.LBB2_4724-.Lpost_getpc19100)>>32
	s_setpc_b64 s[14:15]
.LBB2_19061:
	s_movk_i32 s4, 0x80
	v_cmp_eq_u16_e32 vcc, s4, v3
	s_mov_b64 s[4:5], -1
                                        ; implicit-def: $sgpr10
	s_and_saveexec_b64 s[8:9], vcc
; %bb.19062:
	s_mov_b32 s10, 0x7f800001
	s_xor_b64 s[4:5], exec, -1
; %bb.19063:
	s_or_b64 exec, exec, s[8:9]
	s_and_b64 s[4:5], s[4:5], exec
                                        ; implicit-def: $vgpr3
	s_or_saveexec_b64 s[6:7], s[6:7]
	v_mov_b32_e32 v4, s10
	s_xor_b64 exec, exec, s[6:7]
	s_cbranch_execnz .LBB2_19064
; %bb.54901:
	s_getpc_b64 s[14:15]
.Lpost_getpc31034:
	s_add_u32 s14, s14, (.LBB2_4726-.Lpost_getpc31034)&4294967295
	s_addc_u32 s15, s15, (.LBB2_4726-.Lpost_getpc31034)>>32
	s_setpc_b64 s[14:15]
.LBB2_19064:
	v_cmp_ne_u16_e32 vcc, 0, v3
	s_andn2_b64 s[4:5], s[4:5], exec
	s_and_b64 s[8:9], vcc, exec
	v_mov_b32_e32 v4, 0
	s_or_b64 s[4:5], s[4:5], s[8:9]
	s_or_b64 exec, exec, s[6:7]
	s_and_saveexec_b64 s[6:7], s[4:5]
	s_cbranch_execz .LBB2_31035
; %bb.54903:
	s_getpc_b64 s[14:15]
.Lpost_getpc31035:
	s_add_u32 s14, s14, (.LBB2_4727-.Lpost_getpc31035)&4294967295
	s_addc_u32 s15, s15, (.LBB2_4727-.Lpost_getpc31035)>>32
	s_setpc_b64 s[14:15]
.LBB2_31035:
	s_getpc_b64 s[14:15]
.Lpost_getpc19101:
	s_add_u32 s14, s14, (.LBB2_4728-.Lpost_getpc19101)&4294967295
	s_addc_u32 s15, s15, (.LBB2_4728-.Lpost_getpc19101)>>32
	s_setpc_b64 s[14:15]
.LBB2_19065:
	s_movk_i32 s4, 0x80
	v_cmp_eq_u16_sdwa s[12:13], v9, s4 src0_sel:BYTE_3 src1_sel:DWORD
	s_mov_b64 s[4:5], -1
                                        ; implicit-def: $sgpr10
	s_and_saveexec_b64 s[8:9], s[12:13]
; %bb.19066:
	s_mov_b32 s10, 0x7f800001
	s_xor_b64 s[4:5], exec, -1
; %bb.19067:
	s_or_b64 exec, exec, s[8:9]
	s_and_b64 s[4:5], s[4:5], exec
	s_or_saveexec_b64 s[6:7], s[6:7]
	v_mov_b32_e32 v2, s10
	s_xor_b64 exec, exec, s[6:7]
	s_cbranch_execnz .LBB2_19068
; %bb.54905:
	s_getpc_b64 s[14:15]
.Lpost_getpc31036:
	s_add_u32 s14, s14, (.LBB2_4730-.Lpost_getpc31036)&4294967295
	s_addc_u32 s15, s15, (.LBB2_4730-.Lpost_getpc31036)>>32
	s_setpc_b64 s[14:15]
.LBB2_19068:
	v_mov_b32_e32 v2, 0
	v_cmp_ne_u16_sdwa s[8:9], v9, v2 src0_sel:BYTE_3 src1_sel:DWORD
	s_andn2_b64 s[4:5], s[4:5], exec
	s_and_b64 s[8:9], s[8:9], exec
	s_or_b64 s[4:5], s[4:5], s[8:9]
	s_or_b64 exec, exec, s[6:7]
	s_and_saveexec_b64 s[6:7], s[4:5]
	s_cbranch_execz .LBB2_31037
; %bb.54907:
	s_getpc_b64 s[14:15]
.Lpost_getpc31037:
	s_add_u32 s14, s14, (.LBB2_4731-.Lpost_getpc31037)&4294967295
	s_addc_u32 s15, s15, (.LBB2_4731-.Lpost_getpc31037)>>32
	s_setpc_b64 s[14:15]
.LBB2_31037:
	s_getpc_b64 s[14:15]
.Lpost_getpc19102:
	s_add_u32 s14, s14, (.LBB2_4732-.Lpost_getpc19102)&4294967295
	s_addc_u32 s15, s15, (.LBB2_4732-.Lpost_getpc19102)>>32
	s_setpc_b64 s[14:15]
.LBB2_19069:
	s_movk_i32 s4, 0x80
	v_cmp_eq_u16_sdwa s[12:13], v5, s4 src0_sel:BYTE_3 src1_sel:DWORD
	s_mov_b64 s[4:5], -1
                                        ; implicit-def: $sgpr10
	s_and_saveexec_b64 s[8:9], s[12:13]
; %bb.19070:
	s_mov_b32 s10, 0x7f800001
	s_xor_b64 s[4:5], exec, -1
; %bb.19071:
	s_or_b64 exec, exec, s[8:9]
	s_and_b64 s[4:5], s[4:5], exec
	s_or_saveexec_b64 s[6:7], s[6:7]
	v_mov_b32_e32 v3, s10
	s_xor_b64 exec, exec, s[6:7]
	s_cbranch_execnz .LBB2_19072
; %bb.54909:
	s_getpc_b64 s[14:15]
.Lpost_getpc31038:
	s_add_u32 s14, s14, (.LBB2_4734-.Lpost_getpc31038)&4294967295
	s_addc_u32 s15, s15, (.LBB2_4734-.Lpost_getpc31038)>>32
	s_setpc_b64 s[14:15]
.LBB2_19072:
	v_mov_b32_e32 v3, 0
	v_cmp_ne_u16_sdwa s[8:9], v5, v3 src0_sel:BYTE_3 src1_sel:DWORD
	s_andn2_b64 s[4:5], s[4:5], exec
	s_and_b64 s[8:9], s[8:9], exec
	s_or_b64 s[4:5], s[4:5], s[8:9]
	s_or_b64 exec, exec, s[6:7]
	s_and_saveexec_b64 s[6:7], s[4:5]
	s_cbranch_execz .LBB2_31039
; %bb.54911:
	s_getpc_b64 s[14:15]
.Lpost_getpc31039:
	s_add_u32 s14, s14, (.LBB2_4735-.Lpost_getpc31039)&4294967295
	s_addc_u32 s15, s15, (.LBB2_4735-.Lpost_getpc31039)>>32
	s_setpc_b64 s[14:15]
.LBB2_31039:
	s_getpc_b64 s[14:15]
.Lpost_getpc19103:
	s_add_u32 s14, s14, (.LBB2_4736-.Lpost_getpc19103)&4294967295
	s_addc_u32 s15, s15, (.LBB2_4736-.Lpost_getpc19103)>>32
	s_setpc_b64 s[14:15]
.LBB2_19073:
	s_movk_i32 s4, 0x80
	v_cmp_eq_u16_sdwa s[12:13], v6, s4 src0_sel:BYTE_0 src1_sel:DWORD
	s_mov_b64 s[4:5], -1
                                        ; implicit-def: $sgpr10
	s_and_saveexec_b64 s[8:9], s[12:13]
; %bb.19074:
	s_mov_b32 s10, 0x7f800001
	s_xor_b64 s[4:5], exec, -1
; %bb.19075:
	s_or_b64 exec, exec, s[8:9]
	s_and_b64 s[4:5], s[4:5], exec
	s_or_saveexec_b64 s[6:7], s[6:7]
	v_mov_b32_e32 v12, s10
	s_xor_b64 exec, exec, s[6:7]
	s_cbranch_execnz .LBB2_19076
; %bb.54913:
	s_getpc_b64 s[14:15]
.Lpost_getpc31040:
	s_add_u32 s14, s14, (.LBB2_4738-.Lpost_getpc31040)&4294967295
	s_addc_u32 s15, s15, (.LBB2_4738-.Lpost_getpc31040)>>32
	s_setpc_b64 s[14:15]
.LBB2_19076:
	v_mov_b32_e32 v12, 0
	v_cmp_ne_u16_sdwa s[8:9], v6, v12 src0_sel:BYTE_0 src1_sel:DWORD
	s_andn2_b64 s[4:5], s[4:5], exec
	s_and_b64 s[8:9], s[8:9], exec
	s_or_b64 s[4:5], s[4:5], s[8:9]
	s_or_b64 exec, exec, s[6:7]
	s_and_saveexec_b64 s[6:7], s[4:5]
	s_cbranch_execz .LBB2_31041
; %bb.54915:
	s_getpc_b64 s[14:15]
.Lpost_getpc31041:
	s_add_u32 s14, s14, (.LBB2_4739-.Lpost_getpc31041)&4294967295
	s_addc_u32 s15, s15, (.LBB2_4739-.Lpost_getpc31041)>>32
	s_setpc_b64 s[14:15]
.LBB2_31041:
	s_getpc_b64 s[14:15]
.Lpost_getpc19104:
	s_add_u32 s14, s14, (.LBB2_4740-.Lpost_getpc19104)&4294967295
	s_addc_u32 s15, s15, (.LBB2_4740-.Lpost_getpc19104)>>32
	s_setpc_b64 s[14:15]
.LBB2_19077:
	s_movk_i32 s4, 0x80
	v_cmp_eq_u16_sdwa s[12:13], v2, s4 src0_sel:BYTE_0 src1_sel:DWORD
	s_mov_b64 s[4:5], -1
                                        ; implicit-def: $sgpr10
	s_and_saveexec_b64 s[8:9], s[12:13]
; %bb.19078:
	s_mov_b32 s10, 0x7f800001
	s_xor_b64 s[4:5], exec, -1
; %bb.19079:
	s_or_b64 exec, exec, s[8:9]
	s_and_b64 s[4:5], s[4:5], exec
	s_or_saveexec_b64 s[6:7], s[6:7]
	v_mov_b32_e32 v13, s10
	s_xor_b64 exec, exec, s[6:7]
	s_cbranch_execnz .LBB2_19080
; %bb.54917:
	s_getpc_b64 s[14:15]
.Lpost_getpc31042:
	s_add_u32 s14, s14, (.LBB2_4742-.Lpost_getpc31042)&4294967295
	s_addc_u32 s15, s15, (.LBB2_4742-.Lpost_getpc31042)>>32
	s_setpc_b64 s[14:15]
.LBB2_19080:
	v_mov_b32_e32 v13, 0
	v_cmp_ne_u16_sdwa s[8:9], v2, v13 src0_sel:BYTE_0 src1_sel:DWORD
	s_andn2_b64 s[4:5], s[4:5], exec
	s_and_b64 s[8:9], s[8:9], exec
	s_or_b64 s[4:5], s[4:5], s[8:9]
	s_or_b64 exec, exec, s[6:7]
	s_and_saveexec_b64 s[6:7], s[4:5]
	s_cbranch_execz .LBB2_31043
; %bb.54919:
	s_getpc_b64 s[14:15]
.Lpost_getpc31043:
	s_add_u32 s14, s14, (.LBB2_4743-.Lpost_getpc31043)&4294967295
	s_addc_u32 s15, s15, (.LBB2_4743-.Lpost_getpc31043)>>32
	s_setpc_b64 s[14:15]
.LBB2_31043:
	s_getpc_b64 s[14:15]
.Lpost_getpc19105:
	s_add_u32 s14, s14, (.LBB2_4744-.Lpost_getpc19105)&4294967295
	s_addc_u32 s15, s15, (.LBB2_4744-.Lpost_getpc19105)>>32
	s_setpc_b64 s[14:15]
.LBB2_19081:
	s_movk_i32 s4, 0x80
	v_cmp_eq_u16_sdwa s[12:13], v13, s4 src0_sel:BYTE_0 src1_sel:DWORD
	s_mov_b64 s[4:5], -1
                                        ; implicit-def: $sgpr10
	s_and_saveexec_b64 s[8:9], s[12:13]
; %bb.19082:
	s_mov_b32 s10, 0x7f800001
	s_xor_b64 s[4:5], exec, -1
; %bb.19083:
	s_or_b64 exec, exec, s[8:9]
	s_and_b64 s[4:5], s[4:5], exec
	s_or_saveexec_b64 s[6:7], s[6:7]
	v_mov_b32_e32 v12, s10
	s_xor_b64 exec, exec, s[6:7]
	s_cbranch_execnz .LBB2_19084
; %bb.54921:
	s_getpc_b64 s[14:15]
.Lpost_getpc31044:
	s_add_u32 s14, s14, (.LBB2_4746-.Lpost_getpc31044)&4294967295
	s_addc_u32 s15, s15, (.LBB2_4746-.Lpost_getpc31044)>>32
	s_setpc_b64 s[14:15]
.LBB2_19084:
	v_mov_b32_e32 v12, 0
	v_cmp_ne_u16_sdwa s[8:9], v13, v12 src0_sel:BYTE_0 src1_sel:DWORD
	s_andn2_b64 s[4:5], s[4:5], exec
	s_and_b64 s[8:9], s[8:9], exec
	s_or_b64 s[4:5], s[4:5], s[8:9]
	s_or_b64 exec, exec, s[6:7]
	s_and_saveexec_b64 s[6:7], s[4:5]
	s_cbranch_execz .LBB2_31045
; %bb.54923:
	s_getpc_b64 s[14:15]
.Lpost_getpc31045:
	s_add_u32 s14, s14, (.LBB2_4747-.Lpost_getpc31045)&4294967295
	s_addc_u32 s15, s15, (.LBB2_4747-.Lpost_getpc31045)>>32
	s_setpc_b64 s[14:15]
.LBB2_31045:
	s_getpc_b64 s[14:15]
.Lpost_getpc19106:
	s_add_u32 s14, s14, (.LBB2_4748-.Lpost_getpc19106)&4294967295
	s_addc_u32 s15, s15, (.LBB2_4748-.Lpost_getpc19106)>>32
	s_setpc_b64 s[14:15]
.LBB2_19085:
	s_movk_i32 s4, 0x80
	v_cmp_eq_u16_sdwa s[12:13], v13, s4 src0_sel:BYTE_0 src1_sel:DWORD
	s_mov_b64 s[4:5], -1
                                        ; implicit-def: $sgpr10
	s_and_saveexec_b64 s[8:9], s[12:13]
; %bb.19086:
	s_mov_b32 s10, 0x7f800001
	s_xor_b64 s[4:5], exec, -1
; %bb.19087:
	s_or_b64 exec, exec, s[8:9]
	s_and_b64 s[4:5], s[4:5], exec
	s_or_saveexec_b64 s[6:7], s[6:7]
	v_mov_b32_e32 v14, s10
	s_xor_b64 exec, exec, s[6:7]
	s_cbranch_execnz .LBB2_19088
; %bb.54925:
	s_getpc_b64 s[14:15]
.Lpost_getpc31046:
	s_add_u32 s14, s14, (.LBB2_4750-.Lpost_getpc31046)&4294967295
	s_addc_u32 s15, s15, (.LBB2_4750-.Lpost_getpc31046)>>32
	s_setpc_b64 s[14:15]
.LBB2_19088:
	v_mov_b32_e32 v14, 0
	v_cmp_ne_u16_sdwa s[8:9], v13, v14 src0_sel:BYTE_0 src1_sel:DWORD
	s_andn2_b64 s[4:5], s[4:5], exec
	s_and_b64 s[8:9], s[8:9], exec
	s_or_b64 s[4:5], s[4:5], s[8:9]
	s_or_b64 exec, exec, s[6:7]
	s_and_saveexec_b64 s[6:7], s[4:5]
	s_cbranch_execz .LBB2_31047
; %bb.54927:
	s_getpc_b64 s[14:15]
.Lpost_getpc31047:
	s_add_u32 s14, s14, (.LBB2_4751-.Lpost_getpc31047)&4294967295
	s_addc_u32 s15, s15, (.LBB2_4751-.Lpost_getpc31047)>>32
	s_setpc_b64 s[14:15]
.LBB2_31047:
	s_getpc_b64 s[14:15]
.Lpost_getpc19107:
	s_add_u32 s14, s14, (.LBB2_4752-.Lpost_getpc19107)&4294967295
	s_addc_u32 s15, s15, (.LBB2_4752-.Lpost_getpc19107)>>32
	s_setpc_b64 s[14:15]
.LBB2_19089:
	s_movk_i32 s4, 0x80
	v_cmp_eq_u16_e32 vcc, s4, v13
	s_mov_b64 s[4:5], -1
                                        ; implicit-def: $sgpr10
	s_and_saveexec_b64 s[8:9], vcc
; %bb.19090:
	s_mov_b32 s10, 0x7f800001
	s_xor_b64 s[4:5], exec, -1
; %bb.19091:
	s_or_b64 exec, exec, s[8:9]
	s_and_b64 s[4:5], s[4:5], exec
                                        ; implicit-def: $vgpr13
	s_or_saveexec_b64 s[6:7], s[6:7]
	v_mov_b32_e32 v12, s10
	s_xor_b64 exec, exec, s[6:7]
	s_cbranch_execnz .LBB2_19092
; %bb.54929:
	s_getpc_b64 s[14:15]
.Lpost_getpc31048:
	s_add_u32 s14, s14, (.LBB2_4754-.Lpost_getpc31048)&4294967295
	s_addc_u32 s15, s15, (.LBB2_4754-.Lpost_getpc31048)>>32
	s_setpc_b64 s[14:15]
.LBB2_19092:
	v_cmp_ne_u16_e32 vcc, 0, v13
	s_andn2_b64 s[4:5], s[4:5], exec
	s_and_b64 s[8:9], vcc, exec
	v_mov_b32_e32 v12, 0
	s_or_b64 s[4:5], s[4:5], s[8:9]
	s_or_b64 exec, exec, s[6:7]
	s_and_saveexec_b64 s[6:7], s[4:5]
	s_cbranch_execz .LBB2_31049
; %bb.54931:
	s_getpc_b64 s[14:15]
.Lpost_getpc31049:
	s_add_u32 s14, s14, (.LBB2_4755-.Lpost_getpc31049)&4294967295
	s_addc_u32 s15, s15, (.LBB2_4755-.Lpost_getpc31049)>>32
	s_setpc_b64 s[14:15]
.LBB2_31049:
	s_getpc_b64 s[14:15]
.Lpost_getpc19108:
	s_add_u32 s14, s14, (.LBB2_4756-.Lpost_getpc19108)&4294967295
	s_addc_u32 s15, s15, (.LBB2_4756-.Lpost_getpc19108)>>32
	s_setpc_b64 s[14:15]
.LBB2_19093:
	s_movk_i32 s4, 0x80
	v_cmp_eq_u16_e32 vcc, s4, v13
	s_mov_b64 s[4:5], -1
                                        ; implicit-def: $sgpr10
	s_and_saveexec_b64 s[8:9], vcc
; %bb.19094:
	s_mov_b32 s10, 0x7f800001
	s_xor_b64 s[4:5], exec, -1
; %bb.19095:
	s_or_b64 exec, exec, s[8:9]
	s_and_b64 s[4:5], s[4:5], exec
                                        ; implicit-def: $vgpr13
	s_or_saveexec_b64 s[6:7], s[6:7]
	v_mov_b32_e32 v14, s10
	s_xor_b64 exec, exec, s[6:7]
	s_cbranch_execnz .LBB2_19096
; %bb.54933:
	s_getpc_b64 s[14:15]
.Lpost_getpc31050:
	s_add_u32 s14, s14, (.LBB2_4758-.Lpost_getpc31050)&4294967295
	s_addc_u32 s15, s15, (.LBB2_4758-.Lpost_getpc31050)>>32
	s_setpc_b64 s[14:15]
.LBB2_19096:
	v_cmp_ne_u16_e32 vcc, 0, v13
	s_andn2_b64 s[4:5], s[4:5], exec
	s_and_b64 s[8:9], vcc, exec
	v_mov_b32_e32 v14, 0
	s_or_b64 s[4:5], s[4:5], s[8:9]
	s_or_b64 exec, exec, s[6:7]
	s_and_saveexec_b64 s[6:7], s[4:5]
	s_cbranch_execz .LBB2_31051
; %bb.54935:
	s_getpc_b64 s[14:15]
.Lpost_getpc31051:
	s_add_u32 s14, s14, (.LBB2_4759-.Lpost_getpc31051)&4294967295
	s_addc_u32 s15, s15, (.LBB2_4759-.Lpost_getpc31051)>>32
	s_setpc_b64 s[14:15]
.LBB2_31051:
	s_getpc_b64 s[14:15]
.Lpost_getpc19109:
	s_add_u32 s14, s14, (.LBB2_4760-.Lpost_getpc19109)&4294967295
	s_addc_u32 s15, s15, (.LBB2_4760-.Lpost_getpc19109)>>32
	s_setpc_b64 s[14:15]
.LBB2_19097:
	s_movk_i32 s4, 0x80
	v_cmp_eq_u16_sdwa s[12:13], v6, s4 src0_sel:BYTE_3 src1_sel:DWORD
	s_mov_b64 s[4:5], -1
                                        ; implicit-def: $sgpr10
	s_and_saveexec_b64 s[8:9], s[12:13]
; %bb.19098:
	s_mov_b32 s10, 0x7f800001
	s_xor_b64 s[4:5], exec, -1
; %bb.19099:
	s_or_b64 exec, exec, s[8:9]
	s_and_b64 s[4:5], s[4:5], exec
	s_or_saveexec_b64 s[6:7], s[6:7]
	v_mov_b32_e32 v12, s10
	s_xor_b64 exec, exec, s[6:7]
	s_cbranch_execnz .LBB2_19100
; %bb.54937:
	s_getpc_b64 s[14:15]
.Lpost_getpc31052:
	s_add_u32 s14, s14, (.LBB2_4762-.Lpost_getpc31052)&4294967295
	s_addc_u32 s15, s15, (.LBB2_4762-.Lpost_getpc31052)>>32
	s_setpc_b64 s[14:15]
.LBB2_19100:
	v_mov_b32_e32 v12, 0
	v_cmp_ne_u16_sdwa s[8:9], v6, v12 src0_sel:BYTE_3 src1_sel:DWORD
	s_andn2_b64 s[4:5], s[4:5], exec
	s_and_b64 s[8:9], s[8:9], exec
	s_or_b64 s[4:5], s[4:5], s[8:9]
	s_or_b64 exec, exec, s[6:7]
	s_and_saveexec_b64 s[6:7], s[4:5]
	s_cbranch_execz .LBB2_31053
; %bb.54939:
	s_getpc_b64 s[14:15]
.Lpost_getpc31053:
	s_add_u32 s14, s14, (.LBB2_4763-.Lpost_getpc31053)&4294967295
	s_addc_u32 s15, s15, (.LBB2_4763-.Lpost_getpc31053)>>32
	s_setpc_b64 s[14:15]
.LBB2_31053:
	s_getpc_b64 s[14:15]
.Lpost_getpc19110:
	s_add_u32 s14, s14, (.LBB2_4764-.Lpost_getpc19110)&4294967295
	s_addc_u32 s15, s15, (.LBB2_4764-.Lpost_getpc19110)>>32
	s_setpc_b64 s[14:15]
.LBB2_19101:
	s_movk_i32 s4, 0x80
	v_cmp_eq_u16_sdwa s[12:13], v2, s4 src0_sel:BYTE_3 src1_sel:DWORD
	s_mov_b64 s[4:5], -1
                                        ; implicit-def: $sgpr10
	s_and_saveexec_b64 s[8:9], s[12:13]
; %bb.19102:
	s_mov_b32 s10, 0x7f800001
	s_xor_b64 s[4:5], exec, -1
; %bb.19103:
	s_or_b64 exec, exec, s[8:9]
	s_and_b64 s[4:5], s[4:5], exec
	s_or_saveexec_b64 s[6:7], s[6:7]
	v_mov_b32_e32 v6, s10
	s_xor_b64 exec, exec, s[6:7]
	s_cbranch_execnz .LBB2_19104
; %bb.54941:
	s_getpc_b64 s[14:15]
.Lpost_getpc31054:
	s_add_u32 s14, s14, (.LBB2_4766-.Lpost_getpc31054)&4294967295
	s_addc_u32 s15, s15, (.LBB2_4766-.Lpost_getpc31054)>>32
	s_setpc_b64 s[14:15]
.LBB2_19104:
	v_mov_b32_e32 v6, 0
	v_cmp_ne_u16_sdwa s[8:9], v2, v6 src0_sel:BYTE_3 src1_sel:DWORD
	s_andn2_b64 s[4:5], s[4:5], exec
	s_and_b64 s[8:9], s[8:9], exec
	s_or_b64 s[4:5], s[4:5], s[8:9]
	s_or_b64 exec, exec, s[6:7]
	s_and_saveexec_b64 s[6:7], s[4:5]
	s_cbranch_execz .LBB2_31055
; %bb.54943:
	s_getpc_b64 s[14:15]
.Lpost_getpc31055:
	s_add_u32 s14, s14, (.LBB2_4767-.Lpost_getpc31055)&4294967295
	s_addc_u32 s15, s15, (.LBB2_4767-.Lpost_getpc31055)>>32
	s_setpc_b64 s[14:15]
.LBB2_31055:
	s_getpc_b64 s[14:15]
.Lpost_getpc19111:
	s_add_u32 s14, s14, (.LBB2_4768-.Lpost_getpc19111)&4294967295
	s_addc_u32 s15, s15, (.LBB2_4768-.Lpost_getpc19111)>>32
	s_setpc_b64 s[14:15]
.LBB2_19105:
	s_movk_i32 s4, 0x80
	v_cmp_eq_u16_sdwa s[12:13], v7, s4 src0_sel:BYTE_0 src1_sel:DWORD
	s_mov_b64 s[4:5], -1
                                        ; implicit-def: $sgpr10
	s_and_saveexec_b64 s[8:9], s[12:13]
; %bb.19106:
	s_mov_b32 s10, 0x7f800001
	s_xor_b64 s[4:5], exec, -1
; %bb.19107:
	s_or_b64 exec, exec, s[8:9]
	s_and_b64 s[4:5], s[4:5], exec
	s_or_saveexec_b64 s[6:7], s[6:7]
	v_mov_b32_e32 v2, s10
	s_xor_b64 exec, exec, s[6:7]
	s_cbranch_execnz .LBB2_19108
; %bb.54945:
	s_getpc_b64 s[14:15]
.Lpost_getpc31056:
	s_add_u32 s14, s14, (.LBB2_4770-.Lpost_getpc31056)&4294967295
	s_addc_u32 s15, s15, (.LBB2_4770-.Lpost_getpc31056)>>32
	s_setpc_b64 s[14:15]
.LBB2_19108:
	v_mov_b32_e32 v2, 0
	v_cmp_ne_u16_sdwa s[8:9], v7, v2 src0_sel:BYTE_0 src1_sel:DWORD
	s_andn2_b64 s[4:5], s[4:5], exec
	s_and_b64 s[8:9], s[8:9], exec
	s_or_b64 s[4:5], s[4:5], s[8:9]
	s_or_b64 exec, exec, s[6:7]
	s_and_saveexec_b64 s[6:7], s[4:5]
	s_cbranch_execz .LBB2_31057
; %bb.54947:
	s_getpc_b64 s[14:15]
.Lpost_getpc31057:
	s_add_u32 s14, s14, (.LBB2_4771-.Lpost_getpc31057)&4294967295
	s_addc_u32 s15, s15, (.LBB2_4771-.Lpost_getpc31057)>>32
	s_setpc_b64 s[14:15]
.LBB2_31057:
	s_getpc_b64 s[14:15]
.Lpost_getpc19112:
	s_add_u32 s14, s14, (.LBB2_4772-.Lpost_getpc19112)&4294967295
	s_addc_u32 s15, s15, (.LBB2_4772-.Lpost_getpc19112)>>32
	s_setpc_b64 s[14:15]
.LBB2_19109:
	s_movk_i32 s4, 0x80
	v_cmp_eq_u16_sdwa s[12:13], v3, s4 src0_sel:BYTE_0 src1_sel:DWORD
	s_mov_b64 s[4:5], -1
                                        ; implicit-def: $sgpr10
	s_and_saveexec_b64 s[8:9], s[12:13]
; %bb.19110:
	s_mov_b32 s10, 0x7f800001
	s_xor_b64 s[4:5], exec, -1
; %bb.19111:
	s_or_b64 exec, exec, s[8:9]
	s_and_b64 s[4:5], s[4:5], exec
	s_or_saveexec_b64 s[6:7], s[6:7]
	v_mov_b32_e32 v6, s10
	s_xor_b64 exec, exec, s[6:7]
	s_cbranch_execnz .LBB2_19112
; %bb.54949:
	s_getpc_b64 s[14:15]
.Lpost_getpc31058:
	s_add_u32 s14, s14, (.LBB2_4774-.Lpost_getpc31058)&4294967295
	s_addc_u32 s15, s15, (.LBB2_4774-.Lpost_getpc31058)>>32
	s_setpc_b64 s[14:15]
.LBB2_19112:
	v_mov_b32_e32 v6, 0
	v_cmp_ne_u16_sdwa s[8:9], v3, v6 src0_sel:BYTE_0 src1_sel:DWORD
	s_andn2_b64 s[4:5], s[4:5], exec
	s_and_b64 s[8:9], s[8:9], exec
	s_or_b64 s[4:5], s[4:5], s[8:9]
	s_or_b64 exec, exec, s[6:7]
	s_and_saveexec_b64 s[6:7], s[4:5]
	s_cbranch_execz .LBB2_31059
; %bb.54951:
	s_getpc_b64 s[14:15]
.Lpost_getpc31059:
	s_add_u32 s14, s14, (.LBB2_4775-.Lpost_getpc31059)&4294967295
	s_addc_u32 s15, s15, (.LBB2_4775-.Lpost_getpc31059)>>32
	s_setpc_b64 s[14:15]
.LBB2_31059:
	s_getpc_b64 s[14:15]
.Lpost_getpc19113:
	s_add_u32 s14, s14, (.LBB2_4776-.Lpost_getpc19113)&4294967295
	s_addc_u32 s15, s15, (.LBB2_4776-.Lpost_getpc19113)>>32
	s_setpc_b64 s[14:15]
.LBB2_19113:
	s_movk_i32 s4, 0x80
	v_cmp_eq_u16_sdwa s[12:13], v6, s4 src0_sel:BYTE_0 src1_sel:DWORD
	s_mov_b64 s[4:5], -1
                                        ; implicit-def: $sgpr10
	s_and_saveexec_b64 s[8:9], s[12:13]
; %bb.19114:
	s_mov_b32 s10, 0x7f800001
	s_xor_b64 s[4:5], exec, -1
; %bb.19115:
	s_or_b64 exec, exec, s[8:9]
	s_and_b64 s[4:5], s[4:5], exec
	s_or_saveexec_b64 s[6:7], s[6:7]
	v_mov_b32_e32 v2, s10
	s_xor_b64 exec, exec, s[6:7]
	s_cbranch_execnz .LBB2_19116
; %bb.54953:
	s_getpc_b64 s[14:15]
.Lpost_getpc31060:
	s_add_u32 s14, s14, (.LBB2_4778-.Lpost_getpc31060)&4294967295
	s_addc_u32 s15, s15, (.LBB2_4778-.Lpost_getpc31060)>>32
	s_setpc_b64 s[14:15]
.LBB2_19116:
	v_mov_b32_e32 v2, 0
	v_cmp_ne_u16_sdwa s[8:9], v6, v2 src0_sel:BYTE_0 src1_sel:DWORD
	s_andn2_b64 s[4:5], s[4:5], exec
	s_and_b64 s[8:9], s[8:9], exec
	s_or_b64 s[4:5], s[4:5], s[8:9]
	s_or_b64 exec, exec, s[6:7]
	s_and_saveexec_b64 s[6:7], s[4:5]
	s_cbranch_execz .LBB2_31061
; %bb.54955:
	s_getpc_b64 s[14:15]
.Lpost_getpc31061:
	s_add_u32 s14, s14, (.LBB2_4779-.Lpost_getpc31061)&4294967295
	s_addc_u32 s15, s15, (.LBB2_4779-.Lpost_getpc31061)>>32
	s_setpc_b64 s[14:15]
.LBB2_31061:
	s_getpc_b64 s[14:15]
.Lpost_getpc19114:
	s_add_u32 s14, s14, (.LBB2_4780-.Lpost_getpc19114)&4294967295
	s_addc_u32 s15, s15, (.LBB2_4780-.Lpost_getpc19114)>>32
	s_setpc_b64 s[14:15]
.LBB2_19117:
	s_movk_i32 s4, 0x80
	v_cmp_eq_u16_sdwa s[12:13], v6, s4 src0_sel:BYTE_0 src1_sel:DWORD
	s_mov_b64 s[4:5], -1
                                        ; implicit-def: $sgpr10
	s_and_saveexec_b64 s[8:9], s[12:13]
; %bb.19118:
	s_mov_b32 s10, 0x7f800001
	s_xor_b64 s[4:5], exec, -1
; %bb.19119:
	s_or_b64 exec, exec, s[8:9]
	s_and_b64 s[4:5], s[4:5], exec
	s_or_saveexec_b64 s[6:7], s[6:7]
	v_mov_b32_e32 v12, s10
	s_xor_b64 exec, exec, s[6:7]
	s_cbranch_execnz .LBB2_19120
; %bb.54957:
	s_getpc_b64 s[14:15]
.Lpost_getpc31062:
	s_add_u32 s14, s14, (.LBB2_4782-.Lpost_getpc31062)&4294967295
	s_addc_u32 s15, s15, (.LBB2_4782-.Lpost_getpc31062)>>32
	s_setpc_b64 s[14:15]
.LBB2_19120:
	v_mov_b32_e32 v12, 0
	v_cmp_ne_u16_sdwa s[8:9], v6, v12 src0_sel:BYTE_0 src1_sel:DWORD
	s_andn2_b64 s[4:5], s[4:5], exec
	s_and_b64 s[8:9], s[8:9], exec
	s_or_b64 s[4:5], s[4:5], s[8:9]
	s_or_b64 exec, exec, s[6:7]
	s_and_saveexec_b64 s[6:7], s[4:5]
	s_cbranch_execz .LBB2_31063
; %bb.54959:
	s_getpc_b64 s[14:15]
.Lpost_getpc31063:
	s_add_u32 s14, s14, (.LBB2_4783-.Lpost_getpc31063)&4294967295
	s_addc_u32 s15, s15, (.LBB2_4783-.Lpost_getpc31063)>>32
	s_setpc_b64 s[14:15]
.LBB2_31063:
	s_getpc_b64 s[14:15]
.Lpost_getpc19115:
	s_add_u32 s14, s14, (.LBB2_4784-.Lpost_getpc19115)&4294967295
	s_addc_u32 s15, s15, (.LBB2_4784-.Lpost_getpc19115)>>32
	s_setpc_b64 s[14:15]
.LBB2_19121:
	s_movk_i32 s4, 0x80
	v_cmp_eq_u16_e32 vcc, s4, v6
	s_mov_b64 s[4:5], -1
                                        ; implicit-def: $sgpr10
	s_and_saveexec_b64 s[8:9], vcc
; %bb.19122:
	s_mov_b32 s10, 0x7f800001
	s_xor_b64 s[4:5], exec, -1
; %bb.19123:
	s_or_b64 exec, exec, s[8:9]
	s_and_b64 s[4:5], s[4:5], exec
                                        ; implicit-def: $vgpr6
	s_or_saveexec_b64 s[6:7], s[6:7]
	v_mov_b32_e32 v2, s10
	s_xor_b64 exec, exec, s[6:7]
	s_cbranch_execnz .LBB2_19124
; %bb.54961:
	s_getpc_b64 s[14:15]
.Lpost_getpc31064:
	s_add_u32 s14, s14, (.LBB2_4786-.Lpost_getpc31064)&4294967295
	s_addc_u32 s15, s15, (.LBB2_4786-.Lpost_getpc31064)>>32
	s_setpc_b64 s[14:15]
.LBB2_19124:
	v_cmp_ne_u16_e32 vcc, 0, v6
	s_andn2_b64 s[4:5], s[4:5], exec
	s_and_b64 s[8:9], vcc, exec
	v_mov_b32_e32 v2, 0
	s_or_b64 s[4:5], s[4:5], s[8:9]
	s_or_b64 exec, exec, s[6:7]
	s_and_saveexec_b64 s[6:7], s[4:5]
	s_cbranch_execz .LBB2_31065
; %bb.54963:
	s_getpc_b64 s[14:15]
.Lpost_getpc31065:
	s_add_u32 s14, s14, (.LBB2_4787-.Lpost_getpc31065)&4294967295
	s_addc_u32 s15, s15, (.LBB2_4787-.Lpost_getpc31065)>>32
	s_setpc_b64 s[14:15]
.LBB2_31065:
	s_getpc_b64 s[14:15]
.Lpost_getpc19116:
	s_add_u32 s14, s14, (.LBB2_4788-.Lpost_getpc19116)&4294967295
	s_addc_u32 s15, s15, (.LBB2_4788-.Lpost_getpc19116)>>32
	s_setpc_b64 s[14:15]
.LBB2_19125:
	s_movk_i32 s4, 0x80
	v_cmp_eq_u16_e32 vcc, s4, v6
	s_mov_b64 s[4:5], -1
                                        ; implicit-def: $sgpr10
	s_and_saveexec_b64 s[8:9], vcc
; %bb.19126:
	s_mov_b32 s10, 0x7f800001
	s_xor_b64 s[4:5], exec, -1
; %bb.19127:
	s_or_b64 exec, exec, s[8:9]
	s_and_b64 s[4:5], s[4:5], exec
                                        ; implicit-def: $vgpr6
	s_or_saveexec_b64 s[6:7], s[6:7]
	v_mov_b32_e32 v12, s10
	s_xor_b64 exec, exec, s[6:7]
	s_cbranch_execnz .LBB2_19128
; %bb.54965:
	s_getpc_b64 s[14:15]
.Lpost_getpc31066:
	s_add_u32 s14, s14, (.LBB2_4790-.Lpost_getpc31066)&4294967295
	s_addc_u32 s15, s15, (.LBB2_4790-.Lpost_getpc31066)>>32
	s_setpc_b64 s[14:15]
.LBB2_19128:
	v_cmp_ne_u16_e32 vcc, 0, v6
	s_andn2_b64 s[4:5], s[4:5], exec
	s_and_b64 s[8:9], vcc, exec
	v_mov_b32_e32 v12, 0
	s_or_b64 s[4:5], s[4:5], s[8:9]
	s_or_b64 exec, exec, s[6:7]
	s_and_saveexec_b64 s[6:7], s[4:5]
	s_cbranch_execz .LBB2_31067
; %bb.54967:
	s_getpc_b64 s[14:15]
.Lpost_getpc31067:
	s_add_u32 s14, s14, (.LBB2_4791-.Lpost_getpc31067)&4294967295
	s_addc_u32 s15, s15, (.LBB2_4791-.Lpost_getpc31067)>>32
	s_setpc_b64 s[14:15]
.LBB2_31067:
	s_getpc_b64 s[14:15]
.Lpost_getpc19117:
	s_add_u32 s14, s14, (.LBB2_4792-.Lpost_getpc19117)&4294967295
	s_addc_u32 s15, s15, (.LBB2_4792-.Lpost_getpc19117)>>32
	s_setpc_b64 s[14:15]
.LBB2_19129:
	s_movk_i32 s4, 0x80
	v_cmp_eq_u16_sdwa s[12:13], v7, s4 src0_sel:BYTE_3 src1_sel:DWORD
	s_mov_b64 s[4:5], -1
                                        ; implicit-def: $sgpr10
	s_and_saveexec_b64 s[8:9], s[12:13]
; %bb.19130:
	s_mov_b32 s10, 0x7f800001
	s_xor_b64 s[4:5], exec, -1
; %bb.19131:
	s_or_b64 exec, exec, s[8:9]
	s_and_b64 s[4:5], s[4:5], exec
	s_or_saveexec_b64 s[6:7], s[6:7]
	v_mov_b32_e32 v2, s10
	s_xor_b64 exec, exec, s[6:7]
	s_cbranch_execnz .LBB2_19132
; %bb.54969:
	s_getpc_b64 s[14:15]
.Lpost_getpc31068:
	s_add_u32 s14, s14, (.LBB2_4794-.Lpost_getpc31068)&4294967295
	s_addc_u32 s15, s15, (.LBB2_4794-.Lpost_getpc31068)>>32
	s_setpc_b64 s[14:15]
.LBB2_19132:
	v_mov_b32_e32 v2, 0
	v_cmp_ne_u16_sdwa s[8:9], v7, v2 src0_sel:BYTE_3 src1_sel:DWORD
	s_andn2_b64 s[4:5], s[4:5], exec
	s_and_b64 s[8:9], s[8:9], exec
	s_or_b64 s[4:5], s[4:5], s[8:9]
	s_or_b64 exec, exec, s[6:7]
	s_and_saveexec_b64 s[6:7], s[4:5]
	s_cbranch_execz .LBB2_31069
; %bb.54971:
	s_getpc_b64 s[14:15]
.Lpost_getpc31069:
	s_add_u32 s14, s14, (.LBB2_4795-.Lpost_getpc31069)&4294967295
	s_addc_u32 s15, s15, (.LBB2_4795-.Lpost_getpc31069)>>32
	s_setpc_b64 s[14:15]
.LBB2_31069:
	s_getpc_b64 s[14:15]
.Lpost_getpc19118:
	s_add_u32 s14, s14, (.LBB2_4796-.Lpost_getpc19118)&4294967295
	s_addc_u32 s15, s15, (.LBB2_4796-.Lpost_getpc19118)>>32
	s_setpc_b64 s[14:15]
.LBB2_19133:
	s_movk_i32 s4, 0x80
	v_cmp_eq_u16_sdwa s[12:13], v3, s4 src0_sel:BYTE_3 src1_sel:DWORD
	s_mov_b64 s[4:5], -1
                                        ; implicit-def: $sgpr10
	s_and_saveexec_b64 s[8:9], s[12:13]
; %bb.19134:
	s_mov_b32 s10, 0x7f800001
	s_xor_b64 s[4:5], exec, -1
; %bb.19135:
	s_or_b64 exec, exec, s[8:9]
	s_and_b64 s[4:5], s[4:5], exec
	s_or_saveexec_b64 s[6:7], s[6:7]
	v_mov_b32_e32 v6, s10
	s_xor_b64 exec, exec, s[6:7]
	s_cbranch_execnz .LBB2_19136
; %bb.54973:
	s_getpc_b64 s[14:15]
.Lpost_getpc31070:
	s_add_u32 s14, s14, (.LBB2_4798-.Lpost_getpc31070)&4294967295
	s_addc_u32 s15, s15, (.LBB2_4798-.Lpost_getpc31070)>>32
	s_setpc_b64 s[14:15]
.LBB2_19136:
	v_mov_b32_e32 v6, 0
	v_cmp_ne_u16_sdwa s[8:9], v3, v6 src0_sel:BYTE_3 src1_sel:DWORD
	s_andn2_b64 s[4:5], s[4:5], exec
	s_and_b64 s[8:9], s[8:9], exec
	s_or_b64 s[4:5], s[4:5], s[8:9]
	s_or_b64 exec, exec, s[6:7]
	s_and_saveexec_b64 s[6:7], s[4:5]
	s_cbranch_execz .LBB2_31071
; %bb.54975:
	s_getpc_b64 s[14:15]
.Lpost_getpc31071:
	s_add_u32 s14, s14, (.LBB2_4799-.Lpost_getpc31071)&4294967295
	s_addc_u32 s15, s15, (.LBB2_4799-.Lpost_getpc31071)>>32
	s_setpc_b64 s[14:15]
.LBB2_31071:
	s_getpc_b64 s[14:15]
.Lpost_getpc19119:
	s_add_u32 s14, s14, (.LBB2_4800-.Lpost_getpc19119)&4294967295
	s_addc_u32 s15, s15, (.LBB2_4800-.Lpost_getpc19119)>>32
	s_setpc_b64 s[14:15]
.LBB2_19137:
	s_movk_i32 s4, 0x80
	v_cmp_eq_u16_sdwa s[12:13], v8, s4 src0_sel:BYTE_0 src1_sel:DWORD
	s_mov_b64 s[4:5], -1
                                        ; implicit-def: $sgpr10
	s_and_saveexec_b64 s[8:9], s[12:13]
; %bb.19138:
	s_mov_b32 s10, 0x7f800001
	s_xor_b64 s[4:5], exec, -1
; %bb.19139:
	s_or_b64 exec, exec, s[8:9]
	s_and_b64 s[4:5], s[4:5], exec
	s_or_saveexec_b64 s[6:7], s[6:7]
	v_mov_b32_e32 v2, s10
	s_xor_b64 exec, exec, s[6:7]
	s_cbranch_execnz .LBB2_19140
; %bb.54977:
	s_getpc_b64 s[14:15]
.Lpost_getpc31072:
	s_add_u32 s14, s14, (.LBB2_4802-.Lpost_getpc31072)&4294967295
	s_addc_u32 s15, s15, (.LBB2_4802-.Lpost_getpc31072)>>32
	s_setpc_b64 s[14:15]
.LBB2_19140:
	v_mov_b32_e32 v2, 0
	v_cmp_ne_u16_sdwa s[8:9], v8, v2 src0_sel:BYTE_0 src1_sel:DWORD
	s_andn2_b64 s[4:5], s[4:5], exec
	s_and_b64 s[8:9], s[8:9], exec
	s_or_b64 s[4:5], s[4:5], s[8:9]
	s_or_b64 exec, exec, s[6:7]
	s_and_saveexec_b64 s[6:7], s[4:5]
	s_cbranch_execz .LBB2_31073
; %bb.54979:
	s_getpc_b64 s[14:15]
.Lpost_getpc31073:
	s_add_u32 s14, s14, (.LBB2_4803-.Lpost_getpc31073)&4294967295
	s_addc_u32 s15, s15, (.LBB2_4803-.Lpost_getpc31073)>>32
	s_setpc_b64 s[14:15]
.LBB2_31073:
	s_getpc_b64 s[14:15]
.Lpost_getpc19120:
	s_add_u32 s14, s14, (.LBB2_4804-.Lpost_getpc19120)&4294967295
	s_addc_u32 s15, s15, (.LBB2_4804-.Lpost_getpc19120)>>32
	s_setpc_b64 s[14:15]
.LBB2_19141:
	s_movk_i32 s4, 0x80
	v_cmp_eq_u16_sdwa s[12:13], v4, s4 src0_sel:BYTE_0 src1_sel:DWORD
	s_mov_b64 s[4:5], -1
                                        ; implicit-def: $sgpr10
	s_and_saveexec_b64 s[8:9], s[12:13]
; %bb.19142:
	s_mov_b32 s10, 0x7f800001
	s_xor_b64 s[4:5], exec, -1
; %bb.19143:
	s_or_b64 exec, exec, s[8:9]
	s_and_b64 s[4:5], s[4:5], exec
	s_or_saveexec_b64 s[6:7], s[6:7]
	v_mov_b32_e32 v3, s10
	s_xor_b64 exec, exec, s[6:7]
	s_cbranch_execnz .LBB2_19144
; %bb.54981:
	s_getpc_b64 s[14:15]
.Lpost_getpc31074:
	s_add_u32 s14, s14, (.LBB2_4806-.Lpost_getpc31074)&4294967295
	s_addc_u32 s15, s15, (.LBB2_4806-.Lpost_getpc31074)>>32
	s_setpc_b64 s[14:15]
.LBB2_19144:
	v_mov_b32_e32 v3, 0
	v_cmp_ne_u16_sdwa s[8:9], v4, v3 src0_sel:BYTE_0 src1_sel:DWORD
	s_andn2_b64 s[4:5], s[4:5], exec
	s_and_b64 s[8:9], s[8:9], exec
	s_or_b64 s[4:5], s[4:5], s[8:9]
	s_or_b64 exec, exec, s[6:7]
	s_and_saveexec_b64 s[6:7], s[4:5]
	s_cbranch_execz .LBB2_31075
; %bb.54983:
	s_getpc_b64 s[14:15]
.Lpost_getpc31075:
	s_add_u32 s14, s14, (.LBB2_4807-.Lpost_getpc31075)&4294967295
	s_addc_u32 s15, s15, (.LBB2_4807-.Lpost_getpc31075)>>32
	s_setpc_b64 s[14:15]
.LBB2_31075:
	s_getpc_b64 s[14:15]
.Lpost_getpc19121:
	s_add_u32 s14, s14, (.LBB2_4808-.Lpost_getpc19121)&4294967295
	s_addc_u32 s15, s15, (.LBB2_4808-.Lpost_getpc19121)>>32
	s_setpc_b64 s[14:15]
.LBB2_19145:
	s_movk_i32 s4, 0x80
	v_cmp_eq_u16_sdwa s[12:13], v3, s4 src0_sel:BYTE_0 src1_sel:DWORD
	s_mov_b64 s[4:5], -1
                                        ; implicit-def: $sgpr10
	s_and_saveexec_b64 s[8:9], s[12:13]
; %bb.19146:
	s_mov_b32 s10, 0x7f800001
	s_xor_b64 s[4:5], exec, -1
; %bb.19147:
	s_or_b64 exec, exec, s[8:9]
	s_and_b64 s[4:5], s[4:5], exec
	s_or_saveexec_b64 s[6:7], s[6:7]
	v_mov_b32_e32 v2, s10
	s_xor_b64 exec, exec, s[6:7]
	s_cbranch_execnz .LBB2_19148
; %bb.54985:
	s_getpc_b64 s[14:15]
.Lpost_getpc31076:
	s_add_u32 s14, s14, (.LBB2_4810-.Lpost_getpc31076)&4294967295
	s_addc_u32 s15, s15, (.LBB2_4810-.Lpost_getpc31076)>>32
	s_setpc_b64 s[14:15]
.LBB2_19148:
	v_mov_b32_e32 v2, 0
	v_cmp_ne_u16_sdwa s[8:9], v3, v2 src0_sel:BYTE_0 src1_sel:DWORD
	s_andn2_b64 s[4:5], s[4:5], exec
	s_and_b64 s[8:9], s[8:9], exec
	s_or_b64 s[4:5], s[4:5], s[8:9]
	s_or_b64 exec, exec, s[6:7]
	s_and_saveexec_b64 s[6:7], s[4:5]
	s_cbranch_execz .LBB2_31077
; %bb.54987:
	s_getpc_b64 s[14:15]
.Lpost_getpc31077:
	s_add_u32 s14, s14, (.LBB2_4811-.Lpost_getpc31077)&4294967295
	s_addc_u32 s15, s15, (.LBB2_4811-.Lpost_getpc31077)>>32
	s_setpc_b64 s[14:15]
.LBB2_31077:
	s_getpc_b64 s[14:15]
.Lpost_getpc19122:
	s_add_u32 s14, s14, (.LBB2_4812-.Lpost_getpc19122)&4294967295
	s_addc_u32 s15, s15, (.LBB2_4812-.Lpost_getpc19122)>>32
	s_setpc_b64 s[14:15]
.LBB2_19149:
	s_movk_i32 s4, 0x80
	v_cmp_eq_u16_sdwa s[12:13], v3, s4 src0_sel:BYTE_0 src1_sel:DWORD
	s_mov_b64 s[4:5], -1
                                        ; implicit-def: $sgpr10
	s_and_saveexec_b64 s[8:9], s[12:13]
; %bb.19150:
	s_mov_b32 s10, 0x7f800001
	s_xor_b64 s[4:5], exec, -1
; %bb.19151:
	s_or_b64 exec, exec, s[8:9]
	s_and_b64 s[4:5], s[4:5], exec
	s_or_saveexec_b64 s[6:7], s[6:7]
	v_mov_b32_e32 v6, s10
	s_xor_b64 exec, exec, s[6:7]
	s_cbranch_execnz .LBB2_19152
; %bb.54989:
	s_getpc_b64 s[14:15]
.Lpost_getpc31078:
	s_add_u32 s14, s14, (.LBB2_4814-.Lpost_getpc31078)&4294967295
	s_addc_u32 s15, s15, (.LBB2_4814-.Lpost_getpc31078)>>32
	s_setpc_b64 s[14:15]
.LBB2_19152:
	v_mov_b32_e32 v6, 0
	v_cmp_ne_u16_sdwa s[8:9], v3, v6 src0_sel:BYTE_0 src1_sel:DWORD
	s_andn2_b64 s[4:5], s[4:5], exec
	s_and_b64 s[8:9], s[8:9], exec
	s_or_b64 s[4:5], s[4:5], s[8:9]
	s_or_b64 exec, exec, s[6:7]
	s_and_saveexec_b64 s[6:7], s[4:5]
	s_cbranch_execz .LBB2_31079
; %bb.54991:
	s_getpc_b64 s[14:15]
.Lpost_getpc31079:
	s_add_u32 s14, s14, (.LBB2_4815-.Lpost_getpc31079)&4294967295
	s_addc_u32 s15, s15, (.LBB2_4815-.Lpost_getpc31079)>>32
	s_setpc_b64 s[14:15]
.LBB2_31079:
	s_getpc_b64 s[14:15]
.Lpost_getpc19123:
	s_add_u32 s14, s14, (.LBB2_4816-.Lpost_getpc19123)&4294967295
	s_addc_u32 s15, s15, (.LBB2_4816-.Lpost_getpc19123)>>32
	s_setpc_b64 s[14:15]
.LBB2_19153:
	s_movk_i32 s4, 0x80
	v_cmp_eq_u16_e32 vcc, s4, v3
	s_mov_b64 s[4:5], -1
                                        ; implicit-def: $sgpr10
	s_and_saveexec_b64 s[8:9], vcc
; %bb.19154:
	s_mov_b32 s10, 0x7f800001
	s_xor_b64 s[4:5], exec, -1
; %bb.19155:
	s_or_b64 exec, exec, s[8:9]
	s_and_b64 s[4:5], s[4:5], exec
                                        ; implicit-def: $vgpr3
	s_or_saveexec_b64 s[6:7], s[6:7]
	v_mov_b32_e32 v2, s10
	s_xor_b64 exec, exec, s[6:7]
	s_cbranch_execnz .LBB2_19156
; %bb.54993:
	s_getpc_b64 s[14:15]
.Lpost_getpc31080:
	s_add_u32 s14, s14, (.LBB2_4818-.Lpost_getpc31080)&4294967295
	s_addc_u32 s15, s15, (.LBB2_4818-.Lpost_getpc31080)>>32
	s_setpc_b64 s[14:15]
.LBB2_19156:
	v_cmp_ne_u16_e32 vcc, 0, v3
	s_andn2_b64 s[4:5], s[4:5], exec
	s_and_b64 s[8:9], vcc, exec
	v_mov_b32_e32 v2, 0
	s_or_b64 s[4:5], s[4:5], s[8:9]
	s_or_b64 exec, exec, s[6:7]
	s_and_saveexec_b64 s[6:7], s[4:5]
	s_cbranch_execz .LBB2_31081
; %bb.54995:
	s_getpc_b64 s[14:15]
.Lpost_getpc31081:
	s_add_u32 s14, s14, (.LBB2_4819-.Lpost_getpc31081)&4294967295
	s_addc_u32 s15, s15, (.LBB2_4819-.Lpost_getpc31081)>>32
	s_setpc_b64 s[14:15]
.LBB2_31081:
	s_getpc_b64 s[14:15]
.Lpost_getpc19124:
	s_add_u32 s14, s14, (.LBB2_4820-.Lpost_getpc19124)&4294967295
	s_addc_u32 s15, s15, (.LBB2_4820-.Lpost_getpc19124)>>32
	s_setpc_b64 s[14:15]
.LBB2_19157:
	s_movk_i32 s4, 0x80
	v_cmp_eq_u16_e32 vcc, s4, v3
	s_mov_b64 s[4:5], -1
                                        ; implicit-def: $sgpr10
	s_and_saveexec_b64 s[8:9], vcc
; %bb.19158:
	s_mov_b32 s10, 0x7f800001
	s_xor_b64 s[4:5], exec, -1
; %bb.19159:
	s_or_b64 exec, exec, s[8:9]
	s_and_b64 s[4:5], s[4:5], exec
                                        ; implicit-def: $vgpr3
	s_or_saveexec_b64 s[6:7], s[6:7]
	v_mov_b32_e32 v6, s10
	s_xor_b64 exec, exec, s[6:7]
	s_cbranch_execnz .LBB2_19160
; %bb.54997:
	s_getpc_b64 s[14:15]
.Lpost_getpc31082:
	s_add_u32 s14, s14, (.LBB2_4822-.Lpost_getpc31082)&4294967295
	s_addc_u32 s15, s15, (.LBB2_4822-.Lpost_getpc31082)>>32
	s_setpc_b64 s[14:15]
.LBB2_19160:
	v_cmp_ne_u16_e32 vcc, 0, v3
	s_andn2_b64 s[4:5], s[4:5], exec
	s_and_b64 s[8:9], vcc, exec
	v_mov_b32_e32 v6, 0
	s_or_b64 s[4:5], s[4:5], s[8:9]
	s_or_b64 exec, exec, s[6:7]
	s_and_saveexec_b64 s[6:7], s[4:5]
	s_cbranch_execz .LBB2_31083
; %bb.54999:
	s_getpc_b64 s[14:15]
.Lpost_getpc31083:
	s_add_u32 s14, s14, (.LBB2_4823-.Lpost_getpc31083)&4294967295
	s_addc_u32 s15, s15, (.LBB2_4823-.Lpost_getpc31083)>>32
	s_setpc_b64 s[14:15]
.LBB2_31083:
	s_getpc_b64 s[14:15]
.Lpost_getpc19125:
	s_add_u32 s14, s14, (.LBB2_4824-.Lpost_getpc19125)&4294967295
	s_addc_u32 s15, s15, (.LBB2_4824-.Lpost_getpc19125)>>32
	s_setpc_b64 s[14:15]
.LBB2_19161:
	s_movk_i32 s4, 0x80
	v_cmp_eq_u16_sdwa s[12:13], v8, s4 src0_sel:BYTE_3 src1_sel:DWORD
	s_mov_b64 s[4:5], -1
                                        ; implicit-def: $sgpr10
	s_and_saveexec_b64 s[8:9], s[12:13]
; %bb.19162:
	s_mov_b32 s10, 0x7f800001
	s_xor_b64 s[4:5], exec, -1
; %bb.19163:
	s_or_b64 exec, exec, s[8:9]
	s_and_b64 s[4:5], s[4:5], exec
	s_or_saveexec_b64 s[6:7], s[6:7]
	v_mov_b32_e32 v2, s10
	s_xor_b64 exec, exec, s[6:7]
	s_cbranch_execnz .LBB2_19164
; %bb.55001:
	s_getpc_b64 s[14:15]
.Lpost_getpc31084:
	s_add_u32 s14, s14, (.LBB2_4826-.Lpost_getpc31084)&4294967295
	s_addc_u32 s15, s15, (.LBB2_4826-.Lpost_getpc31084)>>32
	s_setpc_b64 s[14:15]
.LBB2_19164:
	v_mov_b32_e32 v2, 0
	v_cmp_ne_u16_sdwa s[8:9], v8, v2 src0_sel:BYTE_3 src1_sel:DWORD
	s_andn2_b64 s[4:5], s[4:5], exec
	s_and_b64 s[8:9], s[8:9], exec
	s_or_b64 s[4:5], s[4:5], s[8:9]
	s_or_b64 exec, exec, s[6:7]
	s_and_saveexec_b64 s[6:7], s[4:5]
	s_cbranch_execz .LBB2_31085
; %bb.55003:
	s_getpc_b64 s[14:15]
.Lpost_getpc31085:
	s_add_u32 s14, s14, (.LBB2_4827-.Lpost_getpc31085)&4294967295
	s_addc_u32 s15, s15, (.LBB2_4827-.Lpost_getpc31085)>>32
	s_setpc_b64 s[14:15]
.LBB2_31085:
	s_getpc_b64 s[14:15]
.Lpost_getpc19126:
	s_add_u32 s14, s14, (.LBB2_4828-.Lpost_getpc19126)&4294967295
	s_addc_u32 s15, s15, (.LBB2_4828-.Lpost_getpc19126)>>32
	s_setpc_b64 s[14:15]
.LBB2_19165:
	s_movk_i32 s4, 0x80
	v_cmp_eq_u16_sdwa s[12:13], v4, s4 src0_sel:BYTE_3 src1_sel:DWORD
	s_mov_b64 s[4:5], -1
                                        ; implicit-def: $sgpr10
	s_and_saveexec_b64 s[8:9], s[12:13]
; %bb.19166:
	s_mov_b32 s10, 0x7f800001
	s_xor_b64 s[4:5], exec, -1
; %bb.19167:
	s_or_b64 exec, exec, s[8:9]
	s_and_b64 s[4:5], s[4:5], exec
	s_or_saveexec_b64 s[6:7], s[6:7]
	v_mov_b32_e32 v3, s10
	s_xor_b64 exec, exec, s[6:7]
	s_cbranch_execnz .LBB2_19168
; %bb.55005:
	s_getpc_b64 s[14:15]
.Lpost_getpc31086:
	s_add_u32 s14, s14, (.LBB2_4830-.Lpost_getpc31086)&4294967295
	s_addc_u32 s15, s15, (.LBB2_4830-.Lpost_getpc31086)>>32
	s_setpc_b64 s[14:15]
.LBB2_19168:
	v_mov_b32_e32 v3, 0
	v_cmp_ne_u16_sdwa s[8:9], v4, v3 src0_sel:BYTE_3 src1_sel:DWORD
	s_andn2_b64 s[4:5], s[4:5], exec
	s_and_b64 s[8:9], s[8:9], exec
	s_or_b64 s[4:5], s[4:5], s[8:9]
	s_or_b64 exec, exec, s[6:7]
	s_and_saveexec_b64 s[6:7], s[4:5]
	s_cbranch_execz .LBB2_31087
; %bb.55007:
	s_getpc_b64 s[14:15]
.Lpost_getpc31087:
	s_add_u32 s14, s14, (.LBB2_4831-.Lpost_getpc31087)&4294967295
	s_addc_u32 s15, s15, (.LBB2_4831-.Lpost_getpc31087)>>32
	s_setpc_b64 s[14:15]
.LBB2_31087:
	s_getpc_b64 s[14:15]
.Lpost_getpc19127:
	s_add_u32 s14, s14, (.LBB2_4832-.Lpost_getpc19127)&4294967295
	s_addc_u32 s15, s15, (.LBB2_4832-.Lpost_getpc19127)>>32
	s_setpc_b64 s[14:15]
.LBB2_19169:
	s_movk_i32 s4, 0x80
	v_cmp_eq_u16_sdwa s[12:13], v9, s4 src0_sel:BYTE_0 src1_sel:DWORD
	s_mov_b64 s[4:5], -1
                                        ; implicit-def: $sgpr10
	s_and_saveexec_b64 s[8:9], s[12:13]
; %bb.19170:
	s_mov_b32 s10, 0x7f800001
	s_xor_b64 s[4:5], exec, -1
; %bb.19171:
	s_or_b64 exec, exec, s[8:9]
	s_and_b64 s[4:5], s[4:5], exec
	s_or_saveexec_b64 s[6:7], s[6:7]
	v_mov_b32_e32 v2, s10
	s_xor_b64 exec, exec, s[6:7]
	s_cbranch_execnz .LBB2_19172
; %bb.55009:
	s_getpc_b64 s[14:15]
.Lpost_getpc31088:
	s_add_u32 s14, s14, (.LBB2_4834-.Lpost_getpc31088)&4294967295
	s_addc_u32 s15, s15, (.LBB2_4834-.Lpost_getpc31088)>>32
	s_setpc_b64 s[14:15]
.LBB2_19172:
	v_mov_b32_e32 v2, 0
	v_cmp_ne_u16_sdwa s[8:9], v9, v2 src0_sel:BYTE_0 src1_sel:DWORD
	s_andn2_b64 s[4:5], s[4:5], exec
	s_and_b64 s[8:9], s[8:9], exec
	s_or_b64 s[4:5], s[4:5], s[8:9]
	s_or_b64 exec, exec, s[6:7]
	s_and_saveexec_b64 s[6:7], s[4:5]
	s_cbranch_execz .LBB2_31089
; %bb.55011:
	s_getpc_b64 s[14:15]
.Lpost_getpc31089:
	s_add_u32 s14, s14, (.LBB2_4835-.Lpost_getpc31089)&4294967295
	s_addc_u32 s15, s15, (.LBB2_4835-.Lpost_getpc31089)>>32
	s_setpc_b64 s[14:15]
.LBB2_31089:
	s_getpc_b64 s[14:15]
.Lpost_getpc19128:
	s_add_u32 s14, s14, (.LBB2_4836-.Lpost_getpc19128)&4294967295
	s_addc_u32 s15, s15, (.LBB2_4836-.Lpost_getpc19128)>>32
	s_setpc_b64 s[14:15]
.LBB2_19173:
	s_movk_i32 s4, 0x80
	v_cmp_eq_u16_sdwa s[12:13], v5, s4 src0_sel:BYTE_0 src1_sel:DWORD
	s_mov_b64 s[4:5], -1
                                        ; implicit-def: $sgpr10
	s_and_saveexec_b64 s[8:9], s[12:13]
; %bb.19174:
	s_mov_b32 s10, 0x7f800001
	s_xor_b64 s[4:5], exec, -1
; %bb.19175:
	s_or_b64 exec, exec, s[8:9]
	s_and_b64 s[4:5], s[4:5], exec
	s_or_saveexec_b64 s[6:7], s[6:7]
	v_mov_b32_e32 v3, s10
	s_xor_b64 exec, exec, s[6:7]
	s_cbranch_execnz .LBB2_19176
; %bb.55013:
	s_getpc_b64 s[14:15]
.Lpost_getpc31090:
	s_add_u32 s14, s14, (.LBB2_4838-.Lpost_getpc31090)&4294967295
	s_addc_u32 s15, s15, (.LBB2_4838-.Lpost_getpc31090)>>32
	s_setpc_b64 s[14:15]
.LBB2_19176:
	v_mov_b32_e32 v3, 0
	v_cmp_ne_u16_sdwa s[8:9], v5, v3 src0_sel:BYTE_0 src1_sel:DWORD
	s_andn2_b64 s[4:5], s[4:5], exec
	s_and_b64 s[8:9], s[8:9], exec
	s_or_b64 s[4:5], s[4:5], s[8:9]
	s_or_b64 exec, exec, s[6:7]
	s_and_saveexec_b64 s[6:7], s[4:5]
	s_cbranch_execz .LBB2_31091
; %bb.55015:
	s_getpc_b64 s[14:15]
.Lpost_getpc31091:
	s_add_u32 s14, s14, (.LBB2_4839-.Lpost_getpc31091)&4294967295
	s_addc_u32 s15, s15, (.LBB2_4839-.Lpost_getpc31091)>>32
	s_setpc_b64 s[14:15]
.LBB2_31091:
	s_getpc_b64 s[14:15]
.Lpost_getpc19129:
	s_add_u32 s14, s14, (.LBB2_4840-.Lpost_getpc19129)&4294967295
	s_addc_u32 s15, s15, (.LBB2_4840-.Lpost_getpc19129)>>32
	s_setpc_b64 s[14:15]
.LBB2_19177:
	s_movk_i32 s4, 0x80
	v_cmp_eq_u16_sdwa s[12:13], v3, s4 src0_sel:BYTE_0 src1_sel:DWORD
	s_mov_b64 s[4:5], -1
                                        ; implicit-def: $sgpr10
	s_and_saveexec_b64 s[8:9], s[12:13]
; %bb.19178:
	s_mov_b32 s10, 0x7f800001
	s_xor_b64 s[4:5], exec, -1
; %bb.19179:
	s_or_b64 exec, exec, s[8:9]
	s_and_b64 s[4:5], s[4:5], exec
	s_or_saveexec_b64 s[6:7], s[6:7]
	v_mov_b32_e32 v2, s10
	s_xor_b64 exec, exec, s[6:7]
	s_cbranch_execnz .LBB2_19180
; %bb.55017:
	s_getpc_b64 s[14:15]
.Lpost_getpc31092:
	s_add_u32 s14, s14, (.LBB2_4842-.Lpost_getpc31092)&4294967295
	s_addc_u32 s15, s15, (.LBB2_4842-.Lpost_getpc31092)>>32
	s_setpc_b64 s[14:15]
.LBB2_19180:
	v_mov_b32_e32 v2, 0
	v_cmp_ne_u16_sdwa s[8:9], v3, v2 src0_sel:BYTE_0 src1_sel:DWORD
	s_andn2_b64 s[4:5], s[4:5], exec
	s_and_b64 s[8:9], s[8:9], exec
	s_or_b64 s[4:5], s[4:5], s[8:9]
	s_or_b64 exec, exec, s[6:7]
	s_and_saveexec_b64 s[6:7], s[4:5]
	s_cbranch_execz .LBB2_31093
; %bb.55019:
	s_getpc_b64 s[14:15]
.Lpost_getpc31093:
	s_add_u32 s14, s14, (.LBB2_4843-.Lpost_getpc31093)&4294967295
	s_addc_u32 s15, s15, (.LBB2_4843-.Lpost_getpc31093)>>32
	s_setpc_b64 s[14:15]
.LBB2_31093:
	s_getpc_b64 s[14:15]
.Lpost_getpc19130:
	s_add_u32 s14, s14, (.LBB2_4844-.Lpost_getpc19130)&4294967295
	s_addc_u32 s15, s15, (.LBB2_4844-.Lpost_getpc19130)>>32
	s_setpc_b64 s[14:15]
.LBB2_19181:
	s_movk_i32 s4, 0x80
	v_cmp_eq_u16_sdwa s[12:13], v3, s4 src0_sel:BYTE_0 src1_sel:DWORD
	s_mov_b64 s[4:5], -1
                                        ; implicit-def: $sgpr10
	s_and_saveexec_b64 s[8:9], s[12:13]
; %bb.19182:
	s_mov_b32 s10, 0x7f800001
	s_xor_b64 s[4:5], exec, -1
; %bb.19183:
	s_or_b64 exec, exec, s[8:9]
	s_and_b64 s[4:5], s[4:5], exec
	s_or_saveexec_b64 s[6:7], s[6:7]
	v_mov_b32_e32 v4, s10
	s_xor_b64 exec, exec, s[6:7]
	s_cbranch_execnz .LBB2_19184
; %bb.55021:
	s_getpc_b64 s[14:15]
.Lpost_getpc31094:
	s_add_u32 s14, s14, (.LBB2_4846-.Lpost_getpc31094)&4294967295
	s_addc_u32 s15, s15, (.LBB2_4846-.Lpost_getpc31094)>>32
	s_setpc_b64 s[14:15]
.LBB2_19184:
	v_mov_b32_e32 v4, 0
	v_cmp_ne_u16_sdwa s[8:9], v3, v4 src0_sel:BYTE_0 src1_sel:DWORD
	s_andn2_b64 s[4:5], s[4:5], exec
	s_and_b64 s[8:9], s[8:9], exec
	s_or_b64 s[4:5], s[4:5], s[8:9]
	s_or_b64 exec, exec, s[6:7]
	s_and_saveexec_b64 s[6:7], s[4:5]
	s_cbranch_execz .LBB2_31095
; %bb.55023:
	s_getpc_b64 s[14:15]
.Lpost_getpc31095:
	s_add_u32 s14, s14, (.LBB2_4847-.Lpost_getpc31095)&4294967295
	s_addc_u32 s15, s15, (.LBB2_4847-.Lpost_getpc31095)>>32
	s_setpc_b64 s[14:15]
.LBB2_31095:
	s_getpc_b64 s[14:15]
.Lpost_getpc19131:
	s_add_u32 s14, s14, (.LBB2_4848-.Lpost_getpc19131)&4294967295
	s_addc_u32 s15, s15, (.LBB2_4848-.Lpost_getpc19131)>>32
	s_setpc_b64 s[14:15]
.LBB2_19185:
	s_movk_i32 s4, 0x80
	v_cmp_eq_u16_e32 vcc, s4, v3
	s_mov_b64 s[4:5], -1
                                        ; implicit-def: $sgpr10
	s_and_saveexec_b64 s[8:9], vcc
; %bb.19186:
	s_mov_b32 s10, 0x7f800001
	s_xor_b64 s[4:5], exec, -1
; %bb.19187:
	s_or_b64 exec, exec, s[8:9]
	s_and_b64 s[4:5], s[4:5], exec
                                        ; implicit-def: $vgpr3
	s_or_saveexec_b64 s[6:7], s[6:7]
	v_mov_b32_e32 v2, s10
	s_xor_b64 exec, exec, s[6:7]
	s_cbranch_execnz .LBB2_19188
; %bb.55025:
	s_getpc_b64 s[14:15]
.Lpost_getpc31096:
	s_add_u32 s14, s14, (.LBB2_4850-.Lpost_getpc31096)&4294967295
	s_addc_u32 s15, s15, (.LBB2_4850-.Lpost_getpc31096)>>32
	s_setpc_b64 s[14:15]
.LBB2_19188:
	v_cmp_ne_u16_e32 vcc, 0, v3
	s_andn2_b64 s[4:5], s[4:5], exec
	s_and_b64 s[8:9], vcc, exec
	v_mov_b32_e32 v2, 0
	s_or_b64 s[4:5], s[4:5], s[8:9]
	s_or_b64 exec, exec, s[6:7]
	s_and_saveexec_b64 s[6:7], s[4:5]
	s_cbranch_execz .LBB2_31097
; %bb.55027:
	s_getpc_b64 s[14:15]
.Lpost_getpc31097:
	s_add_u32 s14, s14, (.LBB2_4851-.Lpost_getpc31097)&4294967295
	s_addc_u32 s15, s15, (.LBB2_4851-.Lpost_getpc31097)>>32
	s_setpc_b64 s[14:15]
.LBB2_31097:
	s_getpc_b64 s[14:15]
.Lpost_getpc19132:
	s_add_u32 s14, s14, (.LBB2_4852-.Lpost_getpc19132)&4294967295
	s_addc_u32 s15, s15, (.LBB2_4852-.Lpost_getpc19132)>>32
	s_setpc_b64 s[14:15]
.LBB2_19189:
	s_movk_i32 s4, 0x80
	v_cmp_eq_u16_e32 vcc, s4, v3
	s_mov_b64 s[4:5], -1
                                        ; implicit-def: $sgpr10
	s_and_saveexec_b64 s[8:9], vcc
; %bb.19190:
	s_mov_b32 s10, 0x7f800001
	s_xor_b64 s[4:5], exec, -1
; %bb.19191:
	s_or_b64 exec, exec, s[8:9]
	s_and_b64 s[4:5], s[4:5], exec
                                        ; implicit-def: $vgpr3
	s_or_saveexec_b64 s[6:7], s[6:7]
	v_mov_b32_e32 v4, s10
	s_xor_b64 exec, exec, s[6:7]
	s_cbranch_execnz .LBB2_19192
; %bb.55029:
	s_getpc_b64 s[14:15]
.Lpost_getpc31098:
	s_add_u32 s14, s14, (.LBB2_4854-.Lpost_getpc31098)&4294967295
	s_addc_u32 s15, s15, (.LBB2_4854-.Lpost_getpc31098)>>32
	s_setpc_b64 s[14:15]
.LBB2_19192:
	v_cmp_ne_u16_e32 vcc, 0, v3
	s_andn2_b64 s[4:5], s[4:5], exec
	s_and_b64 s[8:9], vcc, exec
	v_mov_b32_e32 v4, 0
	s_or_b64 s[4:5], s[4:5], s[8:9]
	s_or_b64 exec, exec, s[6:7]
	s_and_saveexec_b64 s[6:7], s[4:5]
	s_cbranch_execz .LBB2_31099
; %bb.55031:
	s_getpc_b64 s[14:15]
.Lpost_getpc31099:
	s_add_u32 s14, s14, (.LBB2_4855-.Lpost_getpc31099)&4294967295
	s_addc_u32 s15, s15, (.LBB2_4855-.Lpost_getpc31099)>>32
	s_setpc_b64 s[14:15]
.LBB2_31099:
	s_getpc_b64 s[14:15]
.Lpost_getpc19133:
	s_add_u32 s14, s14, (.LBB2_4856-.Lpost_getpc19133)&4294967295
	s_addc_u32 s15, s15, (.LBB2_4856-.Lpost_getpc19133)>>32
	s_setpc_b64 s[14:15]
.LBB2_19193:
	s_movk_i32 s4, 0x80
	v_cmp_eq_u16_sdwa s[12:13], v9, s4 src0_sel:BYTE_3 src1_sel:DWORD
	s_mov_b64 s[4:5], -1
                                        ; implicit-def: $sgpr10
	s_and_saveexec_b64 s[8:9], s[12:13]
; %bb.19194:
	s_mov_b32 s10, 0x7f800001
	s_xor_b64 s[4:5], exec, -1
; %bb.19195:
	s_or_b64 exec, exec, s[8:9]
	s_and_b64 s[4:5], s[4:5], exec
	s_or_saveexec_b64 s[6:7], s[6:7]
	v_mov_b32_e32 v2, s10
	s_xor_b64 exec, exec, s[6:7]
	s_cbranch_execnz .LBB2_19196
; %bb.55033:
	s_getpc_b64 s[14:15]
.Lpost_getpc31100:
	s_add_u32 s14, s14, (.LBB2_4858-.Lpost_getpc31100)&4294967295
	s_addc_u32 s15, s15, (.LBB2_4858-.Lpost_getpc31100)>>32
	s_setpc_b64 s[14:15]
.LBB2_19196:
	v_mov_b32_e32 v2, 0
	v_cmp_ne_u16_sdwa s[8:9], v9, v2 src0_sel:BYTE_3 src1_sel:DWORD
	s_andn2_b64 s[4:5], s[4:5], exec
	s_and_b64 s[8:9], s[8:9], exec
	s_or_b64 s[4:5], s[4:5], s[8:9]
	s_or_b64 exec, exec, s[6:7]
	s_and_saveexec_b64 s[6:7], s[4:5]
	s_cbranch_execz .LBB2_31101
; %bb.55035:
	s_getpc_b64 s[14:15]
.Lpost_getpc31101:
	s_add_u32 s14, s14, (.LBB2_4859-.Lpost_getpc31101)&4294967295
	s_addc_u32 s15, s15, (.LBB2_4859-.Lpost_getpc31101)>>32
	s_setpc_b64 s[14:15]
.LBB2_31101:
	s_getpc_b64 s[14:15]
.Lpost_getpc19134:
	s_add_u32 s14, s14, (.LBB2_4860-.Lpost_getpc19134)&4294967295
	s_addc_u32 s15, s15, (.LBB2_4860-.Lpost_getpc19134)>>32
	s_setpc_b64 s[14:15]
.LBB2_19197:
	s_movk_i32 s4, 0x80
	v_cmp_eq_u16_sdwa s[12:13], v5, s4 src0_sel:BYTE_3 src1_sel:DWORD
	s_mov_b64 s[4:5], -1
                                        ; implicit-def: $sgpr10
	s_and_saveexec_b64 s[8:9], s[12:13]
; %bb.19198:
	s_mov_b32 s10, 0x7f800001
	s_xor_b64 s[4:5], exec, -1
; %bb.19199:
	s_or_b64 exec, exec, s[8:9]
	s_and_b64 s[4:5], s[4:5], exec
	s_or_saveexec_b64 s[6:7], s[6:7]
	v_mov_b32_e32 v3, s10
	s_xor_b64 exec, exec, s[6:7]
	s_cbranch_execnz .LBB2_19200
; %bb.55037:
	s_getpc_b64 s[14:15]
.Lpost_getpc31102:
	s_add_u32 s14, s14, (.LBB2_4862-.Lpost_getpc31102)&4294967295
	s_addc_u32 s15, s15, (.LBB2_4862-.Lpost_getpc31102)>>32
	s_setpc_b64 s[14:15]
.LBB2_19200:
	v_mov_b32_e32 v3, 0
	v_cmp_ne_u16_sdwa s[8:9], v5, v3 src0_sel:BYTE_3 src1_sel:DWORD
	s_andn2_b64 s[4:5], s[4:5], exec
	s_and_b64 s[8:9], s[8:9], exec
	s_or_b64 s[4:5], s[4:5], s[8:9]
	s_or_b64 exec, exec, s[6:7]
	s_and_saveexec_b64 s[6:7], s[4:5]
	s_cbranch_execz .LBB2_31103
; %bb.55039:
	s_getpc_b64 s[14:15]
.Lpost_getpc31103:
	s_add_u32 s14, s14, (.LBB2_4863-.Lpost_getpc31103)&4294967295
	s_addc_u32 s15, s15, (.LBB2_4863-.Lpost_getpc31103)>>32
	s_setpc_b64 s[14:15]
.LBB2_31103:
	s_getpc_b64 s[14:15]
.Lpost_getpc19135:
	s_add_u32 s14, s14, (.LBB2_4864-.Lpost_getpc19135)&4294967295
	s_addc_u32 s15, s15, (.LBB2_4864-.Lpost_getpc19135)>>32
	s_setpc_b64 s[14:15]
.LBB2_19201:
	s_movk_i32 s4, 0x80
	v_cmp_eq_u16_sdwa s[12:13], v6, s4 src0_sel:BYTE_0 src1_sel:DWORD
	s_mov_b64 s[4:5], -1
                                        ; implicit-def: $sgpr10
	s_and_saveexec_b64 s[8:9], s[12:13]
; %bb.19202:
	s_mov_b32 s10, 0x7f800001
	s_xor_b64 s[4:5], exec, -1
; %bb.19203:
	s_or_b64 exec, exec, s[8:9]
	s_and_b64 s[4:5], s[4:5], exec
	s_or_saveexec_b64 s[6:7], s[6:7]
	v_mov_b32_e32 v12, s10
	s_xor_b64 exec, exec, s[6:7]
	s_cbranch_execnz .LBB2_19204
; %bb.55041:
	s_getpc_b64 s[14:15]
.Lpost_getpc31104:
	s_add_u32 s14, s14, (.LBB2_4866-.Lpost_getpc31104)&4294967295
	s_addc_u32 s15, s15, (.LBB2_4866-.Lpost_getpc31104)>>32
	s_setpc_b64 s[14:15]
.LBB2_19204:
	v_mov_b32_e32 v12, 0
	v_cmp_ne_u16_sdwa s[8:9], v6, v12 src0_sel:BYTE_0 src1_sel:DWORD
	s_andn2_b64 s[4:5], s[4:5], exec
	s_and_b64 s[8:9], s[8:9], exec
	s_or_b64 s[4:5], s[4:5], s[8:9]
	s_or_b64 exec, exec, s[6:7]
	s_and_saveexec_b64 s[6:7], s[4:5]
	s_cbranch_execz .LBB2_31105
; %bb.55043:
	s_getpc_b64 s[14:15]
.Lpost_getpc31105:
	s_add_u32 s14, s14, (.LBB2_4867-.Lpost_getpc31105)&4294967295
	s_addc_u32 s15, s15, (.LBB2_4867-.Lpost_getpc31105)>>32
	s_setpc_b64 s[14:15]
.LBB2_31105:
	s_getpc_b64 s[14:15]
.Lpost_getpc19136:
	s_add_u32 s14, s14, (.LBB2_4868-.Lpost_getpc19136)&4294967295
	s_addc_u32 s15, s15, (.LBB2_4868-.Lpost_getpc19136)>>32
	s_setpc_b64 s[14:15]
.LBB2_19205:
	s_movk_i32 s4, 0x80
	v_cmp_eq_u16_sdwa s[12:13], v2, s4 src0_sel:BYTE_0 src1_sel:DWORD
	s_mov_b64 s[4:5], -1
                                        ; implicit-def: $sgpr10
	s_and_saveexec_b64 s[8:9], s[12:13]
; %bb.19206:
	s_mov_b32 s10, 0x7f800001
	s_xor_b64 s[4:5], exec, -1
; %bb.19207:
	s_or_b64 exec, exec, s[8:9]
	s_and_b64 s[4:5], s[4:5], exec
	s_or_saveexec_b64 s[6:7], s[6:7]
	v_mov_b32_e32 v13, s10
	s_xor_b64 exec, exec, s[6:7]
	s_cbranch_execnz .LBB2_19208
; %bb.55045:
	s_getpc_b64 s[14:15]
.Lpost_getpc31106:
	s_add_u32 s14, s14, (.LBB2_4870-.Lpost_getpc31106)&4294967295
	s_addc_u32 s15, s15, (.LBB2_4870-.Lpost_getpc31106)>>32
	s_setpc_b64 s[14:15]
.LBB2_19208:
	v_mov_b32_e32 v13, 0
	v_cmp_ne_u16_sdwa s[8:9], v2, v13 src0_sel:BYTE_0 src1_sel:DWORD
	s_andn2_b64 s[4:5], s[4:5], exec
	s_and_b64 s[8:9], s[8:9], exec
	s_or_b64 s[4:5], s[4:5], s[8:9]
	s_or_b64 exec, exec, s[6:7]
	s_and_saveexec_b64 s[6:7], s[4:5]
	s_cbranch_execz .LBB2_31107
; %bb.55047:
	s_getpc_b64 s[14:15]
.Lpost_getpc31107:
	s_add_u32 s14, s14, (.LBB2_4871-.Lpost_getpc31107)&4294967295
	s_addc_u32 s15, s15, (.LBB2_4871-.Lpost_getpc31107)>>32
	s_setpc_b64 s[14:15]
.LBB2_31107:
	s_getpc_b64 s[14:15]
.Lpost_getpc19137:
	s_add_u32 s14, s14, (.LBB2_4872-.Lpost_getpc19137)&4294967295
	s_addc_u32 s15, s15, (.LBB2_4872-.Lpost_getpc19137)>>32
	s_setpc_b64 s[14:15]
.LBB2_19209:
	s_movk_i32 s4, 0x80
	v_cmp_eq_u16_sdwa s[12:13], v13, s4 src0_sel:BYTE_0 src1_sel:DWORD
	s_mov_b64 s[4:5], -1
                                        ; implicit-def: $sgpr10
	s_and_saveexec_b64 s[8:9], s[12:13]
; %bb.19210:
	s_mov_b32 s10, 0x7f800001
	s_xor_b64 s[4:5], exec, -1
; %bb.19211:
	s_or_b64 exec, exec, s[8:9]
	s_and_b64 s[4:5], s[4:5], exec
	s_or_saveexec_b64 s[6:7], s[6:7]
	v_mov_b32_e32 v12, s10
	s_xor_b64 exec, exec, s[6:7]
	s_cbranch_execnz .LBB2_19212
; %bb.55049:
	s_getpc_b64 s[14:15]
.Lpost_getpc31108:
	s_add_u32 s14, s14, (.LBB2_4874-.Lpost_getpc31108)&4294967295
	s_addc_u32 s15, s15, (.LBB2_4874-.Lpost_getpc31108)>>32
	s_setpc_b64 s[14:15]
.LBB2_19212:
	v_mov_b32_e32 v12, 0
	v_cmp_ne_u16_sdwa s[8:9], v13, v12 src0_sel:BYTE_0 src1_sel:DWORD
	s_andn2_b64 s[4:5], s[4:5], exec
	s_and_b64 s[8:9], s[8:9], exec
	s_or_b64 s[4:5], s[4:5], s[8:9]
	s_or_b64 exec, exec, s[6:7]
	s_and_saveexec_b64 s[6:7], s[4:5]
	s_cbranch_execz .LBB2_31109
; %bb.55051:
	s_getpc_b64 s[14:15]
.Lpost_getpc31109:
	s_add_u32 s14, s14, (.LBB2_4875-.Lpost_getpc31109)&4294967295
	s_addc_u32 s15, s15, (.LBB2_4875-.Lpost_getpc31109)>>32
	s_setpc_b64 s[14:15]
.LBB2_31109:
	s_getpc_b64 s[14:15]
.Lpost_getpc19138:
	s_add_u32 s14, s14, (.LBB2_4876-.Lpost_getpc19138)&4294967295
	s_addc_u32 s15, s15, (.LBB2_4876-.Lpost_getpc19138)>>32
	s_setpc_b64 s[14:15]
.LBB2_19213:
	s_movk_i32 s4, 0x80
	v_cmp_eq_u16_sdwa s[12:13], v13, s4 src0_sel:BYTE_0 src1_sel:DWORD
	s_mov_b64 s[4:5], -1
                                        ; implicit-def: $sgpr10
	s_and_saveexec_b64 s[8:9], s[12:13]
; %bb.19214:
	s_mov_b32 s10, 0x7f800001
	s_xor_b64 s[4:5], exec, -1
; %bb.19215:
	s_or_b64 exec, exec, s[8:9]
	s_and_b64 s[4:5], s[4:5], exec
	s_or_saveexec_b64 s[6:7], s[6:7]
	v_mov_b32_e32 v14, s10
	s_xor_b64 exec, exec, s[6:7]
	s_cbranch_execnz .LBB2_19216
; %bb.55053:
	s_getpc_b64 s[14:15]
.Lpost_getpc31110:
	s_add_u32 s14, s14, (.LBB2_4878-.Lpost_getpc31110)&4294967295
	s_addc_u32 s15, s15, (.LBB2_4878-.Lpost_getpc31110)>>32
	s_setpc_b64 s[14:15]
.LBB2_19216:
	v_mov_b32_e32 v14, 0
	v_cmp_ne_u16_sdwa s[8:9], v13, v14 src0_sel:BYTE_0 src1_sel:DWORD
	s_andn2_b64 s[4:5], s[4:5], exec
	s_and_b64 s[8:9], s[8:9], exec
	s_or_b64 s[4:5], s[4:5], s[8:9]
	s_or_b64 exec, exec, s[6:7]
	s_and_saveexec_b64 s[6:7], s[4:5]
	s_cbranch_execz .LBB2_31111
; %bb.55055:
	s_getpc_b64 s[14:15]
.Lpost_getpc31111:
	s_add_u32 s14, s14, (.LBB2_4879-.Lpost_getpc31111)&4294967295
	s_addc_u32 s15, s15, (.LBB2_4879-.Lpost_getpc31111)>>32
	s_setpc_b64 s[14:15]
.LBB2_31111:
	s_getpc_b64 s[14:15]
.Lpost_getpc19139:
	s_add_u32 s14, s14, (.LBB2_4880-.Lpost_getpc19139)&4294967295
	s_addc_u32 s15, s15, (.LBB2_4880-.Lpost_getpc19139)>>32
	s_setpc_b64 s[14:15]
.LBB2_19217:
	s_movk_i32 s4, 0x80
	v_cmp_eq_u16_e32 vcc, s4, v13
	s_mov_b64 s[4:5], -1
                                        ; implicit-def: $sgpr10
	s_and_saveexec_b64 s[8:9], vcc
; %bb.19218:
	s_mov_b32 s10, 0x7f800001
	s_xor_b64 s[4:5], exec, -1
; %bb.19219:
	s_or_b64 exec, exec, s[8:9]
	s_and_b64 s[4:5], s[4:5], exec
                                        ; implicit-def: $vgpr13
	s_or_saveexec_b64 s[6:7], s[6:7]
	v_mov_b32_e32 v12, s10
	s_xor_b64 exec, exec, s[6:7]
	s_cbranch_execnz .LBB2_19220
; %bb.55057:
	s_getpc_b64 s[14:15]
.Lpost_getpc31112:
	s_add_u32 s14, s14, (.LBB2_4882-.Lpost_getpc31112)&4294967295
	s_addc_u32 s15, s15, (.LBB2_4882-.Lpost_getpc31112)>>32
	s_setpc_b64 s[14:15]
.LBB2_19220:
	v_cmp_ne_u16_e32 vcc, 0, v13
	s_andn2_b64 s[4:5], s[4:5], exec
	s_and_b64 s[8:9], vcc, exec
	v_mov_b32_e32 v12, 0
	s_or_b64 s[4:5], s[4:5], s[8:9]
	s_or_b64 exec, exec, s[6:7]
	s_and_saveexec_b64 s[6:7], s[4:5]
	s_cbranch_execz .LBB2_31113
; %bb.55059:
	s_getpc_b64 s[14:15]
.Lpost_getpc31113:
	s_add_u32 s14, s14, (.LBB2_4883-.Lpost_getpc31113)&4294967295
	s_addc_u32 s15, s15, (.LBB2_4883-.Lpost_getpc31113)>>32
	s_setpc_b64 s[14:15]
.LBB2_31113:
	s_getpc_b64 s[14:15]
.Lpost_getpc19140:
	s_add_u32 s14, s14, (.LBB2_4884-.Lpost_getpc19140)&4294967295
	s_addc_u32 s15, s15, (.LBB2_4884-.Lpost_getpc19140)>>32
	s_setpc_b64 s[14:15]
.LBB2_19221:
	s_movk_i32 s4, 0x80
	v_cmp_eq_u16_e32 vcc, s4, v13
	s_mov_b64 s[4:5], -1
                                        ; implicit-def: $sgpr10
	s_and_saveexec_b64 s[8:9], vcc
; %bb.19222:
	s_mov_b32 s10, 0x7f800001
	s_xor_b64 s[4:5], exec, -1
; %bb.19223:
	s_or_b64 exec, exec, s[8:9]
	s_and_b64 s[4:5], s[4:5], exec
                                        ; implicit-def: $vgpr13
	s_or_saveexec_b64 s[6:7], s[6:7]
	v_mov_b32_e32 v14, s10
	s_xor_b64 exec, exec, s[6:7]
	s_cbranch_execnz .LBB2_19224
; %bb.55061:
	s_getpc_b64 s[14:15]
.Lpost_getpc31114:
	s_add_u32 s14, s14, (.LBB2_4886-.Lpost_getpc31114)&4294967295
	s_addc_u32 s15, s15, (.LBB2_4886-.Lpost_getpc31114)>>32
	s_setpc_b64 s[14:15]
.LBB2_19224:
	v_cmp_ne_u16_e32 vcc, 0, v13
	s_andn2_b64 s[4:5], s[4:5], exec
	s_and_b64 s[8:9], vcc, exec
	v_mov_b32_e32 v14, 0
	s_or_b64 s[4:5], s[4:5], s[8:9]
	s_or_b64 exec, exec, s[6:7]
	s_and_saveexec_b64 s[6:7], s[4:5]
	s_cbranch_execz .LBB2_31115
; %bb.55063:
	s_getpc_b64 s[14:15]
.Lpost_getpc31115:
	s_add_u32 s14, s14, (.LBB2_4887-.Lpost_getpc31115)&4294967295
	s_addc_u32 s15, s15, (.LBB2_4887-.Lpost_getpc31115)>>32
	s_setpc_b64 s[14:15]
.LBB2_31115:
	s_getpc_b64 s[14:15]
.Lpost_getpc19141:
	s_add_u32 s14, s14, (.LBB2_4888-.Lpost_getpc19141)&4294967295
	s_addc_u32 s15, s15, (.LBB2_4888-.Lpost_getpc19141)>>32
	s_setpc_b64 s[14:15]
.LBB2_19225:
	s_movk_i32 s4, 0x80
	v_cmp_eq_u16_sdwa s[12:13], v6, s4 src0_sel:BYTE_3 src1_sel:DWORD
	s_mov_b64 s[4:5], -1
                                        ; implicit-def: $sgpr10
	s_and_saveexec_b64 s[8:9], s[12:13]
; %bb.19226:
	s_mov_b32 s10, 0x7f800001
	s_xor_b64 s[4:5], exec, -1
; %bb.19227:
	s_or_b64 exec, exec, s[8:9]
	s_and_b64 s[4:5], s[4:5], exec
	s_or_saveexec_b64 s[6:7], s[6:7]
	v_mov_b32_e32 v12, s10
	s_xor_b64 exec, exec, s[6:7]
	s_cbranch_execnz .LBB2_19228
; %bb.55065:
	s_getpc_b64 s[14:15]
.Lpost_getpc31116:
	s_add_u32 s14, s14, (.LBB2_4890-.Lpost_getpc31116)&4294967295
	s_addc_u32 s15, s15, (.LBB2_4890-.Lpost_getpc31116)>>32
	s_setpc_b64 s[14:15]
.LBB2_19228:
	v_mov_b32_e32 v12, 0
	v_cmp_ne_u16_sdwa s[8:9], v6, v12 src0_sel:BYTE_3 src1_sel:DWORD
	s_andn2_b64 s[4:5], s[4:5], exec
	s_and_b64 s[8:9], s[8:9], exec
	s_or_b64 s[4:5], s[4:5], s[8:9]
	s_or_b64 exec, exec, s[6:7]
	s_and_saveexec_b64 s[6:7], s[4:5]
	s_cbranch_execz .LBB2_31117
; %bb.55067:
	s_getpc_b64 s[14:15]
.Lpost_getpc31117:
	s_add_u32 s14, s14, (.LBB2_4891-.Lpost_getpc31117)&4294967295
	s_addc_u32 s15, s15, (.LBB2_4891-.Lpost_getpc31117)>>32
	s_setpc_b64 s[14:15]
.LBB2_31117:
	s_getpc_b64 s[14:15]
.Lpost_getpc19142:
	s_add_u32 s14, s14, (.LBB2_4892-.Lpost_getpc19142)&4294967295
	s_addc_u32 s15, s15, (.LBB2_4892-.Lpost_getpc19142)>>32
	s_setpc_b64 s[14:15]
.LBB2_19229:
	s_movk_i32 s4, 0x80
	v_cmp_eq_u16_sdwa s[12:13], v2, s4 src0_sel:BYTE_3 src1_sel:DWORD
	s_mov_b64 s[4:5], -1
                                        ; implicit-def: $sgpr10
	s_and_saveexec_b64 s[8:9], s[12:13]
; %bb.19230:
	s_mov_b32 s10, 0x7f800001
	s_xor_b64 s[4:5], exec, -1
; %bb.19231:
	s_or_b64 exec, exec, s[8:9]
	s_and_b64 s[4:5], s[4:5], exec
	s_or_saveexec_b64 s[6:7], s[6:7]
	v_mov_b32_e32 v6, s10
	s_xor_b64 exec, exec, s[6:7]
	s_cbranch_execnz .LBB2_19232
; %bb.55069:
	s_getpc_b64 s[14:15]
.Lpost_getpc31118:
	s_add_u32 s14, s14, (.LBB2_4894-.Lpost_getpc31118)&4294967295
	s_addc_u32 s15, s15, (.LBB2_4894-.Lpost_getpc31118)>>32
	s_setpc_b64 s[14:15]
.LBB2_19232:
	v_mov_b32_e32 v6, 0
	v_cmp_ne_u16_sdwa s[8:9], v2, v6 src0_sel:BYTE_3 src1_sel:DWORD
	s_andn2_b64 s[4:5], s[4:5], exec
	s_and_b64 s[8:9], s[8:9], exec
	s_or_b64 s[4:5], s[4:5], s[8:9]
	s_or_b64 exec, exec, s[6:7]
	s_and_saveexec_b64 s[6:7], s[4:5]
	s_cbranch_execz .LBB2_31119
; %bb.55071:
	s_getpc_b64 s[14:15]
.Lpost_getpc31119:
	s_add_u32 s14, s14, (.LBB2_4895-.Lpost_getpc31119)&4294967295
	s_addc_u32 s15, s15, (.LBB2_4895-.Lpost_getpc31119)>>32
	s_setpc_b64 s[14:15]
.LBB2_31119:
	s_getpc_b64 s[14:15]
.Lpost_getpc19143:
	s_add_u32 s14, s14, (.LBB2_4896-.Lpost_getpc19143)&4294967295
	s_addc_u32 s15, s15, (.LBB2_4896-.Lpost_getpc19143)>>32
	s_setpc_b64 s[14:15]
.LBB2_19233:
	s_movk_i32 s4, 0x80
	v_cmp_eq_u16_sdwa s[12:13], v7, s4 src0_sel:BYTE_0 src1_sel:DWORD
	s_mov_b64 s[4:5], -1
                                        ; implicit-def: $sgpr10
	s_and_saveexec_b64 s[8:9], s[12:13]
; %bb.19234:
	s_mov_b32 s10, 0x7f800001
	s_xor_b64 s[4:5], exec, -1
; %bb.19235:
	s_or_b64 exec, exec, s[8:9]
	s_and_b64 s[4:5], s[4:5], exec
	s_or_saveexec_b64 s[6:7], s[6:7]
	v_mov_b32_e32 v2, s10
	s_xor_b64 exec, exec, s[6:7]
	s_cbranch_execnz .LBB2_19236
; %bb.55073:
	s_getpc_b64 s[14:15]
.Lpost_getpc31120:
	s_add_u32 s14, s14, (.LBB2_4898-.Lpost_getpc31120)&4294967295
	s_addc_u32 s15, s15, (.LBB2_4898-.Lpost_getpc31120)>>32
	s_setpc_b64 s[14:15]
.LBB2_19236:
	v_mov_b32_e32 v2, 0
	v_cmp_ne_u16_sdwa s[8:9], v7, v2 src0_sel:BYTE_0 src1_sel:DWORD
	s_andn2_b64 s[4:5], s[4:5], exec
	s_and_b64 s[8:9], s[8:9], exec
	s_or_b64 s[4:5], s[4:5], s[8:9]
	s_or_b64 exec, exec, s[6:7]
	s_and_saveexec_b64 s[6:7], s[4:5]
	s_cbranch_execz .LBB2_31121
; %bb.55075:
	s_getpc_b64 s[14:15]
.Lpost_getpc31121:
	s_add_u32 s14, s14, (.LBB2_4899-.Lpost_getpc31121)&4294967295
	s_addc_u32 s15, s15, (.LBB2_4899-.Lpost_getpc31121)>>32
	s_setpc_b64 s[14:15]
.LBB2_31121:
	s_getpc_b64 s[14:15]
.Lpost_getpc19144:
	s_add_u32 s14, s14, (.LBB2_4900-.Lpost_getpc19144)&4294967295
	s_addc_u32 s15, s15, (.LBB2_4900-.Lpost_getpc19144)>>32
	s_setpc_b64 s[14:15]
.LBB2_19237:
	s_movk_i32 s4, 0x80
	v_cmp_eq_u16_sdwa s[12:13], v3, s4 src0_sel:BYTE_0 src1_sel:DWORD
	s_mov_b64 s[4:5], -1
                                        ; implicit-def: $sgpr10
	s_and_saveexec_b64 s[8:9], s[12:13]
; %bb.19238:
	s_mov_b32 s10, 0x7f800001
	s_xor_b64 s[4:5], exec, -1
; %bb.19239:
	s_or_b64 exec, exec, s[8:9]
	s_and_b64 s[4:5], s[4:5], exec
	s_or_saveexec_b64 s[6:7], s[6:7]
	v_mov_b32_e32 v6, s10
	s_xor_b64 exec, exec, s[6:7]
	s_cbranch_execnz .LBB2_19240
; %bb.55077:
	s_getpc_b64 s[14:15]
.Lpost_getpc31122:
	s_add_u32 s14, s14, (.LBB2_4902-.Lpost_getpc31122)&4294967295
	s_addc_u32 s15, s15, (.LBB2_4902-.Lpost_getpc31122)>>32
	s_setpc_b64 s[14:15]
.LBB2_19240:
	v_mov_b32_e32 v6, 0
	v_cmp_ne_u16_sdwa s[8:9], v3, v6 src0_sel:BYTE_0 src1_sel:DWORD
	s_andn2_b64 s[4:5], s[4:5], exec
	s_and_b64 s[8:9], s[8:9], exec
	s_or_b64 s[4:5], s[4:5], s[8:9]
	s_or_b64 exec, exec, s[6:7]
	s_and_saveexec_b64 s[6:7], s[4:5]
	s_cbranch_execz .LBB2_31123
; %bb.55079:
	s_getpc_b64 s[14:15]
.Lpost_getpc31123:
	s_add_u32 s14, s14, (.LBB2_4903-.Lpost_getpc31123)&4294967295
	s_addc_u32 s15, s15, (.LBB2_4903-.Lpost_getpc31123)>>32
	s_setpc_b64 s[14:15]
.LBB2_31123:
	s_getpc_b64 s[14:15]
.Lpost_getpc19145:
	s_add_u32 s14, s14, (.LBB2_4904-.Lpost_getpc19145)&4294967295
	s_addc_u32 s15, s15, (.LBB2_4904-.Lpost_getpc19145)>>32
	s_setpc_b64 s[14:15]
.LBB2_19241:
	s_movk_i32 s4, 0x80
	v_cmp_eq_u16_sdwa s[12:13], v6, s4 src0_sel:BYTE_0 src1_sel:DWORD
	s_mov_b64 s[4:5], -1
                                        ; implicit-def: $sgpr10
	s_and_saveexec_b64 s[8:9], s[12:13]
; %bb.19242:
	s_mov_b32 s10, 0x7f800001
	s_xor_b64 s[4:5], exec, -1
; %bb.19243:
	s_or_b64 exec, exec, s[8:9]
	s_and_b64 s[4:5], s[4:5], exec
	s_or_saveexec_b64 s[6:7], s[6:7]
	v_mov_b32_e32 v2, s10
	s_xor_b64 exec, exec, s[6:7]
	s_cbranch_execnz .LBB2_19244
; %bb.55081:
	s_getpc_b64 s[14:15]
.Lpost_getpc31124:
	s_add_u32 s14, s14, (.LBB2_4906-.Lpost_getpc31124)&4294967295
	s_addc_u32 s15, s15, (.LBB2_4906-.Lpost_getpc31124)>>32
	s_setpc_b64 s[14:15]
.LBB2_19244:
	v_mov_b32_e32 v2, 0
	v_cmp_ne_u16_sdwa s[8:9], v6, v2 src0_sel:BYTE_0 src1_sel:DWORD
	s_andn2_b64 s[4:5], s[4:5], exec
	s_and_b64 s[8:9], s[8:9], exec
	s_or_b64 s[4:5], s[4:5], s[8:9]
	s_or_b64 exec, exec, s[6:7]
	s_and_saveexec_b64 s[6:7], s[4:5]
	s_cbranch_execz .LBB2_31125
; %bb.55083:
	s_getpc_b64 s[14:15]
.Lpost_getpc31125:
	s_add_u32 s14, s14, (.LBB2_4907-.Lpost_getpc31125)&4294967295
	s_addc_u32 s15, s15, (.LBB2_4907-.Lpost_getpc31125)>>32
	s_setpc_b64 s[14:15]
.LBB2_31125:
	s_getpc_b64 s[14:15]
.Lpost_getpc19146:
	s_add_u32 s14, s14, (.LBB2_4908-.Lpost_getpc19146)&4294967295
	s_addc_u32 s15, s15, (.LBB2_4908-.Lpost_getpc19146)>>32
	s_setpc_b64 s[14:15]
.LBB2_19245:
	s_movk_i32 s4, 0x80
	v_cmp_eq_u16_sdwa s[12:13], v6, s4 src0_sel:BYTE_0 src1_sel:DWORD
	s_mov_b64 s[4:5], -1
                                        ; implicit-def: $sgpr10
	s_and_saveexec_b64 s[8:9], s[12:13]
; %bb.19246:
	s_mov_b32 s10, 0x7f800001
	s_xor_b64 s[4:5], exec, -1
; %bb.19247:
	s_or_b64 exec, exec, s[8:9]
	s_and_b64 s[4:5], s[4:5], exec
	s_or_saveexec_b64 s[6:7], s[6:7]
	v_mov_b32_e32 v12, s10
	s_xor_b64 exec, exec, s[6:7]
	s_cbranch_execnz .LBB2_19248
; %bb.55085:
	s_getpc_b64 s[14:15]
.Lpost_getpc31126:
	s_add_u32 s14, s14, (.LBB2_4910-.Lpost_getpc31126)&4294967295
	s_addc_u32 s15, s15, (.LBB2_4910-.Lpost_getpc31126)>>32
	s_setpc_b64 s[14:15]
.LBB2_19248:
	v_mov_b32_e32 v12, 0
	v_cmp_ne_u16_sdwa s[8:9], v6, v12 src0_sel:BYTE_0 src1_sel:DWORD
	s_andn2_b64 s[4:5], s[4:5], exec
	s_and_b64 s[8:9], s[8:9], exec
	s_or_b64 s[4:5], s[4:5], s[8:9]
	s_or_b64 exec, exec, s[6:7]
	s_and_saveexec_b64 s[6:7], s[4:5]
	s_cbranch_execz .LBB2_31127
; %bb.55087:
	s_getpc_b64 s[14:15]
.Lpost_getpc31127:
	s_add_u32 s14, s14, (.LBB2_4911-.Lpost_getpc31127)&4294967295
	s_addc_u32 s15, s15, (.LBB2_4911-.Lpost_getpc31127)>>32
	s_setpc_b64 s[14:15]
.LBB2_31127:
	s_getpc_b64 s[14:15]
.Lpost_getpc19147:
	s_add_u32 s14, s14, (.LBB2_4912-.Lpost_getpc19147)&4294967295
	s_addc_u32 s15, s15, (.LBB2_4912-.Lpost_getpc19147)>>32
	s_setpc_b64 s[14:15]
.LBB2_19249:
	s_movk_i32 s4, 0x80
	v_cmp_eq_u16_e32 vcc, s4, v6
	s_mov_b64 s[4:5], -1
                                        ; implicit-def: $sgpr10
	s_and_saveexec_b64 s[8:9], vcc
; %bb.19250:
	s_mov_b32 s10, 0x7f800001
	s_xor_b64 s[4:5], exec, -1
; %bb.19251:
	s_or_b64 exec, exec, s[8:9]
	s_and_b64 s[4:5], s[4:5], exec
                                        ; implicit-def: $vgpr6
	s_or_saveexec_b64 s[6:7], s[6:7]
	v_mov_b32_e32 v2, s10
	s_xor_b64 exec, exec, s[6:7]
	s_cbranch_execnz .LBB2_19252
; %bb.55089:
	s_getpc_b64 s[14:15]
.Lpost_getpc31128:
	s_add_u32 s14, s14, (.LBB2_4914-.Lpost_getpc31128)&4294967295
	s_addc_u32 s15, s15, (.LBB2_4914-.Lpost_getpc31128)>>32
	s_setpc_b64 s[14:15]
.LBB2_19252:
	v_cmp_ne_u16_e32 vcc, 0, v6
	s_andn2_b64 s[4:5], s[4:5], exec
	s_and_b64 s[8:9], vcc, exec
	v_mov_b32_e32 v2, 0
	s_or_b64 s[4:5], s[4:5], s[8:9]
	s_or_b64 exec, exec, s[6:7]
	s_and_saveexec_b64 s[6:7], s[4:5]
	s_cbranch_execz .LBB2_31129
; %bb.55091:
	s_getpc_b64 s[14:15]
.Lpost_getpc31129:
	s_add_u32 s14, s14, (.LBB2_4915-.Lpost_getpc31129)&4294967295
	s_addc_u32 s15, s15, (.LBB2_4915-.Lpost_getpc31129)>>32
	s_setpc_b64 s[14:15]
.LBB2_31129:
	s_getpc_b64 s[14:15]
.Lpost_getpc19148:
	s_add_u32 s14, s14, (.LBB2_4916-.Lpost_getpc19148)&4294967295
	s_addc_u32 s15, s15, (.LBB2_4916-.Lpost_getpc19148)>>32
	s_setpc_b64 s[14:15]
.LBB2_19253:
	s_movk_i32 s4, 0x80
	v_cmp_eq_u16_e32 vcc, s4, v6
	s_mov_b64 s[4:5], -1
                                        ; implicit-def: $sgpr10
	s_and_saveexec_b64 s[8:9], vcc
; %bb.19254:
	s_mov_b32 s10, 0x7f800001
	s_xor_b64 s[4:5], exec, -1
; %bb.19255:
	s_or_b64 exec, exec, s[8:9]
	s_and_b64 s[4:5], s[4:5], exec
                                        ; implicit-def: $vgpr6
	s_or_saveexec_b64 s[6:7], s[6:7]
	v_mov_b32_e32 v12, s10
	s_xor_b64 exec, exec, s[6:7]
	s_cbranch_execnz .LBB2_19256
; %bb.55093:
	s_getpc_b64 s[14:15]
.Lpost_getpc31130:
	s_add_u32 s14, s14, (.LBB2_4918-.Lpost_getpc31130)&4294967295
	s_addc_u32 s15, s15, (.LBB2_4918-.Lpost_getpc31130)>>32
	s_setpc_b64 s[14:15]
.LBB2_19256:
	v_cmp_ne_u16_e32 vcc, 0, v6
	s_andn2_b64 s[4:5], s[4:5], exec
	s_and_b64 s[8:9], vcc, exec
	v_mov_b32_e32 v12, 0
	s_or_b64 s[4:5], s[4:5], s[8:9]
	s_or_b64 exec, exec, s[6:7]
	s_and_saveexec_b64 s[6:7], s[4:5]
	s_cbranch_execz .LBB2_31131
; %bb.55095:
	s_getpc_b64 s[14:15]
.Lpost_getpc31131:
	s_add_u32 s14, s14, (.LBB2_4919-.Lpost_getpc31131)&4294967295
	s_addc_u32 s15, s15, (.LBB2_4919-.Lpost_getpc31131)>>32
	s_setpc_b64 s[14:15]
.LBB2_31131:
	s_getpc_b64 s[14:15]
.Lpost_getpc19149:
	s_add_u32 s14, s14, (.LBB2_4920-.Lpost_getpc19149)&4294967295
	s_addc_u32 s15, s15, (.LBB2_4920-.Lpost_getpc19149)>>32
	s_setpc_b64 s[14:15]
.LBB2_19257:
	s_movk_i32 s4, 0x80
	v_cmp_eq_u16_sdwa s[12:13], v7, s4 src0_sel:BYTE_3 src1_sel:DWORD
	s_mov_b64 s[4:5], -1
                                        ; implicit-def: $sgpr10
	s_and_saveexec_b64 s[8:9], s[12:13]
; %bb.19258:
	s_mov_b32 s10, 0x7f800001
	s_xor_b64 s[4:5], exec, -1
; %bb.19259:
	s_or_b64 exec, exec, s[8:9]
	s_and_b64 s[4:5], s[4:5], exec
	s_or_saveexec_b64 s[6:7], s[6:7]
	v_mov_b32_e32 v2, s10
	s_xor_b64 exec, exec, s[6:7]
	s_cbranch_execnz .LBB2_19260
; %bb.55097:
	s_getpc_b64 s[14:15]
.Lpost_getpc31132:
	s_add_u32 s14, s14, (.LBB2_4922-.Lpost_getpc31132)&4294967295
	s_addc_u32 s15, s15, (.LBB2_4922-.Lpost_getpc31132)>>32
	s_setpc_b64 s[14:15]
.LBB2_19260:
	v_mov_b32_e32 v2, 0
	v_cmp_ne_u16_sdwa s[8:9], v7, v2 src0_sel:BYTE_3 src1_sel:DWORD
	s_andn2_b64 s[4:5], s[4:5], exec
	s_and_b64 s[8:9], s[8:9], exec
	s_or_b64 s[4:5], s[4:5], s[8:9]
	s_or_b64 exec, exec, s[6:7]
	s_and_saveexec_b64 s[6:7], s[4:5]
	s_cbranch_execz .LBB2_31133
; %bb.55099:
	s_getpc_b64 s[14:15]
.Lpost_getpc31133:
	s_add_u32 s14, s14, (.LBB2_4923-.Lpost_getpc31133)&4294967295
	s_addc_u32 s15, s15, (.LBB2_4923-.Lpost_getpc31133)>>32
	s_setpc_b64 s[14:15]
.LBB2_31133:
	s_getpc_b64 s[14:15]
.Lpost_getpc19150:
	s_add_u32 s14, s14, (.LBB2_4924-.Lpost_getpc19150)&4294967295
	s_addc_u32 s15, s15, (.LBB2_4924-.Lpost_getpc19150)>>32
	s_setpc_b64 s[14:15]
.LBB2_19261:
	s_movk_i32 s4, 0x80
	v_cmp_eq_u16_sdwa s[12:13], v3, s4 src0_sel:BYTE_3 src1_sel:DWORD
	s_mov_b64 s[4:5], -1
                                        ; implicit-def: $sgpr10
	s_and_saveexec_b64 s[8:9], s[12:13]
; %bb.19262:
	s_mov_b32 s10, 0x7f800001
	s_xor_b64 s[4:5], exec, -1
; %bb.19263:
	s_or_b64 exec, exec, s[8:9]
	s_and_b64 s[4:5], s[4:5], exec
	s_or_saveexec_b64 s[6:7], s[6:7]
	v_mov_b32_e32 v6, s10
	s_xor_b64 exec, exec, s[6:7]
	s_cbranch_execnz .LBB2_19264
; %bb.55101:
	s_getpc_b64 s[14:15]
.Lpost_getpc31134:
	s_add_u32 s14, s14, (.LBB2_4926-.Lpost_getpc31134)&4294967295
	s_addc_u32 s15, s15, (.LBB2_4926-.Lpost_getpc31134)>>32
	s_setpc_b64 s[14:15]
.LBB2_19264:
	v_mov_b32_e32 v6, 0
	v_cmp_ne_u16_sdwa s[8:9], v3, v6 src0_sel:BYTE_3 src1_sel:DWORD
	s_andn2_b64 s[4:5], s[4:5], exec
	s_and_b64 s[8:9], s[8:9], exec
	s_or_b64 s[4:5], s[4:5], s[8:9]
	s_or_b64 exec, exec, s[6:7]
	s_and_saveexec_b64 s[6:7], s[4:5]
	s_cbranch_execz .LBB2_31135
; %bb.55103:
	s_getpc_b64 s[14:15]
.Lpost_getpc31135:
	s_add_u32 s14, s14, (.LBB2_4927-.Lpost_getpc31135)&4294967295
	s_addc_u32 s15, s15, (.LBB2_4927-.Lpost_getpc31135)>>32
	s_setpc_b64 s[14:15]
.LBB2_31135:
	s_getpc_b64 s[14:15]
.Lpost_getpc19151:
	s_add_u32 s14, s14, (.LBB2_4928-.Lpost_getpc19151)&4294967295
	s_addc_u32 s15, s15, (.LBB2_4928-.Lpost_getpc19151)>>32
	s_setpc_b64 s[14:15]
.LBB2_19265:
	s_movk_i32 s4, 0x80
	v_cmp_eq_u16_sdwa s[12:13], v8, s4 src0_sel:BYTE_0 src1_sel:DWORD
	s_mov_b64 s[4:5], -1
                                        ; implicit-def: $sgpr10
	s_and_saveexec_b64 s[8:9], s[12:13]
; %bb.19266:
	s_mov_b32 s10, 0x7f800001
	s_xor_b64 s[4:5], exec, -1
; %bb.19267:
	s_or_b64 exec, exec, s[8:9]
	s_and_b64 s[4:5], s[4:5], exec
	s_or_saveexec_b64 s[6:7], s[6:7]
	v_mov_b32_e32 v2, s10
	s_xor_b64 exec, exec, s[6:7]
	s_cbranch_execnz .LBB2_19268
; %bb.55105:
	s_getpc_b64 s[14:15]
.Lpost_getpc31136:
	s_add_u32 s14, s14, (.LBB2_4930-.Lpost_getpc31136)&4294967295
	s_addc_u32 s15, s15, (.LBB2_4930-.Lpost_getpc31136)>>32
	s_setpc_b64 s[14:15]
.LBB2_19268:
	v_mov_b32_e32 v2, 0
	v_cmp_ne_u16_sdwa s[8:9], v8, v2 src0_sel:BYTE_0 src1_sel:DWORD
	s_andn2_b64 s[4:5], s[4:5], exec
	s_and_b64 s[8:9], s[8:9], exec
	s_or_b64 s[4:5], s[4:5], s[8:9]
	s_or_b64 exec, exec, s[6:7]
	s_and_saveexec_b64 s[6:7], s[4:5]
	s_cbranch_execz .LBB2_31137
; %bb.55107:
	s_getpc_b64 s[14:15]
.Lpost_getpc31137:
	s_add_u32 s14, s14, (.LBB2_4931-.Lpost_getpc31137)&4294967295
	s_addc_u32 s15, s15, (.LBB2_4931-.Lpost_getpc31137)>>32
	s_setpc_b64 s[14:15]
.LBB2_31137:
	s_getpc_b64 s[14:15]
.Lpost_getpc19152:
	s_add_u32 s14, s14, (.LBB2_4932-.Lpost_getpc19152)&4294967295
	s_addc_u32 s15, s15, (.LBB2_4932-.Lpost_getpc19152)>>32
	s_setpc_b64 s[14:15]
.LBB2_19269:
	s_movk_i32 s4, 0x80
	v_cmp_eq_u16_sdwa s[12:13], v4, s4 src0_sel:BYTE_0 src1_sel:DWORD
	s_mov_b64 s[4:5], -1
                                        ; implicit-def: $sgpr10
	s_and_saveexec_b64 s[8:9], s[12:13]
; %bb.19270:
	s_mov_b32 s10, 0x7f800001
	s_xor_b64 s[4:5], exec, -1
; %bb.19271:
	s_or_b64 exec, exec, s[8:9]
	s_and_b64 s[4:5], s[4:5], exec
	s_or_saveexec_b64 s[6:7], s[6:7]
	v_mov_b32_e32 v3, s10
	s_xor_b64 exec, exec, s[6:7]
	s_cbranch_execnz .LBB2_19272
; %bb.55109:
	s_getpc_b64 s[14:15]
.Lpost_getpc31138:
	s_add_u32 s14, s14, (.LBB2_4934-.Lpost_getpc31138)&4294967295
	s_addc_u32 s15, s15, (.LBB2_4934-.Lpost_getpc31138)>>32
	s_setpc_b64 s[14:15]
.LBB2_19272:
	v_mov_b32_e32 v3, 0
	v_cmp_ne_u16_sdwa s[8:9], v4, v3 src0_sel:BYTE_0 src1_sel:DWORD
	s_andn2_b64 s[4:5], s[4:5], exec
	s_and_b64 s[8:9], s[8:9], exec
	s_or_b64 s[4:5], s[4:5], s[8:9]
	s_or_b64 exec, exec, s[6:7]
	s_and_saveexec_b64 s[6:7], s[4:5]
	s_cbranch_execz .LBB2_31139
; %bb.55111:
	s_getpc_b64 s[14:15]
.Lpost_getpc31139:
	s_add_u32 s14, s14, (.LBB2_4935-.Lpost_getpc31139)&4294967295
	s_addc_u32 s15, s15, (.LBB2_4935-.Lpost_getpc31139)>>32
	s_setpc_b64 s[14:15]
.LBB2_31139:
	s_getpc_b64 s[14:15]
.Lpost_getpc19153:
	s_add_u32 s14, s14, (.LBB2_4936-.Lpost_getpc19153)&4294967295
	s_addc_u32 s15, s15, (.LBB2_4936-.Lpost_getpc19153)>>32
	s_setpc_b64 s[14:15]
.LBB2_19273:
	s_movk_i32 s4, 0x80
	v_cmp_eq_u16_sdwa s[12:13], v3, s4 src0_sel:BYTE_0 src1_sel:DWORD
	s_mov_b64 s[4:5], -1
                                        ; implicit-def: $sgpr10
	s_and_saveexec_b64 s[8:9], s[12:13]
; %bb.19274:
	s_mov_b32 s10, 0x7f800001
	s_xor_b64 s[4:5], exec, -1
; %bb.19275:
	s_or_b64 exec, exec, s[8:9]
	s_and_b64 s[4:5], s[4:5], exec
	s_or_saveexec_b64 s[6:7], s[6:7]
	v_mov_b32_e32 v2, s10
	s_xor_b64 exec, exec, s[6:7]
	s_cbranch_execnz .LBB2_19276
; %bb.55113:
	s_getpc_b64 s[14:15]
.Lpost_getpc31140:
	s_add_u32 s14, s14, (.LBB2_4938-.Lpost_getpc31140)&4294967295
	s_addc_u32 s15, s15, (.LBB2_4938-.Lpost_getpc31140)>>32
	s_setpc_b64 s[14:15]
.LBB2_19276:
	v_mov_b32_e32 v2, 0
	v_cmp_ne_u16_sdwa s[8:9], v3, v2 src0_sel:BYTE_0 src1_sel:DWORD
	s_andn2_b64 s[4:5], s[4:5], exec
	s_and_b64 s[8:9], s[8:9], exec
	s_or_b64 s[4:5], s[4:5], s[8:9]
	s_or_b64 exec, exec, s[6:7]
	s_and_saveexec_b64 s[6:7], s[4:5]
	s_cbranch_execz .LBB2_31141
; %bb.55115:
	s_getpc_b64 s[14:15]
.Lpost_getpc31141:
	s_add_u32 s14, s14, (.LBB2_4939-.Lpost_getpc31141)&4294967295
	s_addc_u32 s15, s15, (.LBB2_4939-.Lpost_getpc31141)>>32
	s_setpc_b64 s[14:15]
.LBB2_31141:
	s_getpc_b64 s[14:15]
.Lpost_getpc19154:
	s_add_u32 s14, s14, (.LBB2_4940-.Lpost_getpc19154)&4294967295
	s_addc_u32 s15, s15, (.LBB2_4940-.Lpost_getpc19154)>>32
	s_setpc_b64 s[14:15]
.LBB2_19277:
	s_movk_i32 s4, 0x80
	v_cmp_eq_u16_sdwa s[12:13], v3, s4 src0_sel:BYTE_0 src1_sel:DWORD
	s_mov_b64 s[4:5], -1
                                        ; implicit-def: $sgpr10
	s_and_saveexec_b64 s[8:9], s[12:13]
; %bb.19278:
	s_mov_b32 s10, 0x7f800001
	s_xor_b64 s[4:5], exec, -1
; %bb.19279:
	s_or_b64 exec, exec, s[8:9]
	s_and_b64 s[4:5], s[4:5], exec
	s_or_saveexec_b64 s[6:7], s[6:7]
	v_mov_b32_e32 v6, s10
	s_xor_b64 exec, exec, s[6:7]
	s_cbranch_execnz .LBB2_19280
; %bb.55117:
	s_getpc_b64 s[14:15]
.Lpost_getpc31142:
	s_add_u32 s14, s14, (.LBB2_4942-.Lpost_getpc31142)&4294967295
	s_addc_u32 s15, s15, (.LBB2_4942-.Lpost_getpc31142)>>32
	s_setpc_b64 s[14:15]
.LBB2_19280:
	v_mov_b32_e32 v6, 0
	v_cmp_ne_u16_sdwa s[8:9], v3, v6 src0_sel:BYTE_0 src1_sel:DWORD
	s_andn2_b64 s[4:5], s[4:5], exec
	s_and_b64 s[8:9], s[8:9], exec
	s_or_b64 s[4:5], s[4:5], s[8:9]
	s_or_b64 exec, exec, s[6:7]
	s_and_saveexec_b64 s[6:7], s[4:5]
	s_cbranch_execz .LBB2_31143
; %bb.55119:
	s_getpc_b64 s[14:15]
.Lpost_getpc31143:
	s_add_u32 s14, s14, (.LBB2_4943-.Lpost_getpc31143)&4294967295
	s_addc_u32 s15, s15, (.LBB2_4943-.Lpost_getpc31143)>>32
	s_setpc_b64 s[14:15]
.LBB2_31143:
	s_getpc_b64 s[14:15]
.Lpost_getpc19155:
	s_add_u32 s14, s14, (.LBB2_4944-.Lpost_getpc19155)&4294967295
	s_addc_u32 s15, s15, (.LBB2_4944-.Lpost_getpc19155)>>32
	s_setpc_b64 s[14:15]
.LBB2_19281:
	s_movk_i32 s4, 0x80
	v_cmp_eq_u16_e32 vcc, s4, v3
	s_mov_b64 s[4:5], -1
                                        ; implicit-def: $sgpr10
	s_and_saveexec_b64 s[8:9], vcc
; %bb.19282:
	s_mov_b32 s10, 0x7f800001
	s_xor_b64 s[4:5], exec, -1
; %bb.19283:
	s_or_b64 exec, exec, s[8:9]
	s_and_b64 s[4:5], s[4:5], exec
                                        ; implicit-def: $vgpr3
	s_or_saveexec_b64 s[6:7], s[6:7]
	v_mov_b32_e32 v2, s10
	s_xor_b64 exec, exec, s[6:7]
	s_cbranch_execnz .LBB2_19284
; %bb.55121:
	s_getpc_b64 s[14:15]
.Lpost_getpc31144:
	s_add_u32 s14, s14, (.LBB2_4946-.Lpost_getpc31144)&4294967295
	s_addc_u32 s15, s15, (.LBB2_4946-.Lpost_getpc31144)>>32
	s_setpc_b64 s[14:15]
.LBB2_19284:
	v_cmp_ne_u16_e32 vcc, 0, v3
	s_andn2_b64 s[4:5], s[4:5], exec
	s_and_b64 s[8:9], vcc, exec
	v_mov_b32_e32 v2, 0
	s_or_b64 s[4:5], s[4:5], s[8:9]
	s_or_b64 exec, exec, s[6:7]
	s_and_saveexec_b64 s[6:7], s[4:5]
	s_cbranch_execz .LBB2_31145
; %bb.55123:
	s_getpc_b64 s[14:15]
.Lpost_getpc31145:
	s_add_u32 s14, s14, (.LBB2_4947-.Lpost_getpc31145)&4294967295
	s_addc_u32 s15, s15, (.LBB2_4947-.Lpost_getpc31145)>>32
	s_setpc_b64 s[14:15]
.LBB2_31145:
	s_getpc_b64 s[14:15]
.Lpost_getpc19156:
	s_add_u32 s14, s14, (.LBB2_4948-.Lpost_getpc19156)&4294967295
	s_addc_u32 s15, s15, (.LBB2_4948-.Lpost_getpc19156)>>32
	s_setpc_b64 s[14:15]
.LBB2_19285:
	s_movk_i32 s4, 0x80
	v_cmp_eq_u16_e32 vcc, s4, v3
	s_mov_b64 s[4:5], -1
                                        ; implicit-def: $sgpr10
	s_and_saveexec_b64 s[8:9], vcc
; %bb.19286:
	s_mov_b32 s10, 0x7f800001
	s_xor_b64 s[4:5], exec, -1
; %bb.19287:
	s_or_b64 exec, exec, s[8:9]
	s_and_b64 s[4:5], s[4:5], exec
                                        ; implicit-def: $vgpr3
	s_or_saveexec_b64 s[6:7], s[6:7]
	v_mov_b32_e32 v6, s10
	s_xor_b64 exec, exec, s[6:7]
	s_cbranch_execnz .LBB2_19288
; %bb.55125:
	s_getpc_b64 s[14:15]
.Lpost_getpc31146:
	s_add_u32 s14, s14, (.LBB2_4950-.Lpost_getpc31146)&4294967295
	s_addc_u32 s15, s15, (.LBB2_4950-.Lpost_getpc31146)>>32
	s_setpc_b64 s[14:15]
.LBB2_19288:
	v_cmp_ne_u16_e32 vcc, 0, v3
	s_andn2_b64 s[4:5], s[4:5], exec
	s_and_b64 s[8:9], vcc, exec
	v_mov_b32_e32 v6, 0
	s_or_b64 s[4:5], s[4:5], s[8:9]
	s_or_b64 exec, exec, s[6:7]
	s_and_saveexec_b64 s[6:7], s[4:5]
	s_cbranch_execz .LBB2_31147
; %bb.55127:
	s_getpc_b64 s[14:15]
.Lpost_getpc31147:
	s_add_u32 s14, s14, (.LBB2_4951-.Lpost_getpc31147)&4294967295
	s_addc_u32 s15, s15, (.LBB2_4951-.Lpost_getpc31147)>>32
	s_setpc_b64 s[14:15]
.LBB2_31147:
	s_getpc_b64 s[14:15]
.Lpost_getpc19157:
	s_add_u32 s14, s14, (.LBB2_4952-.Lpost_getpc19157)&4294967295
	s_addc_u32 s15, s15, (.LBB2_4952-.Lpost_getpc19157)>>32
	s_setpc_b64 s[14:15]
.LBB2_19289:
	s_movk_i32 s4, 0x80
	v_cmp_eq_u16_sdwa s[12:13], v8, s4 src0_sel:BYTE_3 src1_sel:DWORD
	s_mov_b64 s[4:5], -1
                                        ; implicit-def: $sgpr10
	s_and_saveexec_b64 s[8:9], s[12:13]
; %bb.19290:
	s_mov_b32 s10, 0x7f800001
	s_xor_b64 s[4:5], exec, -1
; %bb.19291:
	s_or_b64 exec, exec, s[8:9]
	s_and_b64 s[4:5], s[4:5], exec
	s_or_saveexec_b64 s[6:7], s[6:7]
	v_mov_b32_e32 v2, s10
	s_xor_b64 exec, exec, s[6:7]
	s_cbranch_execnz .LBB2_19292
; %bb.55129:
	s_getpc_b64 s[14:15]
.Lpost_getpc31148:
	s_add_u32 s14, s14, (.LBB2_4954-.Lpost_getpc31148)&4294967295
	s_addc_u32 s15, s15, (.LBB2_4954-.Lpost_getpc31148)>>32
	s_setpc_b64 s[14:15]
.LBB2_19292:
	v_mov_b32_e32 v2, 0
	v_cmp_ne_u16_sdwa s[8:9], v8, v2 src0_sel:BYTE_3 src1_sel:DWORD
	s_andn2_b64 s[4:5], s[4:5], exec
	s_and_b64 s[8:9], s[8:9], exec
	s_or_b64 s[4:5], s[4:5], s[8:9]
	s_or_b64 exec, exec, s[6:7]
	s_and_saveexec_b64 s[6:7], s[4:5]
	s_cbranch_execz .LBB2_31149
; %bb.55131:
	s_getpc_b64 s[14:15]
.Lpost_getpc31149:
	s_add_u32 s14, s14, (.LBB2_4955-.Lpost_getpc31149)&4294967295
	s_addc_u32 s15, s15, (.LBB2_4955-.Lpost_getpc31149)>>32
	s_setpc_b64 s[14:15]
.LBB2_31149:
	s_getpc_b64 s[14:15]
.Lpost_getpc19158:
	s_add_u32 s14, s14, (.LBB2_4956-.Lpost_getpc19158)&4294967295
	s_addc_u32 s15, s15, (.LBB2_4956-.Lpost_getpc19158)>>32
	s_setpc_b64 s[14:15]
.LBB2_19293:
	s_movk_i32 s4, 0x80
	v_cmp_eq_u16_sdwa s[12:13], v4, s4 src0_sel:BYTE_3 src1_sel:DWORD
	s_mov_b64 s[4:5], -1
                                        ; implicit-def: $sgpr10
	s_and_saveexec_b64 s[8:9], s[12:13]
; %bb.19294:
	s_mov_b32 s10, 0x7f800001
	s_xor_b64 s[4:5], exec, -1
; %bb.19295:
	s_or_b64 exec, exec, s[8:9]
	s_and_b64 s[4:5], s[4:5], exec
	s_or_saveexec_b64 s[6:7], s[6:7]
	v_mov_b32_e32 v3, s10
	s_xor_b64 exec, exec, s[6:7]
	s_cbranch_execnz .LBB2_19296
; %bb.55133:
	s_getpc_b64 s[14:15]
.Lpost_getpc31150:
	s_add_u32 s14, s14, (.LBB2_4958-.Lpost_getpc31150)&4294967295
	s_addc_u32 s15, s15, (.LBB2_4958-.Lpost_getpc31150)>>32
	s_setpc_b64 s[14:15]
.LBB2_19296:
	v_mov_b32_e32 v3, 0
	v_cmp_ne_u16_sdwa s[8:9], v4, v3 src0_sel:BYTE_3 src1_sel:DWORD
	s_andn2_b64 s[4:5], s[4:5], exec
	s_and_b64 s[8:9], s[8:9], exec
	s_or_b64 s[4:5], s[4:5], s[8:9]
	s_or_b64 exec, exec, s[6:7]
	s_and_saveexec_b64 s[6:7], s[4:5]
	s_cbranch_execz .LBB2_31151
; %bb.55135:
	s_getpc_b64 s[14:15]
.Lpost_getpc31151:
	s_add_u32 s14, s14, (.LBB2_4959-.Lpost_getpc31151)&4294967295
	s_addc_u32 s15, s15, (.LBB2_4959-.Lpost_getpc31151)>>32
	s_setpc_b64 s[14:15]
.LBB2_31151:
	s_getpc_b64 s[14:15]
.Lpost_getpc19159:
	s_add_u32 s14, s14, (.LBB2_4960-.Lpost_getpc19159)&4294967295
	s_addc_u32 s15, s15, (.LBB2_4960-.Lpost_getpc19159)>>32
	s_setpc_b64 s[14:15]
.LBB2_19297:
	s_movk_i32 s4, 0x80
	v_cmp_eq_u16_sdwa s[12:13], v9, s4 src0_sel:BYTE_0 src1_sel:DWORD
	s_mov_b64 s[4:5], -1
                                        ; implicit-def: $sgpr10
	s_and_saveexec_b64 s[8:9], s[12:13]
; %bb.19298:
	s_mov_b32 s10, 0x7f800001
	s_xor_b64 s[4:5], exec, -1
; %bb.19299:
	s_or_b64 exec, exec, s[8:9]
	s_and_b64 s[4:5], s[4:5], exec
	s_or_saveexec_b64 s[6:7], s[6:7]
	v_mov_b32_e32 v2, s10
	s_xor_b64 exec, exec, s[6:7]
	s_cbranch_execnz .LBB2_19300
; %bb.55137:
	s_getpc_b64 s[14:15]
.Lpost_getpc31152:
	s_add_u32 s14, s14, (.LBB2_4962-.Lpost_getpc31152)&4294967295
	s_addc_u32 s15, s15, (.LBB2_4962-.Lpost_getpc31152)>>32
	s_setpc_b64 s[14:15]
.LBB2_19300:
	v_mov_b32_e32 v2, 0
	v_cmp_ne_u16_sdwa s[8:9], v9, v2 src0_sel:BYTE_0 src1_sel:DWORD
	s_andn2_b64 s[4:5], s[4:5], exec
	s_and_b64 s[8:9], s[8:9], exec
	s_or_b64 s[4:5], s[4:5], s[8:9]
	s_or_b64 exec, exec, s[6:7]
	s_and_saveexec_b64 s[6:7], s[4:5]
	s_cbranch_execz .LBB2_31153
; %bb.55139:
	s_getpc_b64 s[14:15]
.Lpost_getpc31153:
	s_add_u32 s14, s14, (.LBB2_4963-.Lpost_getpc31153)&4294967295
	s_addc_u32 s15, s15, (.LBB2_4963-.Lpost_getpc31153)>>32
	s_setpc_b64 s[14:15]
.LBB2_31153:
	s_getpc_b64 s[14:15]
.Lpost_getpc19160:
	s_add_u32 s14, s14, (.LBB2_4964-.Lpost_getpc19160)&4294967295
	s_addc_u32 s15, s15, (.LBB2_4964-.Lpost_getpc19160)>>32
	s_setpc_b64 s[14:15]
.LBB2_19301:
	s_movk_i32 s4, 0x80
	v_cmp_eq_u16_sdwa s[12:13], v5, s4 src0_sel:BYTE_0 src1_sel:DWORD
	s_mov_b64 s[4:5], -1
                                        ; implicit-def: $sgpr10
	s_and_saveexec_b64 s[8:9], s[12:13]
; %bb.19302:
	s_mov_b32 s10, 0x7f800001
	s_xor_b64 s[4:5], exec, -1
; %bb.19303:
	s_or_b64 exec, exec, s[8:9]
	s_and_b64 s[4:5], s[4:5], exec
	s_or_saveexec_b64 s[6:7], s[6:7]
	v_mov_b32_e32 v3, s10
	s_xor_b64 exec, exec, s[6:7]
	s_cbranch_execnz .LBB2_19304
; %bb.55141:
	s_getpc_b64 s[14:15]
.Lpost_getpc31154:
	s_add_u32 s14, s14, (.LBB2_4966-.Lpost_getpc31154)&4294967295
	s_addc_u32 s15, s15, (.LBB2_4966-.Lpost_getpc31154)>>32
	s_setpc_b64 s[14:15]
.LBB2_19304:
	v_mov_b32_e32 v3, 0
	v_cmp_ne_u16_sdwa s[8:9], v5, v3 src0_sel:BYTE_0 src1_sel:DWORD
	s_andn2_b64 s[4:5], s[4:5], exec
	s_and_b64 s[8:9], s[8:9], exec
	s_or_b64 s[4:5], s[4:5], s[8:9]
	s_or_b64 exec, exec, s[6:7]
	s_and_saveexec_b64 s[6:7], s[4:5]
	s_cbranch_execz .LBB2_31155
; %bb.55143:
	s_getpc_b64 s[14:15]
.Lpost_getpc31155:
	s_add_u32 s14, s14, (.LBB2_4967-.Lpost_getpc31155)&4294967295
	s_addc_u32 s15, s15, (.LBB2_4967-.Lpost_getpc31155)>>32
	s_setpc_b64 s[14:15]
.LBB2_31155:
	s_getpc_b64 s[14:15]
.Lpost_getpc19161:
	s_add_u32 s14, s14, (.LBB2_4968-.Lpost_getpc19161)&4294967295
	s_addc_u32 s15, s15, (.LBB2_4968-.Lpost_getpc19161)>>32
	s_setpc_b64 s[14:15]
.LBB2_19305:
	s_movk_i32 s4, 0x80
	v_cmp_eq_u16_sdwa s[12:13], v3, s4 src0_sel:BYTE_0 src1_sel:DWORD
	s_mov_b64 s[4:5], -1
                                        ; implicit-def: $sgpr10
	s_and_saveexec_b64 s[8:9], s[12:13]
; %bb.19306:
	s_mov_b32 s10, 0x7f800001
	s_xor_b64 s[4:5], exec, -1
; %bb.19307:
	s_or_b64 exec, exec, s[8:9]
	s_and_b64 s[4:5], s[4:5], exec
	s_or_saveexec_b64 s[6:7], s[6:7]
	v_mov_b32_e32 v2, s10
	s_xor_b64 exec, exec, s[6:7]
	s_cbranch_execnz .LBB2_19308
; %bb.55145:
	s_getpc_b64 s[14:15]
.Lpost_getpc31156:
	s_add_u32 s14, s14, (.LBB2_4970-.Lpost_getpc31156)&4294967295
	s_addc_u32 s15, s15, (.LBB2_4970-.Lpost_getpc31156)>>32
	s_setpc_b64 s[14:15]
.LBB2_19308:
	v_mov_b32_e32 v2, 0
	v_cmp_ne_u16_sdwa s[8:9], v3, v2 src0_sel:BYTE_0 src1_sel:DWORD
	s_andn2_b64 s[4:5], s[4:5], exec
	s_and_b64 s[8:9], s[8:9], exec
	s_or_b64 s[4:5], s[4:5], s[8:9]
	s_or_b64 exec, exec, s[6:7]
	s_and_saveexec_b64 s[6:7], s[4:5]
	s_cbranch_execz .LBB2_31157
; %bb.55147:
	s_getpc_b64 s[14:15]
.Lpost_getpc31157:
	s_add_u32 s14, s14, (.LBB2_4971-.Lpost_getpc31157)&4294967295
	s_addc_u32 s15, s15, (.LBB2_4971-.Lpost_getpc31157)>>32
	s_setpc_b64 s[14:15]
.LBB2_31157:
	s_getpc_b64 s[14:15]
.Lpost_getpc19162:
	s_add_u32 s14, s14, (.LBB2_4972-.Lpost_getpc19162)&4294967295
	s_addc_u32 s15, s15, (.LBB2_4972-.Lpost_getpc19162)>>32
	s_setpc_b64 s[14:15]
.LBB2_19309:
	s_movk_i32 s4, 0x80
	v_cmp_eq_u16_sdwa s[12:13], v3, s4 src0_sel:BYTE_0 src1_sel:DWORD
	s_mov_b64 s[4:5], -1
                                        ; implicit-def: $sgpr10
	s_and_saveexec_b64 s[8:9], s[12:13]
; %bb.19310:
	s_mov_b32 s10, 0x7f800001
	s_xor_b64 s[4:5], exec, -1
; %bb.19311:
	s_or_b64 exec, exec, s[8:9]
	s_and_b64 s[4:5], s[4:5], exec
	s_or_saveexec_b64 s[6:7], s[6:7]
	v_mov_b32_e32 v4, s10
	s_xor_b64 exec, exec, s[6:7]
	s_cbranch_execnz .LBB2_19312
; %bb.55149:
	s_getpc_b64 s[14:15]
.Lpost_getpc31158:
	s_add_u32 s14, s14, (.LBB2_4974-.Lpost_getpc31158)&4294967295
	s_addc_u32 s15, s15, (.LBB2_4974-.Lpost_getpc31158)>>32
	s_setpc_b64 s[14:15]
.LBB2_19312:
	v_mov_b32_e32 v4, 0
	v_cmp_ne_u16_sdwa s[8:9], v3, v4 src0_sel:BYTE_0 src1_sel:DWORD
	s_andn2_b64 s[4:5], s[4:5], exec
	s_and_b64 s[8:9], s[8:9], exec
	s_or_b64 s[4:5], s[4:5], s[8:9]
	s_or_b64 exec, exec, s[6:7]
	s_and_saveexec_b64 s[6:7], s[4:5]
	s_cbranch_execz .LBB2_31159
; %bb.55151:
	s_getpc_b64 s[14:15]
.Lpost_getpc31159:
	s_add_u32 s14, s14, (.LBB2_4975-.Lpost_getpc31159)&4294967295
	s_addc_u32 s15, s15, (.LBB2_4975-.Lpost_getpc31159)>>32
	s_setpc_b64 s[14:15]
.LBB2_31159:
	s_getpc_b64 s[14:15]
.Lpost_getpc19163:
	s_add_u32 s14, s14, (.LBB2_4976-.Lpost_getpc19163)&4294967295
	s_addc_u32 s15, s15, (.LBB2_4976-.Lpost_getpc19163)>>32
	s_setpc_b64 s[14:15]
.LBB2_19313:
	s_movk_i32 s4, 0x80
	v_cmp_eq_u16_e32 vcc, s4, v3
	s_mov_b64 s[4:5], -1
                                        ; implicit-def: $sgpr10
	s_and_saveexec_b64 s[8:9], vcc
; %bb.19314:
	s_mov_b32 s10, 0x7f800001
	s_xor_b64 s[4:5], exec, -1
; %bb.19315:
	s_or_b64 exec, exec, s[8:9]
	s_and_b64 s[4:5], s[4:5], exec
                                        ; implicit-def: $vgpr3
	s_or_saveexec_b64 s[6:7], s[6:7]
	v_mov_b32_e32 v2, s10
	s_xor_b64 exec, exec, s[6:7]
	s_cbranch_execnz .LBB2_19316
; %bb.55153:
	s_getpc_b64 s[14:15]
.Lpost_getpc31160:
	s_add_u32 s14, s14, (.LBB2_4978-.Lpost_getpc31160)&4294967295
	s_addc_u32 s15, s15, (.LBB2_4978-.Lpost_getpc31160)>>32
	s_setpc_b64 s[14:15]
.LBB2_19316:
	v_cmp_ne_u16_e32 vcc, 0, v3
	s_andn2_b64 s[4:5], s[4:5], exec
	s_and_b64 s[8:9], vcc, exec
	v_mov_b32_e32 v2, 0
	s_or_b64 s[4:5], s[4:5], s[8:9]
	s_or_b64 exec, exec, s[6:7]
	s_and_saveexec_b64 s[6:7], s[4:5]
	s_cbranch_execz .LBB2_31161
; %bb.55155:
	s_getpc_b64 s[14:15]
.Lpost_getpc31161:
	s_add_u32 s14, s14, (.LBB2_4979-.Lpost_getpc31161)&4294967295
	s_addc_u32 s15, s15, (.LBB2_4979-.Lpost_getpc31161)>>32
	s_setpc_b64 s[14:15]
.LBB2_31161:
	s_getpc_b64 s[14:15]
.Lpost_getpc19164:
	s_add_u32 s14, s14, (.LBB2_4980-.Lpost_getpc19164)&4294967295
	s_addc_u32 s15, s15, (.LBB2_4980-.Lpost_getpc19164)>>32
	s_setpc_b64 s[14:15]
.LBB2_19317:
	s_movk_i32 s4, 0x80
	v_cmp_eq_u16_e32 vcc, s4, v3
	s_mov_b64 s[4:5], -1
                                        ; implicit-def: $sgpr10
	s_and_saveexec_b64 s[8:9], vcc
; %bb.19318:
	s_mov_b32 s10, 0x7f800001
	s_xor_b64 s[4:5], exec, -1
; %bb.19319:
	s_or_b64 exec, exec, s[8:9]
	s_and_b64 s[4:5], s[4:5], exec
                                        ; implicit-def: $vgpr3
	s_or_saveexec_b64 s[6:7], s[6:7]
	v_mov_b32_e32 v4, s10
	s_xor_b64 exec, exec, s[6:7]
	s_cbranch_execnz .LBB2_19320
; %bb.55157:
	s_getpc_b64 s[14:15]
.Lpost_getpc31162:
	s_add_u32 s14, s14, (.LBB2_4982-.Lpost_getpc31162)&4294967295
	s_addc_u32 s15, s15, (.LBB2_4982-.Lpost_getpc31162)>>32
	s_setpc_b64 s[14:15]
.LBB2_19320:
	v_cmp_ne_u16_e32 vcc, 0, v3
	s_andn2_b64 s[4:5], s[4:5], exec
	s_and_b64 s[8:9], vcc, exec
	v_mov_b32_e32 v4, 0
	s_or_b64 s[4:5], s[4:5], s[8:9]
	s_or_b64 exec, exec, s[6:7]
	s_and_saveexec_b64 s[6:7], s[4:5]
	s_cbranch_execz .LBB2_31163
; %bb.55159:
	s_getpc_b64 s[14:15]
.Lpost_getpc31163:
	s_add_u32 s14, s14, (.LBB2_4983-.Lpost_getpc31163)&4294967295
	s_addc_u32 s15, s15, (.LBB2_4983-.Lpost_getpc31163)>>32
	s_setpc_b64 s[14:15]
.LBB2_31163:
	s_getpc_b64 s[14:15]
.Lpost_getpc19165:
	s_add_u32 s14, s14, (.LBB2_4984-.Lpost_getpc19165)&4294967295
	s_addc_u32 s15, s15, (.LBB2_4984-.Lpost_getpc19165)>>32
	s_setpc_b64 s[14:15]
.LBB2_19321:
	s_movk_i32 s4, 0x80
	v_cmp_eq_u16_sdwa s[12:13], v9, s4 src0_sel:BYTE_3 src1_sel:DWORD
	s_mov_b64 s[4:5], -1
                                        ; implicit-def: $sgpr10
	s_and_saveexec_b64 s[8:9], s[12:13]
; %bb.19322:
	s_mov_b32 s10, 0x7f800001
	s_xor_b64 s[4:5], exec, -1
; %bb.19323:
	s_or_b64 exec, exec, s[8:9]
	s_and_b64 s[4:5], s[4:5], exec
	s_or_saveexec_b64 s[6:7], s[6:7]
	v_mov_b32_e32 v2, s10
	s_xor_b64 exec, exec, s[6:7]
	s_cbranch_execnz .LBB2_19324
; %bb.55161:
	s_getpc_b64 s[14:15]
.Lpost_getpc31164:
	s_add_u32 s14, s14, (.LBB2_4986-.Lpost_getpc31164)&4294967295
	s_addc_u32 s15, s15, (.LBB2_4986-.Lpost_getpc31164)>>32
	s_setpc_b64 s[14:15]
.LBB2_19324:
	v_mov_b32_e32 v2, 0
	v_cmp_ne_u16_sdwa s[8:9], v9, v2 src0_sel:BYTE_3 src1_sel:DWORD
	s_andn2_b64 s[4:5], s[4:5], exec
	s_and_b64 s[8:9], s[8:9], exec
	s_or_b64 s[4:5], s[4:5], s[8:9]
	s_or_b64 exec, exec, s[6:7]
	s_and_saveexec_b64 s[6:7], s[4:5]
	s_cbranch_execz .LBB2_31165
; %bb.55163:
	s_getpc_b64 s[14:15]
.Lpost_getpc31165:
	s_add_u32 s14, s14, (.LBB2_4987-.Lpost_getpc31165)&4294967295
	s_addc_u32 s15, s15, (.LBB2_4987-.Lpost_getpc31165)>>32
	s_setpc_b64 s[14:15]
.LBB2_31165:
	s_getpc_b64 s[14:15]
.Lpost_getpc19166:
	s_add_u32 s14, s14, (.LBB2_4988-.Lpost_getpc19166)&4294967295
	s_addc_u32 s15, s15, (.LBB2_4988-.Lpost_getpc19166)>>32
	s_setpc_b64 s[14:15]
.LBB2_19325:
	s_movk_i32 s4, 0x80
	v_cmp_eq_u16_sdwa s[12:13], v5, s4 src0_sel:BYTE_3 src1_sel:DWORD
	s_mov_b64 s[4:5], -1
                                        ; implicit-def: $sgpr10
	s_and_saveexec_b64 s[8:9], s[12:13]
; %bb.19326:
	s_mov_b32 s10, 0x7f800001
	s_xor_b64 s[4:5], exec, -1
; %bb.19327:
	s_or_b64 exec, exec, s[8:9]
	s_and_b64 s[4:5], s[4:5], exec
	s_or_saveexec_b64 s[6:7], s[6:7]
	v_mov_b32_e32 v3, s10
	s_xor_b64 exec, exec, s[6:7]
	s_cbranch_execnz .LBB2_19328
; %bb.55165:
	s_getpc_b64 s[14:15]
.Lpost_getpc31166:
	s_add_u32 s14, s14, (.LBB2_4990-.Lpost_getpc31166)&4294967295
	s_addc_u32 s15, s15, (.LBB2_4990-.Lpost_getpc31166)>>32
	s_setpc_b64 s[14:15]
.LBB2_19328:
	v_mov_b32_e32 v3, 0
	v_cmp_ne_u16_sdwa s[8:9], v5, v3 src0_sel:BYTE_3 src1_sel:DWORD
	s_andn2_b64 s[4:5], s[4:5], exec
	s_and_b64 s[8:9], s[8:9], exec
	s_or_b64 s[4:5], s[4:5], s[8:9]
	s_or_b64 exec, exec, s[6:7]
	s_and_saveexec_b64 s[6:7], s[4:5]
	s_cbranch_execz .LBB2_31167
; %bb.55167:
	s_getpc_b64 s[14:15]
.Lpost_getpc31167:
	s_add_u32 s14, s14, (.LBB2_4991-.Lpost_getpc31167)&4294967295
	s_addc_u32 s15, s15, (.LBB2_4991-.Lpost_getpc31167)>>32
	s_setpc_b64 s[14:15]
.LBB2_31167:
	s_getpc_b64 s[14:15]
.Lpost_getpc19167:
	s_add_u32 s14, s14, (.LBB2_4992-.Lpost_getpc19167)&4294967295
	s_addc_u32 s15, s15, (.LBB2_4992-.Lpost_getpc19167)>>32
	s_setpc_b64 s[14:15]
.LBB2_19329:
	s_movk_i32 s4, 0x80
	v_cmp_eq_u16_sdwa s[12:13], v6, s4 src0_sel:BYTE_0 src1_sel:DWORD
	s_mov_b64 s[4:5], -1
                                        ; implicit-def: $sgpr10
	s_and_saveexec_b64 s[8:9], s[12:13]
; %bb.19330:
	s_mov_b32 s10, 0x7f800001
	s_xor_b64 s[4:5], exec, -1
; %bb.19331:
	s_or_b64 exec, exec, s[8:9]
	s_and_b64 s[4:5], s[4:5], exec
	s_or_saveexec_b64 s[6:7], s[6:7]
	v_mov_b32_e32 v12, s10
	s_xor_b64 exec, exec, s[6:7]
	s_cbranch_execnz .LBB2_19332
; %bb.55169:
	s_getpc_b64 s[14:15]
.Lpost_getpc31168:
	s_add_u32 s14, s14, (.LBB2_4994-.Lpost_getpc31168)&4294967295
	s_addc_u32 s15, s15, (.LBB2_4994-.Lpost_getpc31168)>>32
	s_setpc_b64 s[14:15]
.LBB2_19332:
	v_mov_b32_e32 v12, 0
	v_cmp_ne_u16_sdwa s[8:9], v6, v12 src0_sel:BYTE_0 src1_sel:DWORD
	s_andn2_b64 s[4:5], s[4:5], exec
	s_and_b64 s[8:9], s[8:9], exec
	s_or_b64 s[4:5], s[4:5], s[8:9]
	s_or_b64 exec, exec, s[6:7]
	s_and_saveexec_b64 s[6:7], s[4:5]
	s_cbranch_execz .LBB2_31169
; %bb.55171:
	s_getpc_b64 s[14:15]
.Lpost_getpc31169:
	s_add_u32 s14, s14, (.LBB2_4995-.Lpost_getpc31169)&4294967295
	s_addc_u32 s15, s15, (.LBB2_4995-.Lpost_getpc31169)>>32
	s_setpc_b64 s[14:15]
.LBB2_31169:
	s_getpc_b64 s[14:15]
.Lpost_getpc19168:
	s_add_u32 s14, s14, (.LBB2_4996-.Lpost_getpc19168)&4294967295
	s_addc_u32 s15, s15, (.LBB2_4996-.Lpost_getpc19168)>>32
	s_setpc_b64 s[14:15]
.LBB2_19333:
	s_movk_i32 s4, 0x80
	v_cmp_eq_u16_sdwa s[12:13], v2, s4 src0_sel:BYTE_0 src1_sel:DWORD
	s_mov_b64 s[4:5], -1
                                        ; implicit-def: $sgpr10
	s_and_saveexec_b64 s[8:9], s[12:13]
; %bb.19334:
	s_mov_b32 s10, 0x7f800001
	s_xor_b64 s[4:5], exec, -1
; %bb.19335:
	s_or_b64 exec, exec, s[8:9]
	s_and_b64 s[4:5], s[4:5], exec
	s_or_saveexec_b64 s[6:7], s[6:7]
	v_mov_b32_e32 v13, s10
	s_xor_b64 exec, exec, s[6:7]
	s_cbranch_execnz .LBB2_19336
; %bb.55173:
	s_getpc_b64 s[14:15]
.Lpost_getpc31170:
	s_add_u32 s14, s14, (.LBB2_4998-.Lpost_getpc31170)&4294967295
	s_addc_u32 s15, s15, (.LBB2_4998-.Lpost_getpc31170)>>32
	s_setpc_b64 s[14:15]
.LBB2_19336:
	v_mov_b32_e32 v13, 0
	v_cmp_ne_u16_sdwa s[8:9], v2, v13 src0_sel:BYTE_0 src1_sel:DWORD
	s_andn2_b64 s[4:5], s[4:5], exec
	s_and_b64 s[8:9], s[8:9], exec
	s_or_b64 s[4:5], s[4:5], s[8:9]
	s_or_b64 exec, exec, s[6:7]
	s_and_saveexec_b64 s[6:7], s[4:5]
	s_cbranch_execz .LBB2_31171
; %bb.55175:
	s_getpc_b64 s[14:15]
.Lpost_getpc31171:
	s_add_u32 s14, s14, (.LBB2_4999-.Lpost_getpc31171)&4294967295
	s_addc_u32 s15, s15, (.LBB2_4999-.Lpost_getpc31171)>>32
	s_setpc_b64 s[14:15]
.LBB2_31171:
	s_getpc_b64 s[14:15]
.Lpost_getpc19169:
	s_add_u32 s14, s14, (.LBB2_5000-.Lpost_getpc19169)&4294967295
	s_addc_u32 s15, s15, (.LBB2_5000-.Lpost_getpc19169)>>32
	s_setpc_b64 s[14:15]
.LBB2_19337:
	s_movk_i32 s4, 0x80
	v_cmp_eq_u16_sdwa s[12:13], v13, s4 src0_sel:BYTE_0 src1_sel:DWORD
	s_mov_b64 s[4:5], -1
                                        ; implicit-def: $sgpr10
	s_and_saveexec_b64 s[8:9], s[12:13]
; %bb.19338:
	s_mov_b32 s10, 0x7f800001
	s_xor_b64 s[4:5], exec, -1
; %bb.19339:
	s_or_b64 exec, exec, s[8:9]
	s_and_b64 s[4:5], s[4:5], exec
	s_or_saveexec_b64 s[6:7], s[6:7]
	v_mov_b32_e32 v12, s10
	s_xor_b64 exec, exec, s[6:7]
	s_cbranch_execnz .LBB2_19340
; %bb.55177:
	s_getpc_b64 s[14:15]
.Lpost_getpc31172:
	s_add_u32 s14, s14, (.LBB2_5002-.Lpost_getpc31172)&4294967295
	s_addc_u32 s15, s15, (.LBB2_5002-.Lpost_getpc31172)>>32
	s_setpc_b64 s[14:15]
.LBB2_19340:
	v_mov_b32_e32 v12, 0
	v_cmp_ne_u16_sdwa s[8:9], v13, v12 src0_sel:BYTE_0 src1_sel:DWORD
	s_andn2_b64 s[4:5], s[4:5], exec
	s_and_b64 s[8:9], s[8:9], exec
	s_or_b64 s[4:5], s[4:5], s[8:9]
	s_or_b64 exec, exec, s[6:7]
	s_and_saveexec_b64 s[6:7], s[4:5]
	s_cbranch_execz .LBB2_31173
; %bb.55179:
	s_getpc_b64 s[14:15]
.Lpost_getpc31173:
	s_add_u32 s14, s14, (.LBB2_5003-.Lpost_getpc31173)&4294967295
	s_addc_u32 s15, s15, (.LBB2_5003-.Lpost_getpc31173)>>32
	s_setpc_b64 s[14:15]
.LBB2_31173:
	s_getpc_b64 s[14:15]
.Lpost_getpc19170:
	s_add_u32 s14, s14, (.LBB2_5004-.Lpost_getpc19170)&4294967295
	s_addc_u32 s15, s15, (.LBB2_5004-.Lpost_getpc19170)>>32
	s_setpc_b64 s[14:15]
.LBB2_19341:
	s_movk_i32 s4, 0x80
	v_cmp_eq_u16_sdwa s[12:13], v13, s4 src0_sel:BYTE_0 src1_sel:DWORD
	s_mov_b64 s[4:5], -1
                                        ; implicit-def: $sgpr10
	s_and_saveexec_b64 s[8:9], s[12:13]
; %bb.19342:
	s_mov_b32 s10, 0x7f800001
	s_xor_b64 s[4:5], exec, -1
; %bb.19343:
	s_or_b64 exec, exec, s[8:9]
	s_and_b64 s[4:5], s[4:5], exec
	s_or_saveexec_b64 s[6:7], s[6:7]
	v_mov_b32_e32 v14, s10
	s_xor_b64 exec, exec, s[6:7]
	s_cbranch_execnz .LBB2_19344
; %bb.55181:
	s_getpc_b64 s[14:15]
.Lpost_getpc31174:
	s_add_u32 s14, s14, (.LBB2_5006-.Lpost_getpc31174)&4294967295
	s_addc_u32 s15, s15, (.LBB2_5006-.Lpost_getpc31174)>>32
	s_setpc_b64 s[14:15]
.LBB2_19344:
	v_mov_b32_e32 v14, 0
	v_cmp_ne_u16_sdwa s[8:9], v13, v14 src0_sel:BYTE_0 src1_sel:DWORD
	s_andn2_b64 s[4:5], s[4:5], exec
	s_and_b64 s[8:9], s[8:9], exec
	s_or_b64 s[4:5], s[4:5], s[8:9]
	s_or_b64 exec, exec, s[6:7]
	s_and_saveexec_b64 s[6:7], s[4:5]
	s_cbranch_execz .LBB2_31175
; %bb.55183:
	s_getpc_b64 s[14:15]
.Lpost_getpc31175:
	s_add_u32 s14, s14, (.LBB2_5007-.Lpost_getpc31175)&4294967295
	s_addc_u32 s15, s15, (.LBB2_5007-.Lpost_getpc31175)>>32
	s_setpc_b64 s[14:15]
.LBB2_31175:
	s_getpc_b64 s[14:15]
.Lpost_getpc19171:
	s_add_u32 s14, s14, (.LBB2_5008-.Lpost_getpc19171)&4294967295
	s_addc_u32 s15, s15, (.LBB2_5008-.Lpost_getpc19171)>>32
	s_setpc_b64 s[14:15]
.LBB2_19345:
	s_movk_i32 s4, 0x80
	v_cmp_eq_u16_e32 vcc, s4, v13
	s_mov_b64 s[4:5], -1
                                        ; implicit-def: $sgpr10
	s_and_saveexec_b64 s[8:9], vcc
; %bb.19346:
	s_mov_b32 s10, 0x7f800001
	s_xor_b64 s[4:5], exec, -1
; %bb.19347:
	s_or_b64 exec, exec, s[8:9]
	s_and_b64 s[4:5], s[4:5], exec
                                        ; implicit-def: $vgpr13
	s_or_saveexec_b64 s[6:7], s[6:7]
	v_mov_b32_e32 v12, s10
	s_xor_b64 exec, exec, s[6:7]
	s_cbranch_execnz .LBB2_19348
; %bb.55185:
	s_getpc_b64 s[14:15]
.Lpost_getpc31176:
	s_add_u32 s14, s14, (.LBB2_5010-.Lpost_getpc31176)&4294967295
	s_addc_u32 s15, s15, (.LBB2_5010-.Lpost_getpc31176)>>32
	s_setpc_b64 s[14:15]
.LBB2_19348:
	v_cmp_ne_u16_e32 vcc, 0, v13
	s_andn2_b64 s[4:5], s[4:5], exec
	s_and_b64 s[8:9], vcc, exec
	v_mov_b32_e32 v12, 0
	s_or_b64 s[4:5], s[4:5], s[8:9]
	s_or_b64 exec, exec, s[6:7]
	s_and_saveexec_b64 s[6:7], s[4:5]
	s_cbranch_execz .LBB2_31177
; %bb.55187:
	s_getpc_b64 s[14:15]
.Lpost_getpc31177:
	s_add_u32 s14, s14, (.LBB2_5011-.Lpost_getpc31177)&4294967295
	s_addc_u32 s15, s15, (.LBB2_5011-.Lpost_getpc31177)>>32
	s_setpc_b64 s[14:15]
.LBB2_31177:
	s_getpc_b64 s[14:15]
.Lpost_getpc19172:
	s_add_u32 s14, s14, (.LBB2_5012-.Lpost_getpc19172)&4294967295
	s_addc_u32 s15, s15, (.LBB2_5012-.Lpost_getpc19172)>>32
	s_setpc_b64 s[14:15]
.LBB2_19349:
	s_movk_i32 s4, 0x80
	v_cmp_eq_u16_e32 vcc, s4, v13
	s_mov_b64 s[4:5], -1
                                        ; implicit-def: $sgpr10
	s_and_saveexec_b64 s[8:9], vcc
; %bb.19350:
	s_mov_b32 s10, 0x7f800001
	s_xor_b64 s[4:5], exec, -1
; %bb.19351:
	s_or_b64 exec, exec, s[8:9]
	s_and_b64 s[4:5], s[4:5], exec
                                        ; implicit-def: $vgpr13
	s_or_saveexec_b64 s[6:7], s[6:7]
	v_mov_b32_e32 v14, s10
	s_xor_b64 exec, exec, s[6:7]
	s_cbranch_execnz .LBB2_19352
; %bb.55189:
	s_getpc_b64 s[14:15]
.Lpost_getpc31178:
	s_add_u32 s14, s14, (.LBB2_5014-.Lpost_getpc31178)&4294967295
	s_addc_u32 s15, s15, (.LBB2_5014-.Lpost_getpc31178)>>32
	s_setpc_b64 s[14:15]
.LBB2_19352:
	v_cmp_ne_u16_e32 vcc, 0, v13
	s_andn2_b64 s[4:5], s[4:5], exec
	s_and_b64 s[8:9], vcc, exec
	v_mov_b32_e32 v14, 0
	s_or_b64 s[4:5], s[4:5], s[8:9]
	s_or_b64 exec, exec, s[6:7]
	s_and_saveexec_b64 s[6:7], s[4:5]
	s_cbranch_execz .LBB2_31179
; %bb.55191:
	s_getpc_b64 s[14:15]
.Lpost_getpc31179:
	s_add_u32 s14, s14, (.LBB2_5015-.Lpost_getpc31179)&4294967295
	s_addc_u32 s15, s15, (.LBB2_5015-.Lpost_getpc31179)>>32
	s_setpc_b64 s[14:15]
.LBB2_31179:
	s_getpc_b64 s[14:15]
.Lpost_getpc19173:
	s_add_u32 s14, s14, (.LBB2_5016-.Lpost_getpc19173)&4294967295
	s_addc_u32 s15, s15, (.LBB2_5016-.Lpost_getpc19173)>>32
	s_setpc_b64 s[14:15]
.LBB2_19353:
	s_movk_i32 s4, 0x80
	v_cmp_eq_u16_sdwa s[12:13], v6, s4 src0_sel:BYTE_3 src1_sel:DWORD
	s_mov_b64 s[4:5], -1
                                        ; implicit-def: $sgpr10
	s_and_saveexec_b64 s[8:9], s[12:13]
; %bb.19354:
	s_mov_b32 s10, 0x7f800001
	s_xor_b64 s[4:5], exec, -1
; %bb.19355:
	s_or_b64 exec, exec, s[8:9]
	s_and_b64 s[4:5], s[4:5], exec
	s_or_saveexec_b64 s[6:7], s[6:7]
	v_mov_b32_e32 v12, s10
	s_xor_b64 exec, exec, s[6:7]
	s_cbranch_execnz .LBB2_19356
; %bb.55193:
	s_getpc_b64 s[14:15]
.Lpost_getpc31180:
	s_add_u32 s14, s14, (.LBB2_5018-.Lpost_getpc31180)&4294967295
	s_addc_u32 s15, s15, (.LBB2_5018-.Lpost_getpc31180)>>32
	s_setpc_b64 s[14:15]
.LBB2_19356:
	v_mov_b32_e32 v12, 0
	v_cmp_ne_u16_sdwa s[8:9], v6, v12 src0_sel:BYTE_3 src1_sel:DWORD
	s_andn2_b64 s[4:5], s[4:5], exec
	s_and_b64 s[8:9], s[8:9], exec
	s_or_b64 s[4:5], s[4:5], s[8:9]
	s_or_b64 exec, exec, s[6:7]
	s_and_saveexec_b64 s[6:7], s[4:5]
	s_cbranch_execz .LBB2_31181
; %bb.55195:
	s_getpc_b64 s[14:15]
.Lpost_getpc31181:
	s_add_u32 s14, s14, (.LBB2_5019-.Lpost_getpc31181)&4294967295
	s_addc_u32 s15, s15, (.LBB2_5019-.Lpost_getpc31181)>>32
	s_setpc_b64 s[14:15]
.LBB2_31181:
	s_getpc_b64 s[14:15]
.Lpost_getpc19174:
	s_add_u32 s14, s14, (.LBB2_5020-.Lpost_getpc19174)&4294967295
	s_addc_u32 s15, s15, (.LBB2_5020-.Lpost_getpc19174)>>32
	s_setpc_b64 s[14:15]
.LBB2_19357:
	s_movk_i32 s4, 0x80
	v_cmp_eq_u16_sdwa s[12:13], v2, s4 src0_sel:BYTE_3 src1_sel:DWORD
	s_mov_b64 s[4:5], -1
                                        ; implicit-def: $sgpr10
	s_and_saveexec_b64 s[8:9], s[12:13]
; %bb.19358:
	s_mov_b32 s10, 0x7f800001
	s_xor_b64 s[4:5], exec, -1
; %bb.19359:
	s_or_b64 exec, exec, s[8:9]
	s_and_b64 s[4:5], s[4:5], exec
	s_or_saveexec_b64 s[6:7], s[6:7]
	v_mov_b32_e32 v6, s10
	s_xor_b64 exec, exec, s[6:7]
	s_cbranch_execnz .LBB2_19360
; %bb.55197:
	s_getpc_b64 s[14:15]
.Lpost_getpc31182:
	s_add_u32 s14, s14, (.LBB2_5022-.Lpost_getpc31182)&4294967295
	s_addc_u32 s15, s15, (.LBB2_5022-.Lpost_getpc31182)>>32
	s_setpc_b64 s[14:15]
.LBB2_19360:
	v_mov_b32_e32 v6, 0
	v_cmp_ne_u16_sdwa s[8:9], v2, v6 src0_sel:BYTE_3 src1_sel:DWORD
	s_andn2_b64 s[4:5], s[4:5], exec
	s_and_b64 s[8:9], s[8:9], exec
	s_or_b64 s[4:5], s[4:5], s[8:9]
	s_or_b64 exec, exec, s[6:7]
	s_and_saveexec_b64 s[6:7], s[4:5]
	s_cbranch_execz .LBB2_31183
; %bb.55199:
	s_getpc_b64 s[14:15]
.Lpost_getpc31183:
	s_add_u32 s14, s14, (.LBB2_5023-.Lpost_getpc31183)&4294967295
	s_addc_u32 s15, s15, (.LBB2_5023-.Lpost_getpc31183)>>32
	s_setpc_b64 s[14:15]
.LBB2_31183:
	s_getpc_b64 s[14:15]
.Lpost_getpc19175:
	s_add_u32 s14, s14, (.LBB2_5024-.Lpost_getpc19175)&4294967295
	s_addc_u32 s15, s15, (.LBB2_5024-.Lpost_getpc19175)>>32
	s_setpc_b64 s[14:15]
.LBB2_19361:
	s_movk_i32 s4, 0x80
	v_cmp_eq_u16_sdwa s[12:13], v7, s4 src0_sel:BYTE_0 src1_sel:DWORD
	s_mov_b64 s[4:5], -1
                                        ; implicit-def: $sgpr10
	s_and_saveexec_b64 s[8:9], s[12:13]
; %bb.19362:
	s_mov_b32 s10, 0x7f800001
	s_xor_b64 s[4:5], exec, -1
; %bb.19363:
	s_or_b64 exec, exec, s[8:9]
	s_and_b64 s[4:5], s[4:5], exec
	s_or_saveexec_b64 s[6:7], s[6:7]
	v_mov_b32_e32 v2, s10
	s_xor_b64 exec, exec, s[6:7]
	s_cbranch_execnz .LBB2_19364
; %bb.55201:
	s_getpc_b64 s[14:15]
.Lpost_getpc31184:
	s_add_u32 s14, s14, (.LBB2_5026-.Lpost_getpc31184)&4294967295
	s_addc_u32 s15, s15, (.LBB2_5026-.Lpost_getpc31184)>>32
	s_setpc_b64 s[14:15]
.LBB2_19364:
	v_mov_b32_e32 v2, 0
	v_cmp_ne_u16_sdwa s[8:9], v7, v2 src0_sel:BYTE_0 src1_sel:DWORD
	s_andn2_b64 s[4:5], s[4:5], exec
	s_and_b64 s[8:9], s[8:9], exec
	s_or_b64 s[4:5], s[4:5], s[8:9]
	s_or_b64 exec, exec, s[6:7]
	s_and_saveexec_b64 s[6:7], s[4:5]
	s_cbranch_execz .LBB2_31185
; %bb.55203:
	s_getpc_b64 s[14:15]
.Lpost_getpc31185:
	s_add_u32 s14, s14, (.LBB2_5027-.Lpost_getpc31185)&4294967295
	s_addc_u32 s15, s15, (.LBB2_5027-.Lpost_getpc31185)>>32
	s_setpc_b64 s[14:15]
.LBB2_31185:
	s_getpc_b64 s[14:15]
.Lpost_getpc19176:
	s_add_u32 s14, s14, (.LBB2_5028-.Lpost_getpc19176)&4294967295
	s_addc_u32 s15, s15, (.LBB2_5028-.Lpost_getpc19176)>>32
	s_setpc_b64 s[14:15]
.LBB2_19365:
	s_movk_i32 s4, 0x80
	v_cmp_eq_u16_sdwa s[12:13], v3, s4 src0_sel:BYTE_0 src1_sel:DWORD
	s_mov_b64 s[4:5], -1
                                        ; implicit-def: $sgpr10
	s_and_saveexec_b64 s[8:9], s[12:13]
; %bb.19366:
	s_mov_b32 s10, 0x7f800001
	s_xor_b64 s[4:5], exec, -1
; %bb.19367:
	s_or_b64 exec, exec, s[8:9]
	s_and_b64 s[4:5], s[4:5], exec
	s_or_saveexec_b64 s[6:7], s[6:7]
	v_mov_b32_e32 v6, s10
	s_xor_b64 exec, exec, s[6:7]
	s_cbranch_execnz .LBB2_19368
; %bb.55205:
	s_getpc_b64 s[14:15]
.Lpost_getpc31186:
	s_add_u32 s14, s14, (.LBB2_5030-.Lpost_getpc31186)&4294967295
	s_addc_u32 s15, s15, (.LBB2_5030-.Lpost_getpc31186)>>32
	s_setpc_b64 s[14:15]
.LBB2_19368:
	v_mov_b32_e32 v6, 0
	v_cmp_ne_u16_sdwa s[8:9], v3, v6 src0_sel:BYTE_0 src1_sel:DWORD
	s_andn2_b64 s[4:5], s[4:5], exec
	s_and_b64 s[8:9], s[8:9], exec
	s_or_b64 s[4:5], s[4:5], s[8:9]
	s_or_b64 exec, exec, s[6:7]
	s_and_saveexec_b64 s[6:7], s[4:5]
	s_cbranch_execz .LBB2_31187
; %bb.55207:
	s_getpc_b64 s[14:15]
.Lpost_getpc31187:
	s_add_u32 s14, s14, (.LBB2_5031-.Lpost_getpc31187)&4294967295
	s_addc_u32 s15, s15, (.LBB2_5031-.Lpost_getpc31187)>>32
	s_setpc_b64 s[14:15]
.LBB2_31187:
	s_getpc_b64 s[14:15]
.Lpost_getpc19177:
	s_add_u32 s14, s14, (.LBB2_5032-.Lpost_getpc19177)&4294967295
	s_addc_u32 s15, s15, (.LBB2_5032-.Lpost_getpc19177)>>32
	s_setpc_b64 s[14:15]
.LBB2_19369:
	s_movk_i32 s4, 0x80
	v_cmp_eq_u16_sdwa s[12:13], v6, s4 src0_sel:BYTE_0 src1_sel:DWORD
	s_mov_b64 s[4:5], -1
                                        ; implicit-def: $sgpr10
	s_and_saveexec_b64 s[8:9], s[12:13]
; %bb.19370:
	s_mov_b32 s10, 0x7f800001
	s_xor_b64 s[4:5], exec, -1
; %bb.19371:
	s_or_b64 exec, exec, s[8:9]
	s_and_b64 s[4:5], s[4:5], exec
	s_or_saveexec_b64 s[6:7], s[6:7]
	v_mov_b32_e32 v2, s10
	s_xor_b64 exec, exec, s[6:7]
	s_cbranch_execnz .LBB2_19372
; %bb.55209:
	s_getpc_b64 s[14:15]
.Lpost_getpc31188:
	s_add_u32 s14, s14, (.LBB2_5034-.Lpost_getpc31188)&4294967295
	s_addc_u32 s15, s15, (.LBB2_5034-.Lpost_getpc31188)>>32
	s_setpc_b64 s[14:15]
.LBB2_19372:
	v_mov_b32_e32 v2, 0
	v_cmp_ne_u16_sdwa s[8:9], v6, v2 src0_sel:BYTE_0 src1_sel:DWORD
	s_andn2_b64 s[4:5], s[4:5], exec
	s_and_b64 s[8:9], s[8:9], exec
	s_or_b64 s[4:5], s[4:5], s[8:9]
	s_or_b64 exec, exec, s[6:7]
	s_and_saveexec_b64 s[6:7], s[4:5]
	s_cbranch_execz .LBB2_31189
; %bb.55211:
	s_getpc_b64 s[14:15]
.Lpost_getpc31189:
	s_add_u32 s14, s14, (.LBB2_5035-.Lpost_getpc31189)&4294967295
	s_addc_u32 s15, s15, (.LBB2_5035-.Lpost_getpc31189)>>32
	s_setpc_b64 s[14:15]
.LBB2_31189:
	s_getpc_b64 s[14:15]
.Lpost_getpc19178:
	s_add_u32 s14, s14, (.LBB2_5036-.Lpost_getpc19178)&4294967295
	s_addc_u32 s15, s15, (.LBB2_5036-.Lpost_getpc19178)>>32
	s_setpc_b64 s[14:15]
.LBB2_19373:
	s_movk_i32 s4, 0x80
	v_cmp_eq_u16_sdwa s[12:13], v6, s4 src0_sel:BYTE_0 src1_sel:DWORD
	s_mov_b64 s[4:5], -1
                                        ; implicit-def: $sgpr10
	s_and_saveexec_b64 s[8:9], s[12:13]
; %bb.19374:
	s_mov_b32 s10, 0x7f800001
	s_xor_b64 s[4:5], exec, -1
; %bb.19375:
	s_or_b64 exec, exec, s[8:9]
	s_and_b64 s[4:5], s[4:5], exec
	s_or_saveexec_b64 s[6:7], s[6:7]
	v_mov_b32_e32 v12, s10
	s_xor_b64 exec, exec, s[6:7]
	s_cbranch_execnz .LBB2_19376
; %bb.55213:
	s_getpc_b64 s[14:15]
.Lpost_getpc31190:
	s_add_u32 s14, s14, (.LBB2_5038-.Lpost_getpc31190)&4294967295
	s_addc_u32 s15, s15, (.LBB2_5038-.Lpost_getpc31190)>>32
	s_setpc_b64 s[14:15]
.LBB2_19376:
	v_mov_b32_e32 v12, 0
	v_cmp_ne_u16_sdwa s[8:9], v6, v12 src0_sel:BYTE_0 src1_sel:DWORD
	s_andn2_b64 s[4:5], s[4:5], exec
	s_and_b64 s[8:9], s[8:9], exec
	s_or_b64 s[4:5], s[4:5], s[8:9]
	s_or_b64 exec, exec, s[6:7]
	s_and_saveexec_b64 s[6:7], s[4:5]
	s_cbranch_execz .LBB2_31191
; %bb.55215:
	s_getpc_b64 s[14:15]
.Lpost_getpc31191:
	s_add_u32 s14, s14, (.LBB2_5039-.Lpost_getpc31191)&4294967295
	s_addc_u32 s15, s15, (.LBB2_5039-.Lpost_getpc31191)>>32
	s_setpc_b64 s[14:15]
.LBB2_31191:
	s_getpc_b64 s[14:15]
.Lpost_getpc19179:
	s_add_u32 s14, s14, (.LBB2_5040-.Lpost_getpc19179)&4294967295
	s_addc_u32 s15, s15, (.LBB2_5040-.Lpost_getpc19179)>>32
	s_setpc_b64 s[14:15]
.LBB2_19377:
	s_movk_i32 s4, 0x80
	v_cmp_eq_u16_e32 vcc, s4, v6
	s_mov_b64 s[4:5], -1
                                        ; implicit-def: $sgpr10
	s_and_saveexec_b64 s[8:9], vcc
; %bb.19378:
	s_mov_b32 s10, 0x7f800001
	s_xor_b64 s[4:5], exec, -1
; %bb.19379:
	s_or_b64 exec, exec, s[8:9]
	s_and_b64 s[4:5], s[4:5], exec
                                        ; implicit-def: $vgpr6
	s_or_saveexec_b64 s[6:7], s[6:7]
	v_mov_b32_e32 v2, s10
	s_xor_b64 exec, exec, s[6:7]
	s_cbranch_execnz .LBB2_19380
; %bb.55217:
	s_getpc_b64 s[14:15]
.Lpost_getpc31192:
	s_add_u32 s14, s14, (.LBB2_5042-.Lpost_getpc31192)&4294967295
	s_addc_u32 s15, s15, (.LBB2_5042-.Lpost_getpc31192)>>32
	s_setpc_b64 s[14:15]
.LBB2_19380:
	v_cmp_ne_u16_e32 vcc, 0, v6
	s_andn2_b64 s[4:5], s[4:5], exec
	s_and_b64 s[8:9], vcc, exec
	v_mov_b32_e32 v2, 0
	s_or_b64 s[4:5], s[4:5], s[8:9]
	s_or_b64 exec, exec, s[6:7]
	s_and_saveexec_b64 s[6:7], s[4:5]
	s_cbranch_execz .LBB2_31193
; %bb.55219:
	s_getpc_b64 s[14:15]
.Lpost_getpc31193:
	s_add_u32 s14, s14, (.LBB2_5043-.Lpost_getpc31193)&4294967295
	s_addc_u32 s15, s15, (.LBB2_5043-.Lpost_getpc31193)>>32
	s_setpc_b64 s[14:15]
.LBB2_31193:
	s_getpc_b64 s[14:15]
.Lpost_getpc19180:
	s_add_u32 s14, s14, (.LBB2_5044-.Lpost_getpc19180)&4294967295
	s_addc_u32 s15, s15, (.LBB2_5044-.Lpost_getpc19180)>>32
	s_setpc_b64 s[14:15]
.LBB2_19381:
	s_movk_i32 s4, 0x80
	v_cmp_eq_u16_e32 vcc, s4, v6
	s_mov_b64 s[4:5], -1
                                        ; implicit-def: $sgpr10
	s_and_saveexec_b64 s[8:9], vcc
; %bb.19382:
	s_mov_b32 s10, 0x7f800001
	s_xor_b64 s[4:5], exec, -1
; %bb.19383:
	s_or_b64 exec, exec, s[8:9]
	s_and_b64 s[4:5], s[4:5], exec
                                        ; implicit-def: $vgpr6
	s_or_saveexec_b64 s[6:7], s[6:7]
	v_mov_b32_e32 v12, s10
	s_xor_b64 exec, exec, s[6:7]
	s_cbranch_execnz .LBB2_19384
; %bb.55221:
	s_getpc_b64 s[14:15]
.Lpost_getpc31194:
	s_add_u32 s14, s14, (.LBB2_5046-.Lpost_getpc31194)&4294967295
	s_addc_u32 s15, s15, (.LBB2_5046-.Lpost_getpc31194)>>32
	s_setpc_b64 s[14:15]
.LBB2_19384:
	v_cmp_ne_u16_e32 vcc, 0, v6
	s_andn2_b64 s[4:5], s[4:5], exec
	s_and_b64 s[8:9], vcc, exec
	v_mov_b32_e32 v12, 0
	s_or_b64 s[4:5], s[4:5], s[8:9]
	s_or_b64 exec, exec, s[6:7]
	s_and_saveexec_b64 s[6:7], s[4:5]
	s_cbranch_execz .LBB2_31195
; %bb.55223:
	s_getpc_b64 s[14:15]
.Lpost_getpc31195:
	s_add_u32 s14, s14, (.LBB2_5047-.Lpost_getpc31195)&4294967295
	s_addc_u32 s15, s15, (.LBB2_5047-.Lpost_getpc31195)>>32
	s_setpc_b64 s[14:15]
.LBB2_31195:
	s_getpc_b64 s[14:15]
.Lpost_getpc19181:
	s_add_u32 s14, s14, (.LBB2_5048-.Lpost_getpc19181)&4294967295
	s_addc_u32 s15, s15, (.LBB2_5048-.Lpost_getpc19181)>>32
	s_setpc_b64 s[14:15]
.LBB2_19385:
	s_movk_i32 s4, 0x80
	v_cmp_eq_u16_sdwa s[12:13], v7, s4 src0_sel:BYTE_3 src1_sel:DWORD
	s_mov_b64 s[4:5], -1
                                        ; implicit-def: $sgpr10
	s_and_saveexec_b64 s[8:9], s[12:13]
; %bb.19386:
	s_mov_b32 s10, 0x7f800001
	s_xor_b64 s[4:5], exec, -1
; %bb.19387:
	s_or_b64 exec, exec, s[8:9]
	s_and_b64 s[4:5], s[4:5], exec
	s_or_saveexec_b64 s[6:7], s[6:7]
	v_mov_b32_e32 v2, s10
	s_xor_b64 exec, exec, s[6:7]
	s_cbranch_execnz .LBB2_19388
; %bb.55225:
	s_getpc_b64 s[14:15]
.Lpost_getpc31196:
	s_add_u32 s14, s14, (.LBB2_5050-.Lpost_getpc31196)&4294967295
	s_addc_u32 s15, s15, (.LBB2_5050-.Lpost_getpc31196)>>32
	s_setpc_b64 s[14:15]
.LBB2_19388:
	v_mov_b32_e32 v2, 0
	v_cmp_ne_u16_sdwa s[8:9], v7, v2 src0_sel:BYTE_3 src1_sel:DWORD
	s_andn2_b64 s[4:5], s[4:5], exec
	s_and_b64 s[8:9], s[8:9], exec
	s_or_b64 s[4:5], s[4:5], s[8:9]
	s_or_b64 exec, exec, s[6:7]
	s_and_saveexec_b64 s[6:7], s[4:5]
	s_cbranch_execz .LBB2_31197
; %bb.55227:
	s_getpc_b64 s[14:15]
.Lpost_getpc31197:
	s_add_u32 s14, s14, (.LBB2_5051-.Lpost_getpc31197)&4294967295
	s_addc_u32 s15, s15, (.LBB2_5051-.Lpost_getpc31197)>>32
	s_setpc_b64 s[14:15]
.LBB2_31197:
	s_getpc_b64 s[14:15]
.Lpost_getpc19182:
	s_add_u32 s14, s14, (.LBB2_5052-.Lpost_getpc19182)&4294967295
	s_addc_u32 s15, s15, (.LBB2_5052-.Lpost_getpc19182)>>32
	s_setpc_b64 s[14:15]
.LBB2_19389:
	s_movk_i32 s4, 0x80
	v_cmp_eq_u16_sdwa s[12:13], v3, s4 src0_sel:BYTE_3 src1_sel:DWORD
	s_mov_b64 s[4:5], -1
                                        ; implicit-def: $sgpr10
	s_and_saveexec_b64 s[8:9], s[12:13]
; %bb.19390:
	s_mov_b32 s10, 0x7f800001
	s_xor_b64 s[4:5], exec, -1
; %bb.19391:
	s_or_b64 exec, exec, s[8:9]
	s_and_b64 s[4:5], s[4:5], exec
	s_or_saveexec_b64 s[6:7], s[6:7]
	v_mov_b32_e32 v6, s10
	s_xor_b64 exec, exec, s[6:7]
	s_cbranch_execnz .LBB2_19392
; %bb.55229:
	s_getpc_b64 s[14:15]
.Lpost_getpc31198:
	s_add_u32 s14, s14, (.LBB2_5054-.Lpost_getpc31198)&4294967295
	s_addc_u32 s15, s15, (.LBB2_5054-.Lpost_getpc31198)>>32
	s_setpc_b64 s[14:15]
.LBB2_19392:
	v_mov_b32_e32 v6, 0
	v_cmp_ne_u16_sdwa s[8:9], v3, v6 src0_sel:BYTE_3 src1_sel:DWORD
	s_andn2_b64 s[4:5], s[4:5], exec
	s_and_b64 s[8:9], s[8:9], exec
	s_or_b64 s[4:5], s[4:5], s[8:9]
	s_or_b64 exec, exec, s[6:7]
	s_and_saveexec_b64 s[6:7], s[4:5]
	s_cbranch_execz .LBB2_31199
; %bb.55231:
	s_getpc_b64 s[14:15]
.Lpost_getpc31199:
	s_add_u32 s14, s14, (.LBB2_5055-.Lpost_getpc31199)&4294967295
	s_addc_u32 s15, s15, (.LBB2_5055-.Lpost_getpc31199)>>32
	s_setpc_b64 s[14:15]
.LBB2_31199:
	s_getpc_b64 s[14:15]
.Lpost_getpc19183:
	s_add_u32 s14, s14, (.LBB2_5056-.Lpost_getpc19183)&4294967295
	s_addc_u32 s15, s15, (.LBB2_5056-.Lpost_getpc19183)>>32
	s_setpc_b64 s[14:15]
.LBB2_19393:
	s_movk_i32 s4, 0x80
	v_cmp_eq_u16_sdwa s[12:13], v8, s4 src0_sel:BYTE_0 src1_sel:DWORD
	s_mov_b64 s[4:5], -1
                                        ; implicit-def: $sgpr10
	s_and_saveexec_b64 s[8:9], s[12:13]
; %bb.19394:
	s_mov_b32 s10, 0x7f800001
	s_xor_b64 s[4:5], exec, -1
; %bb.19395:
	s_or_b64 exec, exec, s[8:9]
	s_and_b64 s[4:5], s[4:5], exec
	s_or_saveexec_b64 s[6:7], s[6:7]
	v_mov_b32_e32 v2, s10
	s_xor_b64 exec, exec, s[6:7]
	s_cbranch_execnz .LBB2_19396
; %bb.55233:
	s_getpc_b64 s[14:15]
.Lpost_getpc31200:
	s_add_u32 s14, s14, (.LBB2_5058-.Lpost_getpc31200)&4294967295
	s_addc_u32 s15, s15, (.LBB2_5058-.Lpost_getpc31200)>>32
	s_setpc_b64 s[14:15]
.LBB2_19396:
	v_mov_b32_e32 v2, 0
	v_cmp_ne_u16_sdwa s[8:9], v8, v2 src0_sel:BYTE_0 src1_sel:DWORD
	s_andn2_b64 s[4:5], s[4:5], exec
	s_and_b64 s[8:9], s[8:9], exec
	s_or_b64 s[4:5], s[4:5], s[8:9]
	s_or_b64 exec, exec, s[6:7]
	s_and_saveexec_b64 s[6:7], s[4:5]
	s_cbranch_execz .LBB2_31201
; %bb.55235:
	s_getpc_b64 s[14:15]
.Lpost_getpc31201:
	s_add_u32 s14, s14, (.LBB2_5059-.Lpost_getpc31201)&4294967295
	s_addc_u32 s15, s15, (.LBB2_5059-.Lpost_getpc31201)>>32
	s_setpc_b64 s[14:15]
.LBB2_31201:
	s_getpc_b64 s[14:15]
.Lpost_getpc19184:
	s_add_u32 s14, s14, (.LBB2_5060-.Lpost_getpc19184)&4294967295
	s_addc_u32 s15, s15, (.LBB2_5060-.Lpost_getpc19184)>>32
	s_setpc_b64 s[14:15]
.LBB2_19397:
	s_movk_i32 s4, 0x80
	v_cmp_eq_u16_sdwa s[12:13], v4, s4 src0_sel:BYTE_0 src1_sel:DWORD
	s_mov_b64 s[4:5], -1
                                        ; implicit-def: $sgpr10
	s_and_saveexec_b64 s[8:9], s[12:13]
; %bb.19398:
	s_mov_b32 s10, 0x7f800001
	s_xor_b64 s[4:5], exec, -1
; %bb.19399:
	s_or_b64 exec, exec, s[8:9]
	s_and_b64 s[4:5], s[4:5], exec
	s_or_saveexec_b64 s[6:7], s[6:7]
	v_mov_b32_e32 v3, s10
	s_xor_b64 exec, exec, s[6:7]
	s_cbranch_execnz .LBB2_19400
; %bb.55237:
	s_getpc_b64 s[14:15]
.Lpost_getpc31202:
	s_add_u32 s14, s14, (.LBB2_5062-.Lpost_getpc31202)&4294967295
	s_addc_u32 s15, s15, (.LBB2_5062-.Lpost_getpc31202)>>32
	s_setpc_b64 s[14:15]
.LBB2_19400:
	v_mov_b32_e32 v3, 0
	v_cmp_ne_u16_sdwa s[8:9], v4, v3 src0_sel:BYTE_0 src1_sel:DWORD
	s_andn2_b64 s[4:5], s[4:5], exec
	s_and_b64 s[8:9], s[8:9], exec
	s_or_b64 s[4:5], s[4:5], s[8:9]
	s_or_b64 exec, exec, s[6:7]
	s_and_saveexec_b64 s[6:7], s[4:5]
	s_cbranch_execz .LBB2_31203
; %bb.55239:
	s_getpc_b64 s[14:15]
.Lpost_getpc31203:
	s_add_u32 s14, s14, (.LBB2_5063-.Lpost_getpc31203)&4294967295
	s_addc_u32 s15, s15, (.LBB2_5063-.Lpost_getpc31203)>>32
	s_setpc_b64 s[14:15]
.LBB2_31203:
	s_getpc_b64 s[14:15]
.Lpost_getpc19185:
	s_add_u32 s14, s14, (.LBB2_5064-.Lpost_getpc19185)&4294967295
	s_addc_u32 s15, s15, (.LBB2_5064-.Lpost_getpc19185)>>32
	s_setpc_b64 s[14:15]
.LBB2_19401:
	s_movk_i32 s4, 0x80
	v_cmp_eq_u16_sdwa s[12:13], v3, s4 src0_sel:BYTE_0 src1_sel:DWORD
	s_mov_b64 s[4:5], -1
                                        ; implicit-def: $sgpr10
	s_and_saveexec_b64 s[8:9], s[12:13]
; %bb.19402:
	s_mov_b32 s10, 0x7f800001
	s_xor_b64 s[4:5], exec, -1
; %bb.19403:
	s_or_b64 exec, exec, s[8:9]
	s_and_b64 s[4:5], s[4:5], exec
	s_or_saveexec_b64 s[6:7], s[6:7]
	v_mov_b32_e32 v2, s10
	s_xor_b64 exec, exec, s[6:7]
	s_cbranch_execnz .LBB2_19404
; %bb.55241:
	s_getpc_b64 s[14:15]
.Lpost_getpc31204:
	s_add_u32 s14, s14, (.LBB2_5066-.Lpost_getpc31204)&4294967295
	s_addc_u32 s15, s15, (.LBB2_5066-.Lpost_getpc31204)>>32
	s_setpc_b64 s[14:15]
.LBB2_19404:
	v_mov_b32_e32 v2, 0
	v_cmp_ne_u16_sdwa s[8:9], v3, v2 src0_sel:BYTE_0 src1_sel:DWORD
	s_andn2_b64 s[4:5], s[4:5], exec
	s_and_b64 s[8:9], s[8:9], exec
	s_or_b64 s[4:5], s[4:5], s[8:9]
	s_or_b64 exec, exec, s[6:7]
	s_and_saveexec_b64 s[6:7], s[4:5]
	s_cbranch_execz .LBB2_31205
; %bb.55243:
	s_getpc_b64 s[14:15]
.Lpost_getpc31205:
	s_add_u32 s14, s14, (.LBB2_5067-.Lpost_getpc31205)&4294967295
	s_addc_u32 s15, s15, (.LBB2_5067-.Lpost_getpc31205)>>32
	s_setpc_b64 s[14:15]
.LBB2_31205:
	s_getpc_b64 s[14:15]
.Lpost_getpc19186:
	s_add_u32 s14, s14, (.LBB2_5068-.Lpost_getpc19186)&4294967295
	s_addc_u32 s15, s15, (.LBB2_5068-.Lpost_getpc19186)>>32
	s_setpc_b64 s[14:15]
.LBB2_19405:
	s_movk_i32 s4, 0x80
	v_cmp_eq_u16_sdwa s[12:13], v3, s4 src0_sel:BYTE_0 src1_sel:DWORD
	s_mov_b64 s[4:5], -1
                                        ; implicit-def: $sgpr10
	s_and_saveexec_b64 s[8:9], s[12:13]
; %bb.19406:
	s_mov_b32 s10, 0x7f800001
	s_xor_b64 s[4:5], exec, -1
; %bb.19407:
	s_or_b64 exec, exec, s[8:9]
	s_and_b64 s[4:5], s[4:5], exec
	s_or_saveexec_b64 s[6:7], s[6:7]
	v_mov_b32_e32 v6, s10
	s_xor_b64 exec, exec, s[6:7]
	s_cbranch_execnz .LBB2_19408
; %bb.55245:
	s_getpc_b64 s[14:15]
.Lpost_getpc31206:
	s_add_u32 s14, s14, (.LBB2_5070-.Lpost_getpc31206)&4294967295
	s_addc_u32 s15, s15, (.LBB2_5070-.Lpost_getpc31206)>>32
	s_setpc_b64 s[14:15]
.LBB2_19408:
	v_mov_b32_e32 v6, 0
	v_cmp_ne_u16_sdwa s[8:9], v3, v6 src0_sel:BYTE_0 src1_sel:DWORD
	s_andn2_b64 s[4:5], s[4:5], exec
	s_and_b64 s[8:9], s[8:9], exec
	s_or_b64 s[4:5], s[4:5], s[8:9]
	s_or_b64 exec, exec, s[6:7]
	s_and_saveexec_b64 s[6:7], s[4:5]
	s_cbranch_execz .LBB2_31207
; %bb.55247:
	s_getpc_b64 s[14:15]
.Lpost_getpc31207:
	s_add_u32 s14, s14, (.LBB2_5071-.Lpost_getpc31207)&4294967295
	s_addc_u32 s15, s15, (.LBB2_5071-.Lpost_getpc31207)>>32
	s_setpc_b64 s[14:15]
.LBB2_31207:
	s_getpc_b64 s[14:15]
.Lpost_getpc19187:
	s_add_u32 s14, s14, (.LBB2_5072-.Lpost_getpc19187)&4294967295
	s_addc_u32 s15, s15, (.LBB2_5072-.Lpost_getpc19187)>>32
	s_setpc_b64 s[14:15]
.LBB2_19409:
	s_movk_i32 s4, 0x80
	v_cmp_eq_u16_e32 vcc, s4, v3
	s_mov_b64 s[4:5], -1
                                        ; implicit-def: $sgpr10
	s_and_saveexec_b64 s[8:9], vcc
; %bb.19410:
	s_mov_b32 s10, 0x7f800001
	s_xor_b64 s[4:5], exec, -1
; %bb.19411:
	s_or_b64 exec, exec, s[8:9]
	s_and_b64 s[4:5], s[4:5], exec
                                        ; implicit-def: $vgpr3
	s_or_saveexec_b64 s[6:7], s[6:7]
	v_mov_b32_e32 v2, s10
	s_xor_b64 exec, exec, s[6:7]
	s_cbranch_execnz .LBB2_19412
; %bb.55249:
	s_getpc_b64 s[14:15]
.Lpost_getpc31208:
	s_add_u32 s14, s14, (.LBB2_5074-.Lpost_getpc31208)&4294967295
	s_addc_u32 s15, s15, (.LBB2_5074-.Lpost_getpc31208)>>32
	s_setpc_b64 s[14:15]
.LBB2_19412:
	v_cmp_ne_u16_e32 vcc, 0, v3
	s_andn2_b64 s[4:5], s[4:5], exec
	s_and_b64 s[8:9], vcc, exec
	v_mov_b32_e32 v2, 0
	s_or_b64 s[4:5], s[4:5], s[8:9]
	s_or_b64 exec, exec, s[6:7]
	s_and_saveexec_b64 s[6:7], s[4:5]
	s_cbranch_execz .LBB2_31209
; %bb.55251:
	s_getpc_b64 s[14:15]
.Lpost_getpc31209:
	s_add_u32 s14, s14, (.LBB2_5075-.Lpost_getpc31209)&4294967295
	s_addc_u32 s15, s15, (.LBB2_5075-.Lpost_getpc31209)>>32
	s_setpc_b64 s[14:15]
.LBB2_31209:
	s_getpc_b64 s[14:15]
.Lpost_getpc19188:
	s_add_u32 s14, s14, (.LBB2_5076-.Lpost_getpc19188)&4294967295
	s_addc_u32 s15, s15, (.LBB2_5076-.Lpost_getpc19188)>>32
	s_setpc_b64 s[14:15]
.LBB2_19413:
	s_movk_i32 s4, 0x80
	v_cmp_eq_u16_e32 vcc, s4, v3
	s_mov_b64 s[4:5], -1
                                        ; implicit-def: $sgpr10
	s_and_saveexec_b64 s[8:9], vcc
; %bb.19414:
	s_mov_b32 s10, 0x7f800001
	s_xor_b64 s[4:5], exec, -1
; %bb.19415:
	s_or_b64 exec, exec, s[8:9]
	s_and_b64 s[4:5], s[4:5], exec
                                        ; implicit-def: $vgpr3
	s_or_saveexec_b64 s[6:7], s[6:7]
	v_mov_b32_e32 v6, s10
	s_xor_b64 exec, exec, s[6:7]
	s_cbranch_execnz .LBB2_19416
; %bb.55253:
	s_getpc_b64 s[14:15]
.Lpost_getpc31210:
	s_add_u32 s14, s14, (.LBB2_5078-.Lpost_getpc31210)&4294967295
	s_addc_u32 s15, s15, (.LBB2_5078-.Lpost_getpc31210)>>32
	s_setpc_b64 s[14:15]
.LBB2_19416:
	v_cmp_ne_u16_e32 vcc, 0, v3
	s_andn2_b64 s[4:5], s[4:5], exec
	s_and_b64 s[8:9], vcc, exec
	v_mov_b32_e32 v6, 0
	s_or_b64 s[4:5], s[4:5], s[8:9]
	s_or_b64 exec, exec, s[6:7]
	s_and_saveexec_b64 s[6:7], s[4:5]
	s_cbranch_execz .LBB2_31211
; %bb.55255:
	s_getpc_b64 s[14:15]
.Lpost_getpc31211:
	s_add_u32 s14, s14, (.LBB2_5079-.Lpost_getpc31211)&4294967295
	s_addc_u32 s15, s15, (.LBB2_5079-.Lpost_getpc31211)>>32
	s_setpc_b64 s[14:15]
.LBB2_31211:
	s_getpc_b64 s[14:15]
.Lpost_getpc19189:
	s_add_u32 s14, s14, (.LBB2_5080-.Lpost_getpc19189)&4294967295
	s_addc_u32 s15, s15, (.LBB2_5080-.Lpost_getpc19189)>>32
	s_setpc_b64 s[14:15]
.LBB2_19417:
	s_movk_i32 s4, 0x80
	v_cmp_eq_u16_sdwa s[12:13], v8, s4 src0_sel:BYTE_3 src1_sel:DWORD
	s_mov_b64 s[4:5], -1
                                        ; implicit-def: $sgpr10
	s_and_saveexec_b64 s[8:9], s[12:13]
; %bb.19418:
	s_mov_b32 s10, 0x7f800001
	s_xor_b64 s[4:5], exec, -1
; %bb.19419:
	s_or_b64 exec, exec, s[8:9]
	s_and_b64 s[4:5], s[4:5], exec
	s_or_saveexec_b64 s[6:7], s[6:7]
	v_mov_b32_e32 v2, s10
	s_xor_b64 exec, exec, s[6:7]
	s_cbranch_execnz .LBB2_19420
; %bb.55257:
	s_getpc_b64 s[14:15]
.Lpost_getpc31212:
	s_add_u32 s14, s14, (.LBB2_5082-.Lpost_getpc31212)&4294967295
	s_addc_u32 s15, s15, (.LBB2_5082-.Lpost_getpc31212)>>32
	s_setpc_b64 s[14:15]
.LBB2_19420:
	v_mov_b32_e32 v2, 0
	v_cmp_ne_u16_sdwa s[8:9], v8, v2 src0_sel:BYTE_3 src1_sel:DWORD
	s_andn2_b64 s[4:5], s[4:5], exec
	s_and_b64 s[8:9], s[8:9], exec
	s_or_b64 s[4:5], s[4:5], s[8:9]
	s_or_b64 exec, exec, s[6:7]
	s_and_saveexec_b64 s[6:7], s[4:5]
	s_cbranch_execz .LBB2_31213
; %bb.55259:
	s_getpc_b64 s[14:15]
.Lpost_getpc31213:
	s_add_u32 s14, s14, (.LBB2_5083-.Lpost_getpc31213)&4294967295
	s_addc_u32 s15, s15, (.LBB2_5083-.Lpost_getpc31213)>>32
	s_setpc_b64 s[14:15]
.LBB2_31213:
	s_getpc_b64 s[14:15]
.Lpost_getpc19190:
	s_add_u32 s14, s14, (.LBB2_5084-.Lpost_getpc19190)&4294967295
	s_addc_u32 s15, s15, (.LBB2_5084-.Lpost_getpc19190)>>32
	s_setpc_b64 s[14:15]
.LBB2_19421:
	s_movk_i32 s4, 0x80
	v_cmp_eq_u16_sdwa s[12:13], v4, s4 src0_sel:BYTE_3 src1_sel:DWORD
	s_mov_b64 s[4:5], -1
                                        ; implicit-def: $sgpr10
	s_and_saveexec_b64 s[8:9], s[12:13]
; %bb.19422:
	s_mov_b32 s10, 0x7f800001
	s_xor_b64 s[4:5], exec, -1
; %bb.19423:
	s_or_b64 exec, exec, s[8:9]
	s_and_b64 s[4:5], s[4:5], exec
	s_or_saveexec_b64 s[6:7], s[6:7]
	v_mov_b32_e32 v3, s10
	s_xor_b64 exec, exec, s[6:7]
	s_cbranch_execnz .LBB2_19424
; %bb.55261:
	s_getpc_b64 s[14:15]
.Lpost_getpc31214:
	s_add_u32 s14, s14, (.LBB2_5086-.Lpost_getpc31214)&4294967295
	s_addc_u32 s15, s15, (.LBB2_5086-.Lpost_getpc31214)>>32
	s_setpc_b64 s[14:15]
.LBB2_19424:
	v_mov_b32_e32 v3, 0
	v_cmp_ne_u16_sdwa s[8:9], v4, v3 src0_sel:BYTE_3 src1_sel:DWORD
	s_andn2_b64 s[4:5], s[4:5], exec
	s_and_b64 s[8:9], s[8:9], exec
	s_or_b64 s[4:5], s[4:5], s[8:9]
	s_or_b64 exec, exec, s[6:7]
	s_and_saveexec_b64 s[6:7], s[4:5]
	s_cbranch_execz .LBB2_31215
; %bb.55263:
	s_getpc_b64 s[14:15]
.Lpost_getpc31215:
	s_add_u32 s14, s14, (.LBB2_5087-.Lpost_getpc31215)&4294967295
	s_addc_u32 s15, s15, (.LBB2_5087-.Lpost_getpc31215)>>32
	s_setpc_b64 s[14:15]
.LBB2_31215:
	s_getpc_b64 s[14:15]
.Lpost_getpc19191:
	s_add_u32 s14, s14, (.LBB2_5088-.Lpost_getpc19191)&4294967295
	s_addc_u32 s15, s15, (.LBB2_5088-.Lpost_getpc19191)>>32
	s_setpc_b64 s[14:15]
.LBB2_19425:
	s_movk_i32 s4, 0x80
	v_cmp_eq_u16_sdwa s[12:13], v9, s4 src0_sel:BYTE_0 src1_sel:DWORD
	s_mov_b64 s[4:5], -1
                                        ; implicit-def: $sgpr10
	s_and_saveexec_b64 s[8:9], s[12:13]
; %bb.19426:
	s_mov_b32 s10, 0x7f800001
	s_xor_b64 s[4:5], exec, -1
; %bb.19427:
	s_or_b64 exec, exec, s[8:9]
	s_and_b64 s[4:5], s[4:5], exec
	s_or_saveexec_b64 s[6:7], s[6:7]
	v_mov_b32_e32 v2, s10
	s_xor_b64 exec, exec, s[6:7]
	s_cbranch_execnz .LBB2_19428
; %bb.55265:
	s_getpc_b64 s[14:15]
.Lpost_getpc31216:
	s_add_u32 s14, s14, (.LBB2_5090-.Lpost_getpc31216)&4294967295
	s_addc_u32 s15, s15, (.LBB2_5090-.Lpost_getpc31216)>>32
	s_setpc_b64 s[14:15]
.LBB2_19428:
	v_mov_b32_e32 v2, 0
	v_cmp_ne_u16_sdwa s[8:9], v9, v2 src0_sel:BYTE_0 src1_sel:DWORD
	s_andn2_b64 s[4:5], s[4:5], exec
	s_and_b64 s[8:9], s[8:9], exec
	s_or_b64 s[4:5], s[4:5], s[8:9]
	s_or_b64 exec, exec, s[6:7]
	s_and_saveexec_b64 s[6:7], s[4:5]
	s_cbranch_execz .LBB2_31217
; %bb.55267:
	s_getpc_b64 s[14:15]
.Lpost_getpc31217:
	s_add_u32 s14, s14, (.LBB2_5091-.Lpost_getpc31217)&4294967295
	s_addc_u32 s15, s15, (.LBB2_5091-.Lpost_getpc31217)>>32
	s_setpc_b64 s[14:15]
.LBB2_31217:
	s_getpc_b64 s[14:15]
.Lpost_getpc19192:
	s_add_u32 s14, s14, (.LBB2_5092-.Lpost_getpc19192)&4294967295
	s_addc_u32 s15, s15, (.LBB2_5092-.Lpost_getpc19192)>>32
	s_setpc_b64 s[14:15]
.LBB2_19429:
	s_movk_i32 s4, 0x80
	v_cmp_eq_u16_sdwa s[12:13], v5, s4 src0_sel:BYTE_0 src1_sel:DWORD
	s_mov_b64 s[4:5], -1
                                        ; implicit-def: $sgpr10
	s_and_saveexec_b64 s[8:9], s[12:13]
; %bb.19430:
	s_mov_b32 s10, 0x7f800001
	s_xor_b64 s[4:5], exec, -1
; %bb.19431:
	s_or_b64 exec, exec, s[8:9]
	s_and_b64 s[4:5], s[4:5], exec
	s_or_saveexec_b64 s[6:7], s[6:7]
	v_mov_b32_e32 v3, s10
	s_xor_b64 exec, exec, s[6:7]
	s_cbranch_execnz .LBB2_19432
; %bb.55269:
	s_getpc_b64 s[14:15]
.Lpost_getpc31218:
	s_add_u32 s14, s14, (.LBB2_5094-.Lpost_getpc31218)&4294967295
	s_addc_u32 s15, s15, (.LBB2_5094-.Lpost_getpc31218)>>32
	s_setpc_b64 s[14:15]
.LBB2_19432:
	v_mov_b32_e32 v3, 0
	v_cmp_ne_u16_sdwa s[8:9], v5, v3 src0_sel:BYTE_0 src1_sel:DWORD
	s_andn2_b64 s[4:5], s[4:5], exec
	s_and_b64 s[8:9], s[8:9], exec
	s_or_b64 s[4:5], s[4:5], s[8:9]
	s_or_b64 exec, exec, s[6:7]
	s_and_saveexec_b64 s[6:7], s[4:5]
	s_cbranch_execz .LBB2_31219
; %bb.55271:
	s_getpc_b64 s[14:15]
.Lpost_getpc31219:
	s_add_u32 s14, s14, (.LBB2_5095-.Lpost_getpc31219)&4294967295
	s_addc_u32 s15, s15, (.LBB2_5095-.Lpost_getpc31219)>>32
	s_setpc_b64 s[14:15]
.LBB2_31219:
	s_getpc_b64 s[14:15]
.Lpost_getpc19193:
	s_add_u32 s14, s14, (.LBB2_5096-.Lpost_getpc19193)&4294967295
	s_addc_u32 s15, s15, (.LBB2_5096-.Lpost_getpc19193)>>32
	s_setpc_b64 s[14:15]
.LBB2_19433:
	s_movk_i32 s4, 0x80
	v_cmp_eq_u16_sdwa s[12:13], v3, s4 src0_sel:BYTE_0 src1_sel:DWORD
	s_mov_b64 s[4:5], -1
                                        ; implicit-def: $sgpr10
	s_and_saveexec_b64 s[8:9], s[12:13]
; %bb.19434:
	s_mov_b32 s10, 0x7f800001
	s_xor_b64 s[4:5], exec, -1
; %bb.19435:
	s_or_b64 exec, exec, s[8:9]
	s_and_b64 s[4:5], s[4:5], exec
	s_or_saveexec_b64 s[6:7], s[6:7]
	v_mov_b32_e32 v2, s10
	s_xor_b64 exec, exec, s[6:7]
	s_cbranch_execnz .LBB2_19436
; %bb.55273:
	s_getpc_b64 s[14:15]
.Lpost_getpc31220:
	s_add_u32 s14, s14, (.LBB2_5098-.Lpost_getpc31220)&4294967295
	s_addc_u32 s15, s15, (.LBB2_5098-.Lpost_getpc31220)>>32
	s_setpc_b64 s[14:15]
.LBB2_19436:
	v_mov_b32_e32 v2, 0
	v_cmp_ne_u16_sdwa s[8:9], v3, v2 src0_sel:BYTE_0 src1_sel:DWORD
	s_andn2_b64 s[4:5], s[4:5], exec
	s_and_b64 s[8:9], s[8:9], exec
	s_or_b64 s[4:5], s[4:5], s[8:9]
	s_or_b64 exec, exec, s[6:7]
	s_and_saveexec_b64 s[6:7], s[4:5]
	s_cbranch_execz .LBB2_31221
; %bb.55275:
	s_getpc_b64 s[14:15]
.Lpost_getpc31221:
	s_add_u32 s14, s14, (.LBB2_5099-.Lpost_getpc31221)&4294967295
	s_addc_u32 s15, s15, (.LBB2_5099-.Lpost_getpc31221)>>32
	s_setpc_b64 s[14:15]
.LBB2_31221:
	s_getpc_b64 s[14:15]
.Lpost_getpc19194:
	s_add_u32 s14, s14, (.LBB2_5100-.Lpost_getpc19194)&4294967295
	s_addc_u32 s15, s15, (.LBB2_5100-.Lpost_getpc19194)>>32
	s_setpc_b64 s[14:15]
.LBB2_19437:
	s_movk_i32 s4, 0x80
	v_cmp_eq_u16_sdwa s[12:13], v3, s4 src0_sel:BYTE_0 src1_sel:DWORD
	s_mov_b64 s[4:5], -1
                                        ; implicit-def: $sgpr10
	s_and_saveexec_b64 s[8:9], s[12:13]
; %bb.19438:
	s_mov_b32 s10, 0x7f800001
	s_xor_b64 s[4:5], exec, -1
; %bb.19439:
	s_or_b64 exec, exec, s[8:9]
	s_and_b64 s[4:5], s[4:5], exec
	s_or_saveexec_b64 s[6:7], s[6:7]
	v_mov_b32_e32 v4, s10
	s_xor_b64 exec, exec, s[6:7]
	s_cbranch_execnz .LBB2_19440
; %bb.55277:
	s_getpc_b64 s[14:15]
.Lpost_getpc31222:
	s_add_u32 s14, s14, (.LBB2_5102-.Lpost_getpc31222)&4294967295
	s_addc_u32 s15, s15, (.LBB2_5102-.Lpost_getpc31222)>>32
	s_setpc_b64 s[14:15]
.LBB2_19440:
	v_mov_b32_e32 v4, 0
	v_cmp_ne_u16_sdwa s[8:9], v3, v4 src0_sel:BYTE_0 src1_sel:DWORD
	s_andn2_b64 s[4:5], s[4:5], exec
	s_and_b64 s[8:9], s[8:9], exec
	s_or_b64 s[4:5], s[4:5], s[8:9]
	s_or_b64 exec, exec, s[6:7]
	s_and_saveexec_b64 s[6:7], s[4:5]
	s_cbranch_execz .LBB2_31223
; %bb.55279:
	s_getpc_b64 s[14:15]
.Lpost_getpc31223:
	s_add_u32 s14, s14, (.LBB2_5103-.Lpost_getpc31223)&4294967295
	s_addc_u32 s15, s15, (.LBB2_5103-.Lpost_getpc31223)>>32
	s_setpc_b64 s[14:15]
.LBB2_31223:
	s_getpc_b64 s[14:15]
.Lpost_getpc19195:
	s_add_u32 s14, s14, (.LBB2_5104-.Lpost_getpc19195)&4294967295
	s_addc_u32 s15, s15, (.LBB2_5104-.Lpost_getpc19195)>>32
	s_setpc_b64 s[14:15]
.LBB2_19441:
	s_movk_i32 s4, 0x80
	v_cmp_eq_u16_e32 vcc, s4, v3
	s_mov_b64 s[4:5], -1
                                        ; implicit-def: $sgpr10
	s_and_saveexec_b64 s[8:9], vcc
; %bb.19442:
	s_mov_b32 s10, 0x7f800001
	s_xor_b64 s[4:5], exec, -1
; %bb.19443:
	s_or_b64 exec, exec, s[8:9]
	s_and_b64 s[4:5], s[4:5], exec
                                        ; implicit-def: $vgpr3
	s_or_saveexec_b64 s[6:7], s[6:7]
	v_mov_b32_e32 v2, s10
	s_xor_b64 exec, exec, s[6:7]
	s_cbranch_execnz .LBB2_19444
; %bb.55281:
	s_getpc_b64 s[14:15]
.Lpost_getpc31224:
	s_add_u32 s14, s14, (.LBB2_5106-.Lpost_getpc31224)&4294967295
	s_addc_u32 s15, s15, (.LBB2_5106-.Lpost_getpc31224)>>32
	s_setpc_b64 s[14:15]
.LBB2_19444:
	v_cmp_ne_u16_e32 vcc, 0, v3
	s_andn2_b64 s[4:5], s[4:5], exec
	s_and_b64 s[8:9], vcc, exec
	v_mov_b32_e32 v2, 0
	s_or_b64 s[4:5], s[4:5], s[8:9]
	s_or_b64 exec, exec, s[6:7]
	s_and_saveexec_b64 s[6:7], s[4:5]
	s_cbranch_execz .LBB2_31225
; %bb.55283:
	s_getpc_b64 s[14:15]
.Lpost_getpc31225:
	s_add_u32 s14, s14, (.LBB2_5107-.Lpost_getpc31225)&4294967295
	s_addc_u32 s15, s15, (.LBB2_5107-.Lpost_getpc31225)>>32
	s_setpc_b64 s[14:15]
.LBB2_31225:
	s_getpc_b64 s[14:15]
.Lpost_getpc19196:
	s_add_u32 s14, s14, (.LBB2_5108-.Lpost_getpc19196)&4294967295
	s_addc_u32 s15, s15, (.LBB2_5108-.Lpost_getpc19196)>>32
	s_setpc_b64 s[14:15]
.LBB2_19445:
	s_movk_i32 s4, 0x80
	v_cmp_eq_u16_e32 vcc, s4, v3
	s_mov_b64 s[4:5], -1
                                        ; implicit-def: $sgpr10
	s_and_saveexec_b64 s[8:9], vcc
; %bb.19446:
	s_mov_b32 s10, 0x7f800001
	s_xor_b64 s[4:5], exec, -1
; %bb.19447:
	s_or_b64 exec, exec, s[8:9]
	s_and_b64 s[4:5], s[4:5], exec
                                        ; implicit-def: $vgpr3
	s_or_saveexec_b64 s[6:7], s[6:7]
	v_mov_b32_e32 v4, s10
	s_xor_b64 exec, exec, s[6:7]
	s_cbranch_execnz .LBB2_19448
; %bb.55285:
	s_getpc_b64 s[14:15]
.Lpost_getpc31226:
	s_add_u32 s14, s14, (.LBB2_5110-.Lpost_getpc31226)&4294967295
	s_addc_u32 s15, s15, (.LBB2_5110-.Lpost_getpc31226)>>32
	s_setpc_b64 s[14:15]
.LBB2_19448:
	v_cmp_ne_u16_e32 vcc, 0, v3
	s_andn2_b64 s[4:5], s[4:5], exec
	s_and_b64 s[8:9], vcc, exec
	v_mov_b32_e32 v4, 0
	s_or_b64 s[4:5], s[4:5], s[8:9]
	s_or_b64 exec, exec, s[6:7]
	s_and_saveexec_b64 s[6:7], s[4:5]
	s_cbranch_execz .LBB2_31227
; %bb.55287:
	s_getpc_b64 s[14:15]
.Lpost_getpc31227:
	s_add_u32 s14, s14, (.LBB2_5111-.Lpost_getpc31227)&4294967295
	s_addc_u32 s15, s15, (.LBB2_5111-.Lpost_getpc31227)>>32
	s_setpc_b64 s[14:15]
.LBB2_31227:
	s_getpc_b64 s[14:15]
.Lpost_getpc19197:
	s_add_u32 s14, s14, (.LBB2_5112-.Lpost_getpc19197)&4294967295
	s_addc_u32 s15, s15, (.LBB2_5112-.Lpost_getpc19197)>>32
	s_setpc_b64 s[14:15]
.LBB2_19449:
	s_movk_i32 s4, 0x80
	v_cmp_eq_u16_sdwa s[12:13], v9, s4 src0_sel:BYTE_3 src1_sel:DWORD
	s_mov_b64 s[4:5], -1
                                        ; implicit-def: $sgpr10
	s_and_saveexec_b64 s[8:9], s[12:13]
; %bb.19450:
	s_mov_b32 s10, 0x7f800001
	s_xor_b64 s[4:5], exec, -1
; %bb.19451:
	s_or_b64 exec, exec, s[8:9]
	s_and_b64 s[4:5], s[4:5], exec
	s_or_saveexec_b64 s[6:7], s[6:7]
	v_mov_b32_e32 v2, s10
	s_xor_b64 exec, exec, s[6:7]
	s_cbranch_execnz .LBB2_19452
; %bb.55289:
	s_getpc_b64 s[14:15]
.Lpost_getpc31228:
	s_add_u32 s14, s14, (.LBB2_5114-.Lpost_getpc31228)&4294967295
	s_addc_u32 s15, s15, (.LBB2_5114-.Lpost_getpc31228)>>32
	s_setpc_b64 s[14:15]
.LBB2_19452:
	v_mov_b32_e32 v2, 0
	v_cmp_ne_u16_sdwa s[8:9], v9, v2 src0_sel:BYTE_3 src1_sel:DWORD
	s_andn2_b64 s[4:5], s[4:5], exec
	s_and_b64 s[8:9], s[8:9], exec
	s_or_b64 s[4:5], s[4:5], s[8:9]
	s_or_b64 exec, exec, s[6:7]
	s_and_saveexec_b64 s[6:7], s[4:5]
	s_cbranch_execz .LBB2_31229
; %bb.55291:
	s_getpc_b64 s[14:15]
.Lpost_getpc31229:
	s_add_u32 s14, s14, (.LBB2_5115-.Lpost_getpc31229)&4294967295
	s_addc_u32 s15, s15, (.LBB2_5115-.Lpost_getpc31229)>>32
	s_setpc_b64 s[14:15]
.LBB2_31229:
	s_getpc_b64 s[14:15]
.Lpost_getpc19198:
	s_add_u32 s14, s14, (.LBB2_5116-.Lpost_getpc19198)&4294967295
	s_addc_u32 s15, s15, (.LBB2_5116-.Lpost_getpc19198)>>32
	s_setpc_b64 s[14:15]
.LBB2_19453:
	s_movk_i32 s4, 0x80
	v_cmp_eq_u16_sdwa s[12:13], v5, s4 src0_sel:BYTE_3 src1_sel:DWORD
	s_mov_b64 s[4:5], -1
                                        ; implicit-def: $sgpr10
	s_and_saveexec_b64 s[8:9], s[12:13]
; %bb.19454:
	s_mov_b32 s10, 0x7f800001
	s_xor_b64 s[4:5], exec, -1
; %bb.19455:
	s_or_b64 exec, exec, s[8:9]
	s_and_b64 s[4:5], s[4:5], exec
	s_or_saveexec_b64 s[6:7], s[6:7]
	v_mov_b32_e32 v3, s10
	s_xor_b64 exec, exec, s[6:7]
	s_cbranch_execnz .LBB2_19456
; %bb.55293:
	s_getpc_b64 s[14:15]
.Lpost_getpc31230:
	s_add_u32 s14, s14, (.LBB2_5118-.Lpost_getpc31230)&4294967295
	s_addc_u32 s15, s15, (.LBB2_5118-.Lpost_getpc31230)>>32
	s_setpc_b64 s[14:15]
.LBB2_19456:
	v_mov_b32_e32 v3, 0
	v_cmp_ne_u16_sdwa s[8:9], v5, v3 src0_sel:BYTE_3 src1_sel:DWORD
	s_andn2_b64 s[4:5], s[4:5], exec
	s_and_b64 s[8:9], s[8:9], exec
	s_or_b64 s[4:5], s[4:5], s[8:9]
	s_or_b64 exec, exec, s[6:7]
	s_and_saveexec_b64 s[6:7], s[4:5]
	s_cbranch_execz .LBB2_31231
; %bb.55295:
	s_getpc_b64 s[14:15]
.Lpost_getpc31231:
	s_add_u32 s14, s14, (.LBB2_5119-.Lpost_getpc31231)&4294967295
	s_addc_u32 s15, s15, (.LBB2_5119-.Lpost_getpc31231)>>32
	s_setpc_b64 s[14:15]
.LBB2_31231:
	s_getpc_b64 s[14:15]
.Lpost_getpc19199:
	s_add_u32 s14, s14, (.LBB2_5120-.Lpost_getpc19199)&4294967295
	s_addc_u32 s15, s15, (.LBB2_5120-.Lpost_getpc19199)>>32
	s_setpc_b64 s[14:15]
.LBB2_19457:
	s_movk_i32 s4, 0x80
	v_cmp_eq_u16_sdwa s[12:13], v6, s4 src0_sel:BYTE_0 src1_sel:DWORD
	s_mov_b64 s[4:5], -1
                                        ; implicit-def: $sgpr10
	s_and_saveexec_b64 s[8:9], s[12:13]
; %bb.19458:
	s_mov_b32 s10, 0x7f800001
	s_xor_b64 s[4:5], exec, -1
; %bb.19459:
	s_or_b64 exec, exec, s[8:9]
	s_and_b64 s[4:5], s[4:5], exec
	s_or_saveexec_b64 s[6:7], s[6:7]
	v_mov_b32_e32 v12, s10
	s_xor_b64 exec, exec, s[6:7]
	s_cbranch_execnz .LBB2_19460
; %bb.55297:
	s_getpc_b64 s[14:15]
.Lpost_getpc31232:
	s_add_u32 s14, s14, (.LBB2_5122-.Lpost_getpc31232)&4294967295
	s_addc_u32 s15, s15, (.LBB2_5122-.Lpost_getpc31232)>>32
	s_setpc_b64 s[14:15]
.LBB2_19460:
	v_mov_b32_e32 v12, 0
	v_cmp_ne_u16_sdwa s[8:9], v6, v12 src0_sel:BYTE_0 src1_sel:DWORD
	s_andn2_b64 s[4:5], s[4:5], exec
	s_and_b64 s[8:9], s[8:9], exec
	s_or_b64 s[4:5], s[4:5], s[8:9]
	s_or_b64 exec, exec, s[6:7]
	s_and_saveexec_b64 s[6:7], s[4:5]
	s_cbranch_execz .LBB2_31233
; %bb.55299:
	s_getpc_b64 s[14:15]
.Lpost_getpc31233:
	s_add_u32 s14, s14, (.LBB2_5123-.Lpost_getpc31233)&4294967295
	s_addc_u32 s15, s15, (.LBB2_5123-.Lpost_getpc31233)>>32
	s_setpc_b64 s[14:15]
.LBB2_31233:
	s_getpc_b64 s[14:15]
.Lpost_getpc19200:
	s_add_u32 s14, s14, (.LBB2_5124-.Lpost_getpc19200)&4294967295
	s_addc_u32 s15, s15, (.LBB2_5124-.Lpost_getpc19200)>>32
	s_setpc_b64 s[14:15]
.LBB2_19461:
	s_movk_i32 s4, 0x80
	v_cmp_eq_u16_sdwa s[12:13], v2, s4 src0_sel:BYTE_0 src1_sel:DWORD
	s_mov_b64 s[4:5], -1
                                        ; implicit-def: $sgpr10
	s_and_saveexec_b64 s[8:9], s[12:13]
; %bb.19462:
	s_mov_b32 s10, 0x7f800001
	s_xor_b64 s[4:5], exec, -1
; %bb.19463:
	s_or_b64 exec, exec, s[8:9]
	s_and_b64 s[4:5], s[4:5], exec
	s_or_saveexec_b64 s[6:7], s[6:7]
	v_mov_b32_e32 v13, s10
	s_xor_b64 exec, exec, s[6:7]
	s_cbranch_execnz .LBB2_19464
; %bb.55301:
	s_getpc_b64 s[14:15]
.Lpost_getpc31234:
	s_add_u32 s14, s14, (.LBB2_5126-.Lpost_getpc31234)&4294967295
	s_addc_u32 s15, s15, (.LBB2_5126-.Lpost_getpc31234)>>32
	s_setpc_b64 s[14:15]
.LBB2_19464:
	v_mov_b32_e32 v13, 0
	v_cmp_ne_u16_sdwa s[8:9], v2, v13 src0_sel:BYTE_0 src1_sel:DWORD
	s_andn2_b64 s[4:5], s[4:5], exec
	s_and_b64 s[8:9], s[8:9], exec
	s_or_b64 s[4:5], s[4:5], s[8:9]
	s_or_b64 exec, exec, s[6:7]
	s_and_saveexec_b64 s[6:7], s[4:5]
	s_cbranch_execz .LBB2_31235
; %bb.55303:
	s_getpc_b64 s[14:15]
.Lpost_getpc31235:
	s_add_u32 s14, s14, (.LBB2_5127-.Lpost_getpc31235)&4294967295
	s_addc_u32 s15, s15, (.LBB2_5127-.Lpost_getpc31235)>>32
	s_setpc_b64 s[14:15]
.LBB2_31235:
	s_getpc_b64 s[14:15]
.Lpost_getpc19201:
	s_add_u32 s14, s14, (.LBB2_5128-.Lpost_getpc19201)&4294967295
	s_addc_u32 s15, s15, (.LBB2_5128-.Lpost_getpc19201)>>32
	s_setpc_b64 s[14:15]
.LBB2_19465:
	s_movk_i32 s4, 0x80
	v_cmp_eq_u16_sdwa s[12:13], v13, s4 src0_sel:BYTE_0 src1_sel:DWORD
	s_mov_b64 s[4:5], -1
                                        ; implicit-def: $sgpr10
	s_and_saveexec_b64 s[8:9], s[12:13]
; %bb.19466:
	s_mov_b32 s10, 0x7f800001
	s_xor_b64 s[4:5], exec, -1
; %bb.19467:
	s_or_b64 exec, exec, s[8:9]
	s_and_b64 s[4:5], s[4:5], exec
	s_or_saveexec_b64 s[6:7], s[6:7]
	v_mov_b32_e32 v12, s10
	s_xor_b64 exec, exec, s[6:7]
	s_cbranch_execnz .LBB2_19468
; %bb.55305:
	s_getpc_b64 s[14:15]
.Lpost_getpc31236:
	s_add_u32 s14, s14, (.LBB2_5130-.Lpost_getpc31236)&4294967295
	s_addc_u32 s15, s15, (.LBB2_5130-.Lpost_getpc31236)>>32
	s_setpc_b64 s[14:15]
.LBB2_19468:
	v_mov_b32_e32 v12, 0
	v_cmp_ne_u16_sdwa s[8:9], v13, v12 src0_sel:BYTE_0 src1_sel:DWORD
	s_andn2_b64 s[4:5], s[4:5], exec
	s_and_b64 s[8:9], s[8:9], exec
	s_or_b64 s[4:5], s[4:5], s[8:9]
	s_or_b64 exec, exec, s[6:7]
	s_and_saveexec_b64 s[6:7], s[4:5]
	s_cbranch_execz .LBB2_31237
; %bb.55307:
	s_getpc_b64 s[14:15]
.Lpost_getpc31237:
	s_add_u32 s14, s14, (.LBB2_5131-.Lpost_getpc31237)&4294967295
	s_addc_u32 s15, s15, (.LBB2_5131-.Lpost_getpc31237)>>32
	s_setpc_b64 s[14:15]
.LBB2_31237:
	s_getpc_b64 s[14:15]
.Lpost_getpc19202:
	s_add_u32 s14, s14, (.LBB2_5132-.Lpost_getpc19202)&4294967295
	s_addc_u32 s15, s15, (.LBB2_5132-.Lpost_getpc19202)>>32
	s_setpc_b64 s[14:15]
.LBB2_19469:
	s_movk_i32 s4, 0x80
	v_cmp_eq_u16_sdwa s[12:13], v13, s4 src0_sel:BYTE_0 src1_sel:DWORD
	s_mov_b64 s[4:5], -1
                                        ; implicit-def: $sgpr10
	s_and_saveexec_b64 s[8:9], s[12:13]
; %bb.19470:
	s_mov_b32 s10, 0x7f800001
	s_xor_b64 s[4:5], exec, -1
; %bb.19471:
	s_or_b64 exec, exec, s[8:9]
	s_and_b64 s[4:5], s[4:5], exec
	s_or_saveexec_b64 s[6:7], s[6:7]
	v_mov_b32_e32 v14, s10
	s_xor_b64 exec, exec, s[6:7]
	s_cbranch_execnz .LBB2_19472
; %bb.55309:
	s_getpc_b64 s[14:15]
.Lpost_getpc31238:
	s_add_u32 s14, s14, (.LBB2_5134-.Lpost_getpc31238)&4294967295
	s_addc_u32 s15, s15, (.LBB2_5134-.Lpost_getpc31238)>>32
	s_setpc_b64 s[14:15]
.LBB2_19472:
	v_mov_b32_e32 v14, 0
	v_cmp_ne_u16_sdwa s[8:9], v13, v14 src0_sel:BYTE_0 src1_sel:DWORD
	s_andn2_b64 s[4:5], s[4:5], exec
	s_and_b64 s[8:9], s[8:9], exec
	s_or_b64 s[4:5], s[4:5], s[8:9]
	s_or_b64 exec, exec, s[6:7]
	s_and_saveexec_b64 s[6:7], s[4:5]
	s_cbranch_execz .LBB2_31239
; %bb.55311:
	s_getpc_b64 s[14:15]
.Lpost_getpc31239:
	s_add_u32 s14, s14, (.LBB2_5135-.Lpost_getpc31239)&4294967295
	s_addc_u32 s15, s15, (.LBB2_5135-.Lpost_getpc31239)>>32
	s_setpc_b64 s[14:15]
.LBB2_31239:
	s_getpc_b64 s[14:15]
.Lpost_getpc19203:
	s_add_u32 s14, s14, (.LBB2_5136-.Lpost_getpc19203)&4294967295
	s_addc_u32 s15, s15, (.LBB2_5136-.Lpost_getpc19203)>>32
	s_setpc_b64 s[14:15]
.LBB2_19473:
	s_movk_i32 s4, 0x80
	v_cmp_eq_u16_e32 vcc, s4, v13
	s_mov_b64 s[4:5], -1
                                        ; implicit-def: $sgpr10
	s_and_saveexec_b64 s[8:9], vcc
; %bb.19474:
	s_mov_b32 s10, 0x7f800001
	s_xor_b64 s[4:5], exec, -1
; %bb.19475:
	s_or_b64 exec, exec, s[8:9]
	s_and_b64 s[4:5], s[4:5], exec
                                        ; implicit-def: $vgpr13
	s_or_saveexec_b64 s[6:7], s[6:7]
	v_mov_b32_e32 v12, s10
	s_xor_b64 exec, exec, s[6:7]
	s_cbranch_execnz .LBB2_19476
; %bb.55313:
	s_getpc_b64 s[14:15]
.Lpost_getpc31240:
	s_add_u32 s14, s14, (.LBB2_5138-.Lpost_getpc31240)&4294967295
	s_addc_u32 s15, s15, (.LBB2_5138-.Lpost_getpc31240)>>32
	s_setpc_b64 s[14:15]
.LBB2_19476:
	v_cmp_ne_u16_e32 vcc, 0, v13
	s_andn2_b64 s[4:5], s[4:5], exec
	s_and_b64 s[8:9], vcc, exec
	v_mov_b32_e32 v12, 0
	s_or_b64 s[4:5], s[4:5], s[8:9]
	s_or_b64 exec, exec, s[6:7]
	s_and_saveexec_b64 s[6:7], s[4:5]
	s_cbranch_execz .LBB2_31241
; %bb.55315:
	s_getpc_b64 s[14:15]
.Lpost_getpc31241:
	s_add_u32 s14, s14, (.LBB2_5139-.Lpost_getpc31241)&4294967295
	s_addc_u32 s15, s15, (.LBB2_5139-.Lpost_getpc31241)>>32
	s_setpc_b64 s[14:15]
.LBB2_31241:
	s_getpc_b64 s[14:15]
.Lpost_getpc19204:
	s_add_u32 s14, s14, (.LBB2_5140-.Lpost_getpc19204)&4294967295
	s_addc_u32 s15, s15, (.LBB2_5140-.Lpost_getpc19204)>>32
	s_setpc_b64 s[14:15]
.LBB2_19477:
	s_movk_i32 s4, 0x80
	v_cmp_eq_u16_e32 vcc, s4, v13
	s_mov_b64 s[4:5], -1
                                        ; implicit-def: $sgpr10
	s_and_saveexec_b64 s[8:9], vcc
; %bb.19478:
	s_mov_b32 s10, 0x7f800001
	s_xor_b64 s[4:5], exec, -1
; %bb.19479:
	s_or_b64 exec, exec, s[8:9]
	s_and_b64 s[4:5], s[4:5], exec
                                        ; implicit-def: $vgpr13
	s_or_saveexec_b64 s[6:7], s[6:7]
	v_mov_b32_e32 v14, s10
	s_xor_b64 exec, exec, s[6:7]
	s_cbranch_execnz .LBB2_19480
; %bb.55317:
	s_getpc_b64 s[14:15]
.Lpost_getpc31242:
	s_add_u32 s14, s14, (.LBB2_5142-.Lpost_getpc31242)&4294967295
	s_addc_u32 s15, s15, (.LBB2_5142-.Lpost_getpc31242)>>32
	s_setpc_b64 s[14:15]
.LBB2_19480:
	v_cmp_ne_u16_e32 vcc, 0, v13
	s_andn2_b64 s[4:5], s[4:5], exec
	s_and_b64 s[8:9], vcc, exec
	v_mov_b32_e32 v14, 0
	s_or_b64 s[4:5], s[4:5], s[8:9]
	s_or_b64 exec, exec, s[6:7]
	s_and_saveexec_b64 s[6:7], s[4:5]
	s_cbranch_execz .LBB2_31243
; %bb.55319:
	s_getpc_b64 s[14:15]
.Lpost_getpc31243:
	s_add_u32 s14, s14, (.LBB2_5143-.Lpost_getpc31243)&4294967295
	s_addc_u32 s15, s15, (.LBB2_5143-.Lpost_getpc31243)>>32
	s_setpc_b64 s[14:15]
.LBB2_31243:
	s_getpc_b64 s[14:15]
.Lpost_getpc19205:
	s_add_u32 s14, s14, (.LBB2_5144-.Lpost_getpc19205)&4294967295
	s_addc_u32 s15, s15, (.LBB2_5144-.Lpost_getpc19205)>>32
	s_setpc_b64 s[14:15]
.LBB2_19481:
	s_movk_i32 s4, 0x80
	v_cmp_eq_u16_sdwa s[12:13], v6, s4 src0_sel:BYTE_3 src1_sel:DWORD
	s_mov_b64 s[4:5], -1
                                        ; implicit-def: $sgpr10
	s_and_saveexec_b64 s[8:9], s[12:13]
; %bb.19482:
	s_mov_b32 s10, 0x7f800001
	s_xor_b64 s[4:5], exec, -1
; %bb.19483:
	s_or_b64 exec, exec, s[8:9]
	s_and_b64 s[4:5], s[4:5], exec
	s_or_saveexec_b64 s[6:7], s[6:7]
	v_mov_b32_e32 v12, s10
	s_xor_b64 exec, exec, s[6:7]
	s_cbranch_execnz .LBB2_19484
; %bb.55321:
	s_getpc_b64 s[14:15]
.Lpost_getpc31244:
	s_add_u32 s14, s14, (.LBB2_5146-.Lpost_getpc31244)&4294967295
	s_addc_u32 s15, s15, (.LBB2_5146-.Lpost_getpc31244)>>32
	s_setpc_b64 s[14:15]
.LBB2_19484:
	v_mov_b32_e32 v12, 0
	v_cmp_ne_u16_sdwa s[8:9], v6, v12 src0_sel:BYTE_3 src1_sel:DWORD
	s_andn2_b64 s[4:5], s[4:5], exec
	s_and_b64 s[8:9], s[8:9], exec
	s_or_b64 s[4:5], s[4:5], s[8:9]
	s_or_b64 exec, exec, s[6:7]
	s_and_saveexec_b64 s[6:7], s[4:5]
	s_cbranch_execz .LBB2_31245
; %bb.55323:
	s_getpc_b64 s[14:15]
.Lpost_getpc31245:
	s_add_u32 s14, s14, (.LBB2_5147-.Lpost_getpc31245)&4294967295
	s_addc_u32 s15, s15, (.LBB2_5147-.Lpost_getpc31245)>>32
	s_setpc_b64 s[14:15]
.LBB2_31245:
	s_getpc_b64 s[14:15]
.Lpost_getpc19206:
	s_add_u32 s14, s14, (.LBB2_5148-.Lpost_getpc19206)&4294967295
	s_addc_u32 s15, s15, (.LBB2_5148-.Lpost_getpc19206)>>32
	s_setpc_b64 s[14:15]
.LBB2_19485:
	s_movk_i32 s4, 0x80
	v_cmp_eq_u16_sdwa s[12:13], v2, s4 src0_sel:BYTE_3 src1_sel:DWORD
	s_mov_b64 s[4:5], -1
                                        ; implicit-def: $sgpr10
	s_and_saveexec_b64 s[8:9], s[12:13]
; %bb.19486:
	s_mov_b32 s10, 0x7f800001
	s_xor_b64 s[4:5], exec, -1
; %bb.19487:
	s_or_b64 exec, exec, s[8:9]
	s_and_b64 s[4:5], s[4:5], exec
	s_or_saveexec_b64 s[6:7], s[6:7]
	v_mov_b32_e32 v6, s10
	s_xor_b64 exec, exec, s[6:7]
	s_cbranch_execnz .LBB2_19488
; %bb.55325:
	s_getpc_b64 s[14:15]
.Lpost_getpc31246:
	s_add_u32 s14, s14, (.LBB2_5150-.Lpost_getpc31246)&4294967295
	s_addc_u32 s15, s15, (.LBB2_5150-.Lpost_getpc31246)>>32
	s_setpc_b64 s[14:15]
.LBB2_19488:
	v_mov_b32_e32 v6, 0
	v_cmp_ne_u16_sdwa s[8:9], v2, v6 src0_sel:BYTE_3 src1_sel:DWORD
	s_andn2_b64 s[4:5], s[4:5], exec
	s_and_b64 s[8:9], s[8:9], exec
	s_or_b64 s[4:5], s[4:5], s[8:9]
	s_or_b64 exec, exec, s[6:7]
	s_and_saveexec_b64 s[6:7], s[4:5]
	s_cbranch_execz .LBB2_31247
; %bb.55327:
	s_getpc_b64 s[14:15]
.Lpost_getpc31247:
	s_add_u32 s14, s14, (.LBB2_5151-.Lpost_getpc31247)&4294967295
	s_addc_u32 s15, s15, (.LBB2_5151-.Lpost_getpc31247)>>32
	s_setpc_b64 s[14:15]
.LBB2_31247:
	s_getpc_b64 s[14:15]
.Lpost_getpc19207:
	s_add_u32 s14, s14, (.LBB2_5152-.Lpost_getpc19207)&4294967295
	s_addc_u32 s15, s15, (.LBB2_5152-.Lpost_getpc19207)>>32
	s_setpc_b64 s[14:15]
.LBB2_19489:
	s_movk_i32 s4, 0x80
	v_cmp_eq_u16_sdwa s[12:13], v7, s4 src0_sel:BYTE_0 src1_sel:DWORD
	s_mov_b64 s[4:5], -1
                                        ; implicit-def: $sgpr10
	s_and_saveexec_b64 s[8:9], s[12:13]
; %bb.19490:
	s_mov_b32 s10, 0x7f800001
	s_xor_b64 s[4:5], exec, -1
; %bb.19491:
	s_or_b64 exec, exec, s[8:9]
	s_and_b64 s[4:5], s[4:5], exec
	s_or_saveexec_b64 s[6:7], s[6:7]
	v_mov_b32_e32 v2, s10
	s_xor_b64 exec, exec, s[6:7]
	s_cbranch_execnz .LBB2_19492
; %bb.55329:
	s_getpc_b64 s[14:15]
.Lpost_getpc31248:
	s_add_u32 s14, s14, (.LBB2_5154-.Lpost_getpc31248)&4294967295
	s_addc_u32 s15, s15, (.LBB2_5154-.Lpost_getpc31248)>>32
	s_setpc_b64 s[14:15]
.LBB2_19492:
	v_mov_b32_e32 v2, 0
	v_cmp_ne_u16_sdwa s[8:9], v7, v2 src0_sel:BYTE_0 src1_sel:DWORD
	s_andn2_b64 s[4:5], s[4:5], exec
	s_and_b64 s[8:9], s[8:9], exec
	s_or_b64 s[4:5], s[4:5], s[8:9]
	s_or_b64 exec, exec, s[6:7]
	s_and_saveexec_b64 s[6:7], s[4:5]
	s_cbranch_execz .LBB2_31249
; %bb.55331:
	s_getpc_b64 s[14:15]
.Lpost_getpc31249:
	s_add_u32 s14, s14, (.LBB2_5155-.Lpost_getpc31249)&4294967295
	s_addc_u32 s15, s15, (.LBB2_5155-.Lpost_getpc31249)>>32
	s_setpc_b64 s[14:15]
.LBB2_31249:
	s_getpc_b64 s[14:15]
.Lpost_getpc19208:
	s_add_u32 s14, s14, (.LBB2_5156-.Lpost_getpc19208)&4294967295
	s_addc_u32 s15, s15, (.LBB2_5156-.Lpost_getpc19208)>>32
	s_setpc_b64 s[14:15]
.LBB2_19493:
	s_movk_i32 s4, 0x80
	v_cmp_eq_u16_sdwa s[12:13], v3, s4 src0_sel:BYTE_0 src1_sel:DWORD
	s_mov_b64 s[4:5], -1
                                        ; implicit-def: $sgpr10
	s_and_saveexec_b64 s[8:9], s[12:13]
; %bb.19494:
	s_mov_b32 s10, 0x7f800001
	s_xor_b64 s[4:5], exec, -1
; %bb.19495:
	s_or_b64 exec, exec, s[8:9]
	s_and_b64 s[4:5], s[4:5], exec
	s_or_saveexec_b64 s[6:7], s[6:7]
	v_mov_b32_e32 v6, s10
	s_xor_b64 exec, exec, s[6:7]
	s_cbranch_execnz .LBB2_19496
; %bb.55333:
	s_getpc_b64 s[14:15]
.Lpost_getpc31250:
	s_add_u32 s14, s14, (.LBB2_5158-.Lpost_getpc31250)&4294967295
	s_addc_u32 s15, s15, (.LBB2_5158-.Lpost_getpc31250)>>32
	s_setpc_b64 s[14:15]
.LBB2_19496:
	v_mov_b32_e32 v6, 0
	v_cmp_ne_u16_sdwa s[8:9], v3, v6 src0_sel:BYTE_0 src1_sel:DWORD
	s_andn2_b64 s[4:5], s[4:5], exec
	s_and_b64 s[8:9], s[8:9], exec
	s_or_b64 s[4:5], s[4:5], s[8:9]
	s_or_b64 exec, exec, s[6:7]
	s_and_saveexec_b64 s[6:7], s[4:5]
	s_cbranch_execz .LBB2_31251
; %bb.55335:
	s_getpc_b64 s[14:15]
.Lpost_getpc31251:
	s_add_u32 s14, s14, (.LBB2_5159-.Lpost_getpc31251)&4294967295
	s_addc_u32 s15, s15, (.LBB2_5159-.Lpost_getpc31251)>>32
	s_setpc_b64 s[14:15]
.LBB2_31251:
	s_getpc_b64 s[14:15]
.Lpost_getpc19209:
	s_add_u32 s14, s14, (.LBB2_5160-.Lpost_getpc19209)&4294967295
	s_addc_u32 s15, s15, (.LBB2_5160-.Lpost_getpc19209)>>32
	s_setpc_b64 s[14:15]
.LBB2_19497:
	s_movk_i32 s4, 0x80
	v_cmp_eq_u16_sdwa s[12:13], v6, s4 src0_sel:BYTE_0 src1_sel:DWORD
	s_mov_b64 s[4:5], -1
                                        ; implicit-def: $sgpr10
	s_and_saveexec_b64 s[8:9], s[12:13]
; %bb.19498:
	s_mov_b32 s10, 0x7f800001
	s_xor_b64 s[4:5], exec, -1
; %bb.19499:
	s_or_b64 exec, exec, s[8:9]
	s_and_b64 s[4:5], s[4:5], exec
	s_or_saveexec_b64 s[6:7], s[6:7]
	v_mov_b32_e32 v2, s10
	s_xor_b64 exec, exec, s[6:7]
	s_cbranch_execnz .LBB2_19500
; %bb.55337:
	s_getpc_b64 s[14:15]
.Lpost_getpc31252:
	s_add_u32 s14, s14, (.LBB2_5162-.Lpost_getpc31252)&4294967295
	s_addc_u32 s15, s15, (.LBB2_5162-.Lpost_getpc31252)>>32
	s_setpc_b64 s[14:15]
.LBB2_19500:
	v_mov_b32_e32 v2, 0
	v_cmp_ne_u16_sdwa s[8:9], v6, v2 src0_sel:BYTE_0 src1_sel:DWORD
	s_andn2_b64 s[4:5], s[4:5], exec
	s_and_b64 s[8:9], s[8:9], exec
	s_or_b64 s[4:5], s[4:5], s[8:9]
	s_or_b64 exec, exec, s[6:7]
	s_and_saveexec_b64 s[6:7], s[4:5]
	s_cbranch_execz .LBB2_31253
; %bb.55339:
	s_getpc_b64 s[14:15]
.Lpost_getpc31253:
	s_add_u32 s14, s14, (.LBB2_5163-.Lpost_getpc31253)&4294967295
	s_addc_u32 s15, s15, (.LBB2_5163-.Lpost_getpc31253)>>32
	s_setpc_b64 s[14:15]
.LBB2_31253:
	s_getpc_b64 s[14:15]
.Lpost_getpc19210:
	s_add_u32 s14, s14, (.LBB2_5164-.Lpost_getpc19210)&4294967295
	s_addc_u32 s15, s15, (.LBB2_5164-.Lpost_getpc19210)>>32
	s_setpc_b64 s[14:15]
.LBB2_19501:
	s_movk_i32 s4, 0x80
	v_cmp_eq_u16_sdwa s[12:13], v6, s4 src0_sel:BYTE_0 src1_sel:DWORD
	s_mov_b64 s[4:5], -1
                                        ; implicit-def: $sgpr10
	s_and_saveexec_b64 s[8:9], s[12:13]
; %bb.19502:
	s_mov_b32 s10, 0x7f800001
	s_xor_b64 s[4:5], exec, -1
; %bb.19503:
	s_or_b64 exec, exec, s[8:9]
	s_and_b64 s[4:5], s[4:5], exec
	s_or_saveexec_b64 s[6:7], s[6:7]
	v_mov_b32_e32 v12, s10
	s_xor_b64 exec, exec, s[6:7]
	s_cbranch_execnz .LBB2_19504
; %bb.55341:
	s_getpc_b64 s[14:15]
.Lpost_getpc31254:
	s_add_u32 s14, s14, (.LBB2_5166-.Lpost_getpc31254)&4294967295
	s_addc_u32 s15, s15, (.LBB2_5166-.Lpost_getpc31254)>>32
	s_setpc_b64 s[14:15]
.LBB2_19504:
	v_mov_b32_e32 v12, 0
	v_cmp_ne_u16_sdwa s[8:9], v6, v12 src0_sel:BYTE_0 src1_sel:DWORD
	s_andn2_b64 s[4:5], s[4:5], exec
	s_and_b64 s[8:9], s[8:9], exec
	s_or_b64 s[4:5], s[4:5], s[8:9]
	s_or_b64 exec, exec, s[6:7]
	s_and_saveexec_b64 s[6:7], s[4:5]
	s_cbranch_execz .LBB2_31255
; %bb.55343:
	s_getpc_b64 s[14:15]
.Lpost_getpc31255:
	s_add_u32 s14, s14, (.LBB2_5167-.Lpost_getpc31255)&4294967295
	s_addc_u32 s15, s15, (.LBB2_5167-.Lpost_getpc31255)>>32
	s_setpc_b64 s[14:15]
.LBB2_31255:
	s_getpc_b64 s[14:15]
.Lpost_getpc19211:
	s_add_u32 s14, s14, (.LBB2_5168-.Lpost_getpc19211)&4294967295
	s_addc_u32 s15, s15, (.LBB2_5168-.Lpost_getpc19211)>>32
	s_setpc_b64 s[14:15]
.LBB2_19505:
	s_movk_i32 s4, 0x80
	v_cmp_eq_u16_e32 vcc, s4, v6
	s_mov_b64 s[4:5], -1
                                        ; implicit-def: $sgpr10
	s_and_saveexec_b64 s[8:9], vcc
; %bb.19506:
	s_mov_b32 s10, 0x7f800001
	s_xor_b64 s[4:5], exec, -1
; %bb.19507:
	s_or_b64 exec, exec, s[8:9]
	s_and_b64 s[4:5], s[4:5], exec
                                        ; implicit-def: $vgpr6
	s_or_saveexec_b64 s[6:7], s[6:7]
	v_mov_b32_e32 v2, s10
	s_xor_b64 exec, exec, s[6:7]
	s_cbranch_execnz .LBB2_19508
; %bb.55345:
	s_getpc_b64 s[14:15]
.Lpost_getpc31256:
	s_add_u32 s14, s14, (.LBB2_5170-.Lpost_getpc31256)&4294967295
	s_addc_u32 s15, s15, (.LBB2_5170-.Lpost_getpc31256)>>32
	s_setpc_b64 s[14:15]
.LBB2_19508:
	v_cmp_ne_u16_e32 vcc, 0, v6
	s_andn2_b64 s[4:5], s[4:5], exec
	s_and_b64 s[8:9], vcc, exec
	v_mov_b32_e32 v2, 0
	s_or_b64 s[4:5], s[4:5], s[8:9]
	s_or_b64 exec, exec, s[6:7]
	s_and_saveexec_b64 s[6:7], s[4:5]
	s_cbranch_execz .LBB2_31257
; %bb.55347:
	s_getpc_b64 s[14:15]
.Lpost_getpc31257:
	s_add_u32 s14, s14, (.LBB2_5171-.Lpost_getpc31257)&4294967295
	s_addc_u32 s15, s15, (.LBB2_5171-.Lpost_getpc31257)>>32
	s_setpc_b64 s[14:15]
.LBB2_31257:
	s_getpc_b64 s[14:15]
.Lpost_getpc19212:
	s_add_u32 s14, s14, (.LBB2_5172-.Lpost_getpc19212)&4294967295
	s_addc_u32 s15, s15, (.LBB2_5172-.Lpost_getpc19212)>>32
	s_setpc_b64 s[14:15]
.LBB2_19509:
	s_movk_i32 s4, 0x80
	v_cmp_eq_u16_e32 vcc, s4, v6
	s_mov_b64 s[4:5], -1
                                        ; implicit-def: $sgpr10
	s_and_saveexec_b64 s[8:9], vcc
; %bb.19510:
	s_mov_b32 s10, 0x7f800001
	s_xor_b64 s[4:5], exec, -1
; %bb.19511:
	s_or_b64 exec, exec, s[8:9]
	s_and_b64 s[4:5], s[4:5], exec
                                        ; implicit-def: $vgpr6
	s_or_saveexec_b64 s[6:7], s[6:7]
	v_mov_b32_e32 v12, s10
	s_xor_b64 exec, exec, s[6:7]
	s_cbranch_execnz .LBB2_19512
; %bb.55349:
	s_getpc_b64 s[14:15]
.Lpost_getpc31258:
	s_add_u32 s14, s14, (.LBB2_5174-.Lpost_getpc31258)&4294967295
	s_addc_u32 s15, s15, (.LBB2_5174-.Lpost_getpc31258)>>32
	s_setpc_b64 s[14:15]
.LBB2_19512:
	v_cmp_ne_u16_e32 vcc, 0, v6
	s_andn2_b64 s[4:5], s[4:5], exec
	s_and_b64 s[8:9], vcc, exec
	v_mov_b32_e32 v12, 0
	s_or_b64 s[4:5], s[4:5], s[8:9]
	s_or_b64 exec, exec, s[6:7]
	s_and_saveexec_b64 s[6:7], s[4:5]
	s_cbranch_execz .LBB2_31259
; %bb.55351:
	s_getpc_b64 s[14:15]
.Lpost_getpc31259:
	s_add_u32 s14, s14, (.LBB2_5175-.Lpost_getpc31259)&4294967295
	s_addc_u32 s15, s15, (.LBB2_5175-.Lpost_getpc31259)>>32
	s_setpc_b64 s[14:15]
.LBB2_31259:
	s_getpc_b64 s[14:15]
.Lpost_getpc19213:
	s_add_u32 s14, s14, (.LBB2_5176-.Lpost_getpc19213)&4294967295
	s_addc_u32 s15, s15, (.LBB2_5176-.Lpost_getpc19213)>>32
	s_setpc_b64 s[14:15]
.LBB2_19513:
	s_movk_i32 s4, 0x80
	v_cmp_eq_u16_sdwa s[12:13], v7, s4 src0_sel:BYTE_3 src1_sel:DWORD
	s_mov_b64 s[4:5], -1
                                        ; implicit-def: $sgpr10
	s_and_saveexec_b64 s[8:9], s[12:13]
; %bb.19514:
	s_mov_b32 s10, 0x7f800001
	s_xor_b64 s[4:5], exec, -1
; %bb.19515:
	s_or_b64 exec, exec, s[8:9]
	s_and_b64 s[4:5], s[4:5], exec
	s_or_saveexec_b64 s[6:7], s[6:7]
	v_mov_b32_e32 v2, s10
	s_xor_b64 exec, exec, s[6:7]
	s_cbranch_execnz .LBB2_19516
; %bb.55353:
	s_getpc_b64 s[14:15]
.Lpost_getpc31260:
	s_add_u32 s14, s14, (.LBB2_5178-.Lpost_getpc31260)&4294967295
	s_addc_u32 s15, s15, (.LBB2_5178-.Lpost_getpc31260)>>32
	s_setpc_b64 s[14:15]
.LBB2_19516:
	v_mov_b32_e32 v2, 0
	v_cmp_ne_u16_sdwa s[8:9], v7, v2 src0_sel:BYTE_3 src1_sel:DWORD
	s_andn2_b64 s[4:5], s[4:5], exec
	s_and_b64 s[8:9], s[8:9], exec
	s_or_b64 s[4:5], s[4:5], s[8:9]
	s_or_b64 exec, exec, s[6:7]
	s_and_saveexec_b64 s[6:7], s[4:5]
	s_cbranch_execz .LBB2_31261
; %bb.55355:
	s_getpc_b64 s[14:15]
.Lpost_getpc31261:
	s_add_u32 s14, s14, (.LBB2_5179-.Lpost_getpc31261)&4294967295
	s_addc_u32 s15, s15, (.LBB2_5179-.Lpost_getpc31261)>>32
	s_setpc_b64 s[14:15]
.LBB2_31261:
	s_getpc_b64 s[14:15]
.Lpost_getpc19214:
	s_add_u32 s14, s14, (.LBB2_5180-.Lpost_getpc19214)&4294967295
	s_addc_u32 s15, s15, (.LBB2_5180-.Lpost_getpc19214)>>32
	s_setpc_b64 s[14:15]
.LBB2_19517:
	s_movk_i32 s4, 0x80
	v_cmp_eq_u16_sdwa s[12:13], v3, s4 src0_sel:BYTE_3 src1_sel:DWORD
	s_mov_b64 s[4:5], -1
                                        ; implicit-def: $sgpr10
	s_and_saveexec_b64 s[8:9], s[12:13]
; %bb.19518:
	s_mov_b32 s10, 0x7f800001
	s_xor_b64 s[4:5], exec, -1
; %bb.19519:
	s_or_b64 exec, exec, s[8:9]
	s_and_b64 s[4:5], s[4:5], exec
	s_or_saveexec_b64 s[6:7], s[6:7]
	v_mov_b32_e32 v6, s10
	s_xor_b64 exec, exec, s[6:7]
	s_cbranch_execnz .LBB2_19520
; %bb.55357:
	s_getpc_b64 s[14:15]
.Lpost_getpc31262:
	s_add_u32 s14, s14, (.LBB2_5182-.Lpost_getpc31262)&4294967295
	s_addc_u32 s15, s15, (.LBB2_5182-.Lpost_getpc31262)>>32
	s_setpc_b64 s[14:15]
.LBB2_19520:
	v_mov_b32_e32 v6, 0
	v_cmp_ne_u16_sdwa s[8:9], v3, v6 src0_sel:BYTE_3 src1_sel:DWORD
	s_andn2_b64 s[4:5], s[4:5], exec
	s_and_b64 s[8:9], s[8:9], exec
	s_or_b64 s[4:5], s[4:5], s[8:9]
	s_or_b64 exec, exec, s[6:7]
	s_and_saveexec_b64 s[6:7], s[4:5]
	s_cbranch_execz .LBB2_31263
; %bb.55359:
	s_getpc_b64 s[14:15]
.Lpost_getpc31263:
	s_add_u32 s14, s14, (.LBB2_5183-.Lpost_getpc31263)&4294967295
	s_addc_u32 s15, s15, (.LBB2_5183-.Lpost_getpc31263)>>32
	s_setpc_b64 s[14:15]
.LBB2_31263:
	s_getpc_b64 s[14:15]
.Lpost_getpc19215:
	s_add_u32 s14, s14, (.LBB2_5184-.Lpost_getpc19215)&4294967295
	s_addc_u32 s15, s15, (.LBB2_5184-.Lpost_getpc19215)>>32
	s_setpc_b64 s[14:15]
.LBB2_19521:
	s_movk_i32 s4, 0x80
	v_cmp_eq_u16_sdwa s[12:13], v8, s4 src0_sel:BYTE_0 src1_sel:DWORD
	s_mov_b64 s[4:5], -1
                                        ; implicit-def: $sgpr10
	s_and_saveexec_b64 s[8:9], s[12:13]
; %bb.19522:
	s_mov_b32 s10, 0x7f800001
	s_xor_b64 s[4:5], exec, -1
; %bb.19523:
	s_or_b64 exec, exec, s[8:9]
	s_and_b64 s[4:5], s[4:5], exec
	s_or_saveexec_b64 s[6:7], s[6:7]
	v_mov_b32_e32 v2, s10
	s_xor_b64 exec, exec, s[6:7]
	s_cbranch_execnz .LBB2_19524
; %bb.55361:
	s_getpc_b64 s[14:15]
.Lpost_getpc31264:
	s_add_u32 s14, s14, (.LBB2_5186-.Lpost_getpc31264)&4294967295
	s_addc_u32 s15, s15, (.LBB2_5186-.Lpost_getpc31264)>>32
	s_setpc_b64 s[14:15]
.LBB2_19524:
	v_mov_b32_e32 v2, 0
	v_cmp_ne_u16_sdwa s[8:9], v8, v2 src0_sel:BYTE_0 src1_sel:DWORD
	s_andn2_b64 s[4:5], s[4:5], exec
	s_and_b64 s[8:9], s[8:9], exec
	s_or_b64 s[4:5], s[4:5], s[8:9]
	s_or_b64 exec, exec, s[6:7]
	s_and_saveexec_b64 s[6:7], s[4:5]
	s_cbranch_execz .LBB2_31265
; %bb.55363:
	s_getpc_b64 s[14:15]
.Lpost_getpc31265:
	s_add_u32 s14, s14, (.LBB2_5187-.Lpost_getpc31265)&4294967295
	s_addc_u32 s15, s15, (.LBB2_5187-.Lpost_getpc31265)>>32
	s_setpc_b64 s[14:15]
.LBB2_31265:
	s_getpc_b64 s[14:15]
.Lpost_getpc19216:
	s_add_u32 s14, s14, (.LBB2_5188-.Lpost_getpc19216)&4294967295
	s_addc_u32 s15, s15, (.LBB2_5188-.Lpost_getpc19216)>>32
	s_setpc_b64 s[14:15]
.LBB2_19525:
	s_movk_i32 s4, 0x80
	v_cmp_eq_u16_sdwa s[12:13], v4, s4 src0_sel:BYTE_0 src1_sel:DWORD
	s_mov_b64 s[4:5], -1
                                        ; implicit-def: $sgpr10
	s_and_saveexec_b64 s[8:9], s[12:13]
; %bb.19526:
	s_mov_b32 s10, 0x7f800001
	s_xor_b64 s[4:5], exec, -1
; %bb.19527:
	s_or_b64 exec, exec, s[8:9]
	s_and_b64 s[4:5], s[4:5], exec
	s_or_saveexec_b64 s[6:7], s[6:7]
	v_mov_b32_e32 v3, s10
	s_xor_b64 exec, exec, s[6:7]
	s_cbranch_execnz .LBB2_19528
; %bb.55365:
	s_getpc_b64 s[14:15]
.Lpost_getpc31266:
	s_add_u32 s14, s14, (.LBB2_5190-.Lpost_getpc31266)&4294967295
	s_addc_u32 s15, s15, (.LBB2_5190-.Lpost_getpc31266)>>32
	s_setpc_b64 s[14:15]
.LBB2_19528:
	v_mov_b32_e32 v3, 0
	v_cmp_ne_u16_sdwa s[8:9], v4, v3 src0_sel:BYTE_0 src1_sel:DWORD
	s_andn2_b64 s[4:5], s[4:5], exec
	s_and_b64 s[8:9], s[8:9], exec
	s_or_b64 s[4:5], s[4:5], s[8:9]
	s_or_b64 exec, exec, s[6:7]
	s_and_saveexec_b64 s[6:7], s[4:5]
	s_cbranch_execz .LBB2_31267
; %bb.55367:
	s_getpc_b64 s[14:15]
.Lpost_getpc31267:
	s_add_u32 s14, s14, (.LBB2_5191-.Lpost_getpc31267)&4294967295
	s_addc_u32 s15, s15, (.LBB2_5191-.Lpost_getpc31267)>>32
	s_setpc_b64 s[14:15]
.LBB2_31267:
	s_getpc_b64 s[14:15]
.Lpost_getpc19217:
	s_add_u32 s14, s14, (.LBB2_5192-.Lpost_getpc19217)&4294967295
	s_addc_u32 s15, s15, (.LBB2_5192-.Lpost_getpc19217)>>32
	s_setpc_b64 s[14:15]
.LBB2_19529:
	s_movk_i32 s4, 0x80
	v_cmp_eq_u16_sdwa s[12:13], v3, s4 src0_sel:BYTE_0 src1_sel:DWORD
	s_mov_b64 s[4:5], -1
                                        ; implicit-def: $sgpr10
	s_and_saveexec_b64 s[8:9], s[12:13]
; %bb.19530:
	s_mov_b32 s10, 0x7f800001
	s_xor_b64 s[4:5], exec, -1
; %bb.19531:
	s_or_b64 exec, exec, s[8:9]
	s_and_b64 s[4:5], s[4:5], exec
	s_or_saveexec_b64 s[6:7], s[6:7]
	v_mov_b32_e32 v2, s10
	s_xor_b64 exec, exec, s[6:7]
	s_cbranch_execnz .LBB2_19532
; %bb.55369:
	s_getpc_b64 s[14:15]
.Lpost_getpc31268:
	s_add_u32 s14, s14, (.LBB2_5194-.Lpost_getpc31268)&4294967295
	s_addc_u32 s15, s15, (.LBB2_5194-.Lpost_getpc31268)>>32
	s_setpc_b64 s[14:15]
.LBB2_19532:
	v_mov_b32_e32 v2, 0
	v_cmp_ne_u16_sdwa s[8:9], v3, v2 src0_sel:BYTE_0 src1_sel:DWORD
	s_andn2_b64 s[4:5], s[4:5], exec
	s_and_b64 s[8:9], s[8:9], exec
	s_or_b64 s[4:5], s[4:5], s[8:9]
	s_or_b64 exec, exec, s[6:7]
	s_and_saveexec_b64 s[6:7], s[4:5]
	s_cbranch_execz .LBB2_31269
; %bb.55371:
	s_getpc_b64 s[14:15]
.Lpost_getpc31269:
	s_add_u32 s14, s14, (.LBB2_5195-.Lpost_getpc31269)&4294967295
	s_addc_u32 s15, s15, (.LBB2_5195-.Lpost_getpc31269)>>32
	s_setpc_b64 s[14:15]
.LBB2_31269:
	s_getpc_b64 s[14:15]
.Lpost_getpc19218:
	s_add_u32 s14, s14, (.LBB2_5196-.Lpost_getpc19218)&4294967295
	s_addc_u32 s15, s15, (.LBB2_5196-.Lpost_getpc19218)>>32
	s_setpc_b64 s[14:15]
.LBB2_19533:
	s_movk_i32 s4, 0x80
	v_cmp_eq_u16_sdwa s[12:13], v3, s4 src0_sel:BYTE_0 src1_sel:DWORD
	s_mov_b64 s[4:5], -1
                                        ; implicit-def: $sgpr10
	s_and_saveexec_b64 s[8:9], s[12:13]
; %bb.19534:
	s_mov_b32 s10, 0x7f800001
	s_xor_b64 s[4:5], exec, -1
; %bb.19535:
	s_or_b64 exec, exec, s[8:9]
	s_and_b64 s[4:5], s[4:5], exec
	s_or_saveexec_b64 s[6:7], s[6:7]
	v_mov_b32_e32 v6, s10
	s_xor_b64 exec, exec, s[6:7]
	s_cbranch_execnz .LBB2_19536
; %bb.55373:
	s_getpc_b64 s[14:15]
.Lpost_getpc31270:
	s_add_u32 s14, s14, (.LBB2_5198-.Lpost_getpc31270)&4294967295
	s_addc_u32 s15, s15, (.LBB2_5198-.Lpost_getpc31270)>>32
	s_setpc_b64 s[14:15]
.LBB2_19536:
	v_mov_b32_e32 v6, 0
	v_cmp_ne_u16_sdwa s[8:9], v3, v6 src0_sel:BYTE_0 src1_sel:DWORD
	s_andn2_b64 s[4:5], s[4:5], exec
	s_and_b64 s[8:9], s[8:9], exec
	s_or_b64 s[4:5], s[4:5], s[8:9]
	s_or_b64 exec, exec, s[6:7]
	s_and_saveexec_b64 s[6:7], s[4:5]
	s_cbranch_execz .LBB2_31271
; %bb.55375:
	s_getpc_b64 s[14:15]
.Lpost_getpc31271:
	s_add_u32 s14, s14, (.LBB2_5199-.Lpost_getpc31271)&4294967295
	s_addc_u32 s15, s15, (.LBB2_5199-.Lpost_getpc31271)>>32
	s_setpc_b64 s[14:15]
.LBB2_31271:
	s_getpc_b64 s[14:15]
.Lpost_getpc19219:
	s_add_u32 s14, s14, (.LBB2_5200-.Lpost_getpc19219)&4294967295
	s_addc_u32 s15, s15, (.LBB2_5200-.Lpost_getpc19219)>>32
	s_setpc_b64 s[14:15]
.LBB2_19537:
	s_movk_i32 s4, 0x80
	v_cmp_eq_u16_e32 vcc, s4, v3
	s_mov_b64 s[4:5], -1
                                        ; implicit-def: $sgpr10
	s_and_saveexec_b64 s[8:9], vcc
; %bb.19538:
	s_mov_b32 s10, 0x7f800001
	s_xor_b64 s[4:5], exec, -1
; %bb.19539:
	s_or_b64 exec, exec, s[8:9]
	s_and_b64 s[4:5], s[4:5], exec
                                        ; implicit-def: $vgpr3
	s_or_saveexec_b64 s[6:7], s[6:7]
	v_mov_b32_e32 v2, s10
	s_xor_b64 exec, exec, s[6:7]
	s_cbranch_execnz .LBB2_19540
; %bb.55377:
	s_getpc_b64 s[14:15]
.Lpost_getpc31272:
	s_add_u32 s14, s14, (.LBB2_5202-.Lpost_getpc31272)&4294967295
	s_addc_u32 s15, s15, (.LBB2_5202-.Lpost_getpc31272)>>32
	s_setpc_b64 s[14:15]
.LBB2_19540:
	v_cmp_ne_u16_e32 vcc, 0, v3
	s_andn2_b64 s[4:5], s[4:5], exec
	s_and_b64 s[8:9], vcc, exec
	v_mov_b32_e32 v2, 0
	s_or_b64 s[4:5], s[4:5], s[8:9]
	s_or_b64 exec, exec, s[6:7]
	s_and_saveexec_b64 s[6:7], s[4:5]
	s_cbranch_execz .LBB2_31273
; %bb.55379:
	s_getpc_b64 s[14:15]
.Lpost_getpc31273:
	s_add_u32 s14, s14, (.LBB2_5203-.Lpost_getpc31273)&4294967295
	s_addc_u32 s15, s15, (.LBB2_5203-.Lpost_getpc31273)>>32
	s_setpc_b64 s[14:15]
.LBB2_31273:
	s_getpc_b64 s[14:15]
.Lpost_getpc19220:
	s_add_u32 s14, s14, (.LBB2_5204-.Lpost_getpc19220)&4294967295
	s_addc_u32 s15, s15, (.LBB2_5204-.Lpost_getpc19220)>>32
	s_setpc_b64 s[14:15]
.LBB2_19541:
	s_movk_i32 s4, 0x80
	v_cmp_eq_u16_e32 vcc, s4, v3
	s_mov_b64 s[4:5], -1
                                        ; implicit-def: $sgpr10
	s_and_saveexec_b64 s[8:9], vcc
; %bb.19542:
	s_mov_b32 s10, 0x7f800001
	s_xor_b64 s[4:5], exec, -1
; %bb.19543:
	s_or_b64 exec, exec, s[8:9]
	s_and_b64 s[4:5], s[4:5], exec
                                        ; implicit-def: $vgpr3
	s_or_saveexec_b64 s[6:7], s[6:7]
	v_mov_b32_e32 v6, s10
	s_xor_b64 exec, exec, s[6:7]
	s_cbranch_execnz .LBB2_19544
; %bb.55381:
	s_getpc_b64 s[14:15]
.Lpost_getpc31274:
	s_add_u32 s14, s14, (.LBB2_5206-.Lpost_getpc31274)&4294967295
	s_addc_u32 s15, s15, (.LBB2_5206-.Lpost_getpc31274)>>32
	s_setpc_b64 s[14:15]
.LBB2_19544:
	v_cmp_ne_u16_e32 vcc, 0, v3
	s_andn2_b64 s[4:5], s[4:5], exec
	s_and_b64 s[8:9], vcc, exec
	v_mov_b32_e32 v6, 0
	s_or_b64 s[4:5], s[4:5], s[8:9]
	s_or_b64 exec, exec, s[6:7]
	s_and_saveexec_b64 s[6:7], s[4:5]
	s_cbranch_execz .LBB2_31275
; %bb.55383:
	s_getpc_b64 s[14:15]
.Lpost_getpc31275:
	s_add_u32 s14, s14, (.LBB2_5207-.Lpost_getpc31275)&4294967295
	s_addc_u32 s15, s15, (.LBB2_5207-.Lpost_getpc31275)>>32
	s_setpc_b64 s[14:15]
.LBB2_31275:
	s_getpc_b64 s[14:15]
.Lpost_getpc19221:
	s_add_u32 s14, s14, (.LBB2_5208-.Lpost_getpc19221)&4294967295
	s_addc_u32 s15, s15, (.LBB2_5208-.Lpost_getpc19221)>>32
	s_setpc_b64 s[14:15]
.LBB2_19545:
	s_movk_i32 s4, 0x80
	v_cmp_eq_u16_sdwa s[12:13], v8, s4 src0_sel:BYTE_3 src1_sel:DWORD
	s_mov_b64 s[4:5], -1
                                        ; implicit-def: $sgpr10
	s_and_saveexec_b64 s[8:9], s[12:13]
; %bb.19546:
	s_mov_b32 s10, 0x7f800001
	s_xor_b64 s[4:5], exec, -1
; %bb.19547:
	s_or_b64 exec, exec, s[8:9]
	s_and_b64 s[4:5], s[4:5], exec
	s_or_saveexec_b64 s[6:7], s[6:7]
	v_mov_b32_e32 v2, s10
	s_xor_b64 exec, exec, s[6:7]
	s_cbranch_execnz .LBB2_19548
; %bb.55385:
	s_getpc_b64 s[14:15]
.Lpost_getpc31276:
	s_add_u32 s14, s14, (.LBB2_5210-.Lpost_getpc31276)&4294967295
	s_addc_u32 s15, s15, (.LBB2_5210-.Lpost_getpc31276)>>32
	s_setpc_b64 s[14:15]
.LBB2_19548:
	v_mov_b32_e32 v2, 0
	v_cmp_ne_u16_sdwa s[8:9], v8, v2 src0_sel:BYTE_3 src1_sel:DWORD
	s_andn2_b64 s[4:5], s[4:5], exec
	s_and_b64 s[8:9], s[8:9], exec
	s_or_b64 s[4:5], s[4:5], s[8:9]
	s_or_b64 exec, exec, s[6:7]
	s_and_saveexec_b64 s[6:7], s[4:5]
	s_cbranch_execz .LBB2_31277
; %bb.55387:
	s_getpc_b64 s[14:15]
.Lpost_getpc31277:
	s_add_u32 s14, s14, (.LBB2_5211-.Lpost_getpc31277)&4294967295
	s_addc_u32 s15, s15, (.LBB2_5211-.Lpost_getpc31277)>>32
	s_setpc_b64 s[14:15]
.LBB2_31277:
	s_getpc_b64 s[14:15]
.Lpost_getpc19222:
	s_add_u32 s14, s14, (.LBB2_5212-.Lpost_getpc19222)&4294967295
	s_addc_u32 s15, s15, (.LBB2_5212-.Lpost_getpc19222)>>32
	s_setpc_b64 s[14:15]
.LBB2_19549:
	s_movk_i32 s4, 0x80
	v_cmp_eq_u16_sdwa s[12:13], v4, s4 src0_sel:BYTE_3 src1_sel:DWORD
	s_mov_b64 s[4:5], -1
                                        ; implicit-def: $sgpr10
	s_and_saveexec_b64 s[8:9], s[12:13]
; %bb.19550:
	s_mov_b32 s10, 0x7f800001
	s_xor_b64 s[4:5], exec, -1
; %bb.19551:
	s_or_b64 exec, exec, s[8:9]
	s_and_b64 s[4:5], s[4:5], exec
	s_or_saveexec_b64 s[6:7], s[6:7]
	v_mov_b32_e32 v3, s10
	s_xor_b64 exec, exec, s[6:7]
	s_cbranch_execnz .LBB2_19552
; %bb.55389:
	s_getpc_b64 s[14:15]
.Lpost_getpc31278:
	s_add_u32 s14, s14, (.LBB2_5214-.Lpost_getpc31278)&4294967295
	s_addc_u32 s15, s15, (.LBB2_5214-.Lpost_getpc31278)>>32
	s_setpc_b64 s[14:15]
.LBB2_19552:
	v_mov_b32_e32 v3, 0
	v_cmp_ne_u16_sdwa s[8:9], v4, v3 src0_sel:BYTE_3 src1_sel:DWORD
	s_andn2_b64 s[4:5], s[4:5], exec
	s_and_b64 s[8:9], s[8:9], exec
	s_or_b64 s[4:5], s[4:5], s[8:9]
	s_or_b64 exec, exec, s[6:7]
	s_and_saveexec_b64 s[6:7], s[4:5]
	s_cbranch_execz .LBB2_31279
; %bb.55391:
	s_getpc_b64 s[14:15]
.Lpost_getpc31279:
	s_add_u32 s14, s14, (.LBB2_5215-.Lpost_getpc31279)&4294967295
	s_addc_u32 s15, s15, (.LBB2_5215-.Lpost_getpc31279)>>32
	s_setpc_b64 s[14:15]
.LBB2_31279:
	s_getpc_b64 s[14:15]
.Lpost_getpc19223:
	s_add_u32 s14, s14, (.LBB2_5216-.Lpost_getpc19223)&4294967295
	s_addc_u32 s15, s15, (.LBB2_5216-.Lpost_getpc19223)>>32
	s_setpc_b64 s[14:15]
.LBB2_19553:
	s_movk_i32 s4, 0x80
	v_cmp_eq_u16_sdwa s[12:13], v9, s4 src0_sel:BYTE_0 src1_sel:DWORD
	s_mov_b64 s[4:5], -1
                                        ; implicit-def: $sgpr10
	s_and_saveexec_b64 s[8:9], s[12:13]
; %bb.19554:
	s_mov_b32 s10, 0x7f800001
	s_xor_b64 s[4:5], exec, -1
; %bb.19555:
	s_or_b64 exec, exec, s[8:9]
	s_and_b64 s[4:5], s[4:5], exec
	s_or_saveexec_b64 s[6:7], s[6:7]
	v_mov_b32_e32 v2, s10
	s_xor_b64 exec, exec, s[6:7]
	s_cbranch_execnz .LBB2_19556
; %bb.55393:
	s_getpc_b64 s[14:15]
.Lpost_getpc31280:
	s_add_u32 s14, s14, (.LBB2_5218-.Lpost_getpc31280)&4294967295
	s_addc_u32 s15, s15, (.LBB2_5218-.Lpost_getpc31280)>>32
	s_setpc_b64 s[14:15]
.LBB2_19556:
	v_mov_b32_e32 v2, 0
	v_cmp_ne_u16_sdwa s[8:9], v9, v2 src0_sel:BYTE_0 src1_sel:DWORD
	s_andn2_b64 s[4:5], s[4:5], exec
	s_and_b64 s[8:9], s[8:9], exec
	s_or_b64 s[4:5], s[4:5], s[8:9]
	s_or_b64 exec, exec, s[6:7]
	s_and_saveexec_b64 s[6:7], s[4:5]
	s_cbranch_execz .LBB2_31281
; %bb.55395:
	s_getpc_b64 s[14:15]
.Lpost_getpc31281:
	s_add_u32 s14, s14, (.LBB2_5219-.Lpost_getpc31281)&4294967295
	s_addc_u32 s15, s15, (.LBB2_5219-.Lpost_getpc31281)>>32
	s_setpc_b64 s[14:15]
.LBB2_31281:
	s_getpc_b64 s[14:15]
.Lpost_getpc19224:
	s_add_u32 s14, s14, (.LBB2_5220-.Lpost_getpc19224)&4294967295
	s_addc_u32 s15, s15, (.LBB2_5220-.Lpost_getpc19224)>>32
	s_setpc_b64 s[14:15]
.LBB2_19557:
	s_movk_i32 s4, 0x80
	v_cmp_eq_u16_sdwa s[12:13], v5, s4 src0_sel:BYTE_0 src1_sel:DWORD
	s_mov_b64 s[4:5], -1
                                        ; implicit-def: $sgpr10
	s_and_saveexec_b64 s[8:9], s[12:13]
; %bb.19558:
	s_mov_b32 s10, 0x7f800001
	s_xor_b64 s[4:5], exec, -1
; %bb.19559:
	s_or_b64 exec, exec, s[8:9]
	s_and_b64 s[4:5], s[4:5], exec
	s_or_saveexec_b64 s[6:7], s[6:7]
	v_mov_b32_e32 v3, s10
	s_xor_b64 exec, exec, s[6:7]
	s_cbranch_execnz .LBB2_19560
; %bb.55397:
	s_getpc_b64 s[14:15]
.Lpost_getpc31282:
	s_add_u32 s14, s14, (.LBB2_5222-.Lpost_getpc31282)&4294967295
	s_addc_u32 s15, s15, (.LBB2_5222-.Lpost_getpc31282)>>32
	s_setpc_b64 s[14:15]
.LBB2_19560:
	v_mov_b32_e32 v3, 0
	v_cmp_ne_u16_sdwa s[8:9], v5, v3 src0_sel:BYTE_0 src1_sel:DWORD
	s_andn2_b64 s[4:5], s[4:5], exec
	s_and_b64 s[8:9], s[8:9], exec
	s_or_b64 s[4:5], s[4:5], s[8:9]
	s_or_b64 exec, exec, s[6:7]
	s_and_saveexec_b64 s[6:7], s[4:5]
	s_cbranch_execz .LBB2_31283
; %bb.55399:
	s_getpc_b64 s[14:15]
.Lpost_getpc31283:
	s_add_u32 s14, s14, (.LBB2_5223-.Lpost_getpc31283)&4294967295
	s_addc_u32 s15, s15, (.LBB2_5223-.Lpost_getpc31283)>>32
	s_setpc_b64 s[14:15]
.LBB2_31283:
	s_getpc_b64 s[14:15]
.Lpost_getpc19225:
	s_add_u32 s14, s14, (.LBB2_5224-.Lpost_getpc19225)&4294967295
	s_addc_u32 s15, s15, (.LBB2_5224-.Lpost_getpc19225)>>32
	s_setpc_b64 s[14:15]
.LBB2_19561:
	s_movk_i32 s4, 0x80
	v_cmp_eq_u16_sdwa s[12:13], v3, s4 src0_sel:BYTE_0 src1_sel:DWORD
	s_mov_b64 s[4:5], -1
                                        ; implicit-def: $sgpr10
	s_and_saveexec_b64 s[8:9], s[12:13]
; %bb.19562:
	s_mov_b32 s10, 0x7f800001
	s_xor_b64 s[4:5], exec, -1
; %bb.19563:
	s_or_b64 exec, exec, s[8:9]
	s_and_b64 s[4:5], s[4:5], exec
	s_or_saveexec_b64 s[6:7], s[6:7]
	v_mov_b32_e32 v2, s10
	s_xor_b64 exec, exec, s[6:7]
	s_cbranch_execnz .LBB2_19564
; %bb.55401:
	s_getpc_b64 s[14:15]
.Lpost_getpc31284:
	s_add_u32 s14, s14, (.LBB2_5226-.Lpost_getpc31284)&4294967295
	s_addc_u32 s15, s15, (.LBB2_5226-.Lpost_getpc31284)>>32
	s_setpc_b64 s[14:15]
.LBB2_19564:
	v_mov_b32_e32 v2, 0
	v_cmp_ne_u16_sdwa s[8:9], v3, v2 src0_sel:BYTE_0 src1_sel:DWORD
	s_andn2_b64 s[4:5], s[4:5], exec
	s_and_b64 s[8:9], s[8:9], exec
	s_or_b64 s[4:5], s[4:5], s[8:9]
	s_or_b64 exec, exec, s[6:7]
	s_and_saveexec_b64 s[6:7], s[4:5]
	s_cbranch_execz .LBB2_31285
; %bb.55403:
	s_getpc_b64 s[14:15]
.Lpost_getpc31285:
	s_add_u32 s14, s14, (.LBB2_5227-.Lpost_getpc31285)&4294967295
	s_addc_u32 s15, s15, (.LBB2_5227-.Lpost_getpc31285)>>32
	s_setpc_b64 s[14:15]
.LBB2_31285:
	s_getpc_b64 s[14:15]
.Lpost_getpc19226:
	s_add_u32 s14, s14, (.LBB2_5228-.Lpost_getpc19226)&4294967295
	s_addc_u32 s15, s15, (.LBB2_5228-.Lpost_getpc19226)>>32
	s_setpc_b64 s[14:15]
.LBB2_19565:
	s_movk_i32 s4, 0x80
	v_cmp_eq_u16_sdwa s[12:13], v3, s4 src0_sel:BYTE_0 src1_sel:DWORD
	s_mov_b64 s[4:5], -1
                                        ; implicit-def: $sgpr10
	s_and_saveexec_b64 s[8:9], s[12:13]
; %bb.19566:
	s_mov_b32 s10, 0x7f800001
	s_xor_b64 s[4:5], exec, -1
; %bb.19567:
	s_or_b64 exec, exec, s[8:9]
	s_and_b64 s[4:5], s[4:5], exec
	s_or_saveexec_b64 s[6:7], s[6:7]
	v_mov_b32_e32 v4, s10
	s_xor_b64 exec, exec, s[6:7]
	s_cbranch_execnz .LBB2_19568
; %bb.55405:
	s_getpc_b64 s[14:15]
.Lpost_getpc31286:
	s_add_u32 s14, s14, (.LBB2_5230-.Lpost_getpc31286)&4294967295
	s_addc_u32 s15, s15, (.LBB2_5230-.Lpost_getpc31286)>>32
	s_setpc_b64 s[14:15]
.LBB2_19568:
	v_mov_b32_e32 v4, 0
	v_cmp_ne_u16_sdwa s[8:9], v3, v4 src0_sel:BYTE_0 src1_sel:DWORD
	s_andn2_b64 s[4:5], s[4:5], exec
	s_and_b64 s[8:9], s[8:9], exec
	s_or_b64 s[4:5], s[4:5], s[8:9]
	s_or_b64 exec, exec, s[6:7]
	s_and_saveexec_b64 s[6:7], s[4:5]
	s_cbranch_execz .LBB2_31287
; %bb.55407:
	s_getpc_b64 s[14:15]
.Lpost_getpc31287:
	s_add_u32 s14, s14, (.LBB2_5231-.Lpost_getpc31287)&4294967295
	s_addc_u32 s15, s15, (.LBB2_5231-.Lpost_getpc31287)>>32
	s_setpc_b64 s[14:15]
.LBB2_31287:
	s_getpc_b64 s[14:15]
.Lpost_getpc19227:
	s_add_u32 s14, s14, (.LBB2_5232-.Lpost_getpc19227)&4294967295
	s_addc_u32 s15, s15, (.LBB2_5232-.Lpost_getpc19227)>>32
	s_setpc_b64 s[14:15]
.LBB2_19569:
	s_movk_i32 s4, 0x80
	v_cmp_eq_u16_e32 vcc, s4, v3
	s_mov_b64 s[4:5], -1
                                        ; implicit-def: $sgpr10
	s_and_saveexec_b64 s[8:9], vcc
; %bb.19570:
	s_mov_b32 s10, 0x7f800001
	s_xor_b64 s[4:5], exec, -1
; %bb.19571:
	s_or_b64 exec, exec, s[8:9]
	s_and_b64 s[4:5], s[4:5], exec
                                        ; implicit-def: $vgpr3
	s_or_saveexec_b64 s[6:7], s[6:7]
	v_mov_b32_e32 v2, s10
	s_xor_b64 exec, exec, s[6:7]
	s_cbranch_execnz .LBB2_19572
; %bb.55409:
	s_getpc_b64 s[14:15]
.Lpost_getpc31288:
	s_add_u32 s14, s14, (.LBB2_5234-.Lpost_getpc31288)&4294967295
	s_addc_u32 s15, s15, (.LBB2_5234-.Lpost_getpc31288)>>32
	s_setpc_b64 s[14:15]
.LBB2_19572:
	v_cmp_ne_u16_e32 vcc, 0, v3
	s_andn2_b64 s[4:5], s[4:5], exec
	s_and_b64 s[8:9], vcc, exec
	v_mov_b32_e32 v2, 0
	s_or_b64 s[4:5], s[4:5], s[8:9]
	s_or_b64 exec, exec, s[6:7]
	s_and_saveexec_b64 s[6:7], s[4:5]
	s_cbranch_execz .LBB2_31289
; %bb.55411:
	s_getpc_b64 s[14:15]
.Lpost_getpc31289:
	s_add_u32 s14, s14, (.LBB2_5235-.Lpost_getpc31289)&4294967295
	s_addc_u32 s15, s15, (.LBB2_5235-.Lpost_getpc31289)>>32
	s_setpc_b64 s[14:15]
.LBB2_31289:
	s_getpc_b64 s[14:15]
.Lpost_getpc19228:
	s_add_u32 s14, s14, (.LBB2_5236-.Lpost_getpc19228)&4294967295
	s_addc_u32 s15, s15, (.LBB2_5236-.Lpost_getpc19228)>>32
	s_setpc_b64 s[14:15]
.LBB2_19573:
	s_movk_i32 s4, 0x80
	v_cmp_eq_u16_e32 vcc, s4, v3
	s_mov_b64 s[4:5], -1
                                        ; implicit-def: $sgpr10
	s_and_saveexec_b64 s[8:9], vcc
; %bb.19574:
	s_mov_b32 s10, 0x7f800001
	s_xor_b64 s[4:5], exec, -1
; %bb.19575:
	s_or_b64 exec, exec, s[8:9]
	s_and_b64 s[4:5], s[4:5], exec
                                        ; implicit-def: $vgpr3
	s_or_saveexec_b64 s[6:7], s[6:7]
	v_mov_b32_e32 v4, s10
	s_xor_b64 exec, exec, s[6:7]
	s_cbranch_execnz .LBB2_19576
; %bb.55413:
	s_getpc_b64 s[14:15]
.Lpost_getpc31290:
	s_add_u32 s14, s14, (.LBB2_5238-.Lpost_getpc31290)&4294967295
	s_addc_u32 s15, s15, (.LBB2_5238-.Lpost_getpc31290)>>32
	s_setpc_b64 s[14:15]
.LBB2_19576:
	v_cmp_ne_u16_e32 vcc, 0, v3
	s_andn2_b64 s[4:5], s[4:5], exec
	s_and_b64 s[8:9], vcc, exec
	v_mov_b32_e32 v4, 0
	s_or_b64 s[4:5], s[4:5], s[8:9]
	s_or_b64 exec, exec, s[6:7]
	s_and_saveexec_b64 s[6:7], s[4:5]
	s_cbranch_execz .LBB2_31291
; %bb.55415:
	s_getpc_b64 s[14:15]
.Lpost_getpc31291:
	s_add_u32 s14, s14, (.LBB2_5239-.Lpost_getpc31291)&4294967295
	s_addc_u32 s15, s15, (.LBB2_5239-.Lpost_getpc31291)>>32
	s_setpc_b64 s[14:15]
.LBB2_31291:
	s_getpc_b64 s[14:15]
.Lpost_getpc19229:
	s_add_u32 s14, s14, (.LBB2_5240-.Lpost_getpc19229)&4294967295
	s_addc_u32 s15, s15, (.LBB2_5240-.Lpost_getpc19229)>>32
	s_setpc_b64 s[14:15]
.LBB2_19577:
	s_movk_i32 s4, 0x80
	v_cmp_eq_u16_sdwa s[12:13], v9, s4 src0_sel:BYTE_3 src1_sel:DWORD
	s_mov_b64 s[4:5], -1
                                        ; implicit-def: $sgpr10
	s_and_saveexec_b64 s[8:9], s[12:13]
; %bb.19578:
	s_mov_b32 s10, 0x7f800001
	s_xor_b64 s[4:5], exec, -1
; %bb.19579:
	s_or_b64 exec, exec, s[8:9]
	s_and_b64 s[4:5], s[4:5], exec
	s_or_saveexec_b64 s[6:7], s[6:7]
	v_mov_b32_e32 v2, s10
	s_xor_b64 exec, exec, s[6:7]
	s_cbranch_execnz .LBB2_19580
; %bb.55417:
	s_getpc_b64 s[14:15]
.Lpost_getpc31292:
	s_add_u32 s14, s14, (.LBB2_5242-.Lpost_getpc31292)&4294967295
	s_addc_u32 s15, s15, (.LBB2_5242-.Lpost_getpc31292)>>32
	s_setpc_b64 s[14:15]
.LBB2_19580:
	v_mov_b32_e32 v2, 0
	v_cmp_ne_u16_sdwa s[8:9], v9, v2 src0_sel:BYTE_3 src1_sel:DWORD
	s_andn2_b64 s[4:5], s[4:5], exec
	s_and_b64 s[8:9], s[8:9], exec
	s_or_b64 s[4:5], s[4:5], s[8:9]
	s_or_b64 exec, exec, s[6:7]
	s_and_saveexec_b64 s[6:7], s[4:5]
	s_cbranch_execz .LBB2_31293
; %bb.55419:
	s_getpc_b64 s[14:15]
.Lpost_getpc31293:
	s_add_u32 s14, s14, (.LBB2_5243-.Lpost_getpc31293)&4294967295
	s_addc_u32 s15, s15, (.LBB2_5243-.Lpost_getpc31293)>>32
	s_setpc_b64 s[14:15]
.LBB2_31293:
	s_getpc_b64 s[14:15]
.Lpost_getpc19230:
	s_add_u32 s14, s14, (.LBB2_5244-.Lpost_getpc19230)&4294967295
	s_addc_u32 s15, s15, (.LBB2_5244-.Lpost_getpc19230)>>32
	s_setpc_b64 s[14:15]
.LBB2_19581:
	s_movk_i32 s4, 0x80
	v_cmp_eq_u16_sdwa s[12:13], v5, s4 src0_sel:BYTE_3 src1_sel:DWORD
	s_mov_b64 s[4:5], -1
                                        ; implicit-def: $sgpr10
	s_and_saveexec_b64 s[8:9], s[12:13]
; %bb.19582:
	s_mov_b32 s10, 0x7f800001
	s_xor_b64 s[4:5], exec, -1
; %bb.19583:
	s_or_b64 exec, exec, s[8:9]
	s_and_b64 s[4:5], s[4:5], exec
	s_or_saveexec_b64 s[6:7], s[6:7]
	v_mov_b32_e32 v3, s10
	s_xor_b64 exec, exec, s[6:7]
	s_cbranch_execnz .LBB2_19584
; %bb.55421:
	s_getpc_b64 s[14:15]
.Lpost_getpc31294:
	s_add_u32 s14, s14, (.LBB2_5246-.Lpost_getpc31294)&4294967295
	s_addc_u32 s15, s15, (.LBB2_5246-.Lpost_getpc31294)>>32
	s_setpc_b64 s[14:15]
.LBB2_19584:
	v_mov_b32_e32 v3, 0
	v_cmp_ne_u16_sdwa s[8:9], v5, v3 src0_sel:BYTE_3 src1_sel:DWORD
	s_andn2_b64 s[4:5], s[4:5], exec
	s_and_b64 s[8:9], s[8:9], exec
	s_or_b64 s[4:5], s[4:5], s[8:9]
	s_or_b64 exec, exec, s[6:7]
	s_and_saveexec_b64 s[6:7], s[4:5]
	s_cbranch_execz .LBB2_31295
; %bb.55423:
	s_getpc_b64 s[14:15]
.Lpost_getpc31295:
	s_add_u32 s14, s14, (.LBB2_5247-.Lpost_getpc31295)&4294967295
	s_addc_u32 s15, s15, (.LBB2_5247-.Lpost_getpc31295)>>32
	s_setpc_b64 s[14:15]
.LBB2_31295:
	s_getpc_b64 s[14:15]
.Lpost_getpc19231:
	s_add_u32 s14, s14, (.LBB2_5248-.Lpost_getpc19231)&4294967295
	s_addc_u32 s15, s15, (.LBB2_5248-.Lpost_getpc19231)>>32
	s_setpc_b64 s[14:15]
.LBB2_19585:
	s_movk_i32 s4, 0x80
	v_cmp_eq_u16_sdwa s[12:13], v6, s4 src0_sel:BYTE_0 src1_sel:DWORD
	s_mov_b64 s[4:5], -1
                                        ; implicit-def: $sgpr10
	s_and_saveexec_b64 s[8:9], s[12:13]
; %bb.19586:
	s_mov_b32 s10, 0x7f800001
	s_xor_b64 s[4:5], exec, -1
; %bb.19587:
	s_or_b64 exec, exec, s[8:9]
	s_and_b64 s[4:5], s[4:5], exec
	s_or_saveexec_b64 s[6:7], s[6:7]
	v_mov_b32_e32 v12, s10
	s_xor_b64 exec, exec, s[6:7]
	s_cbranch_execnz .LBB2_19588
; %bb.55425:
	s_getpc_b64 s[14:15]
.Lpost_getpc31296:
	s_add_u32 s14, s14, (.LBB2_5250-.Lpost_getpc31296)&4294967295
	s_addc_u32 s15, s15, (.LBB2_5250-.Lpost_getpc31296)>>32
	s_setpc_b64 s[14:15]
.LBB2_19588:
	v_mov_b32_e32 v12, 0
	v_cmp_ne_u16_sdwa s[8:9], v6, v12 src0_sel:BYTE_0 src1_sel:DWORD
	s_andn2_b64 s[4:5], s[4:5], exec
	s_and_b64 s[8:9], s[8:9], exec
	s_or_b64 s[4:5], s[4:5], s[8:9]
	s_or_b64 exec, exec, s[6:7]
	s_and_saveexec_b64 s[6:7], s[4:5]
	s_cbranch_execz .LBB2_31297
; %bb.55427:
	s_getpc_b64 s[14:15]
.Lpost_getpc31297:
	s_add_u32 s14, s14, (.LBB2_5251-.Lpost_getpc31297)&4294967295
	s_addc_u32 s15, s15, (.LBB2_5251-.Lpost_getpc31297)>>32
	s_setpc_b64 s[14:15]
.LBB2_31297:
	s_getpc_b64 s[14:15]
.Lpost_getpc19232:
	s_add_u32 s14, s14, (.LBB2_5252-.Lpost_getpc19232)&4294967295
	s_addc_u32 s15, s15, (.LBB2_5252-.Lpost_getpc19232)>>32
	s_setpc_b64 s[14:15]
.LBB2_19589:
	s_movk_i32 s4, 0x80
	v_cmp_eq_u16_sdwa s[12:13], v2, s4 src0_sel:BYTE_0 src1_sel:DWORD
	s_mov_b64 s[4:5], -1
                                        ; implicit-def: $sgpr10
	s_and_saveexec_b64 s[8:9], s[12:13]
; %bb.19590:
	s_mov_b32 s10, 0x7f800001
	s_xor_b64 s[4:5], exec, -1
; %bb.19591:
	s_or_b64 exec, exec, s[8:9]
	s_and_b64 s[4:5], s[4:5], exec
	s_or_saveexec_b64 s[6:7], s[6:7]
	v_mov_b32_e32 v13, s10
	s_xor_b64 exec, exec, s[6:7]
	s_cbranch_execnz .LBB2_19592
; %bb.55429:
	s_getpc_b64 s[14:15]
.Lpost_getpc31298:
	s_add_u32 s14, s14, (.LBB2_5254-.Lpost_getpc31298)&4294967295
	s_addc_u32 s15, s15, (.LBB2_5254-.Lpost_getpc31298)>>32
	s_setpc_b64 s[14:15]
.LBB2_19592:
	v_mov_b32_e32 v13, 0
	v_cmp_ne_u16_sdwa s[8:9], v2, v13 src0_sel:BYTE_0 src1_sel:DWORD
	s_andn2_b64 s[4:5], s[4:5], exec
	s_and_b64 s[8:9], s[8:9], exec
	s_or_b64 s[4:5], s[4:5], s[8:9]
	s_or_b64 exec, exec, s[6:7]
	s_and_saveexec_b64 s[6:7], s[4:5]
	s_cbranch_execz .LBB2_31299
; %bb.55431:
	s_getpc_b64 s[14:15]
.Lpost_getpc31299:
	s_add_u32 s14, s14, (.LBB2_5255-.Lpost_getpc31299)&4294967295
	s_addc_u32 s15, s15, (.LBB2_5255-.Lpost_getpc31299)>>32
	s_setpc_b64 s[14:15]
.LBB2_31299:
	s_getpc_b64 s[14:15]
.Lpost_getpc19233:
	s_add_u32 s14, s14, (.LBB2_5256-.Lpost_getpc19233)&4294967295
	s_addc_u32 s15, s15, (.LBB2_5256-.Lpost_getpc19233)>>32
	s_setpc_b64 s[14:15]
.LBB2_19593:
	s_movk_i32 s4, 0x80
	v_cmp_eq_u16_sdwa s[12:13], v13, s4 src0_sel:BYTE_0 src1_sel:DWORD
	s_mov_b64 s[4:5], -1
                                        ; implicit-def: $sgpr10
	s_and_saveexec_b64 s[8:9], s[12:13]
; %bb.19594:
	s_mov_b32 s10, 0x7f800001
	s_xor_b64 s[4:5], exec, -1
; %bb.19595:
	s_or_b64 exec, exec, s[8:9]
	s_and_b64 s[4:5], s[4:5], exec
	s_or_saveexec_b64 s[6:7], s[6:7]
	v_mov_b32_e32 v12, s10
	s_xor_b64 exec, exec, s[6:7]
	s_cbranch_execnz .LBB2_19596
; %bb.55433:
	s_getpc_b64 s[14:15]
.Lpost_getpc31300:
	s_add_u32 s14, s14, (.LBB2_5258-.Lpost_getpc31300)&4294967295
	s_addc_u32 s15, s15, (.LBB2_5258-.Lpost_getpc31300)>>32
	s_setpc_b64 s[14:15]
.LBB2_19596:
	v_mov_b32_e32 v12, 0
	v_cmp_ne_u16_sdwa s[8:9], v13, v12 src0_sel:BYTE_0 src1_sel:DWORD
	s_andn2_b64 s[4:5], s[4:5], exec
	s_and_b64 s[8:9], s[8:9], exec
	s_or_b64 s[4:5], s[4:5], s[8:9]
	s_or_b64 exec, exec, s[6:7]
	s_and_saveexec_b64 s[6:7], s[4:5]
	s_cbranch_execz .LBB2_31301
; %bb.55435:
	s_getpc_b64 s[14:15]
.Lpost_getpc31301:
	s_add_u32 s14, s14, (.LBB2_5259-.Lpost_getpc31301)&4294967295
	s_addc_u32 s15, s15, (.LBB2_5259-.Lpost_getpc31301)>>32
	s_setpc_b64 s[14:15]
.LBB2_31301:
	s_getpc_b64 s[14:15]
.Lpost_getpc19234:
	s_add_u32 s14, s14, (.LBB2_5260-.Lpost_getpc19234)&4294967295
	s_addc_u32 s15, s15, (.LBB2_5260-.Lpost_getpc19234)>>32
	s_setpc_b64 s[14:15]
.LBB2_19597:
	s_movk_i32 s4, 0x80
	v_cmp_eq_u16_sdwa s[12:13], v13, s4 src0_sel:BYTE_0 src1_sel:DWORD
	s_mov_b64 s[4:5], -1
                                        ; implicit-def: $sgpr10
	s_and_saveexec_b64 s[8:9], s[12:13]
; %bb.19598:
	s_mov_b32 s10, 0x7f800001
	s_xor_b64 s[4:5], exec, -1
; %bb.19599:
	s_or_b64 exec, exec, s[8:9]
	s_and_b64 s[4:5], s[4:5], exec
	s_or_saveexec_b64 s[6:7], s[6:7]
	v_mov_b32_e32 v14, s10
	s_xor_b64 exec, exec, s[6:7]
	s_cbranch_execnz .LBB2_19600
; %bb.55437:
	s_getpc_b64 s[14:15]
.Lpost_getpc31302:
	s_add_u32 s14, s14, (.LBB2_5262-.Lpost_getpc31302)&4294967295
	s_addc_u32 s15, s15, (.LBB2_5262-.Lpost_getpc31302)>>32
	s_setpc_b64 s[14:15]
.LBB2_19600:
	v_mov_b32_e32 v14, 0
	v_cmp_ne_u16_sdwa s[8:9], v13, v14 src0_sel:BYTE_0 src1_sel:DWORD
	s_andn2_b64 s[4:5], s[4:5], exec
	s_and_b64 s[8:9], s[8:9], exec
	s_or_b64 s[4:5], s[4:5], s[8:9]
	s_or_b64 exec, exec, s[6:7]
	s_and_saveexec_b64 s[6:7], s[4:5]
	s_cbranch_execz .LBB2_31303
; %bb.55439:
	s_getpc_b64 s[14:15]
.Lpost_getpc31303:
	s_add_u32 s14, s14, (.LBB2_5263-.Lpost_getpc31303)&4294967295
	s_addc_u32 s15, s15, (.LBB2_5263-.Lpost_getpc31303)>>32
	s_setpc_b64 s[14:15]
.LBB2_31303:
	s_getpc_b64 s[14:15]
.Lpost_getpc19235:
	s_add_u32 s14, s14, (.LBB2_5264-.Lpost_getpc19235)&4294967295
	s_addc_u32 s15, s15, (.LBB2_5264-.Lpost_getpc19235)>>32
	s_setpc_b64 s[14:15]
.LBB2_19601:
	s_movk_i32 s4, 0x80
	v_cmp_eq_u16_e32 vcc, s4, v13
	s_mov_b64 s[4:5], -1
                                        ; implicit-def: $sgpr10
	s_and_saveexec_b64 s[8:9], vcc
; %bb.19602:
	s_mov_b32 s10, 0x7f800001
	s_xor_b64 s[4:5], exec, -1
; %bb.19603:
	s_or_b64 exec, exec, s[8:9]
	s_and_b64 s[4:5], s[4:5], exec
                                        ; implicit-def: $vgpr13
	s_or_saveexec_b64 s[6:7], s[6:7]
	v_mov_b32_e32 v12, s10
	s_xor_b64 exec, exec, s[6:7]
	s_cbranch_execnz .LBB2_19604
; %bb.55441:
	s_getpc_b64 s[14:15]
.Lpost_getpc31304:
	s_add_u32 s14, s14, (.LBB2_5266-.Lpost_getpc31304)&4294967295
	s_addc_u32 s15, s15, (.LBB2_5266-.Lpost_getpc31304)>>32
	s_setpc_b64 s[14:15]
.LBB2_19604:
	v_cmp_ne_u16_e32 vcc, 0, v13
	s_andn2_b64 s[4:5], s[4:5], exec
	s_and_b64 s[8:9], vcc, exec
	v_mov_b32_e32 v12, 0
	s_or_b64 s[4:5], s[4:5], s[8:9]
	s_or_b64 exec, exec, s[6:7]
	s_and_saveexec_b64 s[6:7], s[4:5]
	s_cbranch_execz .LBB2_31305
; %bb.55443:
	s_getpc_b64 s[14:15]
.Lpost_getpc31305:
	s_add_u32 s14, s14, (.LBB2_5267-.Lpost_getpc31305)&4294967295
	s_addc_u32 s15, s15, (.LBB2_5267-.Lpost_getpc31305)>>32
	s_setpc_b64 s[14:15]
.LBB2_31305:
	s_getpc_b64 s[14:15]
.Lpost_getpc19236:
	s_add_u32 s14, s14, (.LBB2_5268-.Lpost_getpc19236)&4294967295
	s_addc_u32 s15, s15, (.LBB2_5268-.Lpost_getpc19236)>>32
	s_setpc_b64 s[14:15]
.LBB2_19605:
	s_movk_i32 s4, 0x80
	v_cmp_eq_u16_e32 vcc, s4, v13
	s_mov_b64 s[4:5], -1
                                        ; implicit-def: $sgpr10
	s_and_saveexec_b64 s[8:9], vcc
; %bb.19606:
	s_mov_b32 s10, 0x7f800001
	s_xor_b64 s[4:5], exec, -1
; %bb.19607:
	s_or_b64 exec, exec, s[8:9]
	s_and_b64 s[4:5], s[4:5], exec
                                        ; implicit-def: $vgpr13
	s_or_saveexec_b64 s[6:7], s[6:7]
	v_mov_b32_e32 v14, s10
	s_xor_b64 exec, exec, s[6:7]
	s_cbranch_execnz .LBB2_19608
; %bb.55445:
	s_getpc_b64 s[14:15]
.Lpost_getpc31306:
	s_add_u32 s14, s14, (.LBB2_5270-.Lpost_getpc31306)&4294967295
	s_addc_u32 s15, s15, (.LBB2_5270-.Lpost_getpc31306)>>32
	s_setpc_b64 s[14:15]
.LBB2_19608:
	v_cmp_ne_u16_e32 vcc, 0, v13
	s_andn2_b64 s[4:5], s[4:5], exec
	s_and_b64 s[8:9], vcc, exec
	v_mov_b32_e32 v14, 0
	s_or_b64 s[4:5], s[4:5], s[8:9]
	s_or_b64 exec, exec, s[6:7]
	s_and_saveexec_b64 s[6:7], s[4:5]
	s_cbranch_execz .LBB2_31307
; %bb.55447:
	s_getpc_b64 s[14:15]
.Lpost_getpc31307:
	s_add_u32 s14, s14, (.LBB2_5271-.Lpost_getpc31307)&4294967295
	s_addc_u32 s15, s15, (.LBB2_5271-.Lpost_getpc31307)>>32
	s_setpc_b64 s[14:15]
.LBB2_31307:
	s_getpc_b64 s[14:15]
.Lpost_getpc19237:
	s_add_u32 s14, s14, (.LBB2_5272-.Lpost_getpc19237)&4294967295
	s_addc_u32 s15, s15, (.LBB2_5272-.Lpost_getpc19237)>>32
	s_setpc_b64 s[14:15]
.LBB2_19609:
	s_movk_i32 s4, 0x80
	v_cmp_eq_u16_sdwa s[12:13], v6, s4 src0_sel:BYTE_3 src1_sel:DWORD
	s_mov_b64 s[4:5], -1
                                        ; implicit-def: $sgpr10
	s_and_saveexec_b64 s[8:9], s[12:13]
; %bb.19610:
	s_mov_b32 s10, 0x7f800001
	s_xor_b64 s[4:5], exec, -1
; %bb.19611:
	s_or_b64 exec, exec, s[8:9]
	s_and_b64 s[4:5], s[4:5], exec
	s_or_saveexec_b64 s[6:7], s[6:7]
	v_mov_b32_e32 v12, s10
	s_xor_b64 exec, exec, s[6:7]
	s_cbranch_execnz .LBB2_19612
; %bb.55449:
	s_getpc_b64 s[14:15]
.Lpost_getpc31308:
	s_add_u32 s14, s14, (.LBB2_5274-.Lpost_getpc31308)&4294967295
	s_addc_u32 s15, s15, (.LBB2_5274-.Lpost_getpc31308)>>32
	s_setpc_b64 s[14:15]
.LBB2_19612:
	v_mov_b32_e32 v12, 0
	v_cmp_ne_u16_sdwa s[8:9], v6, v12 src0_sel:BYTE_3 src1_sel:DWORD
	s_andn2_b64 s[4:5], s[4:5], exec
	s_and_b64 s[8:9], s[8:9], exec
	s_or_b64 s[4:5], s[4:5], s[8:9]
	s_or_b64 exec, exec, s[6:7]
	s_and_saveexec_b64 s[6:7], s[4:5]
	s_cbranch_execz .LBB2_31309
; %bb.55451:
	s_getpc_b64 s[14:15]
.Lpost_getpc31309:
	s_add_u32 s14, s14, (.LBB2_5275-.Lpost_getpc31309)&4294967295
	s_addc_u32 s15, s15, (.LBB2_5275-.Lpost_getpc31309)>>32
	s_setpc_b64 s[14:15]
.LBB2_31309:
	s_getpc_b64 s[14:15]
.Lpost_getpc19238:
	s_add_u32 s14, s14, (.LBB2_5276-.Lpost_getpc19238)&4294967295
	s_addc_u32 s15, s15, (.LBB2_5276-.Lpost_getpc19238)>>32
	s_setpc_b64 s[14:15]
.LBB2_19613:
	s_movk_i32 s4, 0x80
	v_cmp_eq_u16_sdwa s[12:13], v2, s4 src0_sel:BYTE_3 src1_sel:DWORD
	s_mov_b64 s[4:5], -1
                                        ; implicit-def: $sgpr10
	s_and_saveexec_b64 s[8:9], s[12:13]
; %bb.19614:
	s_mov_b32 s10, 0x7f800001
	s_xor_b64 s[4:5], exec, -1
; %bb.19615:
	s_or_b64 exec, exec, s[8:9]
	s_and_b64 s[4:5], s[4:5], exec
	s_or_saveexec_b64 s[6:7], s[6:7]
	v_mov_b32_e32 v6, s10
	s_xor_b64 exec, exec, s[6:7]
	s_cbranch_execnz .LBB2_19616
; %bb.55453:
	s_getpc_b64 s[14:15]
.Lpost_getpc31310:
	s_add_u32 s14, s14, (.LBB2_5278-.Lpost_getpc31310)&4294967295
	s_addc_u32 s15, s15, (.LBB2_5278-.Lpost_getpc31310)>>32
	s_setpc_b64 s[14:15]
.LBB2_19616:
	v_mov_b32_e32 v6, 0
	v_cmp_ne_u16_sdwa s[8:9], v2, v6 src0_sel:BYTE_3 src1_sel:DWORD
	s_andn2_b64 s[4:5], s[4:5], exec
	s_and_b64 s[8:9], s[8:9], exec
	s_or_b64 s[4:5], s[4:5], s[8:9]
	s_or_b64 exec, exec, s[6:7]
	s_and_saveexec_b64 s[6:7], s[4:5]
	s_cbranch_execz .LBB2_31311
; %bb.55455:
	s_getpc_b64 s[14:15]
.Lpost_getpc31311:
	s_add_u32 s14, s14, (.LBB2_5279-.Lpost_getpc31311)&4294967295
	s_addc_u32 s15, s15, (.LBB2_5279-.Lpost_getpc31311)>>32
	s_setpc_b64 s[14:15]
.LBB2_31311:
	s_getpc_b64 s[14:15]
.Lpost_getpc19239:
	s_add_u32 s14, s14, (.LBB2_5280-.Lpost_getpc19239)&4294967295
	s_addc_u32 s15, s15, (.LBB2_5280-.Lpost_getpc19239)>>32
	s_setpc_b64 s[14:15]
.LBB2_19617:
	s_movk_i32 s4, 0x80
	v_cmp_eq_u16_sdwa s[12:13], v7, s4 src0_sel:BYTE_0 src1_sel:DWORD
	s_mov_b64 s[4:5], -1
                                        ; implicit-def: $sgpr10
	s_and_saveexec_b64 s[8:9], s[12:13]
; %bb.19618:
	s_mov_b32 s10, 0x7f800001
	s_xor_b64 s[4:5], exec, -1
; %bb.19619:
	s_or_b64 exec, exec, s[8:9]
	s_and_b64 s[4:5], s[4:5], exec
	s_or_saveexec_b64 s[6:7], s[6:7]
	v_mov_b32_e32 v2, s10
	s_xor_b64 exec, exec, s[6:7]
	s_cbranch_execnz .LBB2_19620
; %bb.55457:
	s_getpc_b64 s[14:15]
.Lpost_getpc31312:
	s_add_u32 s14, s14, (.LBB2_5282-.Lpost_getpc31312)&4294967295
	s_addc_u32 s15, s15, (.LBB2_5282-.Lpost_getpc31312)>>32
	s_setpc_b64 s[14:15]
.LBB2_19620:
	v_mov_b32_e32 v2, 0
	v_cmp_ne_u16_sdwa s[8:9], v7, v2 src0_sel:BYTE_0 src1_sel:DWORD
	s_andn2_b64 s[4:5], s[4:5], exec
	s_and_b64 s[8:9], s[8:9], exec
	s_or_b64 s[4:5], s[4:5], s[8:9]
	s_or_b64 exec, exec, s[6:7]
	s_and_saveexec_b64 s[6:7], s[4:5]
	s_cbranch_execz .LBB2_31313
; %bb.55459:
	s_getpc_b64 s[14:15]
.Lpost_getpc31313:
	s_add_u32 s14, s14, (.LBB2_5283-.Lpost_getpc31313)&4294967295
	s_addc_u32 s15, s15, (.LBB2_5283-.Lpost_getpc31313)>>32
	s_setpc_b64 s[14:15]
.LBB2_31313:
	s_getpc_b64 s[14:15]
.Lpost_getpc19240:
	s_add_u32 s14, s14, (.LBB2_5284-.Lpost_getpc19240)&4294967295
	s_addc_u32 s15, s15, (.LBB2_5284-.Lpost_getpc19240)>>32
	s_setpc_b64 s[14:15]
.LBB2_19621:
	s_movk_i32 s4, 0x80
	v_cmp_eq_u16_sdwa s[12:13], v3, s4 src0_sel:BYTE_0 src1_sel:DWORD
	s_mov_b64 s[4:5], -1
                                        ; implicit-def: $sgpr10
	s_and_saveexec_b64 s[8:9], s[12:13]
; %bb.19622:
	s_mov_b32 s10, 0x7f800001
	s_xor_b64 s[4:5], exec, -1
; %bb.19623:
	s_or_b64 exec, exec, s[8:9]
	s_and_b64 s[4:5], s[4:5], exec
	s_or_saveexec_b64 s[6:7], s[6:7]
	v_mov_b32_e32 v6, s10
	s_xor_b64 exec, exec, s[6:7]
	s_cbranch_execnz .LBB2_19624
; %bb.55461:
	s_getpc_b64 s[14:15]
.Lpost_getpc31314:
	s_add_u32 s14, s14, (.LBB2_5286-.Lpost_getpc31314)&4294967295
	s_addc_u32 s15, s15, (.LBB2_5286-.Lpost_getpc31314)>>32
	s_setpc_b64 s[14:15]
.LBB2_19624:
	v_mov_b32_e32 v6, 0
	v_cmp_ne_u16_sdwa s[8:9], v3, v6 src0_sel:BYTE_0 src1_sel:DWORD
	s_andn2_b64 s[4:5], s[4:5], exec
	s_and_b64 s[8:9], s[8:9], exec
	s_or_b64 s[4:5], s[4:5], s[8:9]
	s_or_b64 exec, exec, s[6:7]
	s_and_saveexec_b64 s[6:7], s[4:5]
	s_cbranch_execz .LBB2_31315
; %bb.55463:
	s_getpc_b64 s[14:15]
.Lpost_getpc31315:
	s_add_u32 s14, s14, (.LBB2_5287-.Lpost_getpc31315)&4294967295
	s_addc_u32 s15, s15, (.LBB2_5287-.Lpost_getpc31315)>>32
	s_setpc_b64 s[14:15]
.LBB2_31315:
	s_getpc_b64 s[14:15]
.Lpost_getpc19241:
	s_add_u32 s14, s14, (.LBB2_5288-.Lpost_getpc19241)&4294967295
	s_addc_u32 s15, s15, (.LBB2_5288-.Lpost_getpc19241)>>32
	s_setpc_b64 s[14:15]
.LBB2_19625:
	s_movk_i32 s4, 0x80
	v_cmp_eq_u16_sdwa s[12:13], v6, s4 src0_sel:BYTE_0 src1_sel:DWORD
	s_mov_b64 s[4:5], -1
                                        ; implicit-def: $sgpr10
	s_and_saveexec_b64 s[8:9], s[12:13]
; %bb.19626:
	s_mov_b32 s10, 0x7f800001
	s_xor_b64 s[4:5], exec, -1
; %bb.19627:
	s_or_b64 exec, exec, s[8:9]
	s_and_b64 s[4:5], s[4:5], exec
	s_or_saveexec_b64 s[6:7], s[6:7]
	v_mov_b32_e32 v2, s10
	s_xor_b64 exec, exec, s[6:7]
	s_cbranch_execnz .LBB2_19628
; %bb.55465:
	s_getpc_b64 s[14:15]
.Lpost_getpc31316:
	s_add_u32 s14, s14, (.LBB2_5290-.Lpost_getpc31316)&4294967295
	s_addc_u32 s15, s15, (.LBB2_5290-.Lpost_getpc31316)>>32
	s_setpc_b64 s[14:15]
.LBB2_19628:
	v_mov_b32_e32 v2, 0
	v_cmp_ne_u16_sdwa s[8:9], v6, v2 src0_sel:BYTE_0 src1_sel:DWORD
	s_andn2_b64 s[4:5], s[4:5], exec
	s_and_b64 s[8:9], s[8:9], exec
	s_or_b64 s[4:5], s[4:5], s[8:9]
	s_or_b64 exec, exec, s[6:7]
	s_and_saveexec_b64 s[6:7], s[4:5]
	s_cbranch_execz .LBB2_31317
; %bb.55467:
	s_getpc_b64 s[14:15]
.Lpost_getpc31317:
	s_add_u32 s14, s14, (.LBB2_5291-.Lpost_getpc31317)&4294967295
	s_addc_u32 s15, s15, (.LBB2_5291-.Lpost_getpc31317)>>32
	s_setpc_b64 s[14:15]
.LBB2_31317:
	s_getpc_b64 s[14:15]
.Lpost_getpc19242:
	s_add_u32 s14, s14, (.LBB2_5292-.Lpost_getpc19242)&4294967295
	s_addc_u32 s15, s15, (.LBB2_5292-.Lpost_getpc19242)>>32
	s_setpc_b64 s[14:15]
.LBB2_19629:
	s_movk_i32 s4, 0x80
	v_cmp_eq_u16_sdwa s[12:13], v6, s4 src0_sel:BYTE_0 src1_sel:DWORD
	s_mov_b64 s[4:5], -1
                                        ; implicit-def: $sgpr10
	s_and_saveexec_b64 s[8:9], s[12:13]
; %bb.19630:
	s_mov_b32 s10, 0x7f800001
	s_xor_b64 s[4:5], exec, -1
; %bb.19631:
	s_or_b64 exec, exec, s[8:9]
	s_and_b64 s[4:5], s[4:5], exec
	s_or_saveexec_b64 s[6:7], s[6:7]
	v_mov_b32_e32 v12, s10
	s_xor_b64 exec, exec, s[6:7]
	s_cbranch_execnz .LBB2_19632
; %bb.55469:
	s_getpc_b64 s[14:15]
.Lpost_getpc31318:
	s_add_u32 s14, s14, (.LBB2_5294-.Lpost_getpc31318)&4294967295
	s_addc_u32 s15, s15, (.LBB2_5294-.Lpost_getpc31318)>>32
	s_setpc_b64 s[14:15]
.LBB2_19632:
	v_mov_b32_e32 v12, 0
	v_cmp_ne_u16_sdwa s[8:9], v6, v12 src0_sel:BYTE_0 src1_sel:DWORD
	s_andn2_b64 s[4:5], s[4:5], exec
	s_and_b64 s[8:9], s[8:9], exec
	s_or_b64 s[4:5], s[4:5], s[8:9]
	s_or_b64 exec, exec, s[6:7]
	s_and_saveexec_b64 s[6:7], s[4:5]
	s_cbranch_execz .LBB2_31319
; %bb.55471:
	s_getpc_b64 s[14:15]
.Lpost_getpc31319:
	s_add_u32 s14, s14, (.LBB2_5295-.Lpost_getpc31319)&4294967295
	s_addc_u32 s15, s15, (.LBB2_5295-.Lpost_getpc31319)>>32
	s_setpc_b64 s[14:15]
.LBB2_31319:
	s_getpc_b64 s[14:15]
.Lpost_getpc19243:
	s_add_u32 s14, s14, (.LBB2_5296-.Lpost_getpc19243)&4294967295
	s_addc_u32 s15, s15, (.LBB2_5296-.Lpost_getpc19243)>>32
	s_setpc_b64 s[14:15]
.LBB2_19633:
	s_movk_i32 s4, 0x80
	v_cmp_eq_u16_e32 vcc, s4, v6
	s_mov_b64 s[4:5], -1
                                        ; implicit-def: $sgpr10
	s_and_saveexec_b64 s[8:9], vcc
; %bb.19634:
	s_mov_b32 s10, 0x7f800001
	s_xor_b64 s[4:5], exec, -1
; %bb.19635:
	s_or_b64 exec, exec, s[8:9]
	s_and_b64 s[4:5], s[4:5], exec
                                        ; implicit-def: $vgpr6
	s_or_saveexec_b64 s[6:7], s[6:7]
	v_mov_b32_e32 v2, s10
	s_xor_b64 exec, exec, s[6:7]
	s_cbranch_execnz .LBB2_19636
; %bb.55473:
	s_getpc_b64 s[14:15]
.Lpost_getpc31320:
	s_add_u32 s14, s14, (.LBB2_5298-.Lpost_getpc31320)&4294967295
	s_addc_u32 s15, s15, (.LBB2_5298-.Lpost_getpc31320)>>32
	s_setpc_b64 s[14:15]
.LBB2_19636:
	v_cmp_ne_u16_e32 vcc, 0, v6
	s_andn2_b64 s[4:5], s[4:5], exec
	s_and_b64 s[8:9], vcc, exec
	v_mov_b32_e32 v2, 0
	s_or_b64 s[4:5], s[4:5], s[8:9]
	s_or_b64 exec, exec, s[6:7]
	s_and_saveexec_b64 s[6:7], s[4:5]
	s_cbranch_execz .LBB2_31321
; %bb.55475:
	s_getpc_b64 s[14:15]
.Lpost_getpc31321:
	s_add_u32 s14, s14, (.LBB2_5299-.Lpost_getpc31321)&4294967295
	s_addc_u32 s15, s15, (.LBB2_5299-.Lpost_getpc31321)>>32
	s_setpc_b64 s[14:15]
.LBB2_31321:
	s_getpc_b64 s[14:15]
.Lpost_getpc19244:
	s_add_u32 s14, s14, (.LBB2_5300-.Lpost_getpc19244)&4294967295
	s_addc_u32 s15, s15, (.LBB2_5300-.Lpost_getpc19244)>>32
	s_setpc_b64 s[14:15]
.LBB2_19637:
	s_movk_i32 s4, 0x80
	v_cmp_eq_u16_e32 vcc, s4, v6
	s_mov_b64 s[4:5], -1
                                        ; implicit-def: $sgpr10
	s_and_saveexec_b64 s[8:9], vcc
; %bb.19638:
	s_mov_b32 s10, 0x7f800001
	s_xor_b64 s[4:5], exec, -1
; %bb.19639:
	s_or_b64 exec, exec, s[8:9]
	s_and_b64 s[4:5], s[4:5], exec
                                        ; implicit-def: $vgpr6
	s_or_saveexec_b64 s[6:7], s[6:7]
	v_mov_b32_e32 v12, s10
	s_xor_b64 exec, exec, s[6:7]
	s_cbranch_execnz .LBB2_19640
; %bb.55477:
	s_getpc_b64 s[14:15]
.Lpost_getpc31322:
	s_add_u32 s14, s14, (.LBB2_5302-.Lpost_getpc31322)&4294967295
	s_addc_u32 s15, s15, (.LBB2_5302-.Lpost_getpc31322)>>32
	s_setpc_b64 s[14:15]
.LBB2_19640:
	v_cmp_ne_u16_e32 vcc, 0, v6
	s_andn2_b64 s[4:5], s[4:5], exec
	s_and_b64 s[8:9], vcc, exec
	v_mov_b32_e32 v12, 0
	s_or_b64 s[4:5], s[4:5], s[8:9]
	s_or_b64 exec, exec, s[6:7]
	s_and_saveexec_b64 s[6:7], s[4:5]
	s_cbranch_execz .LBB2_31323
; %bb.55479:
	s_getpc_b64 s[14:15]
.Lpost_getpc31323:
	s_add_u32 s14, s14, (.LBB2_5303-.Lpost_getpc31323)&4294967295
	s_addc_u32 s15, s15, (.LBB2_5303-.Lpost_getpc31323)>>32
	s_setpc_b64 s[14:15]
.LBB2_31323:
	s_getpc_b64 s[14:15]
.Lpost_getpc19245:
	s_add_u32 s14, s14, (.LBB2_5304-.Lpost_getpc19245)&4294967295
	s_addc_u32 s15, s15, (.LBB2_5304-.Lpost_getpc19245)>>32
	s_setpc_b64 s[14:15]
.LBB2_19641:
	s_movk_i32 s4, 0x80
	v_cmp_eq_u16_sdwa s[12:13], v7, s4 src0_sel:BYTE_3 src1_sel:DWORD
	s_mov_b64 s[4:5], -1
                                        ; implicit-def: $sgpr10
	s_and_saveexec_b64 s[8:9], s[12:13]
; %bb.19642:
	s_mov_b32 s10, 0x7f800001
	s_xor_b64 s[4:5], exec, -1
; %bb.19643:
	s_or_b64 exec, exec, s[8:9]
	s_and_b64 s[4:5], s[4:5], exec
	s_or_saveexec_b64 s[6:7], s[6:7]
	v_mov_b32_e32 v2, s10
	s_xor_b64 exec, exec, s[6:7]
	s_cbranch_execnz .LBB2_19644
; %bb.55481:
	s_getpc_b64 s[14:15]
.Lpost_getpc31324:
	s_add_u32 s14, s14, (.LBB2_5306-.Lpost_getpc31324)&4294967295
	s_addc_u32 s15, s15, (.LBB2_5306-.Lpost_getpc31324)>>32
	s_setpc_b64 s[14:15]
.LBB2_19644:
	v_mov_b32_e32 v2, 0
	v_cmp_ne_u16_sdwa s[8:9], v7, v2 src0_sel:BYTE_3 src1_sel:DWORD
	s_andn2_b64 s[4:5], s[4:5], exec
	s_and_b64 s[8:9], s[8:9], exec
	s_or_b64 s[4:5], s[4:5], s[8:9]
	s_or_b64 exec, exec, s[6:7]
	s_and_saveexec_b64 s[6:7], s[4:5]
	s_cbranch_execz .LBB2_31325
; %bb.55483:
	s_getpc_b64 s[14:15]
.Lpost_getpc31325:
	s_add_u32 s14, s14, (.LBB2_5307-.Lpost_getpc31325)&4294967295
	s_addc_u32 s15, s15, (.LBB2_5307-.Lpost_getpc31325)>>32
	s_setpc_b64 s[14:15]
.LBB2_31325:
	s_getpc_b64 s[14:15]
.Lpost_getpc19246:
	s_add_u32 s14, s14, (.LBB2_5308-.Lpost_getpc19246)&4294967295
	s_addc_u32 s15, s15, (.LBB2_5308-.Lpost_getpc19246)>>32
	s_setpc_b64 s[14:15]
.LBB2_19645:
	s_movk_i32 s4, 0x80
	v_cmp_eq_u16_sdwa s[12:13], v3, s4 src0_sel:BYTE_3 src1_sel:DWORD
	s_mov_b64 s[4:5], -1
                                        ; implicit-def: $sgpr10
	s_and_saveexec_b64 s[8:9], s[12:13]
; %bb.19646:
	s_mov_b32 s10, 0x7f800001
	s_xor_b64 s[4:5], exec, -1
; %bb.19647:
	s_or_b64 exec, exec, s[8:9]
	s_and_b64 s[4:5], s[4:5], exec
	s_or_saveexec_b64 s[6:7], s[6:7]
	v_mov_b32_e32 v6, s10
	s_xor_b64 exec, exec, s[6:7]
	s_cbranch_execnz .LBB2_19648
; %bb.55485:
	s_getpc_b64 s[14:15]
.Lpost_getpc31326:
	s_add_u32 s14, s14, (.LBB2_5310-.Lpost_getpc31326)&4294967295
	s_addc_u32 s15, s15, (.LBB2_5310-.Lpost_getpc31326)>>32
	s_setpc_b64 s[14:15]
.LBB2_19648:
	v_mov_b32_e32 v6, 0
	v_cmp_ne_u16_sdwa s[8:9], v3, v6 src0_sel:BYTE_3 src1_sel:DWORD
	s_andn2_b64 s[4:5], s[4:5], exec
	s_and_b64 s[8:9], s[8:9], exec
	s_or_b64 s[4:5], s[4:5], s[8:9]
	s_or_b64 exec, exec, s[6:7]
	s_and_saveexec_b64 s[6:7], s[4:5]
	s_cbranch_execz .LBB2_31327
; %bb.55487:
	s_getpc_b64 s[14:15]
.Lpost_getpc31327:
	s_add_u32 s14, s14, (.LBB2_5311-.Lpost_getpc31327)&4294967295
	s_addc_u32 s15, s15, (.LBB2_5311-.Lpost_getpc31327)>>32
	s_setpc_b64 s[14:15]
.LBB2_31327:
	s_getpc_b64 s[14:15]
.Lpost_getpc19247:
	s_add_u32 s14, s14, (.LBB2_5312-.Lpost_getpc19247)&4294967295
	s_addc_u32 s15, s15, (.LBB2_5312-.Lpost_getpc19247)>>32
	s_setpc_b64 s[14:15]
.LBB2_19649:
	s_movk_i32 s4, 0x80
	v_cmp_eq_u16_sdwa s[12:13], v8, s4 src0_sel:BYTE_0 src1_sel:DWORD
	s_mov_b64 s[4:5], -1
                                        ; implicit-def: $sgpr10
	s_and_saveexec_b64 s[8:9], s[12:13]
; %bb.19650:
	s_mov_b32 s10, 0x7f800001
	s_xor_b64 s[4:5], exec, -1
; %bb.19651:
	s_or_b64 exec, exec, s[8:9]
	s_and_b64 s[4:5], s[4:5], exec
	s_or_saveexec_b64 s[6:7], s[6:7]
	v_mov_b32_e32 v2, s10
	s_xor_b64 exec, exec, s[6:7]
	s_cbranch_execnz .LBB2_19652
; %bb.55489:
	s_getpc_b64 s[14:15]
.Lpost_getpc31328:
	s_add_u32 s14, s14, (.LBB2_5314-.Lpost_getpc31328)&4294967295
	s_addc_u32 s15, s15, (.LBB2_5314-.Lpost_getpc31328)>>32
	s_setpc_b64 s[14:15]
.LBB2_19652:
	v_mov_b32_e32 v2, 0
	v_cmp_ne_u16_sdwa s[8:9], v8, v2 src0_sel:BYTE_0 src1_sel:DWORD
	s_andn2_b64 s[4:5], s[4:5], exec
	s_and_b64 s[8:9], s[8:9], exec
	s_or_b64 s[4:5], s[4:5], s[8:9]
	s_or_b64 exec, exec, s[6:7]
	s_and_saveexec_b64 s[6:7], s[4:5]
	s_cbranch_execz .LBB2_31329
; %bb.55491:
	s_getpc_b64 s[14:15]
.Lpost_getpc31329:
	s_add_u32 s14, s14, (.LBB2_5315-.Lpost_getpc31329)&4294967295
	s_addc_u32 s15, s15, (.LBB2_5315-.Lpost_getpc31329)>>32
	s_setpc_b64 s[14:15]
.LBB2_31329:
	s_getpc_b64 s[14:15]
.Lpost_getpc19248:
	s_add_u32 s14, s14, (.LBB2_5316-.Lpost_getpc19248)&4294967295
	s_addc_u32 s15, s15, (.LBB2_5316-.Lpost_getpc19248)>>32
	s_setpc_b64 s[14:15]
.LBB2_19653:
	s_movk_i32 s4, 0x80
	v_cmp_eq_u16_sdwa s[12:13], v4, s4 src0_sel:BYTE_0 src1_sel:DWORD
	s_mov_b64 s[4:5], -1
                                        ; implicit-def: $sgpr10
	s_and_saveexec_b64 s[8:9], s[12:13]
; %bb.19654:
	s_mov_b32 s10, 0x7f800001
	s_xor_b64 s[4:5], exec, -1
; %bb.19655:
	s_or_b64 exec, exec, s[8:9]
	s_and_b64 s[4:5], s[4:5], exec
	s_or_saveexec_b64 s[6:7], s[6:7]
	v_mov_b32_e32 v3, s10
	s_xor_b64 exec, exec, s[6:7]
	s_cbranch_execnz .LBB2_19656
; %bb.55493:
	s_getpc_b64 s[14:15]
.Lpost_getpc31330:
	s_add_u32 s14, s14, (.LBB2_5318-.Lpost_getpc31330)&4294967295
	s_addc_u32 s15, s15, (.LBB2_5318-.Lpost_getpc31330)>>32
	s_setpc_b64 s[14:15]
.LBB2_19656:
	v_mov_b32_e32 v3, 0
	v_cmp_ne_u16_sdwa s[8:9], v4, v3 src0_sel:BYTE_0 src1_sel:DWORD
	s_andn2_b64 s[4:5], s[4:5], exec
	s_and_b64 s[8:9], s[8:9], exec
	s_or_b64 s[4:5], s[4:5], s[8:9]
	s_or_b64 exec, exec, s[6:7]
	s_and_saveexec_b64 s[6:7], s[4:5]
	s_cbranch_execz .LBB2_31331
; %bb.55495:
	s_getpc_b64 s[14:15]
.Lpost_getpc31331:
	s_add_u32 s14, s14, (.LBB2_5319-.Lpost_getpc31331)&4294967295
	s_addc_u32 s15, s15, (.LBB2_5319-.Lpost_getpc31331)>>32
	s_setpc_b64 s[14:15]
.LBB2_31331:
	s_getpc_b64 s[14:15]
.Lpost_getpc19249:
	s_add_u32 s14, s14, (.LBB2_5320-.Lpost_getpc19249)&4294967295
	s_addc_u32 s15, s15, (.LBB2_5320-.Lpost_getpc19249)>>32
	s_setpc_b64 s[14:15]
.LBB2_19657:
	s_movk_i32 s4, 0x80
	v_cmp_eq_u16_sdwa s[12:13], v3, s4 src0_sel:BYTE_0 src1_sel:DWORD
	s_mov_b64 s[4:5], -1
                                        ; implicit-def: $sgpr10
	s_and_saveexec_b64 s[8:9], s[12:13]
; %bb.19658:
	s_mov_b32 s10, 0x7f800001
	s_xor_b64 s[4:5], exec, -1
; %bb.19659:
	s_or_b64 exec, exec, s[8:9]
	s_and_b64 s[4:5], s[4:5], exec
	s_or_saveexec_b64 s[6:7], s[6:7]
	v_mov_b32_e32 v2, s10
	s_xor_b64 exec, exec, s[6:7]
	s_cbranch_execnz .LBB2_19660
; %bb.55497:
	s_getpc_b64 s[14:15]
.Lpost_getpc31332:
	s_add_u32 s14, s14, (.LBB2_5322-.Lpost_getpc31332)&4294967295
	s_addc_u32 s15, s15, (.LBB2_5322-.Lpost_getpc31332)>>32
	s_setpc_b64 s[14:15]
.LBB2_19660:
	v_mov_b32_e32 v2, 0
	v_cmp_ne_u16_sdwa s[8:9], v3, v2 src0_sel:BYTE_0 src1_sel:DWORD
	s_andn2_b64 s[4:5], s[4:5], exec
	s_and_b64 s[8:9], s[8:9], exec
	s_or_b64 s[4:5], s[4:5], s[8:9]
	s_or_b64 exec, exec, s[6:7]
	s_and_saveexec_b64 s[6:7], s[4:5]
	s_cbranch_execz .LBB2_31333
; %bb.55499:
	s_getpc_b64 s[14:15]
.Lpost_getpc31333:
	s_add_u32 s14, s14, (.LBB2_5323-.Lpost_getpc31333)&4294967295
	s_addc_u32 s15, s15, (.LBB2_5323-.Lpost_getpc31333)>>32
	s_setpc_b64 s[14:15]
.LBB2_31333:
	s_getpc_b64 s[14:15]
.Lpost_getpc19250:
	s_add_u32 s14, s14, (.LBB2_5324-.Lpost_getpc19250)&4294967295
	s_addc_u32 s15, s15, (.LBB2_5324-.Lpost_getpc19250)>>32
	s_setpc_b64 s[14:15]
.LBB2_19661:
	s_movk_i32 s4, 0x80
	v_cmp_eq_u16_sdwa s[12:13], v3, s4 src0_sel:BYTE_0 src1_sel:DWORD
	s_mov_b64 s[4:5], -1
                                        ; implicit-def: $sgpr10
	s_and_saveexec_b64 s[8:9], s[12:13]
; %bb.19662:
	s_mov_b32 s10, 0x7f800001
	s_xor_b64 s[4:5], exec, -1
; %bb.19663:
	s_or_b64 exec, exec, s[8:9]
	s_and_b64 s[4:5], s[4:5], exec
	s_or_saveexec_b64 s[6:7], s[6:7]
	v_mov_b32_e32 v6, s10
	s_xor_b64 exec, exec, s[6:7]
	s_cbranch_execnz .LBB2_19664
; %bb.55501:
	s_getpc_b64 s[14:15]
.Lpost_getpc31334:
	s_add_u32 s14, s14, (.LBB2_5326-.Lpost_getpc31334)&4294967295
	s_addc_u32 s15, s15, (.LBB2_5326-.Lpost_getpc31334)>>32
	s_setpc_b64 s[14:15]
.LBB2_19664:
	v_mov_b32_e32 v6, 0
	v_cmp_ne_u16_sdwa s[8:9], v3, v6 src0_sel:BYTE_0 src1_sel:DWORD
	s_andn2_b64 s[4:5], s[4:5], exec
	s_and_b64 s[8:9], s[8:9], exec
	s_or_b64 s[4:5], s[4:5], s[8:9]
	s_or_b64 exec, exec, s[6:7]
	s_and_saveexec_b64 s[6:7], s[4:5]
	s_cbranch_execz .LBB2_31335
; %bb.55503:
	s_getpc_b64 s[14:15]
.Lpost_getpc31335:
	s_add_u32 s14, s14, (.LBB2_5327-.Lpost_getpc31335)&4294967295
	s_addc_u32 s15, s15, (.LBB2_5327-.Lpost_getpc31335)>>32
	s_setpc_b64 s[14:15]
.LBB2_31335:
	s_getpc_b64 s[14:15]
.Lpost_getpc19251:
	s_add_u32 s14, s14, (.LBB2_5328-.Lpost_getpc19251)&4294967295
	s_addc_u32 s15, s15, (.LBB2_5328-.Lpost_getpc19251)>>32
	s_setpc_b64 s[14:15]
.LBB2_19665:
	s_movk_i32 s4, 0x80
	v_cmp_eq_u16_e32 vcc, s4, v3
	s_mov_b64 s[4:5], -1
                                        ; implicit-def: $sgpr10
	s_and_saveexec_b64 s[8:9], vcc
; %bb.19666:
	s_mov_b32 s10, 0x7f800001
	s_xor_b64 s[4:5], exec, -1
; %bb.19667:
	s_or_b64 exec, exec, s[8:9]
	s_and_b64 s[4:5], s[4:5], exec
                                        ; implicit-def: $vgpr3
	s_or_saveexec_b64 s[6:7], s[6:7]
	v_mov_b32_e32 v2, s10
	s_xor_b64 exec, exec, s[6:7]
	s_cbranch_execnz .LBB2_19668
; %bb.55505:
	s_getpc_b64 s[14:15]
.Lpost_getpc31336:
	s_add_u32 s14, s14, (.LBB2_5330-.Lpost_getpc31336)&4294967295
	s_addc_u32 s15, s15, (.LBB2_5330-.Lpost_getpc31336)>>32
	s_setpc_b64 s[14:15]
.LBB2_19668:
	v_cmp_ne_u16_e32 vcc, 0, v3
	s_andn2_b64 s[4:5], s[4:5], exec
	s_and_b64 s[8:9], vcc, exec
	v_mov_b32_e32 v2, 0
	s_or_b64 s[4:5], s[4:5], s[8:9]
	s_or_b64 exec, exec, s[6:7]
	s_and_saveexec_b64 s[6:7], s[4:5]
	s_cbranch_execz .LBB2_31337
; %bb.55507:
	s_getpc_b64 s[14:15]
.Lpost_getpc31337:
	s_add_u32 s14, s14, (.LBB2_5331-.Lpost_getpc31337)&4294967295
	s_addc_u32 s15, s15, (.LBB2_5331-.Lpost_getpc31337)>>32
	s_setpc_b64 s[14:15]
.LBB2_31337:
	s_getpc_b64 s[14:15]
.Lpost_getpc19252:
	s_add_u32 s14, s14, (.LBB2_5332-.Lpost_getpc19252)&4294967295
	s_addc_u32 s15, s15, (.LBB2_5332-.Lpost_getpc19252)>>32
	s_setpc_b64 s[14:15]
.LBB2_19669:
	s_movk_i32 s4, 0x80
	v_cmp_eq_u16_e32 vcc, s4, v3
	s_mov_b64 s[4:5], -1
                                        ; implicit-def: $sgpr10
	s_and_saveexec_b64 s[8:9], vcc
; %bb.19670:
	s_mov_b32 s10, 0x7f800001
	s_xor_b64 s[4:5], exec, -1
; %bb.19671:
	s_or_b64 exec, exec, s[8:9]
	s_and_b64 s[4:5], s[4:5], exec
                                        ; implicit-def: $vgpr3
	s_or_saveexec_b64 s[6:7], s[6:7]
	v_mov_b32_e32 v6, s10
	s_xor_b64 exec, exec, s[6:7]
	s_cbranch_execnz .LBB2_19672
; %bb.55509:
	s_getpc_b64 s[14:15]
.Lpost_getpc31338:
	s_add_u32 s14, s14, (.LBB2_5334-.Lpost_getpc31338)&4294967295
	s_addc_u32 s15, s15, (.LBB2_5334-.Lpost_getpc31338)>>32
	s_setpc_b64 s[14:15]
.LBB2_19672:
	v_cmp_ne_u16_e32 vcc, 0, v3
	s_andn2_b64 s[4:5], s[4:5], exec
	s_and_b64 s[8:9], vcc, exec
	v_mov_b32_e32 v6, 0
	s_or_b64 s[4:5], s[4:5], s[8:9]
	s_or_b64 exec, exec, s[6:7]
	s_and_saveexec_b64 s[6:7], s[4:5]
	s_cbranch_execz .LBB2_31339
; %bb.55511:
	s_getpc_b64 s[14:15]
.Lpost_getpc31339:
	s_add_u32 s14, s14, (.LBB2_5335-.Lpost_getpc31339)&4294967295
	s_addc_u32 s15, s15, (.LBB2_5335-.Lpost_getpc31339)>>32
	s_setpc_b64 s[14:15]
.LBB2_31339:
	s_getpc_b64 s[14:15]
.Lpost_getpc19253:
	s_add_u32 s14, s14, (.LBB2_5336-.Lpost_getpc19253)&4294967295
	s_addc_u32 s15, s15, (.LBB2_5336-.Lpost_getpc19253)>>32
	s_setpc_b64 s[14:15]
.LBB2_19673:
	s_movk_i32 s4, 0x80
	v_cmp_eq_u16_sdwa s[12:13], v8, s4 src0_sel:BYTE_3 src1_sel:DWORD
	s_mov_b64 s[4:5], -1
                                        ; implicit-def: $sgpr10
	s_and_saveexec_b64 s[8:9], s[12:13]
; %bb.19674:
	s_mov_b32 s10, 0x7f800001
	s_xor_b64 s[4:5], exec, -1
; %bb.19675:
	s_or_b64 exec, exec, s[8:9]
	s_and_b64 s[4:5], s[4:5], exec
	s_or_saveexec_b64 s[6:7], s[6:7]
	v_mov_b32_e32 v2, s10
	s_xor_b64 exec, exec, s[6:7]
	s_cbranch_execnz .LBB2_19676
; %bb.55513:
	s_getpc_b64 s[14:15]
.Lpost_getpc31340:
	s_add_u32 s14, s14, (.LBB2_5338-.Lpost_getpc31340)&4294967295
	s_addc_u32 s15, s15, (.LBB2_5338-.Lpost_getpc31340)>>32
	s_setpc_b64 s[14:15]
.LBB2_19676:
	v_mov_b32_e32 v2, 0
	v_cmp_ne_u16_sdwa s[8:9], v8, v2 src0_sel:BYTE_3 src1_sel:DWORD
	s_andn2_b64 s[4:5], s[4:5], exec
	s_and_b64 s[8:9], s[8:9], exec
	s_or_b64 s[4:5], s[4:5], s[8:9]
	s_or_b64 exec, exec, s[6:7]
	s_and_saveexec_b64 s[6:7], s[4:5]
	s_cbranch_execz .LBB2_31341
; %bb.55515:
	s_getpc_b64 s[14:15]
.Lpost_getpc31341:
	s_add_u32 s14, s14, (.LBB2_5339-.Lpost_getpc31341)&4294967295
	s_addc_u32 s15, s15, (.LBB2_5339-.Lpost_getpc31341)>>32
	s_setpc_b64 s[14:15]
.LBB2_31341:
	s_getpc_b64 s[14:15]
.Lpost_getpc19254:
	s_add_u32 s14, s14, (.LBB2_5340-.Lpost_getpc19254)&4294967295
	s_addc_u32 s15, s15, (.LBB2_5340-.Lpost_getpc19254)>>32
	s_setpc_b64 s[14:15]
.LBB2_19677:
	s_movk_i32 s4, 0x80
	v_cmp_eq_u16_sdwa s[12:13], v4, s4 src0_sel:BYTE_3 src1_sel:DWORD
	s_mov_b64 s[4:5], -1
                                        ; implicit-def: $sgpr10
	s_and_saveexec_b64 s[8:9], s[12:13]
; %bb.19678:
	s_mov_b32 s10, 0x7f800001
	s_xor_b64 s[4:5], exec, -1
; %bb.19679:
	s_or_b64 exec, exec, s[8:9]
	s_and_b64 s[4:5], s[4:5], exec
	s_or_saveexec_b64 s[6:7], s[6:7]
	v_mov_b32_e32 v3, s10
	s_xor_b64 exec, exec, s[6:7]
	s_cbranch_execnz .LBB2_19680
; %bb.55517:
	s_getpc_b64 s[14:15]
.Lpost_getpc31342:
	s_add_u32 s14, s14, (.LBB2_5342-.Lpost_getpc31342)&4294967295
	s_addc_u32 s15, s15, (.LBB2_5342-.Lpost_getpc31342)>>32
	s_setpc_b64 s[14:15]
.LBB2_19680:
	v_mov_b32_e32 v3, 0
	v_cmp_ne_u16_sdwa s[8:9], v4, v3 src0_sel:BYTE_3 src1_sel:DWORD
	s_andn2_b64 s[4:5], s[4:5], exec
	s_and_b64 s[8:9], s[8:9], exec
	s_or_b64 s[4:5], s[4:5], s[8:9]
	s_or_b64 exec, exec, s[6:7]
	s_and_saveexec_b64 s[6:7], s[4:5]
	s_cbranch_execz .LBB2_31343
; %bb.55519:
	s_getpc_b64 s[14:15]
.Lpost_getpc31343:
	s_add_u32 s14, s14, (.LBB2_5343-.Lpost_getpc31343)&4294967295
	s_addc_u32 s15, s15, (.LBB2_5343-.Lpost_getpc31343)>>32
	s_setpc_b64 s[14:15]
.LBB2_31343:
	s_getpc_b64 s[14:15]
.Lpost_getpc19255:
	s_add_u32 s14, s14, (.LBB2_5344-.Lpost_getpc19255)&4294967295
	s_addc_u32 s15, s15, (.LBB2_5344-.Lpost_getpc19255)>>32
	s_setpc_b64 s[14:15]
.LBB2_19681:
	s_movk_i32 s4, 0x80
	v_cmp_eq_u16_sdwa s[12:13], v9, s4 src0_sel:BYTE_0 src1_sel:DWORD
	s_mov_b64 s[4:5], -1
                                        ; implicit-def: $sgpr10
	s_and_saveexec_b64 s[8:9], s[12:13]
; %bb.19682:
	s_mov_b32 s10, 0x7f800001
	s_xor_b64 s[4:5], exec, -1
; %bb.19683:
	s_or_b64 exec, exec, s[8:9]
	s_and_b64 s[4:5], s[4:5], exec
	s_or_saveexec_b64 s[6:7], s[6:7]
	v_mov_b32_e32 v2, s10
	s_xor_b64 exec, exec, s[6:7]
	s_cbranch_execnz .LBB2_19684
; %bb.55521:
	s_getpc_b64 s[14:15]
.Lpost_getpc31344:
	s_add_u32 s14, s14, (.LBB2_5346-.Lpost_getpc31344)&4294967295
	s_addc_u32 s15, s15, (.LBB2_5346-.Lpost_getpc31344)>>32
	s_setpc_b64 s[14:15]
.LBB2_19684:
	v_mov_b32_e32 v2, 0
	v_cmp_ne_u16_sdwa s[8:9], v9, v2 src0_sel:BYTE_0 src1_sel:DWORD
	s_andn2_b64 s[4:5], s[4:5], exec
	s_and_b64 s[8:9], s[8:9], exec
	s_or_b64 s[4:5], s[4:5], s[8:9]
	s_or_b64 exec, exec, s[6:7]
	s_and_saveexec_b64 s[6:7], s[4:5]
	s_cbranch_execz .LBB2_31345
; %bb.55523:
	s_getpc_b64 s[14:15]
.Lpost_getpc31345:
	s_add_u32 s14, s14, (.LBB2_5347-.Lpost_getpc31345)&4294967295
	s_addc_u32 s15, s15, (.LBB2_5347-.Lpost_getpc31345)>>32
	s_setpc_b64 s[14:15]
.LBB2_31345:
	s_getpc_b64 s[14:15]
.Lpost_getpc19256:
	s_add_u32 s14, s14, (.LBB2_5348-.Lpost_getpc19256)&4294967295
	s_addc_u32 s15, s15, (.LBB2_5348-.Lpost_getpc19256)>>32
	s_setpc_b64 s[14:15]
.LBB2_19685:
	s_movk_i32 s4, 0x80
	v_cmp_eq_u16_sdwa s[12:13], v5, s4 src0_sel:BYTE_0 src1_sel:DWORD
	s_mov_b64 s[4:5], -1
                                        ; implicit-def: $sgpr10
	s_and_saveexec_b64 s[8:9], s[12:13]
; %bb.19686:
	s_mov_b32 s10, 0x7f800001
	s_xor_b64 s[4:5], exec, -1
; %bb.19687:
	s_or_b64 exec, exec, s[8:9]
	s_and_b64 s[4:5], s[4:5], exec
	s_or_saveexec_b64 s[6:7], s[6:7]
	v_mov_b32_e32 v3, s10
	s_xor_b64 exec, exec, s[6:7]
	s_cbranch_execnz .LBB2_19688
; %bb.55525:
	s_getpc_b64 s[14:15]
.Lpost_getpc31346:
	s_add_u32 s14, s14, (.LBB2_5350-.Lpost_getpc31346)&4294967295
	s_addc_u32 s15, s15, (.LBB2_5350-.Lpost_getpc31346)>>32
	s_setpc_b64 s[14:15]
.LBB2_19688:
	v_mov_b32_e32 v3, 0
	v_cmp_ne_u16_sdwa s[8:9], v5, v3 src0_sel:BYTE_0 src1_sel:DWORD
	s_andn2_b64 s[4:5], s[4:5], exec
	s_and_b64 s[8:9], s[8:9], exec
	s_or_b64 s[4:5], s[4:5], s[8:9]
	s_or_b64 exec, exec, s[6:7]
	s_and_saveexec_b64 s[6:7], s[4:5]
	s_cbranch_execz .LBB2_31347
; %bb.55527:
	s_getpc_b64 s[14:15]
.Lpost_getpc31347:
	s_add_u32 s14, s14, (.LBB2_5351-.Lpost_getpc31347)&4294967295
	s_addc_u32 s15, s15, (.LBB2_5351-.Lpost_getpc31347)>>32
	s_setpc_b64 s[14:15]
.LBB2_31347:
	s_getpc_b64 s[14:15]
.Lpost_getpc19257:
	s_add_u32 s14, s14, (.LBB2_5352-.Lpost_getpc19257)&4294967295
	s_addc_u32 s15, s15, (.LBB2_5352-.Lpost_getpc19257)>>32
	s_setpc_b64 s[14:15]
.LBB2_19689:
	s_movk_i32 s4, 0x80
	v_cmp_eq_u16_sdwa s[12:13], v3, s4 src0_sel:BYTE_0 src1_sel:DWORD
	s_mov_b64 s[4:5], -1
                                        ; implicit-def: $sgpr10
	s_and_saveexec_b64 s[8:9], s[12:13]
; %bb.19690:
	s_mov_b32 s10, 0x7f800001
	s_xor_b64 s[4:5], exec, -1
; %bb.19691:
	s_or_b64 exec, exec, s[8:9]
	s_and_b64 s[4:5], s[4:5], exec
	s_or_saveexec_b64 s[6:7], s[6:7]
	v_mov_b32_e32 v2, s10
	s_xor_b64 exec, exec, s[6:7]
	s_cbranch_execnz .LBB2_19692
; %bb.55529:
	s_getpc_b64 s[14:15]
.Lpost_getpc31348:
	s_add_u32 s14, s14, (.LBB2_5354-.Lpost_getpc31348)&4294967295
	s_addc_u32 s15, s15, (.LBB2_5354-.Lpost_getpc31348)>>32
	s_setpc_b64 s[14:15]
.LBB2_19692:
	v_mov_b32_e32 v2, 0
	v_cmp_ne_u16_sdwa s[8:9], v3, v2 src0_sel:BYTE_0 src1_sel:DWORD
	s_andn2_b64 s[4:5], s[4:5], exec
	s_and_b64 s[8:9], s[8:9], exec
	s_or_b64 s[4:5], s[4:5], s[8:9]
	s_or_b64 exec, exec, s[6:7]
	s_and_saveexec_b64 s[6:7], s[4:5]
	s_cbranch_execz .LBB2_31349
; %bb.55531:
	s_getpc_b64 s[14:15]
.Lpost_getpc31349:
	s_add_u32 s14, s14, (.LBB2_5355-.Lpost_getpc31349)&4294967295
	s_addc_u32 s15, s15, (.LBB2_5355-.Lpost_getpc31349)>>32
	s_setpc_b64 s[14:15]
.LBB2_31349:
	s_getpc_b64 s[14:15]
.Lpost_getpc19258:
	s_add_u32 s14, s14, (.LBB2_5356-.Lpost_getpc19258)&4294967295
	s_addc_u32 s15, s15, (.LBB2_5356-.Lpost_getpc19258)>>32
	s_setpc_b64 s[14:15]
.LBB2_19693:
	s_movk_i32 s4, 0x80
	v_cmp_eq_u16_sdwa s[12:13], v3, s4 src0_sel:BYTE_0 src1_sel:DWORD
	s_mov_b64 s[4:5], -1
                                        ; implicit-def: $sgpr10
	s_and_saveexec_b64 s[8:9], s[12:13]
; %bb.19694:
	s_mov_b32 s10, 0x7f800001
	s_xor_b64 s[4:5], exec, -1
; %bb.19695:
	s_or_b64 exec, exec, s[8:9]
	s_and_b64 s[4:5], s[4:5], exec
	s_or_saveexec_b64 s[6:7], s[6:7]
	v_mov_b32_e32 v4, s10
	s_xor_b64 exec, exec, s[6:7]
	s_cbranch_execnz .LBB2_19696
; %bb.55533:
	s_getpc_b64 s[14:15]
.Lpost_getpc31350:
	s_add_u32 s14, s14, (.LBB2_5358-.Lpost_getpc31350)&4294967295
	s_addc_u32 s15, s15, (.LBB2_5358-.Lpost_getpc31350)>>32
	s_setpc_b64 s[14:15]
.LBB2_19696:
	v_mov_b32_e32 v4, 0
	v_cmp_ne_u16_sdwa s[8:9], v3, v4 src0_sel:BYTE_0 src1_sel:DWORD
	s_andn2_b64 s[4:5], s[4:5], exec
	s_and_b64 s[8:9], s[8:9], exec
	s_or_b64 s[4:5], s[4:5], s[8:9]
	s_or_b64 exec, exec, s[6:7]
	s_and_saveexec_b64 s[6:7], s[4:5]
	s_cbranch_execz .LBB2_31351
; %bb.55535:
	s_getpc_b64 s[14:15]
.Lpost_getpc31351:
	s_add_u32 s14, s14, (.LBB2_5359-.Lpost_getpc31351)&4294967295
	s_addc_u32 s15, s15, (.LBB2_5359-.Lpost_getpc31351)>>32
	s_setpc_b64 s[14:15]
.LBB2_31351:
	s_getpc_b64 s[14:15]
.Lpost_getpc19259:
	s_add_u32 s14, s14, (.LBB2_5360-.Lpost_getpc19259)&4294967295
	s_addc_u32 s15, s15, (.LBB2_5360-.Lpost_getpc19259)>>32
	s_setpc_b64 s[14:15]
.LBB2_19697:
	s_movk_i32 s4, 0x80
	v_cmp_eq_u16_e32 vcc, s4, v3
	s_mov_b64 s[4:5], -1
                                        ; implicit-def: $sgpr10
	s_and_saveexec_b64 s[8:9], vcc
; %bb.19698:
	s_mov_b32 s10, 0x7f800001
	s_xor_b64 s[4:5], exec, -1
; %bb.19699:
	s_or_b64 exec, exec, s[8:9]
	s_and_b64 s[4:5], s[4:5], exec
                                        ; implicit-def: $vgpr3
	s_or_saveexec_b64 s[6:7], s[6:7]
	v_mov_b32_e32 v2, s10
	s_xor_b64 exec, exec, s[6:7]
	s_cbranch_execnz .LBB2_19700
; %bb.55537:
	s_getpc_b64 s[14:15]
.Lpost_getpc31352:
	s_add_u32 s14, s14, (.LBB2_5362-.Lpost_getpc31352)&4294967295
	s_addc_u32 s15, s15, (.LBB2_5362-.Lpost_getpc31352)>>32
	s_setpc_b64 s[14:15]
.LBB2_19700:
	v_cmp_ne_u16_e32 vcc, 0, v3
	s_andn2_b64 s[4:5], s[4:5], exec
	s_and_b64 s[8:9], vcc, exec
	v_mov_b32_e32 v2, 0
	s_or_b64 s[4:5], s[4:5], s[8:9]
	s_or_b64 exec, exec, s[6:7]
	s_and_saveexec_b64 s[6:7], s[4:5]
	s_cbranch_execz .LBB2_31353
; %bb.55539:
	s_getpc_b64 s[14:15]
.Lpost_getpc31353:
	s_add_u32 s14, s14, (.LBB2_5363-.Lpost_getpc31353)&4294967295
	s_addc_u32 s15, s15, (.LBB2_5363-.Lpost_getpc31353)>>32
	s_setpc_b64 s[14:15]
.LBB2_31353:
	s_getpc_b64 s[14:15]
.Lpost_getpc19260:
	s_add_u32 s14, s14, (.LBB2_5364-.Lpost_getpc19260)&4294967295
	s_addc_u32 s15, s15, (.LBB2_5364-.Lpost_getpc19260)>>32
	s_setpc_b64 s[14:15]
.LBB2_19701:
	s_movk_i32 s4, 0x80
	v_cmp_eq_u16_e32 vcc, s4, v3
	s_mov_b64 s[4:5], -1
                                        ; implicit-def: $sgpr10
	s_and_saveexec_b64 s[8:9], vcc
; %bb.19702:
	s_mov_b32 s10, 0x7f800001
	s_xor_b64 s[4:5], exec, -1
; %bb.19703:
	s_or_b64 exec, exec, s[8:9]
	s_and_b64 s[4:5], s[4:5], exec
                                        ; implicit-def: $vgpr3
	s_or_saveexec_b64 s[6:7], s[6:7]
	v_mov_b32_e32 v4, s10
	s_xor_b64 exec, exec, s[6:7]
	s_cbranch_execnz .LBB2_19704
; %bb.55541:
	s_getpc_b64 s[14:15]
.Lpost_getpc31354:
	s_add_u32 s14, s14, (.LBB2_5366-.Lpost_getpc31354)&4294967295
	s_addc_u32 s15, s15, (.LBB2_5366-.Lpost_getpc31354)>>32
	s_setpc_b64 s[14:15]
.LBB2_19704:
	v_cmp_ne_u16_e32 vcc, 0, v3
	s_andn2_b64 s[4:5], s[4:5], exec
	s_and_b64 s[8:9], vcc, exec
	v_mov_b32_e32 v4, 0
	s_or_b64 s[4:5], s[4:5], s[8:9]
	s_or_b64 exec, exec, s[6:7]
	s_and_saveexec_b64 s[6:7], s[4:5]
	s_cbranch_execz .LBB2_31355
; %bb.55543:
	s_getpc_b64 s[14:15]
.Lpost_getpc31355:
	s_add_u32 s14, s14, (.LBB2_5367-.Lpost_getpc31355)&4294967295
	s_addc_u32 s15, s15, (.LBB2_5367-.Lpost_getpc31355)>>32
	s_setpc_b64 s[14:15]
.LBB2_31355:
	s_getpc_b64 s[14:15]
.Lpost_getpc19261:
	s_add_u32 s14, s14, (.LBB2_5368-.Lpost_getpc19261)&4294967295
	s_addc_u32 s15, s15, (.LBB2_5368-.Lpost_getpc19261)>>32
	s_setpc_b64 s[14:15]
.LBB2_19705:
	s_movk_i32 s4, 0x80
	v_cmp_eq_u16_sdwa s[12:13], v9, s4 src0_sel:BYTE_3 src1_sel:DWORD
	s_mov_b64 s[4:5], -1
                                        ; implicit-def: $sgpr10
	s_and_saveexec_b64 s[8:9], s[12:13]
; %bb.19706:
	s_mov_b32 s10, 0x7f800001
	s_xor_b64 s[4:5], exec, -1
; %bb.19707:
	s_or_b64 exec, exec, s[8:9]
	s_and_b64 s[4:5], s[4:5], exec
	s_or_saveexec_b64 s[6:7], s[6:7]
	v_mov_b32_e32 v2, s10
	s_xor_b64 exec, exec, s[6:7]
	s_cbranch_execnz .LBB2_19708
; %bb.55545:
	s_getpc_b64 s[14:15]
.Lpost_getpc31356:
	s_add_u32 s14, s14, (.LBB2_5370-.Lpost_getpc31356)&4294967295
	s_addc_u32 s15, s15, (.LBB2_5370-.Lpost_getpc31356)>>32
	s_setpc_b64 s[14:15]
.LBB2_19708:
	v_mov_b32_e32 v2, 0
	v_cmp_ne_u16_sdwa s[8:9], v9, v2 src0_sel:BYTE_3 src1_sel:DWORD
	s_andn2_b64 s[4:5], s[4:5], exec
	s_and_b64 s[8:9], s[8:9], exec
	s_or_b64 s[4:5], s[4:5], s[8:9]
	s_or_b64 exec, exec, s[6:7]
	s_and_saveexec_b64 s[6:7], s[4:5]
	s_cbranch_execz .LBB2_31357
; %bb.55547:
	s_getpc_b64 s[14:15]
.Lpost_getpc31357:
	s_add_u32 s14, s14, (.LBB2_5371-.Lpost_getpc31357)&4294967295
	s_addc_u32 s15, s15, (.LBB2_5371-.Lpost_getpc31357)>>32
	s_setpc_b64 s[14:15]
.LBB2_31357:
	s_getpc_b64 s[14:15]
.Lpost_getpc19262:
	s_add_u32 s14, s14, (.LBB2_5372-.Lpost_getpc19262)&4294967295
	s_addc_u32 s15, s15, (.LBB2_5372-.Lpost_getpc19262)>>32
	s_setpc_b64 s[14:15]
.LBB2_19709:
	s_movk_i32 s4, 0x80
	v_cmp_eq_u16_sdwa s[12:13], v5, s4 src0_sel:BYTE_3 src1_sel:DWORD
	s_mov_b64 s[4:5], -1
                                        ; implicit-def: $sgpr10
	s_and_saveexec_b64 s[8:9], s[12:13]
; %bb.19710:
	s_mov_b32 s10, 0x7f800001
	s_xor_b64 s[4:5], exec, -1
; %bb.19711:
	s_or_b64 exec, exec, s[8:9]
	s_and_b64 s[4:5], s[4:5], exec
	s_or_saveexec_b64 s[6:7], s[6:7]
	v_mov_b32_e32 v3, s10
	s_xor_b64 exec, exec, s[6:7]
	s_cbranch_execnz .LBB2_19712
; %bb.55549:
	s_getpc_b64 s[14:15]
.Lpost_getpc31358:
	s_add_u32 s14, s14, (.LBB2_5374-.Lpost_getpc31358)&4294967295
	s_addc_u32 s15, s15, (.LBB2_5374-.Lpost_getpc31358)>>32
	s_setpc_b64 s[14:15]
.LBB2_19712:
	v_mov_b32_e32 v3, 0
	v_cmp_ne_u16_sdwa s[8:9], v5, v3 src0_sel:BYTE_3 src1_sel:DWORD
	s_andn2_b64 s[4:5], s[4:5], exec
	s_and_b64 s[8:9], s[8:9], exec
	s_or_b64 s[4:5], s[4:5], s[8:9]
	s_or_b64 exec, exec, s[6:7]
	s_and_saveexec_b64 s[6:7], s[4:5]
	s_cbranch_execz .LBB2_31359
; %bb.55551:
	s_getpc_b64 s[14:15]
.Lpost_getpc31359:
	s_add_u32 s14, s14, (.LBB2_5375-.Lpost_getpc31359)&4294967295
	s_addc_u32 s15, s15, (.LBB2_5375-.Lpost_getpc31359)>>32
	s_setpc_b64 s[14:15]
.LBB2_31359:
	s_getpc_b64 s[14:15]
.Lpost_getpc19263:
	s_add_u32 s14, s14, (.LBB2_5376-.Lpost_getpc19263)&4294967295
	s_addc_u32 s15, s15, (.LBB2_5376-.Lpost_getpc19263)>>32
	s_setpc_b64 s[14:15]
.LBB2_19713:
	s_movk_i32 s4, 0x80
	v_cmp_eq_u16_sdwa s[12:13], v6, s4 src0_sel:BYTE_0 src1_sel:DWORD
	s_mov_b64 s[4:5], -1
                                        ; implicit-def: $sgpr10
	s_and_saveexec_b64 s[8:9], s[12:13]
; %bb.19714:
	s_mov_b32 s10, 0x7f800001
	s_xor_b64 s[4:5], exec, -1
; %bb.19715:
	s_or_b64 exec, exec, s[8:9]
	s_and_b64 s[4:5], s[4:5], exec
	s_or_saveexec_b64 s[6:7], s[6:7]
	v_mov_b32_e32 v12, s10
	s_xor_b64 exec, exec, s[6:7]
	s_cbranch_execnz .LBB2_19716
; %bb.55553:
	s_getpc_b64 s[14:15]
.Lpost_getpc31360:
	s_add_u32 s14, s14, (.LBB2_5378-.Lpost_getpc31360)&4294967295
	s_addc_u32 s15, s15, (.LBB2_5378-.Lpost_getpc31360)>>32
	s_setpc_b64 s[14:15]
.LBB2_19716:
	v_mov_b32_e32 v12, 0
	v_cmp_ne_u16_sdwa s[8:9], v6, v12 src0_sel:BYTE_0 src1_sel:DWORD
	s_andn2_b64 s[4:5], s[4:5], exec
	s_and_b64 s[8:9], s[8:9], exec
	s_or_b64 s[4:5], s[4:5], s[8:9]
	s_or_b64 exec, exec, s[6:7]
	s_and_saveexec_b64 s[6:7], s[4:5]
	s_cbranch_execz .LBB2_31361
; %bb.55555:
	s_getpc_b64 s[14:15]
.Lpost_getpc31361:
	s_add_u32 s14, s14, (.LBB2_5379-.Lpost_getpc31361)&4294967295
	s_addc_u32 s15, s15, (.LBB2_5379-.Lpost_getpc31361)>>32
	s_setpc_b64 s[14:15]
.LBB2_31361:
	s_getpc_b64 s[14:15]
.Lpost_getpc19264:
	s_add_u32 s14, s14, (.LBB2_5380-.Lpost_getpc19264)&4294967295
	s_addc_u32 s15, s15, (.LBB2_5380-.Lpost_getpc19264)>>32
	s_setpc_b64 s[14:15]
.LBB2_19717:
	s_movk_i32 s4, 0x80
	v_cmp_eq_u16_sdwa s[12:13], v2, s4 src0_sel:BYTE_0 src1_sel:DWORD
	s_mov_b64 s[4:5], -1
                                        ; implicit-def: $sgpr10
	s_and_saveexec_b64 s[8:9], s[12:13]
; %bb.19718:
	s_mov_b32 s10, 0x7f800001
	s_xor_b64 s[4:5], exec, -1
; %bb.19719:
	s_or_b64 exec, exec, s[8:9]
	s_and_b64 s[4:5], s[4:5], exec
	s_or_saveexec_b64 s[6:7], s[6:7]
	v_mov_b32_e32 v13, s10
	s_xor_b64 exec, exec, s[6:7]
	s_cbranch_execnz .LBB2_19720
; %bb.55557:
	s_getpc_b64 s[14:15]
.Lpost_getpc31362:
	s_add_u32 s14, s14, (.LBB2_5382-.Lpost_getpc31362)&4294967295
	s_addc_u32 s15, s15, (.LBB2_5382-.Lpost_getpc31362)>>32
	s_setpc_b64 s[14:15]
.LBB2_19720:
	v_mov_b32_e32 v13, 0
	v_cmp_ne_u16_sdwa s[8:9], v2, v13 src0_sel:BYTE_0 src1_sel:DWORD
	s_andn2_b64 s[4:5], s[4:5], exec
	s_and_b64 s[8:9], s[8:9], exec
	s_or_b64 s[4:5], s[4:5], s[8:9]
	s_or_b64 exec, exec, s[6:7]
	s_and_saveexec_b64 s[6:7], s[4:5]
	s_cbranch_execz .LBB2_31363
; %bb.55559:
	s_getpc_b64 s[14:15]
.Lpost_getpc31363:
	s_add_u32 s14, s14, (.LBB2_5383-.Lpost_getpc31363)&4294967295
	s_addc_u32 s15, s15, (.LBB2_5383-.Lpost_getpc31363)>>32
	s_setpc_b64 s[14:15]
.LBB2_31363:
	s_getpc_b64 s[14:15]
.Lpost_getpc19265:
	s_add_u32 s14, s14, (.LBB2_5384-.Lpost_getpc19265)&4294967295
	s_addc_u32 s15, s15, (.LBB2_5384-.Lpost_getpc19265)>>32
	s_setpc_b64 s[14:15]
.LBB2_19721:
	s_movk_i32 s4, 0x80
	v_cmp_eq_u16_sdwa s[12:13], v13, s4 src0_sel:BYTE_0 src1_sel:DWORD
	s_mov_b64 s[4:5], -1
                                        ; implicit-def: $sgpr10
	s_and_saveexec_b64 s[8:9], s[12:13]
; %bb.19722:
	s_mov_b32 s10, 0x7f800001
	s_xor_b64 s[4:5], exec, -1
; %bb.19723:
	s_or_b64 exec, exec, s[8:9]
	s_and_b64 s[4:5], s[4:5], exec
	s_or_saveexec_b64 s[6:7], s[6:7]
	v_mov_b32_e32 v12, s10
	s_xor_b64 exec, exec, s[6:7]
	s_cbranch_execnz .LBB2_19724
; %bb.55561:
	s_getpc_b64 s[14:15]
.Lpost_getpc31364:
	s_add_u32 s14, s14, (.LBB2_5386-.Lpost_getpc31364)&4294967295
	s_addc_u32 s15, s15, (.LBB2_5386-.Lpost_getpc31364)>>32
	s_setpc_b64 s[14:15]
.LBB2_19724:
	v_mov_b32_e32 v12, 0
	v_cmp_ne_u16_sdwa s[8:9], v13, v12 src0_sel:BYTE_0 src1_sel:DWORD
	s_andn2_b64 s[4:5], s[4:5], exec
	s_and_b64 s[8:9], s[8:9], exec
	s_or_b64 s[4:5], s[4:5], s[8:9]
	s_or_b64 exec, exec, s[6:7]
	s_and_saveexec_b64 s[6:7], s[4:5]
	s_cbranch_execz .LBB2_31365
; %bb.55563:
	s_getpc_b64 s[14:15]
.Lpost_getpc31365:
	s_add_u32 s14, s14, (.LBB2_5387-.Lpost_getpc31365)&4294967295
	s_addc_u32 s15, s15, (.LBB2_5387-.Lpost_getpc31365)>>32
	s_setpc_b64 s[14:15]
.LBB2_31365:
	s_getpc_b64 s[14:15]
.Lpost_getpc19266:
	s_add_u32 s14, s14, (.LBB2_5388-.Lpost_getpc19266)&4294967295
	s_addc_u32 s15, s15, (.LBB2_5388-.Lpost_getpc19266)>>32
	s_setpc_b64 s[14:15]
.LBB2_19725:
	s_movk_i32 s4, 0x80
	v_cmp_eq_u16_sdwa s[12:13], v13, s4 src0_sel:BYTE_0 src1_sel:DWORD
	s_mov_b64 s[4:5], -1
                                        ; implicit-def: $sgpr10
	s_and_saveexec_b64 s[8:9], s[12:13]
; %bb.19726:
	s_mov_b32 s10, 0x7f800001
	s_xor_b64 s[4:5], exec, -1
; %bb.19727:
	s_or_b64 exec, exec, s[8:9]
	s_and_b64 s[4:5], s[4:5], exec
	s_or_saveexec_b64 s[6:7], s[6:7]
	v_mov_b32_e32 v14, s10
	s_xor_b64 exec, exec, s[6:7]
	s_cbranch_execnz .LBB2_19728
; %bb.55565:
	s_getpc_b64 s[14:15]
.Lpost_getpc31366:
	s_add_u32 s14, s14, (.LBB2_5390-.Lpost_getpc31366)&4294967295
	s_addc_u32 s15, s15, (.LBB2_5390-.Lpost_getpc31366)>>32
	s_setpc_b64 s[14:15]
.LBB2_19728:
	v_mov_b32_e32 v14, 0
	v_cmp_ne_u16_sdwa s[8:9], v13, v14 src0_sel:BYTE_0 src1_sel:DWORD
	s_andn2_b64 s[4:5], s[4:5], exec
	s_and_b64 s[8:9], s[8:9], exec
	s_or_b64 s[4:5], s[4:5], s[8:9]
	s_or_b64 exec, exec, s[6:7]
	s_and_saveexec_b64 s[6:7], s[4:5]
	s_cbranch_execz .LBB2_31367
; %bb.55567:
	s_getpc_b64 s[14:15]
.Lpost_getpc31367:
	s_add_u32 s14, s14, (.LBB2_5391-.Lpost_getpc31367)&4294967295
	s_addc_u32 s15, s15, (.LBB2_5391-.Lpost_getpc31367)>>32
	s_setpc_b64 s[14:15]
.LBB2_31367:
	s_getpc_b64 s[14:15]
.Lpost_getpc19267:
	s_add_u32 s14, s14, (.LBB2_5392-.Lpost_getpc19267)&4294967295
	s_addc_u32 s15, s15, (.LBB2_5392-.Lpost_getpc19267)>>32
	s_setpc_b64 s[14:15]
.LBB2_19729:
	s_movk_i32 s4, 0x80
	v_cmp_eq_u16_e32 vcc, s4, v13
	s_mov_b64 s[4:5], -1
                                        ; implicit-def: $sgpr10
	s_and_saveexec_b64 s[8:9], vcc
; %bb.19730:
	s_mov_b32 s10, 0x7f800001
	s_xor_b64 s[4:5], exec, -1
; %bb.19731:
	s_or_b64 exec, exec, s[8:9]
	s_and_b64 s[4:5], s[4:5], exec
                                        ; implicit-def: $vgpr13
	s_or_saveexec_b64 s[6:7], s[6:7]
	v_mov_b32_e32 v12, s10
	s_xor_b64 exec, exec, s[6:7]
	s_cbranch_execnz .LBB2_19732
; %bb.55569:
	s_getpc_b64 s[14:15]
.Lpost_getpc31368:
	s_add_u32 s14, s14, (.LBB2_5394-.Lpost_getpc31368)&4294967295
	s_addc_u32 s15, s15, (.LBB2_5394-.Lpost_getpc31368)>>32
	s_setpc_b64 s[14:15]
.LBB2_19732:
	v_cmp_ne_u16_e32 vcc, 0, v13
	s_andn2_b64 s[4:5], s[4:5], exec
	s_and_b64 s[8:9], vcc, exec
	v_mov_b32_e32 v12, 0
	s_or_b64 s[4:5], s[4:5], s[8:9]
	s_or_b64 exec, exec, s[6:7]
	s_and_saveexec_b64 s[6:7], s[4:5]
	s_cbranch_execz .LBB2_31369
; %bb.55571:
	s_getpc_b64 s[14:15]
.Lpost_getpc31369:
	s_add_u32 s14, s14, (.LBB2_5395-.Lpost_getpc31369)&4294967295
	s_addc_u32 s15, s15, (.LBB2_5395-.Lpost_getpc31369)>>32
	s_setpc_b64 s[14:15]
.LBB2_31369:
	s_getpc_b64 s[14:15]
.Lpost_getpc19268:
	s_add_u32 s14, s14, (.LBB2_5396-.Lpost_getpc19268)&4294967295
	s_addc_u32 s15, s15, (.LBB2_5396-.Lpost_getpc19268)>>32
	s_setpc_b64 s[14:15]
.LBB2_19733:
	s_movk_i32 s4, 0x80
	v_cmp_eq_u16_e32 vcc, s4, v13
	s_mov_b64 s[4:5], -1
                                        ; implicit-def: $sgpr10
	s_and_saveexec_b64 s[8:9], vcc
; %bb.19734:
	s_mov_b32 s10, 0x7f800001
	s_xor_b64 s[4:5], exec, -1
; %bb.19735:
	s_or_b64 exec, exec, s[8:9]
	s_and_b64 s[4:5], s[4:5], exec
                                        ; implicit-def: $vgpr13
	s_or_saveexec_b64 s[6:7], s[6:7]
	v_mov_b32_e32 v14, s10
	s_xor_b64 exec, exec, s[6:7]
	s_cbranch_execnz .LBB2_19736
; %bb.55573:
	s_getpc_b64 s[14:15]
.Lpost_getpc31370:
	s_add_u32 s14, s14, (.LBB2_5398-.Lpost_getpc31370)&4294967295
	s_addc_u32 s15, s15, (.LBB2_5398-.Lpost_getpc31370)>>32
	s_setpc_b64 s[14:15]
.LBB2_19736:
	v_cmp_ne_u16_e32 vcc, 0, v13
	s_andn2_b64 s[4:5], s[4:5], exec
	s_and_b64 s[8:9], vcc, exec
	v_mov_b32_e32 v14, 0
	s_or_b64 s[4:5], s[4:5], s[8:9]
	s_or_b64 exec, exec, s[6:7]
	s_and_saveexec_b64 s[6:7], s[4:5]
	s_cbranch_execz .LBB2_31371
; %bb.55575:
	s_getpc_b64 s[14:15]
.Lpost_getpc31371:
	s_add_u32 s14, s14, (.LBB2_5399-.Lpost_getpc31371)&4294967295
	s_addc_u32 s15, s15, (.LBB2_5399-.Lpost_getpc31371)>>32
	s_setpc_b64 s[14:15]
.LBB2_31371:
	s_getpc_b64 s[14:15]
.Lpost_getpc19269:
	s_add_u32 s14, s14, (.LBB2_5400-.Lpost_getpc19269)&4294967295
	s_addc_u32 s15, s15, (.LBB2_5400-.Lpost_getpc19269)>>32
	s_setpc_b64 s[14:15]
.LBB2_19737:
	s_movk_i32 s4, 0x80
	v_cmp_eq_u16_sdwa s[12:13], v6, s4 src0_sel:BYTE_3 src1_sel:DWORD
	s_mov_b64 s[4:5], -1
                                        ; implicit-def: $sgpr10
	s_and_saveexec_b64 s[8:9], s[12:13]
; %bb.19738:
	s_mov_b32 s10, 0x7f800001
	s_xor_b64 s[4:5], exec, -1
; %bb.19739:
	s_or_b64 exec, exec, s[8:9]
	s_and_b64 s[4:5], s[4:5], exec
	s_or_saveexec_b64 s[6:7], s[6:7]
	v_mov_b32_e32 v12, s10
	s_xor_b64 exec, exec, s[6:7]
	s_cbranch_execnz .LBB2_19740
; %bb.55577:
	s_getpc_b64 s[14:15]
.Lpost_getpc31372:
	s_add_u32 s14, s14, (.LBB2_5402-.Lpost_getpc31372)&4294967295
	s_addc_u32 s15, s15, (.LBB2_5402-.Lpost_getpc31372)>>32
	s_setpc_b64 s[14:15]
.LBB2_19740:
	v_mov_b32_e32 v12, 0
	v_cmp_ne_u16_sdwa s[8:9], v6, v12 src0_sel:BYTE_3 src1_sel:DWORD
	s_andn2_b64 s[4:5], s[4:5], exec
	s_and_b64 s[8:9], s[8:9], exec
	s_or_b64 s[4:5], s[4:5], s[8:9]
	s_or_b64 exec, exec, s[6:7]
	s_and_saveexec_b64 s[6:7], s[4:5]
	s_cbranch_execz .LBB2_31373
; %bb.55579:
	s_getpc_b64 s[14:15]
.Lpost_getpc31373:
	s_add_u32 s14, s14, (.LBB2_5403-.Lpost_getpc31373)&4294967295
	s_addc_u32 s15, s15, (.LBB2_5403-.Lpost_getpc31373)>>32
	s_setpc_b64 s[14:15]
.LBB2_31373:
	s_getpc_b64 s[14:15]
.Lpost_getpc19270:
	s_add_u32 s14, s14, (.LBB2_5404-.Lpost_getpc19270)&4294967295
	s_addc_u32 s15, s15, (.LBB2_5404-.Lpost_getpc19270)>>32
	s_setpc_b64 s[14:15]
.LBB2_19741:
	s_movk_i32 s4, 0x80
	v_cmp_eq_u16_sdwa s[12:13], v2, s4 src0_sel:BYTE_3 src1_sel:DWORD
	s_mov_b64 s[4:5], -1
                                        ; implicit-def: $sgpr10
	s_and_saveexec_b64 s[8:9], s[12:13]
; %bb.19742:
	s_mov_b32 s10, 0x7f800001
	s_xor_b64 s[4:5], exec, -1
; %bb.19743:
	s_or_b64 exec, exec, s[8:9]
	s_and_b64 s[4:5], s[4:5], exec
	s_or_saveexec_b64 s[6:7], s[6:7]
	v_mov_b32_e32 v6, s10
	s_xor_b64 exec, exec, s[6:7]
	s_cbranch_execnz .LBB2_19744
; %bb.55581:
	s_getpc_b64 s[14:15]
.Lpost_getpc31374:
	s_add_u32 s14, s14, (.LBB2_5406-.Lpost_getpc31374)&4294967295
	s_addc_u32 s15, s15, (.LBB2_5406-.Lpost_getpc31374)>>32
	s_setpc_b64 s[14:15]
.LBB2_19744:
	v_mov_b32_e32 v6, 0
	v_cmp_ne_u16_sdwa s[8:9], v2, v6 src0_sel:BYTE_3 src1_sel:DWORD
	s_andn2_b64 s[4:5], s[4:5], exec
	s_and_b64 s[8:9], s[8:9], exec
	s_or_b64 s[4:5], s[4:5], s[8:9]
	s_or_b64 exec, exec, s[6:7]
	s_and_saveexec_b64 s[6:7], s[4:5]
	s_cbranch_execz .LBB2_31375
; %bb.55583:
	s_getpc_b64 s[14:15]
.Lpost_getpc31375:
	s_add_u32 s14, s14, (.LBB2_5407-.Lpost_getpc31375)&4294967295
	s_addc_u32 s15, s15, (.LBB2_5407-.Lpost_getpc31375)>>32
	s_setpc_b64 s[14:15]
.LBB2_31375:
	s_getpc_b64 s[14:15]
.Lpost_getpc19271:
	s_add_u32 s14, s14, (.LBB2_5408-.Lpost_getpc19271)&4294967295
	s_addc_u32 s15, s15, (.LBB2_5408-.Lpost_getpc19271)>>32
	s_setpc_b64 s[14:15]
.LBB2_19745:
	s_movk_i32 s4, 0x80
	v_cmp_eq_u16_sdwa s[12:13], v7, s4 src0_sel:BYTE_0 src1_sel:DWORD
	s_mov_b64 s[4:5], -1
                                        ; implicit-def: $sgpr10
	s_and_saveexec_b64 s[8:9], s[12:13]
; %bb.19746:
	s_mov_b32 s10, 0x7f800001
	s_xor_b64 s[4:5], exec, -1
; %bb.19747:
	s_or_b64 exec, exec, s[8:9]
	s_and_b64 s[4:5], s[4:5], exec
	s_or_saveexec_b64 s[6:7], s[6:7]
	v_mov_b32_e32 v2, s10
	s_xor_b64 exec, exec, s[6:7]
	s_cbranch_execnz .LBB2_19748
; %bb.55585:
	s_getpc_b64 s[14:15]
.Lpost_getpc31376:
	s_add_u32 s14, s14, (.LBB2_5410-.Lpost_getpc31376)&4294967295
	s_addc_u32 s15, s15, (.LBB2_5410-.Lpost_getpc31376)>>32
	s_setpc_b64 s[14:15]
.LBB2_19748:
	v_mov_b32_e32 v2, 0
	v_cmp_ne_u16_sdwa s[8:9], v7, v2 src0_sel:BYTE_0 src1_sel:DWORD
	s_andn2_b64 s[4:5], s[4:5], exec
	s_and_b64 s[8:9], s[8:9], exec
	s_or_b64 s[4:5], s[4:5], s[8:9]
	s_or_b64 exec, exec, s[6:7]
	s_and_saveexec_b64 s[6:7], s[4:5]
	s_cbranch_execz .LBB2_31377
; %bb.55587:
	s_getpc_b64 s[14:15]
.Lpost_getpc31377:
	s_add_u32 s14, s14, (.LBB2_5411-.Lpost_getpc31377)&4294967295
	s_addc_u32 s15, s15, (.LBB2_5411-.Lpost_getpc31377)>>32
	s_setpc_b64 s[14:15]
.LBB2_31377:
	s_getpc_b64 s[14:15]
.Lpost_getpc19272:
	s_add_u32 s14, s14, (.LBB2_5412-.Lpost_getpc19272)&4294967295
	s_addc_u32 s15, s15, (.LBB2_5412-.Lpost_getpc19272)>>32
	s_setpc_b64 s[14:15]
.LBB2_19749:
	s_movk_i32 s4, 0x80
	v_cmp_eq_u16_sdwa s[12:13], v3, s4 src0_sel:BYTE_0 src1_sel:DWORD
	s_mov_b64 s[4:5], -1
                                        ; implicit-def: $sgpr10
	s_and_saveexec_b64 s[8:9], s[12:13]
; %bb.19750:
	s_mov_b32 s10, 0x7f800001
	s_xor_b64 s[4:5], exec, -1
; %bb.19751:
	s_or_b64 exec, exec, s[8:9]
	s_and_b64 s[4:5], s[4:5], exec
	s_or_saveexec_b64 s[6:7], s[6:7]
	v_mov_b32_e32 v6, s10
	s_xor_b64 exec, exec, s[6:7]
	s_cbranch_execnz .LBB2_19752
; %bb.55589:
	s_getpc_b64 s[14:15]
.Lpost_getpc31378:
	s_add_u32 s14, s14, (.LBB2_5414-.Lpost_getpc31378)&4294967295
	s_addc_u32 s15, s15, (.LBB2_5414-.Lpost_getpc31378)>>32
	s_setpc_b64 s[14:15]
.LBB2_19752:
	v_mov_b32_e32 v6, 0
	v_cmp_ne_u16_sdwa s[8:9], v3, v6 src0_sel:BYTE_0 src1_sel:DWORD
	s_andn2_b64 s[4:5], s[4:5], exec
	s_and_b64 s[8:9], s[8:9], exec
	s_or_b64 s[4:5], s[4:5], s[8:9]
	s_or_b64 exec, exec, s[6:7]
	s_and_saveexec_b64 s[6:7], s[4:5]
	s_cbranch_execz .LBB2_31379
; %bb.55591:
	s_getpc_b64 s[14:15]
.Lpost_getpc31379:
	s_add_u32 s14, s14, (.LBB2_5415-.Lpost_getpc31379)&4294967295
	s_addc_u32 s15, s15, (.LBB2_5415-.Lpost_getpc31379)>>32
	s_setpc_b64 s[14:15]
.LBB2_31379:
	s_getpc_b64 s[14:15]
.Lpost_getpc19273:
	s_add_u32 s14, s14, (.LBB2_5416-.Lpost_getpc19273)&4294967295
	s_addc_u32 s15, s15, (.LBB2_5416-.Lpost_getpc19273)>>32
	s_setpc_b64 s[14:15]
.LBB2_19753:
	s_movk_i32 s4, 0x80
	v_cmp_eq_u16_sdwa s[12:13], v6, s4 src0_sel:BYTE_0 src1_sel:DWORD
	s_mov_b64 s[4:5], -1
                                        ; implicit-def: $sgpr10
	s_and_saveexec_b64 s[8:9], s[12:13]
; %bb.19754:
	s_mov_b32 s10, 0x7f800001
	s_xor_b64 s[4:5], exec, -1
; %bb.19755:
	s_or_b64 exec, exec, s[8:9]
	s_and_b64 s[4:5], s[4:5], exec
	s_or_saveexec_b64 s[6:7], s[6:7]
	v_mov_b32_e32 v2, s10
	s_xor_b64 exec, exec, s[6:7]
	s_cbranch_execnz .LBB2_19756
; %bb.55593:
	s_getpc_b64 s[14:15]
.Lpost_getpc31380:
	s_add_u32 s14, s14, (.LBB2_5418-.Lpost_getpc31380)&4294967295
	s_addc_u32 s15, s15, (.LBB2_5418-.Lpost_getpc31380)>>32
	s_setpc_b64 s[14:15]
.LBB2_19756:
	v_mov_b32_e32 v2, 0
	v_cmp_ne_u16_sdwa s[8:9], v6, v2 src0_sel:BYTE_0 src1_sel:DWORD
	s_andn2_b64 s[4:5], s[4:5], exec
	s_and_b64 s[8:9], s[8:9], exec
	s_or_b64 s[4:5], s[4:5], s[8:9]
	s_or_b64 exec, exec, s[6:7]
	s_and_saveexec_b64 s[6:7], s[4:5]
	s_cbranch_execz .LBB2_31381
; %bb.55595:
	s_getpc_b64 s[14:15]
.Lpost_getpc31381:
	s_add_u32 s14, s14, (.LBB2_5419-.Lpost_getpc31381)&4294967295
	s_addc_u32 s15, s15, (.LBB2_5419-.Lpost_getpc31381)>>32
	s_setpc_b64 s[14:15]
.LBB2_31381:
	s_getpc_b64 s[14:15]
.Lpost_getpc19274:
	s_add_u32 s14, s14, (.LBB2_5420-.Lpost_getpc19274)&4294967295
	s_addc_u32 s15, s15, (.LBB2_5420-.Lpost_getpc19274)>>32
	s_setpc_b64 s[14:15]
.LBB2_19757:
	s_movk_i32 s4, 0x80
	v_cmp_eq_u16_sdwa s[12:13], v6, s4 src0_sel:BYTE_0 src1_sel:DWORD
	s_mov_b64 s[4:5], -1
                                        ; implicit-def: $sgpr10
	s_and_saveexec_b64 s[8:9], s[12:13]
; %bb.19758:
	s_mov_b32 s10, 0x7f800001
	s_xor_b64 s[4:5], exec, -1
; %bb.19759:
	s_or_b64 exec, exec, s[8:9]
	s_and_b64 s[4:5], s[4:5], exec
	s_or_saveexec_b64 s[6:7], s[6:7]
	v_mov_b32_e32 v12, s10
	s_xor_b64 exec, exec, s[6:7]
	s_cbranch_execnz .LBB2_19760
; %bb.55597:
	s_getpc_b64 s[14:15]
.Lpost_getpc31382:
	s_add_u32 s14, s14, (.LBB2_5422-.Lpost_getpc31382)&4294967295
	s_addc_u32 s15, s15, (.LBB2_5422-.Lpost_getpc31382)>>32
	s_setpc_b64 s[14:15]
.LBB2_19760:
	v_mov_b32_e32 v12, 0
	v_cmp_ne_u16_sdwa s[8:9], v6, v12 src0_sel:BYTE_0 src1_sel:DWORD
	s_andn2_b64 s[4:5], s[4:5], exec
	s_and_b64 s[8:9], s[8:9], exec
	s_or_b64 s[4:5], s[4:5], s[8:9]
	s_or_b64 exec, exec, s[6:7]
	s_and_saveexec_b64 s[6:7], s[4:5]
	s_cbranch_execz .LBB2_31383
; %bb.55599:
	s_getpc_b64 s[14:15]
.Lpost_getpc31383:
	s_add_u32 s14, s14, (.LBB2_5423-.Lpost_getpc31383)&4294967295
	s_addc_u32 s15, s15, (.LBB2_5423-.Lpost_getpc31383)>>32
	s_setpc_b64 s[14:15]
.LBB2_31383:
	s_getpc_b64 s[14:15]
.Lpost_getpc19275:
	s_add_u32 s14, s14, (.LBB2_5424-.Lpost_getpc19275)&4294967295
	s_addc_u32 s15, s15, (.LBB2_5424-.Lpost_getpc19275)>>32
	s_setpc_b64 s[14:15]
.LBB2_19761:
	s_movk_i32 s4, 0x80
	v_cmp_eq_u16_e32 vcc, s4, v6
	s_mov_b64 s[4:5], -1
                                        ; implicit-def: $sgpr10
	s_and_saveexec_b64 s[8:9], vcc
; %bb.19762:
	s_mov_b32 s10, 0x7f800001
	s_xor_b64 s[4:5], exec, -1
; %bb.19763:
	s_or_b64 exec, exec, s[8:9]
	s_and_b64 s[4:5], s[4:5], exec
                                        ; implicit-def: $vgpr6
	s_or_saveexec_b64 s[6:7], s[6:7]
	v_mov_b32_e32 v2, s10
	s_xor_b64 exec, exec, s[6:7]
	s_cbranch_execnz .LBB2_19764
; %bb.55601:
	s_getpc_b64 s[14:15]
.Lpost_getpc31384:
	s_add_u32 s14, s14, (.LBB2_5426-.Lpost_getpc31384)&4294967295
	s_addc_u32 s15, s15, (.LBB2_5426-.Lpost_getpc31384)>>32
	s_setpc_b64 s[14:15]
.LBB2_19764:
	v_cmp_ne_u16_e32 vcc, 0, v6
	s_andn2_b64 s[4:5], s[4:5], exec
	s_and_b64 s[8:9], vcc, exec
	v_mov_b32_e32 v2, 0
	s_or_b64 s[4:5], s[4:5], s[8:9]
	s_or_b64 exec, exec, s[6:7]
	s_and_saveexec_b64 s[6:7], s[4:5]
	s_cbranch_execz .LBB2_31385
; %bb.55603:
	s_getpc_b64 s[14:15]
.Lpost_getpc31385:
	s_add_u32 s14, s14, (.LBB2_5427-.Lpost_getpc31385)&4294967295
	s_addc_u32 s15, s15, (.LBB2_5427-.Lpost_getpc31385)>>32
	s_setpc_b64 s[14:15]
.LBB2_31385:
	s_getpc_b64 s[14:15]
.Lpost_getpc19276:
	s_add_u32 s14, s14, (.LBB2_5428-.Lpost_getpc19276)&4294967295
	s_addc_u32 s15, s15, (.LBB2_5428-.Lpost_getpc19276)>>32
	s_setpc_b64 s[14:15]
.LBB2_19765:
	s_movk_i32 s4, 0x80
	v_cmp_eq_u16_e32 vcc, s4, v6
	s_mov_b64 s[4:5], -1
                                        ; implicit-def: $sgpr10
	s_and_saveexec_b64 s[8:9], vcc
; %bb.19766:
	s_mov_b32 s10, 0x7f800001
	s_xor_b64 s[4:5], exec, -1
; %bb.19767:
	s_or_b64 exec, exec, s[8:9]
	s_and_b64 s[4:5], s[4:5], exec
                                        ; implicit-def: $vgpr6
	s_or_saveexec_b64 s[6:7], s[6:7]
	v_mov_b32_e32 v12, s10
	s_xor_b64 exec, exec, s[6:7]
	s_cbranch_execnz .LBB2_19768
; %bb.55605:
	s_getpc_b64 s[14:15]
.Lpost_getpc31386:
	s_add_u32 s14, s14, (.LBB2_5430-.Lpost_getpc31386)&4294967295
	s_addc_u32 s15, s15, (.LBB2_5430-.Lpost_getpc31386)>>32
	s_setpc_b64 s[14:15]
.LBB2_19768:
	v_cmp_ne_u16_e32 vcc, 0, v6
	s_andn2_b64 s[4:5], s[4:5], exec
	s_and_b64 s[8:9], vcc, exec
	v_mov_b32_e32 v12, 0
	s_or_b64 s[4:5], s[4:5], s[8:9]
	s_or_b64 exec, exec, s[6:7]
	s_and_saveexec_b64 s[6:7], s[4:5]
	s_cbranch_execz .LBB2_31387
; %bb.55607:
	s_getpc_b64 s[14:15]
.Lpost_getpc31387:
	s_add_u32 s14, s14, (.LBB2_5431-.Lpost_getpc31387)&4294967295
	s_addc_u32 s15, s15, (.LBB2_5431-.Lpost_getpc31387)>>32
	s_setpc_b64 s[14:15]
.LBB2_31387:
	s_getpc_b64 s[14:15]
.Lpost_getpc19277:
	s_add_u32 s14, s14, (.LBB2_5432-.Lpost_getpc19277)&4294967295
	s_addc_u32 s15, s15, (.LBB2_5432-.Lpost_getpc19277)>>32
	s_setpc_b64 s[14:15]
.LBB2_19769:
	s_movk_i32 s4, 0x80
	v_cmp_eq_u16_sdwa s[12:13], v7, s4 src0_sel:BYTE_3 src1_sel:DWORD
	s_mov_b64 s[4:5], -1
                                        ; implicit-def: $sgpr10
	s_and_saveexec_b64 s[8:9], s[12:13]
; %bb.19770:
	s_mov_b32 s10, 0x7f800001
	s_xor_b64 s[4:5], exec, -1
; %bb.19771:
	s_or_b64 exec, exec, s[8:9]
	s_and_b64 s[4:5], s[4:5], exec
	s_or_saveexec_b64 s[6:7], s[6:7]
	v_mov_b32_e32 v2, s10
	s_xor_b64 exec, exec, s[6:7]
	s_cbranch_execnz .LBB2_19772
; %bb.55609:
	s_getpc_b64 s[14:15]
.Lpost_getpc31388:
	s_add_u32 s14, s14, (.LBB2_5434-.Lpost_getpc31388)&4294967295
	s_addc_u32 s15, s15, (.LBB2_5434-.Lpost_getpc31388)>>32
	s_setpc_b64 s[14:15]
.LBB2_19772:
	v_mov_b32_e32 v2, 0
	v_cmp_ne_u16_sdwa s[8:9], v7, v2 src0_sel:BYTE_3 src1_sel:DWORD
	s_andn2_b64 s[4:5], s[4:5], exec
	s_and_b64 s[8:9], s[8:9], exec
	s_or_b64 s[4:5], s[4:5], s[8:9]
	s_or_b64 exec, exec, s[6:7]
	s_and_saveexec_b64 s[6:7], s[4:5]
	s_cbranch_execz .LBB2_31389
; %bb.55611:
	s_getpc_b64 s[14:15]
.Lpost_getpc31389:
	s_add_u32 s14, s14, (.LBB2_5435-.Lpost_getpc31389)&4294967295
	s_addc_u32 s15, s15, (.LBB2_5435-.Lpost_getpc31389)>>32
	s_setpc_b64 s[14:15]
.LBB2_31389:
	s_getpc_b64 s[14:15]
.Lpost_getpc19278:
	s_add_u32 s14, s14, (.LBB2_5436-.Lpost_getpc19278)&4294967295
	s_addc_u32 s15, s15, (.LBB2_5436-.Lpost_getpc19278)>>32
	s_setpc_b64 s[14:15]
.LBB2_19773:
	s_movk_i32 s4, 0x80
	v_cmp_eq_u16_sdwa s[12:13], v3, s4 src0_sel:BYTE_3 src1_sel:DWORD
	s_mov_b64 s[4:5], -1
                                        ; implicit-def: $sgpr10
	s_and_saveexec_b64 s[8:9], s[12:13]
; %bb.19774:
	s_mov_b32 s10, 0x7f800001
	s_xor_b64 s[4:5], exec, -1
; %bb.19775:
	s_or_b64 exec, exec, s[8:9]
	s_and_b64 s[4:5], s[4:5], exec
	s_or_saveexec_b64 s[6:7], s[6:7]
	v_mov_b32_e32 v6, s10
	s_xor_b64 exec, exec, s[6:7]
	s_cbranch_execnz .LBB2_19776
; %bb.55613:
	s_getpc_b64 s[14:15]
.Lpost_getpc31390:
	s_add_u32 s14, s14, (.LBB2_5438-.Lpost_getpc31390)&4294967295
	s_addc_u32 s15, s15, (.LBB2_5438-.Lpost_getpc31390)>>32
	s_setpc_b64 s[14:15]
.LBB2_19776:
	v_mov_b32_e32 v6, 0
	v_cmp_ne_u16_sdwa s[8:9], v3, v6 src0_sel:BYTE_3 src1_sel:DWORD
	s_andn2_b64 s[4:5], s[4:5], exec
	s_and_b64 s[8:9], s[8:9], exec
	s_or_b64 s[4:5], s[4:5], s[8:9]
	s_or_b64 exec, exec, s[6:7]
	s_and_saveexec_b64 s[6:7], s[4:5]
	s_cbranch_execz .LBB2_31391
; %bb.55615:
	s_getpc_b64 s[14:15]
.Lpost_getpc31391:
	s_add_u32 s14, s14, (.LBB2_5439-.Lpost_getpc31391)&4294967295
	s_addc_u32 s15, s15, (.LBB2_5439-.Lpost_getpc31391)>>32
	s_setpc_b64 s[14:15]
.LBB2_31391:
	s_getpc_b64 s[14:15]
.Lpost_getpc19279:
	s_add_u32 s14, s14, (.LBB2_5440-.Lpost_getpc19279)&4294967295
	s_addc_u32 s15, s15, (.LBB2_5440-.Lpost_getpc19279)>>32
	s_setpc_b64 s[14:15]
.LBB2_19777:
	s_movk_i32 s4, 0x80
	v_cmp_eq_u16_sdwa s[12:13], v8, s4 src0_sel:BYTE_0 src1_sel:DWORD
	s_mov_b64 s[4:5], -1
                                        ; implicit-def: $sgpr10
	s_and_saveexec_b64 s[8:9], s[12:13]
; %bb.19778:
	s_mov_b32 s10, 0x7f800001
	s_xor_b64 s[4:5], exec, -1
; %bb.19779:
	s_or_b64 exec, exec, s[8:9]
	s_and_b64 s[4:5], s[4:5], exec
	s_or_saveexec_b64 s[6:7], s[6:7]
	v_mov_b32_e32 v2, s10
	s_xor_b64 exec, exec, s[6:7]
	s_cbranch_execnz .LBB2_19780
; %bb.55617:
	s_getpc_b64 s[14:15]
.Lpost_getpc31392:
	s_add_u32 s14, s14, (.LBB2_5442-.Lpost_getpc31392)&4294967295
	s_addc_u32 s15, s15, (.LBB2_5442-.Lpost_getpc31392)>>32
	s_setpc_b64 s[14:15]
.LBB2_19780:
	v_mov_b32_e32 v2, 0
	v_cmp_ne_u16_sdwa s[8:9], v8, v2 src0_sel:BYTE_0 src1_sel:DWORD
	s_andn2_b64 s[4:5], s[4:5], exec
	s_and_b64 s[8:9], s[8:9], exec
	s_or_b64 s[4:5], s[4:5], s[8:9]
	s_or_b64 exec, exec, s[6:7]
	s_and_saveexec_b64 s[6:7], s[4:5]
	s_cbranch_execz .LBB2_31393
; %bb.55619:
	s_getpc_b64 s[14:15]
.Lpost_getpc31393:
	s_add_u32 s14, s14, (.LBB2_5443-.Lpost_getpc31393)&4294967295
	s_addc_u32 s15, s15, (.LBB2_5443-.Lpost_getpc31393)>>32
	s_setpc_b64 s[14:15]
.LBB2_31393:
	s_getpc_b64 s[14:15]
.Lpost_getpc19280:
	s_add_u32 s14, s14, (.LBB2_5444-.Lpost_getpc19280)&4294967295
	s_addc_u32 s15, s15, (.LBB2_5444-.Lpost_getpc19280)>>32
	s_setpc_b64 s[14:15]
.LBB2_19781:
	s_movk_i32 s4, 0x80
	v_cmp_eq_u16_sdwa s[12:13], v4, s4 src0_sel:BYTE_0 src1_sel:DWORD
	s_mov_b64 s[4:5], -1
                                        ; implicit-def: $sgpr10
	s_and_saveexec_b64 s[8:9], s[12:13]
; %bb.19782:
	s_mov_b32 s10, 0x7f800001
	s_xor_b64 s[4:5], exec, -1
; %bb.19783:
	s_or_b64 exec, exec, s[8:9]
	s_and_b64 s[4:5], s[4:5], exec
	s_or_saveexec_b64 s[6:7], s[6:7]
	v_mov_b32_e32 v3, s10
	s_xor_b64 exec, exec, s[6:7]
	s_cbranch_execnz .LBB2_19784
; %bb.55621:
	s_getpc_b64 s[14:15]
.Lpost_getpc31394:
	s_add_u32 s14, s14, (.LBB2_5446-.Lpost_getpc31394)&4294967295
	s_addc_u32 s15, s15, (.LBB2_5446-.Lpost_getpc31394)>>32
	s_setpc_b64 s[14:15]
.LBB2_19784:
	v_mov_b32_e32 v3, 0
	v_cmp_ne_u16_sdwa s[8:9], v4, v3 src0_sel:BYTE_0 src1_sel:DWORD
	s_andn2_b64 s[4:5], s[4:5], exec
	s_and_b64 s[8:9], s[8:9], exec
	s_or_b64 s[4:5], s[4:5], s[8:9]
	s_or_b64 exec, exec, s[6:7]
	s_and_saveexec_b64 s[6:7], s[4:5]
	s_cbranch_execz .LBB2_31395
; %bb.55623:
	s_getpc_b64 s[14:15]
.Lpost_getpc31395:
	s_add_u32 s14, s14, (.LBB2_5447-.Lpost_getpc31395)&4294967295
	s_addc_u32 s15, s15, (.LBB2_5447-.Lpost_getpc31395)>>32
	s_setpc_b64 s[14:15]
.LBB2_31395:
	s_getpc_b64 s[14:15]
.Lpost_getpc19281:
	s_add_u32 s14, s14, (.LBB2_5448-.Lpost_getpc19281)&4294967295
	s_addc_u32 s15, s15, (.LBB2_5448-.Lpost_getpc19281)>>32
	s_setpc_b64 s[14:15]
.LBB2_19785:
	s_movk_i32 s4, 0x80
	v_cmp_eq_u16_sdwa s[12:13], v3, s4 src0_sel:BYTE_0 src1_sel:DWORD
	s_mov_b64 s[4:5], -1
                                        ; implicit-def: $sgpr10
	s_and_saveexec_b64 s[8:9], s[12:13]
; %bb.19786:
	s_mov_b32 s10, 0x7f800001
	s_xor_b64 s[4:5], exec, -1
; %bb.19787:
	s_or_b64 exec, exec, s[8:9]
	s_and_b64 s[4:5], s[4:5], exec
	s_or_saveexec_b64 s[6:7], s[6:7]
	v_mov_b32_e32 v2, s10
	s_xor_b64 exec, exec, s[6:7]
	s_cbranch_execnz .LBB2_19788
; %bb.55625:
	s_getpc_b64 s[14:15]
.Lpost_getpc31396:
	s_add_u32 s14, s14, (.LBB2_5450-.Lpost_getpc31396)&4294967295
	s_addc_u32 s15, s15, (.LBB2_5450-.Lpost_getpc31396)>>32
	s_setpc_b64 s[14:15]
.LBB2_19788:
	v_mov_b32_e32 v2, 0
	v_cmp_ne_u16_sdwa s[8:9], v3, v2 src0_sel:BYTE_0 src1_sel:DWORD
	s_andn2_b64 s[4:5], s[4:5], exec
	s_and_b64 s[8:9], s[8:9], exec
	s_or_b64 s[4:5], s[4:5], s[8:9]
	s_or_b64 exec, exec, s[6:7]
	s_and_saveexec_b64 s[6:7], s[4:5]
	s_cbranch_execz .LBB2_31397
; %bb.55627:
	s_getpc_b64 s[14:15]
.Lpost_getpc31397:
	s_add_u32 s14, s14, (.LBB2_5451-.Lpost_getpc31397)&4294967295
	s_addc_u32 s15, s15, (.LBB2_5451-.Lpost_getpc31397)>>32
	s_setpc_b64 s[14:15]
.LBB2_31397:
	s_getpc_b64 s[14:15]
.Lpost_getpc19282:
	s_add_u32 s14, s14, (.LBB2_5452-.Lpost_getpc19282)&4294967295
	s_addc_u32 s15, s15, (.LBB2_5452-.Lpost_getpc19282)>>32
	s_setpc_b64 s[14:15]
.LBB2_19789:
	s_movk_i32 s4, 0x80
	v_cmp_eq_u16_sdwa s[12:13], v3, s4 src0_sel:BYTE_0 src1_sel:DWORD
	s_mov_b64 s[4:5], -1
                                        ; implicit-def: $sgpr10
	s_and_saveexec_b64 s[8:9], s[12:13]
; %bb.19790:
	s_mov_b32 s10, 0x7f800001
	s_xor_b64 s[4:5], exec, -1
; %bb.19791:
	s_or_b64 exec, exec, s[8:9]
	s_and_b64 s[4:5], s[4:5], exec
	s_or_saveexec_b64 s[6:7], s[6:7]
	v_mov_b32_e32 v6, s10
	s_xor_b64 exec, exec, s[6:7]
	s_cbranch_execnz .LBB2_19792
; %bb.55629:
	s_getpc_b64 s[14:15]
.Lpost_getpc31398:
	s_add_u32 s14, s14, (.LBB2_5454-.Lpost_getpc31398)&4294967295
	s_addc_u32 s15, s15, (.LBB2_5454-.Lpost_getpc31398)>>32
	s_setpc_b64 s[14:15]
.LBB2_19792:
	v_mov_b32_e32 v6, 0
	v_cmp_ne_u16_sdwa s[8:9], v3, v6 src0_sel:BYTE_0 src1_sel:DWORD
	s_andn2_b64 s[4:5], s[4:5], exec
	s_and_b64 s[8:9], s[8:9], exec
	s_or_b64 s[4:5], s[4:5], s[8:9]
	s_or_b64 exec, exec, s[6:7]
	s_and_saveexec_b64 s[6:7], s[4:5]
	s_cbranch_execz .LBB2_31399
; %bb.55631:
	s_getpc_b64 s[14:15]
.Lpost_getpc31399:
	s_add_u32 s14, s14, (.LBB2_5455-.Lpost_getpc31399)&4294967295
	s_addc_u32 s15, s15, (.LBB2_5455-.Lpost_getpc31399)>>32
	s_setpc_b64 s[14:15]
.LBB2_31399:
	s_getpc_b64 s[14:15]
.Lpost_getpc19283:
	s_add_u32 s14, s14, (.LBB2_5456-.Lpost_getpc19283)&4294967295
	s_addc_u32 s15, s15, (.LBB2_5456-.Lpost_getpc19283)>>32
	s_setpc_b64 s[14:15]
.LBB2_19793:
	s_movk_i32 s4, 0x80
	v_cmp_eq_u16_e32 vcc, s4, v3
	s_mov_b64 s[4:5], -1
                                        ; implicit-def: $sgpr10
	s_and_saveexec_b64 s[8:9], vcc
; %bb.19794:
	s_mov_b32 s10, 0x7f800001
	s_xor_b64 s[4:5], exec, -1
; %bb.19795:
	s_or_b64 exec, exec, s[8:9]
	s_and_b64 s[4:5], s[4:5], exec
                                        ; implicit-def: $vgpr3
	s_or_saveexec_b64 s[6:7], s[6:7]
	v_mov_b32_e32 v2, s10
	s_xor_b64 exec, exec, s[6:7]
	s_cbranch_execnz .LBB2_19796
; %bb.55633:
	s_getpc_b64 s[14:15]
.Lpost_getpc31400:
	s_add_u32 s14, s14, (.LBB2_5458-.Lpost_getpc31400)&4294967295
	s_addc_u32 s15, s15, (.LBB2_5458-.Lpost_getpc31400)>>32
	s_setpc_b64 s[14:15]
.LBB2_19796:
	v_cmp_ne_u16_e32 vcc, 0, v3
	s_andn2_b64 s[4:5], s[4:5], exec
	s_and_b64 s[8:9], vcc, exec
	v_mov_b32_e32 v2, 0
	s_or_b64 s[4:5], s[4:5], s[8:9]
	s_or_b64 exec, exec, s[6:7]
	s_and_saveexec_b64 s[6:7], s[4:5]
	s_cbranch_execz .LBB2_31401
; %bb.55635:
	s_getpc_b64 s[14:15]
.Lpost_getpc31401:
	s_add_u32 s14, s14, (.LBB2_5459-.Lpost_getpc31401)&4294967295
	s_addc_u32 s15, s15, (.LBB2_5459-.Lpost_getpc31401)>>32
	s_setpc_b64 s[14:15]
.LBB2_31401:
	s_getpc_b64 s[14:15]
.Lpost_getpc19284:
	s_add_u32 s14, s14, (.LBB2_5460-.Lpost_getpc19284)&4294967295
	s_addc_u32 s15, s15, (.LBB2_5460-.Lpost_getpc19284)>>32
	s_setpc_b64 s[14:15]
.LBB2_19797:
	s_movk_i32 s4, 0x80
	v_cmp_eq_u16_e32 vcc, s4, v3
	s_mov_b64 s[4:5], -1
                                        ; implicit-def: $sgpr10
	s_and_saveexec_b64 s[8:9], vcc
; %bb.19798:
	s_mov_b32 s10, 0x7f800001
	s_xor_b64 s[4:5], exec, -1
; %bb.19799:
	s_or_b64 exec, exec, s[8:9]
	s_and_b64 s[4:5], s[4:5], exec
                                        ; implicit-def: $vgpr3
	s_or_saveexec_b64 s[6:7], s[6:7]
	v_mov_b32_e32 v6, s10
	s_xor_b64 exec, exec, s[6:7]
	s_cbranch_execnz .LBB2_19800
; %bb.55637:
	s_getpc_b64 s[14:15]
.Lpost_getpc31402:
	s_add_u32 s14, s14, (.LBB2_5462-.Lpost_getpc31402)&4294967295
	s_addc_u32 s15, s15, (.LBB2_5462-.Lpost_getpc31402)>>32
	s_setpc_b64 s[14:15]
.LBB2_19800:
	v_cmp_ne_u16_e32 vcc, 0, v3
	s_andn2_b64 s[4:5], s[4:5], exec
	s_and_b64 s[8:9], vcc, exec
	v_mov_b32_e32 v6, 0
	s_or_b64 s[4:5], s[4:5], s[8:9]
	s_or_b64 exec, exec, s[6:7]
	s_and_saveexec_b64 s[6:7], s[4:5]
	s_cbranch_execz .LBB2_31403
; %bb.55639:
	s_getpc_b64 s[14:15]
.Lpost_getpc31403:
	s_add_u32 s14, s14, (.LBB2_5463-.Lpost_getpc31403)&4294967295
	s_addc_u32 s15, s15, (.LBB2_5463-.Lpost_getpc31403)>>32
	s_setpc_b64 s[14:15]
.LBB2_31403:
	s_getpc_b64 s[14:15]
.Lpost_getpc19285:
	s_add_u32 s14, s14, (.LBB2_5464-.Lpost_getpc19285)&4294967295
	s_addc_u32 s15, s15, (.LBB2_5464-.Lpost_getpc19285)>>32
	s_setpc_b64 s[14:15]
.LBB2_19801:
	s_movk_i32 s4, 0x80
	v_cmp_eq_u16_sdwa s[12:13], v8, s4 src0_sel:BYTE_3 src1_sel:DWORD
	s_mov_b64 s[4:5], -1
                                        ; implicit-def: $sgpr10
	s_and_saveexec_b64 s[8:9], s[12:13]
; %bb.19802:
	s_mov_b32 s10, 0x7f800001
	s_xor_b64 s[4:5], exec, -1
; %bb.19803:
	s_or_b64 exec, exec, s[8:9]
	s_and_b64 s[4:5], s[4:5], exec
	s_or_saveexec_b64 s[6:7], s[6:7]
	v_mov_b32_e32 v2, s10
	s_xor_b64 exec, exec, s[6:7]
	s_cbranch_execnz .LBB2_19804
; %bb.55641:
	s_getpc_b64 s[14:15]
.Lpost_getpc31404:
	s_add_u32 s14, s14, (.LBB2_5466-.Lpost_getpc31404)&4294967295
	s_addc_u32 s15, s15, (.LBB2_5466-.Lpost_getpc31404)>>32
	s_setpc_b64 s[14:15]
.LBB2_19804:
	v_mov_b32_e32 v2, 0
	v_cmp_ne_u16_sdwa s[8:9], v8, v2 src0_sel:BYTE_3 src1_sel:DWORD
	s_andn2_b64 s[4:5], s[4:5], exec
	s_and_b64 s[8:9], s[8:9], exec
	s_or_b64 s[4:5], s[4:5], s[8:9]
	s_or_b64 exec, exec, s[6:7]
	s_and_saveexec_b64 s[6:7], s[4:5]
	s_cbranch_execz .LBB2_31405
; %bb.55643:
	s_getpc_b64 s[14:15]
.Lpost_getpc31405:
	s_add_u32 s14, s14, (.LBB2_5467-.Lpost_getpc31405)&4294967295
	s_addc_u32 s15, s15, (.LBB2_5467-.Lpost_getpc31405)>>32
	s_setpc_b64 s[14:15]
.LBB2_31405:
	s_getpc_b64 s[14:15]
.Lpost_getpc19286:
	s_add_u32 s14, s14, (.LBB2_5468-.Lpost_getpc19286)&4294967295
	s_addc_u32 s15, s15, (.LBB2_5468-.Lpost_getpc19286)>>32
	s_setpc_b64 s[14:15]
.LBB2_19805:
	s_movk_i32 s4, 0x80
	v_cmp_eq_u16_sdwa s[12:13], v4, s4 src0_sel:BYTE_3 src1_sel:DWORD
	s_mov_b64 s[4:5], -1
                                        ; implicit-def: $sgpr10
	s_and_saveexec_b64 s[8:9], s[12:13]
; %bb.19806:
	s_mov_b32 s10, 0x7f800001
	s_xor_b64 s[4:5], exec, -1
; %bb.19807:
	s_or_b64 exec, exec, s[8:9]
	s_and_b64 s[4:5], s[4:5], exec
	s_or_saveexec_b64 s[6:7], s[6:7]
	v_mov_b32_e32 v3, s10
	s_xor_b64 exec, exec, s[6:7]
	s_cbranch_execnz .LBB2_19808
; %bb.55645:
	s_getpc_b64 s[14:15]
.Lpost_getpc31406:
	s_add_u32 s14, s14, (.LBB2_5470-.Lpost_getpc31406)&4294967295
	s_addc_u32 s15, s15, (.LBB2_5470-.Lpost_getpc31406)>>32
	s_setpc_b64 s[14:15]
.LBB2_19808:
	v_mov_b32_e32 v3, 0
	v_cmp_ne_u16_sdwa s[8:9], v4, v3 src0_sel:BYTE_3 src1_sel:DWORD
	s_andn2_b64 s[4:5], s[4:5], exec
	s_and_b64 s[8:9], s[8:9], exec
	s_or_b64 s[4:5], s[4:5], s[8:9]
	s_or_b64 exec, exec, s[6:7]
	s_and_saveexec_b64 s[6:7], s[4:5]
	s_cbranch_execz .LBB2_31407
; %bb.55647:
	s_getpc_b64 s[14:15]
.Lpost_getpc31407:
	s_add_u32 s14, s14, (.LBB2_5471-.Lpost_getpc31407)&4294967295
	s_addc_u32 s15, s15, (.LBB2_5471-.Lpost_getpc31407)>>32
	s_setpc_b64 s[14:15]
.LBB2_31407:
	s_getpc_b64 s[14:15]
.Lpost_getpc19287:
	s_add_u32 s14, s14, (.LBB2_5472-.Lpost_getpc19287)&4294967295
	s_addc_u32 s15, s15, (.LBB2_5472-.Lpost_getpc19287)>>32
	s_setpc_b64 s[14:15]
.LBB2_19809:
	s_movk_i32 s4, 0x80
	v_cmp_eq_u16_sdwa s[12:13], v9, s4 src0_sel:BYTE_0 src1_sel:DWORD
	s_mov_b64 s[4:5], -1
                                        ; implicit-def: $sgpr10
	s_and_saveexec_b64 s[8:9], s[12:13]
; %bb.19810:
	s_mov_b32 s10, 0x7f800001
	s_xor_b64 s[4:5], exec, -1
; %bb.19811:
	s_or_b64 exec, exec, s[8:9]
	s_and_b64 s[4:5], s[4:5], exec
	s_or_saveexec_b64 s[6:7], s[6:7]
	v_mov_b32_e32 v2, s10
	s_xor_b64 exec, exec, s[6:7]
	s_cbranch_execnz .LBB2_19812
; %bb.55649:
	s_getpc_b64 s[14:15]
.Lpost_getpc31408:
	s_add_u32 s14, s14, (.LBB2_5474-.Lpost_getpc31408)&4294967295
	s_addc_u32 s15, s15, (.LBB2_5474-.Lpost_getpc31408)>>32
	s_setpc_b64 s[14:15]
.LBB2_19812:
	v_mov_b32_e32 v2, 0
	v_cmp_ne_u16_sdwa s[8:9], v9, v2 src0_sel:BYTE_0 src1_sel:DWORD
	s_andn2_b64 s[4:5], s[4:5], exec
	s_and_b64 s[8:9], s[8:9], exec
	s_or_b64 s[4:5], s[4:5], s[8:9]
	s_or_b64 exec, exec, s[6:7]
	s_and_saveexec_b64 s[6:7], s[4:5]
	s_cbranch_execz .LBB2_31409
; %bb.55651:
	s_getpc_b64 s[14:15]
.Lpost_getpc31409:
	s_add_u32 s14, s14, (.LBB2_5475-.Lpost_getpc31409)&4294967295
	s_addc_u32 s15, s15, (.LBB2_5475-.Lpost_getpc31409)>>32
	s_setpc_b64 s[14:15]
.LBB2_31409:
	s_getpc_b64 s[14:15]
.Lpost_getpc19288:
	s_add_u32 s14, s14, (.LBB2_5476-.Lpost_getpc19288)&4294967295
	s_addc_u32 s15, s15, (.LBB2_5476-.Lpost_getpc19288)>>32
	s_setpc_b64 s[14:15]
.LBB2_19813:
	s_movk_i32 s4, 0x80
	v_cmp_eq_u16_sdwa s[12:13], v5, s4 src0_sel:BYTE_0 src1_sel:DWORD
	s_mov_b64 s[4:5], -1
                                        ; implicit-def: $sgpr10
	s_and_saveexec_b64 s[8:9], s[12:13]
; %bb.19814:
	s_mov_b32 s10, 0x7f800001
	s_xor_b64 s[4:5], exec, -1
; %bb.19815:
	s_or_b64 exec, exec, s[8:9]
	s_and_b64 s[4:5], s[4:5], exec
	s_or_saveexec_b64 s[6:7], s[6:7]
	v_mov_b32_e32 v3, s10
	s_xor_b64 exec, exec, s[6:7]
	s_cbranch_execnz .LBB2_19816
; %bb.55653:
	s_getpc_b64 s[14:15]
.Lpost_getpc31410:
	s_add_u32 s14, s14, (.LBB2_5478-.Lpost_getpc31410)&4294967295
	s_addc_u32 s15, s15, (.LBB2_5478-.Lpost_getpc31410)>>32
	s_setpc_b64 s[14:15]
.LBB2_19816:
	v_mov_b32_e32 v3, 0
	v_cmp_ne_u16_sdwa s[8:9], v5, v3 src0_sel:BYTE_0 src1_sel:DWORD
	s_andn2_b64 s[4:5], s[4:5], exec
	s_and_b64 s[8:9], s[8:9], exec
	s_or_b64 s[4:5], s[4:5], s[8:9]
	s_or_b64 exec, exec, s[6:7]
	s_and_saveexec_b64 s[6:7], s[4:5]
	s_cbranch_execz .LBB2_31411
; %bb.55655:
	s_getpc_b64 s[14:15]
.Lpost_getpc31411:
	s_add_u32 s14, s14, (.LBB2_5479-.Lpost_getpc31411)&4294967295
	s_addc_u32 s15, s15, (.LBB2_5479-.Lpost_getpc31411)>>32
	s_setpc_b64 s[14:15]
.LBB2_31411:
	s_getpc_b64 s[14:15]
.Lpost_getpc19289:
	s_add_u32 s14, s14, (.LBB2_5480-.Lpost_getpc19289)&4294967295
	s_addc_u32 s15, s15, (.LBB2_5480-.Lpost_getpc19289)>>32
	s_setpc_b64 s[14:15]
.LBB2_19817:
	s_movk_i32 s4, 0x80
	v_cmp_eq_u16_sdwa s[12:13], v3, s4 src0_sel:BYTE_0 src1_sel:DWORD
	s_mov_b64 s[4:5], -1
                                        ; implicit-def: $sgpr10
	s_and_saveexec_b64 s[8:9], s[12:13]
; %bb.19818:
	s_mov_b32 s10, 0x7f800001
	s_xor_b64 s[4:5], exec, -1
; %bb.19819:
	s_or_b64 exec, exec, s[8:9]
	s_and_b64 s[4:5], s[4:5], exec
	s_or_saveexec_b64 s[6:7], s[6:7]
	v_mov_b32_e32 v2, s10
	s_xor_b64 exec, exec, s[6:7]
	s_cbranch_execnz .LBB2_19820
; %bb.55657:
	s_getpc_b64 s[14:15]
.Lpost_getpc31412:
	s_add_u32 s14, s14, (.LBB2_5482-.Lpost_getpc31412)&4294967295
	s_addc_u32 s15, s15, (.LBB2_5482-.Lpost_getpc31412)>>32
	s_setpc_b64 s[14:15]
.LBB2_19820:
	v_mov_b32_e32 v2, 0
	v_cmp_ne_u16_sdwa s[8:9], v3, v2 src0_sel:BYTE_0 src1_sel:DWORD
	s_andn2_b64 s[4:5], s[4:5], exec
	s_and_b64 s[8:9], s[8:9], exec
	s_or_b64 s[4:5], s[4:5], s[8:9]
	s_or_b64 exec, exec, s[6:7]
	s_and_saveexec_b64 s[6:7], s[4:5]
	s_cbranch_execz .LBB2_31413
; %bb.55659:
	s_getpc_b64 s[14:15]
.Lpost_getpc31413:
	s_add_u32 s14, s14, (.LBB2_5483-.Lpost_getpc31413)&4294967295
	s_addc_u32 s15, s15, (.LBB2_5483-.Lpost_getpc31413)>>32
	s_setpc_b64 s[14:15]
.LBB2_31413:
	s_getpc_b64 s[14:15]
.Lpost_getpc19290:
	s_add_u32 s14, s14, (.LBB2_5484-.Lpost_getpc19290)&4294967295
	s_addc_u32 s15, s15, (.LBB2_5484-.Lpost_getpc19290)>>32
	s_setpc_b64 s[14:15]
.LBB2_19821:
	s_movk_i32 s4, 0x80
	v_cmp_eq_u16_sdwa s[12:13], v3, s4 src0_sel:BYTE_0 src1_sel:DWORD
	s_mov_b64 s[4:5], -1
                                        ; implicit-def: $sgpr10
	s_and_saveexec_b64 s[8:9], s[12:13]
; %bb.19822:
	s_mov_b32 s10, 0x7f800001
	s_xor_b64 s[4:5], exec, -1
; %bb.19823:
	s_or_b64 exec, exec, s[8:9]
	s_and_b64 s[4:5], s[4:5], exec
	s_or_saveexec_b64 s[6:7], s[6:7]
	v_mov_b32_e32 v4, s10
	s_xor_b64 exec, exec, s[6:7]
	s_cbranch_execnz .LBB2_19824
; %bb.55661:
	s_getpc_b64 s[14:15]
.Lpost_getpc31414:
	s_add_u32 s14, s14, (.LBB2_5486-.Lpost_getpc31414)&4294967295
	s_addc_u32 s15, s15, (.LBB2_5486-.Lpost_getpc31414)>>32
	s_setpc_b64 s[14:15]
.LBB2_19824:
	v_mov_b32_e32 v4, 0
	v_cmp_ne_u16_sdwa s[8:9], v3, v4 src0_sel:BYTE_0 src1_sel:DWORD
	s_andn2_b64 s[4:5], s[4:5], exec
	s_and_b64 s[8:9], s[8:9], exec
	s_or_b64 s[4:5], s[4:5], s[8:9]
	s_or_b64 exec, exec, s[6:7]
	s_and_saveexec_b64 s[6:7], s[4:5]
	s_cbranch_execz .LBB2_31415
; %bb.55663:
	s_getpc_b64 s[14:15]
.Lpost_getpc31415:
	s_add_u32 s14, s14, (.LBB2_5487-.Lpost_getpc31415)&4294967295
	s_addc_u32 s15, s15, (.LBB2_5487-.Lpost_getpc31415)>>32
	s_setpc_b64 s[14:15]
.LBB2_31415:
	s_getpc_b64 s[14:15]
.Lpost_getpc19291:
	s_add_u32 s14, s14, (.LBB2_5488-.Lpost_getpc19291)&4294967295
	s_addc_u32 s15, s15, (.LBB2_5488-.Lpost_getpc19291)>>32
	s_setpc_b64 s[14:15]
.LBB2_19825:
	s_movk_i32 s4, 0x80
	v_cmp_eq_u16_e32 vcc, s4, v3
	s_mov_b64 s[4:5], -1
                                        ; implicit-def: $sgpr10
	s_and_saveexec_b64 s[8:9], vcc
; %bb.19826:
	s_mov_b32 s10, 0x7f800001
	s_xor_b64 s[4:5], exec, -1
; %bb.19827:
	s_or_b64 exec, exec, s[8:9]
	s_and_b64 s[4:5], s[4:5], exec
                                        ; implicit-def: $vgpr3
	s_or_saveexec_b64 s[6:7], s[6:7]
	v_mov_b32_e32 v2, s10
	s_xor_b64 exec, exec, s[6:7]
	s_cbranch_execnz .LBB2_19828
; %bb.55665:
	s_getpc_b64 s[14:15]
.Lpost_getpc31416:
	s_add_u32 s14, s14, (.LBB2_5490-.Lpost_getpc31416)&4294967295
	s_addc_u32 s15, s15, (.LBB2_5490-.Lpost_getpc31416)>>32
	s_setpc_b64 s[14:15]
.LBB2_19828:
	v_cmp_ne_u16_e32 vcc, 0, v3
	s_andn2_b64 s[4:5], s[4:5], exec
	s_and_b64 s[8:9], vcc, exec
	v_mov_b32_e32 v2, 0
	s_or_b64 s[4:5], s[4:5], s[8:9]
	s_or_b64 exec, exec, s[6:7]
	s_and_saveexec_b64 s[6:7], s[4:5]
	s_cbranch_execz .LBB2_31417
; %bb.55667:
	s_getpc_b64 s[14:15]
.Lpost_getpc31417:
	s_add_u32 s14, s14, (.LBB2_5491-.Lpost_getpc31417)&4294967295
	s_addc_u32 s15, s15, (.LBB2_5491-.Lpost_getpc31417)>>32
	s_setpc_b64 s[14:15]
.LBB2_31417:
	s_getpc_b64 s[14:15]
.Lpost_getpc19292:
	s_add_u32 s14, s14, (.LBB2_5492-.Lpost_getpc19292)&4294967295
	s_addc_u32 s15, s15, (.LBB2_5492-.Lpost_getpc19292)>>32
	s_setpc_b64 s[14:15]
.LBB2_19829:
	s_movk_i32 s4, 0x80
	v_cmp_eq_u16_e32 vcc, s4, v3
	s_mov_b64 s[4:5], -1
                                        ; implicit-def: $sgpr10
	s_and_saveexec_b64 s[8:9], vcc
; %bb.19830:
	s_mov_b32 s10, 0x7f800001
	s_xor_b64 s[4:5], exec, -1
; %bb.19831:
	s_or_b64 exec, exec, s[8:9]
	s_and_b64 s[4:5], s[4:5], exec
                                        ; implicit-def: $vgpr3
	s_or_saveexec_b64 s[6:7], s[6:7]
	v_mov_b32_e32 v4, s10
	s_xor_b64 exec, exec, s[6:7]
	s_cbranch_execnz .LBB2_19832
; %bb.55669:
	s_getpc_b64 s[14:15]
.Lpost_getpc31418:
	s_add_u32 s14, s14, (.LBB2_5494-.Lpost_getpc31418)&4294967295
	s_addc_u32 s15, s15, (.LBB2_5494-.Lpost_getpc31418)>>32
	s_setpc_b64 s[14:15]
.LBB2_19832:
	v_cmp_ne_u16_e32 vcc, 0, v3
	s_andn2_b64 s[4:5], s[4:5], exec
	s_and_b64 s[8:9], vcc, exec
	v_mov_b32_e32 v4, 0
	s_or_b64 s[4:5], s[4:5], s[8:9]
	s_or_b64 exec, exec, s[6:7]
	s_and_saveexec_b64 s[6:7], s[4:5]
	s_cbranch_execz .LBB2_31419
; %bb.55671:
	s_getpc_b64 s[14:15]
.Lpost_getpc31419:
	s_add_u32 s14, s14, (.LBB2_5495-.Lpost_getpc31419)&4294967295
	s_addc_u32 s15, s15, (.LBB2_5495-.Lpost_getpc31419)>>32
	s_setpc_b64 s[14:15]
.LBB2_31419:
	s_getpc_b64 s[14:15]
.Lpost_getpc19293:
	s_add_u32 s14, s14, (.LBB2_5496-.Lpost_getpc19293)&4294967295
	s_addc_u32 s15, s15, (.LBB2_5496-.Lpost_getpc19293)>>32
	s_setpc_b64 s[14:15]
.LBB2_19833:
	s_movk_i32 s4, 0x80
	v_cmp_eq_u16_sdwa s[12:13], v9, s4 src0_sel:BYTE_3 src1_sel:DWORD
	s_mov_b64 s[4:5], -1
                                        ; implicit-def: $sgpr10
	s_and_saveexec_b64 s[8:9], s[12:13]
; %bb.19834:
	s_mov_b32 s10, 0x7f800001
	s_xor_b64 s[4:5], exec, -1
; %bb.19835:
	s_or_b64 exec, exec, s[8:9]
	s_and_b64 s[4:5], s[4:5], exec
	s_or_saveexec_b64 s[6:7], s[6:7]
	v_mov_b32_e32 v2, s10
	s_xor_b64 exec, exec, s[6:7]
	s_cbranch_execnz .LBB2_19836
; %bb.55673:
	s_getpc_b64 s[14:15]
.Lpost_getpc31420:
	s_add_u32 s14, s14, (.LBB2_5498-.Lpost_getpc31420)&4294967295
	s_addc_u32 s15, s15, (.LBB2_5498-.Lpost_getpc31420)>>32
	s_setpc_b64 s[14:15]
.LBB2_19836:
	v_mov_b32_e32 v2, 0
	v_cmp_ne_u16_sdwa s[8:9], v9, v2 src0_sel:BYTE_3 src1_sel:DWORD
	s_andn2_b64 s[4:5], s[4:5], exec
	s_and_b64 s[8:9], s[8:9], exec
	s_or_b64 s[4:5], s[4:5], s[8:9]
	s_or_b64 exec, exec, s[6:7]
	s_and_saveexec_b64 s[6:7], s[4:5]
	s_cbranch_execz .LBB2_31421
; %bb.55675:
	s_getpc_b64 s[14:15]
.Lpost_getpc31421:
	s_add_u32 s14, s14, (.LBB2_5499-.Lpost_getpc31421)&4294967295
	s_addc_u32 s15, s15, (.LBB2_5499-.Lpost_getpc31421)>>32
	s_setpc_b64 s[14:15]
.LBB2_31421:
	s_getpc_b64 s[14:15]
.Lpost_getpc19294:
	s_add_u32 s14, s14, (.LBB2_5500-.Lpost_getpc19294)&4294967295
	s_addc_u32 s15, s15, (.LBB2_5500-.Lpost_getpc19294)>>32
	s_setpc_b64 s[14:15]
.LBB2_19837:
	s_movk_i32 s4, 0x80
	v_cmp_eq_u16_sdwa s[12:13], v5, s4 src0_sel:BYTE_3 src1_sel:DWORD
	s_mov_b64 s[4:5], -1
                                        ; implicit-def: $sgpr10
	s_and_saveexec_b64 s[8:9], s[12:13]
; %bb.19838:
	s_mov_b32 s10, 0x7f800001
	s_xor_b64 s[4:5], exec, -1
; %bb.19839:
	s_or_b64 exec, exec, s[8:9]
	s_and_b64 s[4:5], s[4:5], exec
	s_or_saveexec_b64 s[6:7], s[6:7]
	v_mov_b32_e32 v3, s10
	s_xor_b64 exec, exec, s[6:7]
	s_cbranch_execnz .LBB2_19840
; %bb.55677:
	s_getpc_b64 s[14:15]
.Lpost_getpc31422:
	s_add_u32 s14, s14, (.LBB2_5502-.Lpost_getpc31422)&4294967295
	s_addc_u32 s15, s15, (.LBB2_5502-.Lpost_getpc31422)>>32
	s_setpc_b64 s[14:15]
.LBB2_19840:
	v_mov_b32_e32 v3, 0
	v_cmp_ne_u16_sdwa s[8:9], v5, v3 src0_sel:BYTE_3 src1_sel:DWORD
	s_andn2_b64 s[4:5], s[4:5], exec
	s_and_b64 s[8:9], s[8:9], exec
	s_or_b64 s[4:5], s[4:5], s[8:9]
	s_or_b64 exec, exec, s[6:7]
	s_and_saveexec_b64 s[6:7], s[4:5]
	s_cbranch_execz .LBB2_31423
; %bb.55679:
	s_getpc_b64 s[14:15]
.Lpost_getpc31423:
	s_add_u32 s14, s14, (.LBB2_5503-.Lpost_getpc31423)&4294967295
	s_addc_u32 s15, s15, (.LBB2_5503-.Lpost_getpc31423)>>32
	s_setpc_b64 s[14:15]
.LBB2_31423:
	s_getpc_b64 s[14:15]
.Lpost_getpc19295:
	s_add_u32 s14, s14, (.LBB2_5504-.Lpost_getpc19295)&4294967295
	s_addc_u32 s15, s15, (.LBB2_5504-.Lpost_getpc19295)>>32
	s_setpc_b64 s[14:15]
.LBB2_19841:
	s_movk_i32 s4, 0x80
	v_cmp_eq_u16_sdwa s[12:13], v6, s4 src0_sel:BYTE_0 src1_sel:DWORD
	s_mov_b64 s[4:5], -1
                                        ; implicit-def: $sgpr10
	s_and_saveexec_b64 s[8:9], s[12:13]
; %bb.19842:
	s_mov_b32 s10, 0x7f800001
	s_xor_b64 s[4:5], exec, -1
; %bb.19843:
	s_or_b64 exec, exec, s[8:9]
	s_and_b64 s[4:5], s[4:5], exec
	s_or_saveexec_b64 s[6:7], s[6:7]
	v_mov_b32_e32 v12, s10
	s_xor_b64 exec, exec, s[6:7]
	s_cbranch_execnz .LBB2_19844
; %bb.55681:
	s_getpc_b64 s[14:15]
.Lpost_getpc31424:
	s_add_u32 s14, s14, (.LBB2_5506-.Lpost_getpc31424)&4294967295
	s_addc_u32 s15, s15, (.LBB2_5506-.Lpost_getpc31424)>>32
	s_setpc_b64 s[14:15]
.LBB2_19844:
	v_mov_b32_e32 v12, 0
	v_cmp_ne_u16_sdwa s[8:9], v6, v12 src0_sel:BYTE_0 src1_sel:DWORD
	s_andn2_b64 s[4:5], s[4:5], exec
	s_and_b64 s[8:9], s[8:9], exec
	s_or_b64 s[4:5], s[4:5], s[8:9]
	s_or_b64 exec, exec, s[6:7]
	s_and_saveexec_b64 s[6:7], s[4:5]
	s_cbranch_execz .LBB2_31425
; %bb.55683:
	s_getpc_b64 s[14:15]
.Lpost_getpc31425:
	s_add_u32 s14, s14, (.LBB2_5507-.Lpost_getpc31425)&4294967295
	s_addc_u32 s15, s15, (.LBB2_5507-.Lpost_getpc31425)>>32
	s_setpc_b64 s[14:15]
.LBB2_31425:
	s_getpc_b64 s[14:15]
.Lpost_getpc19296:
	s_add_u32 s14, s14, (.LBB2_5508-.Lpost_getpc19296)&4294967295
	s_addc_u32 s15, s15, (.LBB2_5508-.Lpost_getpc19296)>>32
	s_setpc_b64 s[14:15]
.LBB2_19845:
	s_movk_i32 s4, 0x80
	v_cmp_eq_u16_sdwa s[12:13], v2, s4 src0_sel:BYTE_0 src1_sel:DWORD
	s_mov_b64 s[4:5], -1
                                        ; implicit-def: $sgpr10
	s_and_saveexec_b64 s[8:9], s[12:13]
; %bb.19846:
	s_mov_b32 s10, 0x7f800001
	s_xor_b64 s[4:5], exec, -1
; %bb.19847:
	s_or_b64 exec, exec, s[8:9]
	s_and_b64 s[4:5], s[4:5], exec
	s_or_saveexec_b64 s[6:7], s[6:7]
	v_mov_b32_e32 v13, s10
	s_xor_b64 exec, exec, s[6:7]
	s_cbranch_execnz .LBB2_19848
; %bb.55685:
	s_getpc_b64 s[14:15]
.Lpost_getpc31426:
	s_add_u32 s14, s14, (.LBB2_5510-.Lpost_getpc31426)&4294967295
	s_addc_u32 s15, s15, (.LBB2_5510-.Lpost_getpc31426)>>32
	s_setpc_b64 s[14:15]
.LBB2_19848:
	v_mov_b32_e32 v13, 0
	v_cmp_ne_u16_sdwa s[8:9], v2, v13 src0_sel:BYTE_0 src1_sel:DWORD
	s_andn2_b64 s[4:5], s[4:5], exec
	s_and_b64 s[8:9], s[8:9], exec
	s_or_b64 s[4:5], s[4:5], s[8:9]
	s_or_b64 exec, exec, s[6:7]
	s_and_saveexec_b64 s[6:7], s[4:5]
	s_cbranch_execz .LBB2_31427
; %bb.55687:
	s_getpc_b64 s[14:15]
.Lpost_getpc31427:
	s_add_u32 s14, s14, (.LBB2_5511-.Lpost_getpc31427)&4294967295
	s_addc_u32 s15, s15, (.LBB2_5511-.Lpost_getpc31427)>>32
	s_setpc_b64 s[14:15]
.LBB2_31427:
	s_getpc_b64 s[14:15]
.Lpost_getpc19297:
	s_add_u32 s14, s14, (.LBB2_5512-.Lpost_getpc19297)&4294967295
	s_addc_u32 s15, s15, (.LBB2_5512-.Lpost_getpc19297)>>32
	s_setpc_b64 s[14:15]
.LBB2_19849:
	s_movk_i32 s4, 0x80
	v_cmp_eq_u16_sdwa s[12:13], v13, s4 src0_sel:BYTE_0 src1_sel:DWORD
	s_mov_b64 s[4:5], -1
                                        ; implicit-def: $sgpr10
	s_and_saveexec_b64 s[8:9], s[12:13]
; %bb.19850:
	s_mov_b32 s10, 0x7f800001
	s_xor_b64 s[4:5], exec, -1
; %bb.19851:
	s_or_b64 exec, exec, s[8:9]
	s_and_b64 s[4:5], s[4:5], exec
	s_or_saveexec_b64 s[6:7], s[6:7]
	v_mov_b32_e32 v12, s10
	s_xor_b64 exec, exec, s[6:7]
	s_cbranch_execnz .LBB2_19852
; %bb.55689:
	s_getpc_b64 s[14:15]
.Lpost_getpc31428:
	s_add_u32 s14, s14, (.LBB2_5514-.Lpost_getpc31428)&4294967295
	s_addc_u32 s15, s15, (.LBB2_5514-.Lpost_getpc31428)>>32
	s_setpc_b64 s[14:15]
.LBB2_19852:
	v_mov_b32_e32 v12, 0
	v_cmp_ne_u16_sdwa s[8:9], v13, v12 src0_sel:BYTE_0 src1_sel:DWORD
	s_andn2_b64 s[4:5], s[4:5], exec
	s_and_b64 s[8:9], s[8:9], exec
	s_or_b64 s[4:5], s[4:5], s[8:9]
	s_or_b64 exec, exec, s[6:7]
	s_and_saveexec_b64 s[6:7], s[4:5]
	s_cbranch_execz .LBB2_31429
; %bb.55691:
	s_getpc_b64 s[14:15]
.Lpost_getpc31429:
	s_add_u32 s14, s14, (.LBB2_5515-.Lpost_getpc31429)&4294967295
	s_addc_u32 s15, s15, (.LBB2_5515-.Lpost_getpc31429)>>32
	s_setpc_b64 s[14:15]
.LBB2_31429:
	s_getpc_b64 s[14:15]
.Lpost_getpc19298:
	s_add_u32 s14, s14, (.LBB2_5516-.Lpost_getpc19298)&4294967295
	s_addc_u32 s15, s15, (.LBB2_5516-.Lpost_getpc19298)>>32
	s_setpc_b64 s[14:15]
.LBB2_19853:
	s_movk_i32 s4, 0x80
	v_cmp_eq_u16_sdwa s[12:13], v13, s4 src0_sel:BYTE_0 src1_sel:DWORD
	s_mov_b64 s[4:5], -1
                                        ; implicit-def: $sgpr10
	s_and_saveexec_b64 s[8:9], s[12:13]
; %bb.19854:
	s_mov_b32 s10, 0x7f800001
	s_xor_b64 s[4:5], exec, -1
; %bb.19855:
	s_or_b64 exec, exec, s[8:9]
	s_and_b64 s[4:5], s[4:5], exec
	s_or_saveexec_b64 s[6:7], s[6:7]
	v_mov_b32_e32 v14, s10
	s_xor_b64 exec, exec, s[6:7]
	s_cbranch_execnz .LBB2_19856
; %bb.55693:
	s_getpc_b64 s[14:15]
.Lpost_getpc31430:
	s_add_u32 s14, s14, (.LBB2_5518-.Lpost_getpc31430)&4294967295
	s_addc_u32 s15, s15, (.LBB2_5518-.Lpost_getpc31430)>>32
	s_setpc_b64 s[14:15]
.LBB2_19856:
	v_mov_b32_e32 v14, 0
	v_cmp_ne_u16_sdwa s[8:9], v13, v14 src0_sel:BYTE_0 src1_sel:DWORD
	s_andn2_b64 s[4:5], s[4:5], exec
	s_and_b64 s[8:9], s[8:9], exec
	s_or_b64 s[4:5], s[4:5], s[8:9]
	s_or_b64 exec, exec, s[6:7]
	s_and_saveexec_b64 s[6:7], s[4:5]
	s_cbranch_execz .LBB2_31431
; %bb.55695:
	s_getpc_b64 s[14:15]
.Lpost_getpc31431:
	s_add_u32 s14, s14, (.LBB2_5519-.Lpost_getpc31431)&4294967295
	s_addc_u32 s15, s15, (.LBB2_5519-.Lpost_getpc31431)>>32
	s_setpc_b64 s[14:15]
.LBB2_31431:
	s_getpc_b64 s[14:15]
.Lpost_getpc19299:
	s_add_u32 s14, s14, (.LBB2_5520-.Lpost_getpc19299)&4294967295
	s_addc_u32 s15, s15, (.LBB2_5520-.Lpost_getpc19299)>>32
	s_setpc_b64 s[14:15]
.LBB2_19857:
	s_movk_i32 s4, 0x80
	v_cmp_eq_u16_e32 vcc, s4, v13
	s_mov_b64 s[4:5], -1
                                        ; implicit-def: $sgpr10
	s_and_saveexec_b64 s[8:9], vcc
; %bb.19858:
	s_mov_b32 s10, 0x7f800001
	s_xor_b64 s[4:5], exec, -1
; %bb.19859:
	s_or_b64 exec, exec, s[8:9]
	s_and_b64 s[4:5], s[4:5], exec
                                        ; implicit-def: $vgpr13
	s_or_saveexec_b64 s[6:7], s[6:7]
	v_mov_b32_e32 v12, s10
	s_xor_b64 exec, exec, s[6:7]
	s_cbranch_execnz .LBB2_19860
; %bb.55697:
	s_getpc_b64 s[14:15]
.Lpost_getpc31432:
	s_add_u32 s14, s14, (.LBB2_5522-.Lpost_getpc31432)&4294967295
	s_addc_u32 s15, s15, (.LBB2_5522-.Lpost_getpc31432)>>32
	s_setpc_b64 s[14:15]
.LBB2_19860:
	v_cmp_ne_u16_e32 vcc, 0, v13
	s_andn2_b64 s[4:5], s[4:5], exec
	s_and_b64 s[8:9], vcc, exec
	v_mov_b32_e32 v12, 0
	s_or_b64 s[4:5], s[4:5], s[8:9]
	s_or_b64 exec, exec, s[6:7]
	s_and_saveexec_b64 s[6:7], s[4:5]
	s_cbranch_execz .LBB2_31433
; %bb.55699:
	s_getpc_b64 s[14:15]
.Lpost_getpc31433:
	s_add_u32 s14, s14, (.LBB2_5523-.Lpost_getpc31433)&4294967295
	s_addc_u32 s15, s15, (.LBB2_5523-.Lpost_getpc31433)>>32
	s_setpc_b64 s[14:15]
.LBB2_31433:
	s_getpc_b64 s[14:15]
.Lpost_getpc19300:
	s_add_u32 s14, s14, (.LBB2_5524-.Lpost_getpc19300)&4294967295
	s_addc_u32 s15, s15, (.LBB2_5524-.Lpost_getpc19300)>>32
	s_setpc_b64 s[14:15]
.LBB2_19861:
	s_movk_i32 s4, 0x80
	v_cmp_eq_u16_e32 vcc, s4, v13
	s_mov_b64 s[4:5], -1
                                        ; implicit-def: $sgpr10
	s_and_saveexec_b64 s[8:9], vcc
; %bb.19862:
	s_mov_b32 s10, 0x7f800001
	s_xor_b64 s[4:5], exec, -1
; %bb.19863:
	s_or_b64 exec, exec, s[8:9]
	s_and_b64 s[4:5], s[4:5], exec
                                        ; implicit-def: $vgpr13
	s_or_saveexec_b64 s[6:7], s[6:7]
	v_mov_b32_e32 v14, s10
	s_xor_b64 exec, exec, s[6:7]
	s_cbranch_execnz .LBB2_19864
; %bb.55701:
	s_getpc_b64 s[14:15]
.Lpost_getpc31434:
	s_add_u32 s14, s14, (.LBB2_5526-.Lpost_getpc31434)&4294967295
	s_addc_u32 s15, s15, (.LBB2_5526-.Lpost_getpc31434)>>32
	s_setpc_b64 s[14:15]
.LBB2_19864:
	v_cmp_ne_u16_e32 vcc, 0, v13
	s_andn2_b64 s[4:5], s[4:5], exec
	s_and_b64 s[8:9], vcc, exec
	v_mov_b32_e32 v14, 0
	s_or_b64 s[4:5], s[4:5], s[8:9]
	s_or_b64 exec, exec, s[6:7]
	s_and_saveexec_b64 s[6:7], s[4:5]
	s_cbranch_execz .LBB2_31435
; %bb.55703:
	s_getpc_b64 s[14:15]
.Lpost_getpc31435:
	s_add_u32 s14, s14, (.LBB2_5527-.Lpost_getpc31435)&4294967295
	s_addc_u32 s15, s15, (.LBB2_5527-.Lpost_getpc31435)>>32
	s_setpc_b64 s[14:15]
.LBB2_31435:
	s_getpc_b64 s[14:15]
.Lpost_getpc19301:
	s_add_u32 s14, s14, (.LBB2_5528-.Lpost_getpc19301)&4294967295
	s_addc_u32 s15, s15, (.LBB2_5528-.Lpost_getpc19301)>>32
	s_setpc_b64 s[14:15]
.LBB2_19865:
	s_movk_i32 s4, 0x80
	v_cmp_eq_u16_sdwa s[12:13], v6, s4 src0_sel:BYTE_3 src1_sel:DWORD
	s_mov_b64 s[4:5], -1
                                        ; implicit-def: $sgpr10
	s_and_saveexec_b64 s[8:9], s[12:13]
; %bb.19866:
	s_mov_b32 s10, 0x7f800001
	s_xor_b64 s[4:5], exec, -1
; %bb.19867:
	s_or_b64 exec, exec, s[8:9]
	s_and_b64 s[4:5], s[4:5], exec
	s_or_saveexec_b64 s[6:7], s[6:7]
	v_mov_b32_e32 v12, s10
	s_xor_b64 exec, exec, s[6:7]
	s_cbranch_execnz .LBB2_19868
; %bb.55705:
	s_getpc_b64 s[14:15]
.Lpost_getpc31436:
	s_add_u32 s14, s14, (.LBB2_5530-.Lpost_getpc31436)&4294967295
	s_addc_u32 s15, s15, (.LBB2_5530-.Lpost_getpc31436)>>32
	s_setpc_b64 s[14:15]
.LBB2_19868:
	v_mov_b32_e32 v12, 0
	v_cmp_ne_u16_sdwa s[8:9], v6, v12 src0_sel:BYTE_3 src1_sel:DWORD
	s_andn2_b64 s[4:5], s[4:5], exec
	s_and_b64 s[8:9], s[8:9], exec
	s_or_b64 s[4:5], s[4:5], s[8:9]
	s_or_b64 exec, exec, s[6:7]
	s_and_saveexec_b64 s[6:7], s[4:5]
	s_cbranch_execz .LBB2_31437
; %bb.55707:
	s_getpc_b64 s[14:15]
.Lpost_getpc31437:
	s_add_u32 s14, s14, (.LBB2_5531-.Lpost_getpc31437)&4294967295
	s_addc_u32 s15, s15, (.LBB2_5531-.Lpost_getpc31437)>>32
	s_setpc_b64 s[14:15]
.LBB2_31437:
	s_getpc_b64 s[14:15]
.Lpost_getpc19302:
	s_add_u32 s14, s14, (.LBB2_5532-.Lpost_getpc19302)&4294967295
	s_addc_u32 s15, s15, (.LBB2_5532-.Lpost_getpc19302)>>32
	s_setpc_b64 s[14:15]
.LBB2_19869:
	s_movk_i32 s4, 0x80
	v_cmp_eq_u16_sdwa s[12:13], v2, s4 src0_sel:BYTE_3 src1_sel:DWORD
	s_mov_b64 s[4:5], -1
                                        ; implicit-def: $sgpr10
	s_and_saveexec_b64 s[8:9], s[12:13]
; %bb.19870:
	s_mov_b32 s10, 0x7f800001
	s_xor_b64 s[4:5], exec, -1
; %bb.19871:
	s_or_b64 exec, exec, s[8:9]
	s_and_b64 s[4:5], s[4:5], exec
	s_or_saveexec_b64 s[6:7], s[6:7]
	v_mov_b32_e32 v6, s10
	s_xor_b64 exec, exec, s[6:7]
	s_cbranch_execnz .LBB2_19872
; %bb.55709:
	s_getpc_b64 s[14:15]
.Lpost_getpc31438:
	s_add_u32 s14, s14, (.LBB2_5534-.Lpost_getpc31438)&4294967295
	s_addc_u32 s15, s15, (.LBB2_5534-.Lpost_getpc31438)>>32
	s_setpc_b64 s[14:15]
.LBB2_19872:
	v_mov_b32_e32 v6, 0
	v_cmp_ne_u16_sdwa s[8:9], v2, v6 src0_sel:BYTE_3 src1_sel:DWORD
	s_andn2_b64 s[4:5], s[4:5], exec
	s_and_b64 s[8:9], s[8:9], exec
	s_or_b64 s[4:5], s[4:5], s[8:9]
	s_or_b64 exec, exec, s[6:7]
	s_and_saveexec_b64 s[6:7], s[4:5]
	s_cbranch_execz .LBB2_31439
; %bb.55711:
	s_getpc_b64 s[14:15]
.Lpost_getpc31439:
	s_add_u32 s14, s14, (.LBB2_5535-.Lpost_getpc31439)&4294967295
	s_addc_u32 s15, s15, (.LBB2_5535-.Lpost_getpc31439)>>32
	s_setpc_b64 s[14:15]
.LBB2_31439:
	s_getpc_b64 s[14:15]
.Lpost_getpc19303:
	s_add_u32 s14, s14, (.LBB2_5536-.Lpost_getpc19303)&4294967295
	s_addc_u32 s15, s15, (.LBB2_5536-.Lpost_getpc19303)>>32
	s_setpc_b64 s[14:15]
.LBB2_19873:
	s_movk_i32 s4, 0x80
	v_cmp_eq_u16_sdwa s[12:13], v7, s4 src0_sel:BYTE_0 src1_sel:DWORD
	s_mov_b64 s[4:5], -1
                                        ; implicit-def: $sgpr10
	s_and_saveexec_b64 s[8:9], s[12:13]
; %bb.19874:
	s_mov_b32 s10, 0x7f800001
	s_xor_b64 s[4:5], exec, -1
; %bb.19875:
	s_or_b64 exec, exec, s[8:9]
	s_and_b64 s[4:5], s[4:5], exec
	s_or_saveexec_b64 s[6:7], s[6:7]
	v_mov_b32_e32 v2, s10
	s_xor_b64 exec, exec, s[6:7]
	s_cbranch_execnz .LBB2_19876
; %bb.55713:
	s_getpc_b64 s[14:15]
.Lpost_getpc31440:
	s_add_u32 s14, s14, (.LBB2_5538-.Lpost_getpc31440)&4294967295
	s_addc_u32 s15, s15, (.LBB2_5538-.Lpost_getpc31440)>>32
	s_setpc_b64 s[14:15]
.LBB2_19876:
	v_mov_b32_e32 v2, 0
	v_cmp_ne_u16_sdwa s[8:9], v7, v2 src0_sel:BYTE_0 src1_sel:DWORD
	s_andn2_b64 s[4:5], s[4:5], exec
	s_and_b64 s[8:9], s[8:9], exec
	s_or_b64 s[4:5], s[4:5], s[8:9]
	s_or_b64 exec, exec, s[6:7]
	s_and_saveexec_b64 s[6:7], s[4:5]
	s_cbranch_execz .LBB2_31441
; %bb.55715:
	s_getpc_b64 s[14:15]
.Lpost_getpc31441:
	s_add_u32 s14, s14, (.LBB2_5539-.Lpost_getpc31441)&4294967295
	s_addc_u32 s15, s15, (.LBB2_5539-.Lpost_getpc31441)>>32
	s_setpc_b64 s[14:15]
.LBB2_31441:
	s_getpc_b64 s[14:15]
.Lpost_getpc19304:
	s_add_u32 s14, s14, (.LBB2_5540-.Lpost_getpc19304)&4294967295
	s_addc_u32 s15, s15, (.LBB2_5540-.Lpost_getpc19304)>>32
	s_setpc_b64 s[14:15]
.LBB2_19877:
	s_movk_i32 s4, 0x80
	v_cmp_eq_u16_sdwa s[12:13], v3, s4 src0_sel:BYTE_0 src1_sel:DWORD
	s_mov_b64 s[4:5], -1
                                        ; implicit-def: $sgpr10
	s_and_saveexec_b64 s[8:9], s[12:13]
; %bb.19878:
	s_mov_b32 s10, 0x7f800001
	s_xor_b64 s[4:5], exec, -1
; %bb.19879:
	s_or_b64 exec, exec, s[8:9]
	s_and_b64 s[4:5], s[4:5], exec
	s_or_saveexec_b64 s[6:7], s[6:7]
	v_mov_b32_e32 v6, s10
	s_xor_b64 exec, exec, s[6:7]
	s_cbranch_execnz .LBB2_19880
; %bb.55717:
	s_getpc_b64 s[14:15]
.Lpost_getpc31442:
	s_add_u32 s14, s14, (.LBB2_5542-.Lpost_getpc31442)&4294967295
	s_addc_u32 s15, s15, (.LBB2_5542-.Lpost_getpc31442)>>32
	s_setpc_b64 s[14:15]
.LBB2_19880:
	v_mov_b32_e32 v6, 0
	v_cmp_ne_u16_sdwa s[8:9], v3, v6 src0_sel:BYTE_0 src1_sel:DWORD
	s_andn2_b64 s[4:5], s[4:5], exec
	s_and_b64 s[8:9], s[8:9], exec
	s_or_b64 s[4:5], s[4:5], s[8:9]
	s_or_b64 exec, exec, s[6:7]
	s_and_saveexec_b64 s[6:7], s[4:5]
	s_cbranch_execz .LBB2_31443
; %bb.55719:
	s_getpc_b64 s[14:15]
.Lpost_getpc31443:
	s_add_u32 s14, s14, (.LBB2_5543-.Lpost_getpc31443)&4294967295
	s_addc_u32 s15, s15, (.LBB2_5543-.Lpost_getpc31443)>>32
	s_setpc_b64 s[14:15]
.LBB2_31443:
	s_getpc_b64 s[14:15]
.Lpost_getpc19305:
	s_add_u32 s14, s14, (.LBB2_5544-.Lpost_getpc19305)&4294967295
	s_addc_u32 s15, s15, (.LBB2_5544-.Lpost_getpc19305)>>32
	s_setpc_b64 s[14:15]
.LBB2_19881:
	s_movk_i32 s4, 0x80
	v_cmp_eq_u16_sdwa s[12:13], v6, s4 src0_sel:BYTE_0 src1_sel:DWORD
	s_mov_b64 s[4:5], -1
                                        ; implicit-def: $sgpr10
	s_and_saveexec_b64 s[8:9], s[12:13]
; %bb.19882:
	s_mov_b32 s10, 0x7f800001
	s_xor_b64 s[4:5], exec, -1
; %bb.19883:
	s_or_b64 exec, exec, s[8:9]
	s_and_b64 s[4:5], s[4:5], exec
	s_or_saveexec_b64 s[6:7], s[6:7]
	v_mov_b32_e32 v2, s10
	s_xor_b64 exec, exec, s[6:7]
	s_cbranch_execnz .LBB2_19884
; %bb.55721:
	s_getpc_b64 s[14:15]
.Lpost_getpc31444:
	s_add_u32 s14, s14, (.LBB2_5546-.Lpost_getpc31444)&4294967295
	s_addc_u32 s15, s15, (.LBB2_5546-.Lpost_getpc31444)>>32
	s_setpc_b64 s[14:15]
.LBB2_19884:
	v_mov_b32_e32 v2, 0
	v_cmp_ne_u16_sdwa s[8:9], v6, v2 src0_sel:BYTE_0 src1_sel:DWORD
	s_andn2_b64 s[4:5], s[4:5], exec
	s_and_b64 s[8:9], s[8:9], exec
	s_or_b64 s[4:5], s[4:5], s[8:9]
	s_or_b64 exec, exec, s[6:7]
	s_and_saveexec_b64 s[6:7], s[4:5]
	s_cbranch_execz .LBB2_31445
; %bb.55723:
	s_getpc_b64 s[14:15]
.Lpost_getpc31445:
	s_add_u32 s14, s14, (.LBB2_5547-.Lpost_getpc31445)&4294967295
	s_addc_u32 s15, s15, (.LBB2_5547-.Lpost_getpc31445)>>32
	s_setpc_b64 s[14:15]
.LBB2_31445:
	s_getpc_b64 s[14:15]
.Lpost_getpc19306:
	s_add_u32 s14, s14, (.LBB2_5548-.Lpost_getpc19306)&4294967295
	s_addc_u32 s15, s15, (.LBB2_5548-.Lpost_getpc19306)>>32
	s_setpc_b64 s[14:15]
.LBB2_19885:
	s_movk_i32 s4, 0x80
	v_cmp_eq_u16_sdwa s[12:13], v6, s4 src0_sel:BYTE_0 src1_sel:DWORD
	s_mov_b64 s[4:5], -1
                                        ; implicit-def: $sgpr10
	s_and_saveexec_b64 s[8:9], s[12:13]
; %bb.19886:
	s_mov_b32 s10, 0x7f800001
	s_xor_b64 s[4:5], exec, -1
; %bb.19887:
	s_or_b64 exec, exec, s[8:9]
	s_and_b64 s[4:5], s[4:5], exec
	s_or_saveexec_b64 s[6:7], s[6:7]
	v_mov_b32_e32 v12, s10
	s_xor_b64 exec, exec, s[6:7]
	s_cbranch_execnz .LBB2_19888
; %bb.55725:
	s_getpc_b64 s[14:15]
.Lpost_getpc31446:
	s_add_u32 s14, s14, (.LBB2_5550-.Lpost_getpc31446)&4294967295
	s_addc_u32 s15, s15, (.LBB2_5550-.Lpost_getpc31446)>>32
	s_setpc_b64 s[14:15]
.LBB2_19888:
	v_mov_b32_e32 v12, 0
	v_cmp_ne_u16_sdwa s[8:9], v6, v12 src0_sel:BYTE_0 src1_sel:DWORD
	s_andn2_b64 s[4:5], s[4:5], exec
	s_and_b64 s[8:9], s[8:9], exec
	s_or_b64 s[4:5], s[4:5], s[8:9]
	s_or_b64 exec, exec, s[6:7]
	s_and_saveexec_b64 s[6:7], s[4:5]
	s_cbranch_execz .LBB2_31447
; %bb.55727:
	s_getpc_b64 s[14:15]
.Lpost_getpc31447:
	s_add_u32 s14, s14, (.LBB2_5551-.Lpost_getpc31447)&4294967295
	s_addc_u32 s15, s15, (.LBB2_5551-.Lpost_getpc31447)>>32
	s_setpc_b64 s[14:15]
.LBB2_31447:
	s_getpc_b64 s[14:15]
.Lpost_getpc19307:
	s_add_u32 s14, s14, (.LBB2_5552-.Lpost_getpc19307)&4294967295
	s_addc_u32 s15, s15, (.LBB2_5552-.Lpost_getpc19307)>>32
	s_setpc_b64 s[14:15]
.LBB2_19889:
	s_movk_i32 s4, 0x80
	v_cmp_eq_u16_e32 vcc, s4, v6
	s_mov_b64 s[4:5], -1
                                        ; implicit-def: $sgpr10
	s_and_saveexec_b64 s[8:9], vcc
; %bb.19890:
	s_mov_b32 s10, 0x7f800001
	s_xor_b64 s[4:5], exec, -1
; %bb.19891:
	s_or_b64 exec, exec, s[8:9]
	s_and_b64 s[4:5], s[4:5], exec
                                        ; implicit-def: $vgpr6
	s_or_saveexec_b64 s[6:7], s[6:7]
	v_mov_b32_e32 v2, s10
	s_xor_b64 exec, exec, s[6:7]
	s_cbranch_execnz .LBB2_19892
; %bb.55729:
	s_getpc_b64 s[14:15]
.Lpost_getpc31448:
	s_add_u32 s14, s14, (.LBB2_5554-.Lpost_getpc31448)&4294967295
	s_addc_u32 s15, s15, (.LBB2_5554-.Lpost_getpc31448)>>32
	s_setpc_b64 s[14:15]
.LBB2_19892:
	v_cmp_ne_u16_e32 vcc, 0, v6
	s_andn2_b64 s[4:5], s[4:5], exec
	s_and_b64 s[8:9], vcc, exec
	v_mov_b32_e32 v2, 0
	s_or_b64 s[4:5], s[4:5], s[8:9]
	s_or_b64 exec, exec, s[6:7]
	s_and_saveexec_b64 s[6:7], s[4:5]
	s_cbranch_execz .LBB2_31449
; %bb.55731:
	s_getpc_b64 s[14:15]
.Lpost_getpc31449:
	s_add_u32 s14, s14, (.LBB2_5555-.Lpost_getpc31449)&4294967295
	s_addc_u32 s15, s15, (.LBB2_5555-.Lpost_getpc31449)>>32
	s_setpc_b64 s[14:15]
.LBB2_31449:
	s_getpc_b64 s[14:15]
.Lpost_getpc19308:
	s_add_u32 s14, s14, (.LBB2_5556-.Lpost_getpc19308)&4294967295
	s_addc_u32 s15, s15, (.LBB2_5556-.Lpost_getpc19308)>>32
	s_setpc_b64 s[14:15]
.LBB2_19893:
	s_movk_i32 s4, 0x80
	v_cmp_eq_u16_e32 vcc, s4, v6
	s_mov_b64 s[4:5], -1
                                        ; implicit-def: $sgpr10
	s_and_saveexec_b64 s[8:9], vcc
; %bb.19894:
	s_mov_b32 s10, 0x7f800001
	s_xor_b64 s[4:5], exec, -1
; %bb.19895:
	s_or_b64 exec, exec, s[8:9]
	s_and_b64 s[4:5], s[4:5], exec
                                        ; implicit-def: $vgpr6
	s_or_saveexec_b64 s[6:7], s[6:7]
	v_mov_b32_e32 v12, s10
	s_xor_b64 exec, exec, s[6:7]
	s_cbranch_execnz .LBB2_19896
; %bb.55733:
	s_getpc_b64 s[14:15]
.Lpost_getpc31450:
	s_add_u32 s14, s14, (.LBB2_5558-.Lpost_getpc31450)&4294967295
	s_addc_u32 s15, s15, (.LBB2_5558-.Lpost_getpc31450)>>32
	s_setpc_b64 s[14:15]
.LBB2_19896:
	v_cmp_ne_u16_e32 vcc, 0, v6
	s_andn2_b64 s[4:5], s[4:5], exec
	s_and_b64 s[8:9], vcc, exec
	v_mov_b32_e32 v12, 0
	s_or_b64 s[4:5], s[4:5], s[8:9]
	s_or_b64 exec, exec, s[6:7]
	s_and_saveexec_b64 s[6:7], s[4:5]
	s_cbranch_execz .LBB2_31451
; %bb.55735:
	s_getpc_b64 s[14:15]
.Lpost_getpc31451:
	s_add_u32 s14, s14, (.LBB2_5559-.Lpost_getpc31451)&4294967295
	s_addc_u32 s15, s15, (.LBB2_5559-.Lpost_getpc31451)>>32
	s_setpc_b64 s[14:15]
.LBB2_31451:
	s_getpc_b64 s[14:15]
.Lpost_getpc19309:
	s_add_u32 s14, s14, (.LBB2_5560-.Lpost_getpc19309)&4294967295
	s_addc_u32 s15, s15, (.LBB2_5560-.Lpost_getpc19309)>>32
	s_setpc_b64 s[14:15]
.LBB2_19897:
	s_movk_i32 s4, 0x80
	v_cmp_eq_u16_sdwa s[12:13], v7, s4 src0_sel:BYTE_3 src1_sel:DWORD
	s_mov_b64 s[4:5], -1
                                        ; implicit-def: $sgpr10
	s_and_saveexec_b64 s[8:9], s[12:13]
; %bb.19898:
	s_mov_b32 s10, 0x7f800001
	s_xor_b64 s[4:5], exec, -1
; %bb.19899:
	s_or_b64 exec, exec, s[8:9]
	s_and_b64 s[4:5], s[4:5], exec
	s_or_saveexec_b64 s[6:7], s[6:7]
	v_mov_b32_e32 v2, s10
	s_xor_b64 exec, exec, s[6:7]
	s_cbranch_execnz .LBB2_19900
; %bb.55737:
	s_getpc_b64 s[14:15]
.Lpost_getpc31452:
	s_add_u32 s14, s14, (.LBB2_5562-.Lpost_getpc31452)&4294967295
	s_addc_u32 s15, s15, (.LBB2_5562-.Lpost_getpc31452)>>32
	s_setpc_b64 s[14:15]
.LBB2_19900:
	v_mov_b32_e32 v2, 0
	v_cmp_ne_u16_sdwa s[8:9], v7, v2 src0_sel:BYTE_3 src1_sel:DWORD
	s_andn2_b64 s[4:5], s[4:5], exec
	s_and_b64 s[8:9], s[8:9], exec
	s_or_b64 s[4:5], s[4:5], s[8:9]
	s_or_b64 exec, exec, s[6:7]
	s_and_saveexec_b64 s[6:7], s[4:5]
	s_cbranch_execz .LBB2_31453
; %bb.55739:
	s_getpc_b64 s[14:15]
.Lpost_getpc31453:
	s_add_u32 s14, s14, (.LBB2_5563-.Lpost_getpc31453)&4294967295
	s_addc_u32 s15, s15, (.LBB2_5563-.Lpost_getpc31453)>>32
	s_setpc_b64 s[14:15]
.LBB2_31453:
	s_getpc_b64 s[14:15]
.Lpost_getpc19310:
	s_add_u32 s14, s14, (.LBB2_5564-.Lpost_getpc19310)&4294967295
	s_addc_u32 s15, s15, (.LBB2_5564-.Lpost_getpc19310)>>32
	s_setpc_b64 s[14:15]
.LBB2_19901:
	s_movk_i32 s4, 0x80
	v_cmp_eq_u16_sdwa s[12:13], v3, s4 src0_sel:BYTE_3 src1_sel:DWORD
	s_mov_b64 s[4:5], -1
                                        ; implicit-def: $sgpr10
	s_and_saveexec_b64 s[8:9], s[12:13]
; %bb.19902:
	s_mov_b32 s10, 0x7f800001
	s_xor_b64 s[4:5], exec, -1
; %bb.19903:
	s_or_b64 exec, exec, s[8:9]
	s_and_b64 s[4:5], s[4:5], exec
	s_or_saveexec_b64 s[6:7], s[6:7]
	v_mov_b32_e32 v6, s10
	s_xor_b64 exec, exec, s[6:7]
	s_cbranch_execnz .LBB2_19904
; %bb.55741:
	s_getpc_b64 s[14:15]
.Lpost_getpc31454:
	s_add_u32 s14, s14, (.LBB2_5566-.Lpost_getpc31454)&4294967295
	s_addc_u32 s15, s15, (.LBB2_5566-.Lpost_getpc31454)>>32
	s_setpc_b64 s[14:15]
.LBB2_19904:
	v_mov_b32_e32 v6, 0
	v_cmp_ne_u16_sdwa s[8:9], v3, v6 src0_sel:BYTE_3 src1_sel:DWORD
	s_andn2_b64 s[4:5], s[4:5], exec
	s_and_b64 s[8:9], s[8:9], exec
	s_or_b64 s[4:5], s[4:5], s[8:9]
	s_or_b64 exec, exec, s[6:7]
	s_and_saveexec_b64 s[6:7], s[4:5]
	s_cbranch_execz .LBB2_31455
; %bb.55743:
	s_getpc_b64 s[14:15]
.Lpost_getpc31455:
	s_add_u32 s14, s14, (.LBB2_5567-.Lpost_getpc31455)&4294967295
	s_addc_u32 s15, s15, (.LBB2_5567-.Lpost_getpc31455)>>32
	s_setpc_b64 s[14:15]
.LBB2_31455:
	s_getpc_b64 s[14:15]
.Lpost_getpc19311:
	s_add_u32 s14, s14, (.LBB2_5568-.Lpost_getpc19311)&4294967295
	s_addc_u32 s15, s15, (.LBB2_5568-.Lpost_getpc19311)>>32
	s_setpc_b64 s[14:15]
.LBB2_19905:
	s_movk_i32 s4, 0x80
	v_cmp_eq_u16_sdwa s[12:13], v8, s4 src0_sel:BYTE_0 src1_sel:DWORD
	s_mov_b64 s[4:5], -1
                                        ; implicit-def: $sgpr10
	s_and_saveexec_b64 s[8:9], s[12:13]
; %bb.19906:
	s_mov_b32 s10, 0x7f800001
	s_xor_b64 s[4:5], exec, -1
; %bb.19907:
	s_or_b64 exec, exec, s[8:9]
	s_and_b64 s[4:5], s[4:5], exec
	s_or_saveexec_b64 s[6:7], s[6:7]
	v_mov_b32_e32 v2, s10
	s_xor_b64 exec, exec, s[6:7]
	s_cbranch_execnz .LBB2_19908
; %bb.55745:
	s_getpc_b64 s[14:15]
.Lpost_getpc31456:
	s_add_u32 s14, s14, (.LBB2_5570-.Lpost_getpc31456)&4294967295
	s_addc_u32 s15, s15, (.LBB2_5570-.Lpost_getpc31456)>>32
	s_setpc_b64 s[14:15]
.LBB2_19908:
	v_mov_b32_e32 v2, 0
	v_cmp_ne_u16_sdwa s[8:9], v8, v2 src0_sel:BYTE_0 src1_sel:DWORD
	s_andn2_b64 s[4:5], s[4:5], exec
	s_and_b64 s[8:9], s[8:9], exec
	s_or_b64 s[4:5], s[4:5], s[8:9]
	s_or_b64 exec, exec, s[6:7]
	s_and_saveexec_b64 s[6:7], s[4:5]
	s_cbranch_execz .LBB2_31457
; %bb.55747:
	s_getpc_b64 s[14:15]
.Lpost_getpc31457:
	s_add_u32 s14, s14, (.LBB2_5571-.Lpost_getpc31457)&4294967295
	s_addc_u32 s15, s15, (.LBB2_5571-.Lpost_getpc31457)>>32
	s_setpc_b64 s[14:15]
.LBB2_31457:
	s_getpc_b64 s[14:15]
.Lpost_getpc19312:
	s_add_u32 s14, s14, (.LBB2_5572-.Lpost_getpc19312)&4294967295
	s_addc_u32 s15, s15, (.LBB2_5572-.Lpost_getpc19312)>>32
	s_setpc_b64 s[14:15]
.LBB2_19909:
	s_movk_i32 s4, 0x80
	v_cmp_eq_u16_sdwa s[12:13], v4, s4 src0_sel:BYTE_0 src1_sel:DWORD
	s_mov_b64 s[4:5], -1
                                        ; implicit-def: $sgpr10
	s_and_saveexec_b64 s[8:9], s[12:13]
; %bb.19910:
	s_mov_b32 s10, 0x7f800001
	s_xor_b64 s[4:5], exec, -1
; %bb.19911:
	s_or_b64 exec, exec, s[8:9]
	s_and_b64 s[4:5], s[4:5], exec
	s_or_saveexec_b64 s[6:7], s[6:7]
	v_mov_b32_e32 v3, s10
	s_xor_b64 exec, exec, s[6:7]
	s_cbranch_execnz .LBB2_19912
; %bb.55749:
	s_getpc_b64 s[14:15]
.Lpost_getpc31458:
	s_add_u32 s14, s14, (.LBB2_5574-.Lpost_getpc31458)&4294967295
	s_addc_u32 s15, s15, (.LBB2_5574-.Lpost_getpc31458)>>32
	s_setpc_b64 s[14:15]
.LBB2_19912:
	v_mov_b32_e32 v3, 0
	v_cmp_ne_u16_sdwa s[8:9], v4, v3 src0_sel:BYTE_0 src1_sel:DWORD
	s_andn2_b64 s[4:5], s[4:5], exec
	s_and_b64 s[8:9], s[8:9], exec
	s_or_b64 s[4:5], s[4:5], s[8:9]
	s_or_b64 exec, exec, s[6:7]
	s_and_saveexec_b64 s[6:7], s[4:5]
	s_cbranch_execz .LBB2_31459
; %bb.55751:
	s_getpc_b64 s[14:15]
.Lpost_getpc31459:
	s_add_u32 s14, s14, (.LBB2_5575-.Lpost_getpc31459)&4294967295
	s_addc_u32 s15, s15, (.LBB2_5575-.Lpost_getpc31459)>>32
	s_setpc_b64 s[14:15]
.LBB2_31459:
	s_getpc_b64 s[14:15]
.Lpost_getpc19313:
	s_add_u32 s14, s14, (.LBB2_5576-.Lpost_getpc19313)&4294967295
	s_addc_u32 s15, s15, (.LBB2_5576-.Lpost_getpc19313)>>32
	s_setpc_b64 s[14:15]
.LBB2_19913:
	s_movk_i32 s4, 0x80
	v_cmp_eq_u16_sdwa s[12:13], v3, s4 src0_sel:BYTE_0 src1_sel:DWORD
	s_mov_b64 s[4:5], -1
                                        ; implicit-def: $sgpr10
	s_and_saveexec_b64 s[8:9], s[12:13]
; %bb.19914:
	s_mov_b32 s10, 0x7f800001
	s_xor_b64 s[4:5], exec, -1
; %bb.19915:
	s_or_b64 exec, exec, s[8:9]
	s_and_b64 s[4:5], s[4:5], exec
	s_or_saveexec_b64 s[6:7], s[6:7]
	v_mov_b32_e32 v2, s10
	s_xor_b64 exec, exec, s[6:7]
	s_cbranch_execnz .LBB2_19916
; %bb.55753:
	s_getpc_b64 s[14:15]
.Lpost_getpc31460:
	s_add_u32 s14, s14, (.LBB2_5578-.Lpost_getpc31460)&4294967295
	s_addc_u32 s15, s15, (.LBB2_5578-.Lpost_getpc31460)>>32
	s_setpc_b64 s[14:15]
.LBB2_19916:
	v_mov_b32_e32 v2, 0
	v_cmp_ne_u16_sdwa s[8:9], v3, v2 src0_sel:BYTE_0 src1_sel:DWORD
	s_andn2_b64 s[4:5], s[4:5], exec
	s_and_b64 s[8:9], s[8:9], exec
	s_or_b64 s[4:5], s[4:5], s[8:9]
	s_or_b64 exec, exec, s[6:7]
	s_and_saveexec_b64 s[6:7], s[4:5]
	s_cbranch_execz .LBB2_31461
; %bb.55755:
	s_getpc_b64 s[14:15]
.Lpost_getpc31461:
	s_add_u32 s14, s14, (.LBB2_5579-.Lpost_getpc31461)&4294967295
	s_addc_u32 s15, s15, (.LBB2_5579-.Lpost_getpc31461)>>32
	s_setpc_b64 s[14:15]
.LBB2_31461:
	s_getpc_b64 s[14:15]
.Lpost_getpc19314:
	s_add_u32 s14, s14, (.LBB2_5580-.Lpost_getpc19314)&4294967295
	s_addc_u32 s15, s15, (.LBB2_5580-.Lpost_getpc19314)>>32
	s_setpc_b64 s[14:15]
.LBB2_19917:
	s_movk_i32 s4, 0x80
	v_cmp_eq_u16_sdwa s[12:13], v3, s4 src0_sel:BYTE_0 src1_sel:DWORD
	s_mov_b64 s[4:5], -1
                                        ; implicit-def: $sgpr10
	s_and_saveexec_b64 s[8:9], s[12:13]
; %bb.19918:
	s_mov_b32 s10, 0x7f800001
	s_xor_b64 s[4:5], exec, -1
; %bb.19919:
	s_or_b64 exec, exec, s[8:9]
	s_and_b64 s[4:5], s[4:5], exec
	s_or_saveexec_b64 s[6:7], s[6:7]
	v_mov_b32_e32 v6, s10
	s_xor_b64 exec, exec, s[6:7]
	s_cbranch_execnz .LBB2_19920
; %bb.55757:
	s_getpc_b64 s[14:15]
.Lpost_getpc31462:
	s_add_u32 s14, s14, (.LBB2_5582-.Lpost_getpc31462)&4294967295
	s_addc_u32 s15, s15, (.LBB2_5582-.Lpost_getpc31462)>>32
	s_setpc_b64 s[14:15]
.LBB2_19920:
	v_mov_b32_e32 v6, 0
	v_cmp_ne_u16_sdwa s[8:9], v3, v6 src0_sel:BYTE_0 src1_sel:DWORD
	s_andn2_b64 s[4:5], s[4:5], exec
	s_and_b64 s[8:9], s[8:9], exec
	s_or_b64 s[4:5], s[4:5], s[8:9]
	s_or_b64 exec, exec, s[6:7]
	s_and_saveexec_b64 s[6:7], s[4:5]
	s_cbranch_execz .LBB2_31463
; %bb.55759:
	s_getpc_b64 s[14:15]
.Lpost_getpc31463:
	s_add_u32 s14, s14, (.LBB2_5583-.Lpost_getpc31463)&4294967295
	s_addc_u32 s15, s15, (.LBB2_5583-.Lpost_getpc31463)>>32
	s_setpc_b64 s[14:15]
.LBB2_31463:
	s_getpc_b64 s[14:15]
.Lpost_getpc19315:
	s_add_u32 s14, s14, (.LBB2_5584-.Lpost_getpc19315)&4294967295
	s_addc_u32 s15, s15, (.LBB2_5584-.Lpost_getpc19315)>>32
	s_setpc_b64 s[14:15]
.LBB2_19921:
	s_movk_i32 s4, 0x80
	v_cmp_eq_u16_e32 vcc, s4, v3
	s_mov_b64 s[4:5], -1
                                        ; implicit-def: $sgpr10
	s_and_saveexec_b64 s[8:9], vcc
; %bb.19922:
	s_mov_b32 s10, 0x7f800001
	s_xor_b64 s[4:5], exec, -1
; %bb.19923:
	s_or_b64 exec, exec, s[8:9]
	s_and_b64 s[4:5], s[4:5], exec
                                        ; implicit-def: $vgpr3
	s_or_saveexec_b64 s[6:7], s[6:7]
	v_mov_b32_e32 v2, s10
	s_xor_b64 exec, exec, s[6:7]
	s_cbranch_execnz .LBB2_19924
; %bb.55761:
	s_getpc_b64 s[14:15]
.Lpost_getpc31464:
	s_add_u32 s14, s14, (.LBB2_5586-.Lpost_getpc31464)&4294967295
	s_addc_u32 s15, s15, (.LBB2_5586-.Lpost_getpc31464)>>32
	s_setpc_b64 s[14:15]
.LBB2_19924:
	v_cmp_ne_u16_e32 vcc, 0, v3
	s_andn2_b64 s[4:5], s[4:5], exec
	s_and_b64 s[8:9], vcc, exec
	v_mov_b32_e32 v2, 0
	s_or_b64 s[4:5], s[4:5], s[8:9]
	s_or_b64 exec, exec, s[6:7]
	s_and_saveexec_b64 s[6:7], s[4:5]
	s_cbranch_execz .LBB2_31465
; %bb.55763:
	s_getpc_b64 s[14:15]
.Lpost_getpc31465:
	s_add_u32 s14, s14, (.LBB2_5587-.Lpost_getpc31465)&4294967295
	s_addc_u32 s15, s15, (.LBB2_5587-.Lpost_getpc31465)>>32
	s_setpc_b64 s[14:15]
.LBB2_31465:
	s_getpc_b64 s[14:15]
.Lpost_getpc19316:
	s_add_u32 s14, s14, (.LBB2_5588-.Lpost_getpc19316)&4294967295
	s_addc_u32 s15, s15, (.LBB2_5588-.Lpost_getpc19316)>>32
	s_setpc_b64 s[14:15]
.LBB2_19925:
	s_movk_i32 s4, 0x80
	v_cmp_eq_u16_e32 vcc, s4, v3
	s_mov_b64 s[4:5], -1
                                        ; implicit-def: $sgpr10
	s_and_saveexec_b64 s[8:9], vcc
; %bb.19926:
	s_mov_b32 s10, 0x7f800001
	s_xor_b64 s[4:5], exec, -1
; %bb.19927:
	s_or_b64 exec, exec, s[8:9]
	s_and_b64 s[4:5], s[4:5], exec
                                        ; implicit-def: $vgpr3
	s_or_saveexec_b64 s[6:7], s[6:7]
	v_mov_b32_e32 v6, s10
	s_xor_b64 exec, exec, s[6:7]
	s_cbranch_execnz .LBB2_19928
; %bb.55765:
	s_getpc_b64 s[14:15]
.Lpost_getpc31466:
	s_add_u32 s14, s14, (.LBB2_5590-.Lpost_getpc31466)&4294967295
	s_addc_u32 s15, s15, (.LBB2_5590-.Lpost_getpc31466)>>32
	s_setpc_b64 s[14:15]
.LBB2_19928:
	v_cmp_ne_u16_e32 vcc, 0, v3
	s_andn2_b64 s[4:5], s[4:5], exec
	s_and_b64 s[8:9], vcc, exec
	v_mov_b32_e32 v6, 0
	s_or_b64 s[4:5], s[4:5], s[8:9]
	s_or_b64 exec, exec, s[6:7]
	s_and_saveexec_b64 s[6:7], s[4:5]
	s_cbranch_execz .LBB2_31467
; %bb.55767:
	s_getpc_b64 s[14:15]
.Lpost_getpc31467:
	s_add_u32 s14, s14, (.LBB2_5591-.Lpost_getpc31467)&4294967295
	s_addc_u32 s15, s15, (.LBB2_5591-.Lpost_getpc31467)>>32
	s_setpc_b64 s[14:15]
.LBB2_31467:
	s_getpc_b64 s[14:15]
.Lpost_getpc19317:
	s_add_u32 s14, s14, (.LBB2_5592-.Lpost_getpc19317)&4294967295
	s_addc_u32 s15, s15, (.LBB2_5592-.Lpost_getpc19317)>>32
	s_setpc_b64 s[14:15]
.LBB2_19929:
	s_movk_i32 s4, 0x80
	v_cmp_eq_u16_sdwa s[12:13], v8, s4 src0_sel:BYTE_3 src1_sel:DWORD
	s_mov_b64 s[4:5], -1
                                        ; implicit-def: $sgpr10
	s_and_saveexec_b64 s[8:9], s[12:13]
; %bb.19930:
	s_mov_b32 s10, 0x7f800001
	s_xor_b64 s[4:5], exec, -1
; %bb.19931:
	s_or_b64 exec, exec, s[8:9]
	s_and_b64 s[4:5], s[4:5], exec
	s_or_saveexec_b64 s[6:7], s[6:7]
	v_mov_b32_e32 v2, s10
	s_xor_b64 exec, exec, s[6:7]
	s_cbranch_execnz .LBB2_19932
; %bb.55769:
	s_getpc_b64 s[14:15]
.Lpost_getpc31468:
	s_add_u32 s14, s14, (.LBB2_5594-.Lpost_getpc31468)&4294967295
	s_addc_u32 s15, s15, (.LBB2_5594-.Lpost_getpc31468)>>32
	s_setpc_b64 s[14:15]
.LBB2_19932:
	v_mov_b32_e32 v2, 0
	v_cmp_ne_u16_sdwa s[8:9], v8, v2 src0_sel:BYTE_3 src1_sel:DWORD
	s_andn2_b64 s[4:5], s[4:5], exec
	s_and_b64 s[8:9], s[8:9], exec
	s_or_b64 s[4:5], s[4:5], s[8:9]
	s_or_b64 exec, exec, s[6:7]
	s_and_saveexec_b64 s[6:7], s[4:5]
	s_cbranch_execz .LBB2_31469
; %bb.55771:
	s_getpc_b64 s[14:15]
.Lpost_getpc31469:
	s_add_u32 s14, s14, (.LBB2_5595-.Lpost_getpc31469)&4294967295
	s_addc_u32 s15, s15, (.LBB2_5595-.Lpost_getpc31469)>>32
	s_setpc_b64 s[14:15]
.LBB2_31469:
	s_getpc_b64 s[14:15]
.Lpost_getpc19318:
	s_add_u32 s14, s14, (.LBB2_5596-.Lpost_getpc19318)&4294967295
	s_addc_u32 s15, s15, (.LBB2_5596-.Lpost_getpc19318)>>32
	s_setpc_b64 s[14:15]
.LBB2_19933:
	s_movk_i32 s4, 0x80
	v_cmp_eq_u16_sdwa s[12:13], v4, s4 src0_sel:BYTE_3 src1_sel:DWORD
	s_mov_b64 s[4:5], -1
                                        ; implicit-def: $sgpr10
	s_and_saveexec_b64 s[8:9], s[12:13]
; %bb.19934:
	s_mov_b32 s10, 0x7f800001
	s_xor_b64 s[4:5], exec, -1
; %bb.19935:
	s_or_b64 exec, exec, s[8:9]
	s_and_b64 s[4:5], s[4:5], exec
	s_or_saveexec_b64 s[6:7], s[6:7]
	v_mov_b32_e32 v3, s10
	s_xor_b64 exec, exec, s[6:7]
	s_cbranch_execnz .LBB2_19936
; %bb.55773:
	s_getpc_b64 s[14:15]
.Lpost_getpc31470:
	s_add_u32 s14, s14, (.LBB2_5598-.Lpost_getpc31470)&4294967295
	s_addc_u32 s15, s15, (.LBB2_5598-.Lpost_getpc31470)>>32
	s_setpc_b64 s[14:15]
.LBB2_19936:
	v_mov_b32_e32 v3, 0
	v_cmp_ne_u16_sdwa s[8:9], v4, v3 src0_sel:BYTE_3 src1_sel:DWORD
	s_andn2_b64 s[4:5], s[4:5], exec
	s_and_b64 s[8:9], s[8:9], exec
	s_or_b64 s[4:5], s[4:5], s[8:9]
	s_or_b64 exec, exec, s[6:7]
	s_and_saveexec_b64 s[6:7], s[4:5]
	s_cbranch_execz .LBB2_31471
; %bb.55775:
	s_getpc_b64 s[14:15]
.Lpost_getpc31471:
	s_add_u32 s14, s14, (.LBB2_5599-.Lpost_getpc31471)&4294967295
	s_addc_u32 s15, s15, (.LBB2_5599-.Lpost_getpc31471)>>32
	s_setpc_b64 s[14:15]
.LBB2_31471:
	s_getpc_b64 s[14:15]
.Lpost_getpc19319:
	s_add_u32 s14, s14, (.LBB2_5600-.Lpost_getpc19319)&4294967295
	s_addc_u32 s15, s15, (.LBB2_5600-.Lpost_getpc19319)>>32
	s_setpc_b64 s[14:15]
.LBB2_19937:
	s_movk_i32 s4, 0x80
	v_cmp_eq_u16_sdwa s[12:13], v9, s4 src0_sel:BYTE_0 src1_sel:DWORD
	s_mov_b64 s[4:5], -1
                                        ; implicit-def: $sgpr10
	s_and_saveexec_b64 s[8:9], s[12:13]
; %bb.19938:
	s_mov_b32 s10, 0x7f800001
	s_xor_b64 s[4:5], exec, -1
; %bb.19939:
	s_or_b64 exec, exec, s[8:9]
	s_and_b64 s[4:5], s[4:5], exec
	s_or_saveexec_b64 s[6:7], s[6:7]
	v_mov_b32_e32 v2, s10
	s_xor_b64 exec, exec, s[6:7]
	s_cbranch_execnz .LBB2_19940
; %bb.55777:
	s_getpc_b64 s[14:15]
.Lpost_getpc31472:
	s_add_u32 s14, s14, (.LBB2_5602-.Lpost_getpc31472)&4294967295
	s_addc_u32 s15, s15, (.LBB2_5602-.Lpost_getpc31472)>>32
	s_setpc_b64 s[14:15]
.LBB2_19940:
	v_mov_b32_e32 v2, 0
	v_cmp_ne_u16_sdwa s[8:9], v9, v2 src0_sel:BYTE_0 src1_sel:DWORD
	s_andn2_b64 s[4:5], s[4:5], exec
	s_and_b64 s[8:9], s[8:9], exec
	s_or_b64 s[4:5], s[4:5], s[8:9]
	s_or_b64 exec, exec, s[6:7]
	s_and_saveexec_b64 s[6:7], s[4:5]
	s_cbranch_execz .LBB2_31473
; %bb.55779:
	s_getpc_b64 s[14:15]
.Lpost_getpc31473:
	s_add_u32 s14, s14, (.LBB2_5603-.Lpost_getpc31473)&4294967295
	s_addc_u32 s15, s15, (.LBB2_5603-.Lpost_getpc31473)>>32
	s_setpc_b64 s[14:15]
.LBB2_31473:
	s_getpc_b64 s[14:15]
.Lpost_getpc19320:
	s_add_u32 s14, s14, (.LBB2_5604-.Lpost_getpc19320)&4294967295
	s_addc_u32 s15, s15, (.LBB2_5604-.Lpost_getpc19320)>>32
	s_setpc_b64 s[14:15]
.LBB2_19941:
	s_movk_i32 s4, 0x80
	v_cmp_eq_u16_sdwa s[12:13], v5, s4 src0_sel:BYTE_0 src1_sel:DWORD
	s_mov_b64 s[4:5], -1
                                        ; implicit-def: $sgpr10
	s_and_saveexec_b64 s[8:9], s[12:13]
; %bb.19942:
	s_mov_b32 s10, 0x7f800001
	s_xor_b64 s[4:5], exec, -1
; %bb.19943:
	s_or_b64 exec, exec, s[8:9]
	s_and_b64 s[4:5], s[4:5], exec
	s_or_saveexec_b64 s[6:7], s[6:7]
	v_mov_b32_e32 v3, s10
	s_xor_b64 exec, exec, s[6:7]
	s_cbranch_execnz .LBB2_19944
; %bb.55781:
	s_getpc_b64 s[14:15]
.Lpost_getpc31474:
	s_add_u32 s14, s14, (.LBB2_5606-.Lpost_getpc31474)&4294967295
	s_addc_u32 s15, s15, (.LBB2_5606-.Lpost_getpc31474)>>32
	s_setpc_b64 s[14:15]
.LBB2_19944:
	v_mov_b32_e32 v3, 0
	v_cmp_ne_u16_sdwa s[8:9], v5, v3 src0_sel:BYTE_0 src1_sel:DWORD
	s_andn2_b64 s[4:5], s[4:5], exec
	s_and_b64 s[8:9], s[8:9], exec
	s_or_b64 s[4:5], s[4:5], s[8:9]
	s_or_b64 exec, exec, s[6:7]
	s_and_saveexec_b64 s[6:7], s[4:5]
	s_cbranch_execz .LBB2_31475
; %bb.55783:
	s_getpc_b64 s[14:15]
.Lpost_getpc31475:
	s_add_u32 s14, s14, (.LBB2_5607-.Lpost_getpc31475)&4294967295
	s_addc_u32 s15, s15, (.LBB2_5607-.Lpost_getpc31475)>>32
	s_setpc_b64 s[14:15]
.LBB2_31475:
	s_getpc_b64 s[14:15]
.Lpost_getpc19321:
	s_add_u32 s14, s14, (.LBB2_5608-.Lpost_getpc19321)&4294967295
	s_addc_u32 s15, s15, (.LBB2_5608-.Lpost_getpc19321)>>32
	s_setpc_b64 s[14:15]
.LBB2_19945:
	s_movk_i32 s4, 0x80
	v_cmp_eq_u16_sdwa s[12:13], v3, s4 src0_sel:BYTE_0 src1_sel:DWORD
	s_mov_b64 s[4:5], -1
                                        ; implicit-def: $sgpr10
	s_and_saveexec_b64 s[8:9], s[12:13]
; %bb.19946:
	s_mov_b32 s10, 0x7f800001
	s_xor_b64 s[4:5], exec, -1
; %bb.19947:
	s_or_b64 exec, exec, s[8:9]
	s_and_b64 s[4:5], s[4:5], exec
	s_or_saveexec_b64 s[6:7], s[6:7]
	v_mov_b32_e32 v2, s10
	s_xor_b64 exec, exec, s[6:7]
	s_cbranch_execnz .LBB2_19948
; %bb.55785:
	s_getpc_b64 s[14:15]
.Lpost_getpc31476:
	s_add_u32 s14, s14, (.LBB2_5610-.Lpost_getpc31476)&4294967295
	s_addc_u32 s15, s15, (.LBB2_5610-.Lpost_getpc31476)>>32
	s_setpc_b64 s[14:15]
.LBB2_19948:
	v_mov_b32_e32 v2, 0
	v_cmp_ne_u16_sdwa s[8:9], v3, v2 src0_sel:BYTE_0 src1_sel:DWORD
	s_andn2_b64 s[4:5], s[4:5], exec
	s_and_b64 s[8:9], s[8:9], exec
	s_or_b64 s[4:5], s[4:5], s[8:9]
	s_or_b64 exec, exec, s[6:7]
	s_and_saveexec_b64 s[6:7], s[4:5]
	s_cbranch_execz .LBB2_31477
; %bb.55787:
	s_getpc_b64 s[14:15]
.Lpost_getpc31477:
	s_add_u32 s14, s14, (.LBB2_5611-.Lpost_getpc31477)&4294967295
	s_addc_u32 s15, s15, (.LBB2_5611-.Lpost_getpc31477)>>32
	s_setpc_b64 s[14:15]
.LBB2_31477:
	s_getpc_b64 s[14:15]
.Lpost_getpc19322:
	s_add_u32 s14, s14, (.LBB2_5612-.Lpost_getpc19322)&4294967295
	s_addc_u32 s15, s15, (.LBB2_5612-.Lpost_getpc19322)>>32
	s_setpc_b64 s[14:15]
.LBB2_19949:
	s_movk_i32 s4, 0x80
	v_cmp_eq_u16_sdwa s[12:13], v3, s4 src0_sel:BYTE_0 src1_sel:DWORD
	s_mov_b64 s[4:5], -1
                                        ; implicit-def: $sgpr10
	s_and_saveexec_b64 s[8:9], s[12:13]
; %bb.19950:
	s_mov_b32 s10, 0x7f800001
	s_xor_b64 s[4:5], exec, -1
; %bb.19951:
	s_or_b64 exec, exec, s[8:9]
	s_and_b64 s[4:5], s[4:5], exec
	s_or_saveexec_b64 s[6:7], s[6:7]
	v_mov_b32_e32 v4, s10
	s_xor_b64 exec, exec, s[6:7]
	s_cbranch_execnz .LBB2_19952
; %bb.55789:
	s_getpc_b64 s[14:15]
.Lpost_getpc31478:
	s_add_u32 s14, s14, (.LBB2_5614-.Lpost_getpc31478)&4294967295
	s_addc_u32 s15, s15, (.LBB2_5614-.Lpost_getpc31478)>>32
	s_setpc_b64 s[14:15]
.LBB2_19952:
	v_mov_b32_e32 v4, 0
	v_cmp_ne_u16_sdwa s[8:9], v3, v4 src0_sel:BYTE_0 src1_sel:DWORD
	s_andn2_b64 s[4:5], s[4:5], exec
	s_and_b64 s[8:9], s[8:9], exec
	s_or_b64 s[4:5], s[4:5], s[8:9]
	s_or_b64 exec, exec, s[6:7]
	s_and_saveexec_b64 s[6:7], s[4:5]
	s_cbranch_execz .LBB2_31479
; %bb.55791:
	s_getpc_b64 s[14:15]
.Lpost_getpc31479:
	s_add_u32 s14, s14, (.LBB2_5615-.Lpost_getpc31479)&4294967295
	s_addc_u32 s15, s15, (.LBB2_5615-.Lpost_getpc31479)>>32
	s_setpc_b64 s[14:15]
.LBB2_31479:
	s_getpc_b64 s[14:15]
.Lpost_getpc19323:
	s_add_u32 s14, s14, (.LBB2_5616-.Lpost_getpc19323)&4294967295
	s_addc_u32 s15, s15, (.LBB2_5616-.Lpost_getpc19323)>>32
	s_setpc_b64 s[14:15]
.LBB2_19953:
	s_movk_i32 s4, 0x80
	v_cmp_eq_u16_e32 vcc, s4, v3
	s_mov_b64 s[4:5], -1
                                        ; implicit-def: $sgpr10
	s_and_saveexec_b64 s[8:9], vcc
; %bb.19954:
	s_mov_b32 s10, 0x7f800001
	s_xor_b64 s[4:5], exec, -1
; %bb.19955:
	s_or_b64 exec, exec, s[8:9]
	s_and_b64 s[4:5], s[4:5], exec
                                        ; implicit-def: $vgpr3
	s_or_saveexec_b64 s[6:7], s[6:7]
	v_mov_b32_e32 v2, s10
	s_xor_b64 exec, exec, s[6:7]
	s_cbranch_execnz .LBB2_19956
; %bb.55793:
	s_getpc_b64 s[14:15]
.Lpost_getpc31480:
	s_add_u32 s14, s14, (.LBB2_5618-.Lpost_getpc31480)&4294967295
	s_addc_u32 s15, s15, (.LBB2_5618-.Lpost_getpc31480)>>32
	s_setpc_b64 s[14:15]
.LBB2_19956:
	v_cmp_ne_u16_e32 vcc, 0, v3
	s_andn2_b64 s[4:5], s[4:5], exec
	s_and_b64 s[8:9], vcc, exec
	v_mov_b32_e32 v2, 0
	s_or_b64 s[4:5], s[4:5], s[8:9]
	s_or_b64 exec, exec, s[6:7]
	s_and_saveexec_b64 s[6:7], s[4:5]
	s_cbranch_execz .LBB2_31481
; %bb.55795:
	s_getpc_b64 s[14:15]
.Lpost_getpc31481:
	s_add_u32 s14, s14, (.LBB2_5619-.Lpost_getpc31481)&4294967295
	s_addc_u32 s15, s15, (.LBB2_5619-.Lpost_getpc31481)>>32
	s_setpc_b64 s[14:15]
.LBB2_31481:
	s_getpc_b64 s[14:15]
.Lpost_getpc19324:
	s_add_u32 s14, s14, (.LBB2_5620-.Lpost_getpc19324)&4294967295
	s_addc_u32 s15, s15, (.LBB2_5620-.Lpost_getpc19324)>>32
	s_setpc_b64 s[14:15]
.LBB2_19957:
	s_movk_i32 s4, 0x80
	v_cmp_eq_u16_e32 vcc, s4, v3
	s_mov_b64 s[4:5], -1
                                        ; implicit-def: $sgpr10
	s_and_saveexec_b64 s[8:9], vcc
; %bb.19958:
	s_mov_b32 s10, 0x7f800001
	s_xor_b64 s[4:5], exec, -1
; %bb.19959:
	s_or_b64 exec, exec, s[8:9]
	s_and_b64 s[4:5], s[4:5], exec
                                        ; implicit-def: $vgpr3
	s_or_saveexec_b64 s[6:7], s[6:7]
	v_mov_b32_e32 v4, s10
	s_xor_b64 exec, exec, s[6:7]
	s_cbranch_execnz .LBB2_19960
; %bb.55797:
	s_getpc_b64 s[14:15]
.Lpost_getpc31482:
	s_add_u32 s14, s14, (.LBB2_5622-.Lpost_getpc31482)&4294967295
	s_addc_u32 s15, s15, (.LBB2_5622-.Lpost_getpc31482)>>32
	s_setpc_b64 s[14:15]
.LBB2_19960:
	v_cmp_ne_u16_e32 vcc, 0, v3
	s_andn2_b64 s[4:5], s[4:5], exec
	s_and_b64 s[8:9], vcc, exec
	v_mov_b32_e32 v4, 0
	s_or_b64 s[4:5], s[4:5], s[8:9]
	s_or_b64 exec, exec, s[6:7]
	s_and_saveexec_b64 s[6:7], s[4:5]
	s_cbranch_execz .LBB2_31483
; %bb.55799:
	s_getpc_b64 s[14:15]
.Lpost_getpc31483:
	s_add_u32 s14, s14, (.LBB2_5623-.Lpost_getpc31483)&4294967295
	s_addc_u32 s15, s15, (.LBB2_5623-.Lpost_getpc31483)>>32
	s_setpc_b64 s[14:15]
.LBB2_31483:
	s_getpc_b64 s[14:15]
.Lpost_getpc19325:
	s_add_u32 s14, s14, (.LBB2_5624-.Lpost_getpc19325)&4294967295
	s_addc_u32 s15, s15, (.LBB2_5624-.Lpost_getpc19325)>>32
	s_setpc_b64 s[14:15]
.LBB2_19961:
	s_movk_i32 s4, 0x80
	v_cmp_eq_u16_sdwa s[12:13], v9, s4 src0_sel:BYTE_3 src1_sel:DWORD
	s_mov_b64 s[4:5], -1
                                        ; implicit-def: $sgpr10
	s_and_saveexec_b64 s[8:9], s[12:13]
; %bb.19962:
	s_mov_b32 s10, 0x7f800001
	s_xor_b64 s[4:5], exec, -1
; %bb.19963:
	s_or_b64 exec, exec, s[8:9]
	s_and_b64 s[4:5], s[4:5], exec
	s_or_saveexec_b64 s[6:7], s[6:7]
	v_mov_b32_e32 v2, s10
	s_xor_b64 exec, exec, s[6:7]
	s_cbranch_execnz .LBB2_19964
; %bb.55801:
	s_getpc_b64 s[14:15]
.Lpost_getpc31484:
	s_add_u32 s14, s14, (.LBB2_5626-.Lpost_getpc31484)&4294967295
	s_addc_u32 s15, s15, (.LBB2_5626-.Lpost_getpc31484)>>32
	s_setpc_b64 s[14:15]
.LBB2_19964:
	v_mov_b32_e32 v2, 0
	v_cmp_ne_u16_sdwa s[8:9], v9, v2 src0_sel:BYTE_3 src1_sel:DWORD
	s_andn2_b64 s[4:5], s[4:5], exec
	s_and_b64 s[8:9], s[8:9], exec
	s_or_b64 s[4:5], s[4:5], s[8:9]
	s_or_b64 exec, exec, s[6:7]
	s_and_saveexec_b64 s[6:7], s[4:5]
	s_cbranch_execz .LBB2_31485
; %bb.55803:
	s_getpc_b64 s[14:15]
.Lpost_getpc31485:
	s_add_u32 s14, s14, (.LBB2_5627-.Lpost_getpc31485)&4294967295
	s_addc_u32 s15, s15, (.LBB2_5627-.Lpost_getpc31485)>>32
	s_setpc_b64 s[14:15]
.LBB2_31485:
	s_getpc_b64 s[14:15]
.Lpost_getpc19326:
	s_add_u32 s14, s14, (.LBB2_5628-.Lpost_getpc19326)&4294967295
	s_addc_u32 s15, s15, (.LBB2_5628-.Lpost_getpc19326)>>32
	s_setpc_b64 s[14:15]
.LBB2_19965:
	s_movk_i32 s4, 0x80
	v_cmp_eq_u16_sdwa s[12:13], v5, s4 src0_sel:BYTE_3 src1_sel:DWORD
	s_mov_b64 s[4:5], -1
                                        ; implicit-def: $sgpr10
	s_and_saveexec_b64 s[8:9], s[12:13]
; %bb.19966:
	s_mov_b32 s10, 0x7f800001
	s_xor_b64 s[4:5], exec, -1
; %bb.19967:
	s_or_b64 exec, exec, s[8:9]
	s_and_b64 s[4:5], s[4:5], exec
	s_or_saveexec_b64 s[6:7], s[6:7]
	v_mov_b32_e32 v3, s10
	s_xor_b64 exec, exec, s[6:7]
	s_cbranch_execnz .LBB2_19968
; %bb.55805:
	s_getpc_b64 s[14:15]
.Lpost_getpc31486:
	s_add_u32 s14, s14, (.LBB2_5630-.Lpost_getpc31486)&4294967295
	s_addc_u32 s15, s15, (.LBB2_5630-.Lpost_getpc31486)>>32
	s_setpc_b64 s[14:15]
.LBB2_19968:
	v_mov_b32_e32 v3, 0
	v_cmp_ne_u16_sdwa s[8:9], v5, v3 src0_sel:BYTE_3 src1_sel:DWORD
	s_andn2_b64 s[4:5], s[4:5], exec
	s_and_b64 s[8:9], s[8:9], exec
	s_or_b64 s[4:5], s[4:5], s[8:9]
	s_or_b64 exec, exec, s[6:7]
	s_and_saveexec_b64 s[6:7], s[4:5]
	s_cbranch_execz .LBB2_31487
; %bb.55807:
	s_getpc_b64 s[14:15]
.Lpost_getpc31487:
	s_add_u32 s14, s14, (.LBB2_5631-.Lpost_getpc31487)&4294967295
	s_addc_u32 s15, s15, (.LBB2_5631-.Lpost_getpc31487)>>32
	s_setpc_b64 s[14:15]
.LBB2_31487:
	s_getpc_b64 s[14:15]
.Lpost_getpc19327:
	s_add_u32 s14, s14, (.LBB2_5632-.Lpost_getpc19327)&4294967295
	s_addc_u32 s15, s15, (.LBB2_5632-.Lpost_getpc19327)>>32
	s_setpc_b64 s[14:15]
.LBB2_19969:
	s_movk_i32 s4, 0x80
	v_cmp_eq_u16_sdwa s[12:13], v6, s4 src0_sel:BYTE_0 src1_sel:DWORD
	s_mov_b64 s[4:5], -1
                                        ; implicit-def: $sgpr10
	s_and_saveexec_b64 s[8:9], s[12:13]
; %bb.19970:
	s_mov_b32 s10, 0x7f800001
	s_xor_b64 s[4:5], exec, -1
; %bb.19971:
	s_or_b64 exec, exec, s[8:9]
	s_and_b64 s[4:5], s[4:5], exec
	s_or_saveexec_b64 s[6:7], s[6:7]
	v_mov_b32_e32 v12, s10
	s_xor_b64 exec, exec, s[6:7]
	s_cbranch_execnz .LBB2_19972
; %bb.55809:
	s_getpc_b64 s[14:15]
.Lpost_getpc31488:
	s_add_u32 s14, s14, (.LBB2_5634-.Lpost_getpc31488)&4294967295
	s_addc_u32 s15, s15, (.LBB2_5634-.Lpost_getpc31488)>>32
	s_setpc_b64 s[14:15]
.LBB2_19972:
	v_mov_b32_e32 v12, 0
	v_cmp_ne_u16_sdwa s[8:9], v6, v12 src0_sel:BYTE_0 src1_sel:DWORD
	s_andn2_b64 s[4:5], s[4:5], exec
	s_and_b64 s[8:9], s[8:9], exec
	s_or_b64 s[4:5], s[4:5], s[8:9]
	s_or_b64 exec, exec, s[6:7]
	s_and_saveexec_b64 s[6:7], s[4:5]
	s_cbranch_execz .LBB2_31489
; %bb.55811:
	s_getpc_b64 s[14:15]
.Lpost_getpc31489:
	s_add_u32 s14, s14, (.LBB2_5635-.Lpost_getpc31489)&4294967295
	s_addc_u32 s15, s15, (.LBB2_5635-.Lpost_getpc31489)>>32
	s_setpc_b64 s[14:15]
.LBB2_31489:
	s_getpc_b64 s[14:15]
.Lpost_getpc19328:
	s_add_u32 s14, s14, (.LBB2_5636-.Lpost_getpc19328)&4294967295
	s_addc_u32 s15, s15, (.LBB2_5636-.Lpost_getpc19328)>>32
	s_setpc_b64 s[14:15]
.LBB2_19973:
	s_movk_i32 s4, 0x80
	v_cmp_eq_u16_sdwa s[12:13], v2, s4 src0_sel:BYTE_0 src1_sel:DWORD
	s_mov_b64 s[4:5], -1
                                        ; implicit-def: $sgpr10
	s_and_saveexec_b64 s[8:9], s[12:13]
; %bb.19974:
	s_mov_b32 s10, 0x7f800001
	s_xor_b64 s[4:5], exec, -1
; %bb.19975:
	s_or_b64 exec, exec, s[8:9]
	s_and_b64 s[4:5], s[4:5], exec
	s_or_saveexec_b64 s[6:7], s[6:7]
	v_mov_b32_e32 v13, s10
	s_xor_b64 exec, exec, s[6:7]
	s_cbranch_execnz .LBB2_19976
; %bb.55813:
	s_getpc_b64 s[14:15]
.Lpost_getpc31490:
	s_add_u32 s14, s14, (.LBB2_5638-.Lpost_getpc31490)&4294967295
	s_addc_u32 s15, s15, (.LBB2_5638-.Lpost_getpc31490)>>32
	s_setpc_b64 s[14:15]
.LBB2_19976:
	v_mov_b32_e32 v13, 0
	v_cmp_ne_u16_sdwa s[8:9], v2, v13 src0_sel:BYTE_0 src1_sel:DWORD
	s_andn2_b64 s[4:5], s[4:5], exec
	s_and_b64 s[8:9], s[8:9], exec
	s_or_b64 s[4:5], s[4:5], s[8:9]
	s_or_b64 exec, exec, s[6:7]
	s_and_saveexec_b64 s[6:7], s[4:5]
	s_cbranch_execz .LBB2_31491
; %bb.55815:
	s_getpc_b64 s[14:15]
.Lpost_getpc31491:
	s_add_u32 s14, s14, (.LBB2_5639-.Lpost_getpc31491)&4294967295
	s_addc_u32 s15, s15, (.LBB2_5639-.Lpost_getpc31491)>>32
	s_setpc_b64 s[14:15]
.LBB2_31491:
	s_getpc_b64 s[14:15]
.Lpost_getpc19329:
	s_add_u32 s14, s14, (.LBB2_5640-.Lpost_getpc19329)&4294967295
	s_addc_u32 s15, s15, (.LBB2_5640-.Lpost_getpc19329)>>32
	s_setpc_b64 s[14:15]
.LBB2_19977:
	s_movk_i32 s4, 0x80
	v_cmp_eq_u16_sdwa s[12:13], v13, s4 src0_sel:BYTE_0 src1_sel:DWORD
	s_mov_b64 s[4:5], -1
                                        ; implicit-def: $sgpr10
	s_and_saveexec_b64 s[8:9], s[12:13]
; %bb.19978:
	s_mov_b32 s10, 0x7f800001
	s_xor_b64 s[4:5], exec, -1
; %bb.19979:
	s_or_b64 exec, exec, s[8:9]
	s_and_b64 s[4:5], s[4:5], exec
	s_or_saveexec_b64 s[6:7], s[6:7]
	v_mov_b32_e32 v12, s10
	s_xor_b64 exec, exec, s[6:7]
	s_cbranch_execnz .LBB2_19980
; %bb.55817:
	s_getpc_b64 s[14:15]
.Lpost_getpc31492:
	s_add_u32 s14, s14, (.LBB2_5642-.Lpost_getpc31492)&4294967295
	s_addc_u32 s15, s15, (.LBB2_5642-.Lpost_getpc31492)>>32
	s_setpc_b64 s[14:15]
.LBB2_19980:
	v_mov_b32_e32 v12, 0
	v_cmp_ne_u16_sdwa s[8:9], v13, v12 src0_sel:BYTE_0 src1_sel:DWORD
	s_andn2_b64 s[4:5], s[4:5], exec
	s_and_b64 s[8:9], s[8:9], exec
	s_or_b64 s[4:5], s[4:5], s[8:9]
	s_or_b64 exec, exec, s[6:7]
	s_and_saveexec_b64 s[6:7], s[4:5]
	s_cbranch_execz .LBB2_31493
; %bb.55819:
	s_getpc_b64 s[14:15]
.Lpost_getpc31493:
	s_add_u32 s14, s14, (.LBB2_5643-.Lpost_getpc31493)&4294967295
	s_addc_u32 s15, s15, (.LBB2_5643-.Lpost_getpc31493)>>32
	s_setpc_b64 s[14:15]
.LBB2_31493:
	s_getpc_b64 s[14:15]
.Lpost_getpc19330:
	s_add_u32 s14, s14, (.LBB2_5644-.Lpost_getpc19330)&4294967295
	s_addc_u32 s15, s15, (.LBB2_5644-.Lpost_getpc19330)>>32
	s_setpc_b64 s[14:15]
.LBB2_19981:
	s_movk_i32 s4, 0x80
	v_cmp_eq_u16_sdwa s[12:13], v13, s4 src0_sel:BYTE_0 src1_sel:DWORD
	s_mov_b64 s[4:5], -1
                                        ; implicit-def: $sgpr10
	s_and_saveexec_b64 s[8:9], s[12:13]
; %bb.19982:
	s_mov_b32 s10, 0x7f800001
	s_xor_b64 s[4:5], exec, -1
; %bb.19983:
	s_or_b64 exec, exec, s[8:9]
	s_and_b64 s[4:5], s[4:5], exec
	s_or_saveexec_b64 s[6:7], s[6:7]
	v_mov_b32_e32 v14, s10
	s_xor_b64 exec, exec, s[6:7]
	s_cbranch_execnz .LBB2_19984
; %bb.55821:
	s_getpc_b64 s[14:15]
.Lpost_getpc31494:
	s_add_u32 s14, s14, (.LBB2_5646-.Lpost_getpc31494)&4294967295
	s_addc_u32 s15, s15, (.LBB2_5646-.Lpost_getpc31494)>>32
	s_setpc_b64 s[14:15]
.LBB2_19984:
	v_mov_b32_e32 v14, 0
	v_cmp_ne_u16_sdwa s[8:9], v13, v14 src0_sel:BYTE_0 src1_sel:DWORD
	s_andn2_b64 s[4:5], s[4:5], exec
	s_and_b64 s[8:9], s[8:9], exec
	s_or_b64 s[4:5], s[4:5], s[8:9]
	s_or_b64 exec, exec, s[6:7]
	s_and_saveexec_b64 s[6:7], s[4:5]
	s_cbranch_execz .LBB2_31495
; %bb.55823:
	s_getpc_b64 s[14:15]
.Lpost_getpc31495:
	s_add_u32 s14, s14, (.LBB2_5647-.Lpost_getpc31495)&4294967295
	s_addc_u32 s15, s15, (.LBB2_5647-.Lpost_getpc31495)>>32
	s_setpc_b64 s[14:15]
.LBB2_31495:
	s_getpc_b64 s[14:15]
.Lpost_getpc19331:
	s_add_u32 s14, s14, (.LBB2_5648-.Lpost_getpc19331)&4294967295
	s_addc_u32 s15, s15, (.LBB2_5648-.Lpost_getpc19331)>>32
	s_setpc_b64 s[14:15]
.LBB2_19985:
	s_movk_i32 s4, 0x80
	v_cmp_eq_u16_e32 vcc, s4, v13
	s_mov_b64 s[4:5], -1
                                        ; implicit-def: $sgpr10
	s_and_saveexec_b64 s[8:9], vcc
; %bb.19986:
	s_mov_b32 s10, 0x7f800001
	s_xor_b64 s[4:5], exec, -1
; %bb.19987:
	s_or_b64 exec, exec, s[8:9]
	s_and_b64 s[4:5], s[4:5], exec
                                        ; implicit-def: $vgpr13
	s_or_saveexec_b64 s[6:7], s[6:7]
	v_mov_b32_e32 v12, s10
	s_xor_b64 exec, exec, s[6:7]
	s_cbranch_execnz .LBB2_19988
; %bb.55825:
	s_getpc_b64 s[14:15]
.Lpost_getpc31496:
	s_add_u32 s14, s14, (.LBB2_5650-.Lpost_getpc31496)&4294967295
	s_addc_u32 s15, s15, (.LBB2_5650-.Lpost_getpc31496)>>32
	s_setpc_b64 s[14:15]
.LBB2_19988:
	v_cmp_ne_u16_e32 vcc, 0, v13
	s_andn2_b64 s[4:5], s[4:5], exec
	s_and_b64 s[8:9], vcc, exec
	v_mov_b32_e32 v12, 0
	s_or_b64 s[4:5], s[4:5], s[8:9]
	s_or_b64 exec, exec, s[6:7]
	s_and_saveexec_b64 s[6:7], s[4:5]
	s_cbranch_execz .LBB2_31497
; %bb.55827:
	s_getpc_b64 s[14:15]
.Lpost_getpc31497:
	s_add_u32 s14, s14, (.LBB2_5651-.Lpost_getpc31497)&4294967295
	s_addc_u32 s15, s15, (.LBB2_5651-.Lpost_getpc31497)>>32
	s_setpc_b64 s[14:15]
.LBB2_31497:
	s_getpc_b64 s[14:15]
.Lpost_getpc19332:
	s_add_u32 s14, s14, (.LBB2_5652-.Lpost_getpc19332)&4294967295
	s_addc_u32 s15, s15, (.LBB2_5652-.Lpost_getpc19332)>>32
	s_setpc_b64 s[14:15]
.LBB2_19989:
	s_movk_i32 s4, 0x80
	v_cmp_eq_u16_e32 vcc, s4, v13
	s_mov_b64 s[4:5], -1
                                        ; implicit-def: $sgpr10
	s_and_saveexec_b64 s[8:9], vcc
; %bb.19990:
	s_mov_b32 s10, 0x7f800001
	s_xor_b64 s[4:5], exec, -1
; %bb.19991:
	s_or_b64 exec, exec, s[8:9]
	s_and_b64 s[4:5], s[4:5], exec
                                        ; implicit-def: $vgpr13
	s_or_saveexec_b64 s[6:7], s[6:7]
	v_mov_b32_e32 v14, s10
	s_xor_b64 exec, exec, s[6:7]
	s_cbranch_execnz .LBB2_19992
; %bb.55829:
	s_getpc_b64 s[14:15]
.Lpost_getpc31498:
	s_add_u32 s14, s14, (.LBB2_5654-.Lpost_getpc31498)&4294967295
	s_addc_u32 s15, s15, (.LBB2_5654-.Lpost_getpc31498)>>32
	s_setpc_b64 s[14:15]
.LBB2_19992:
	v_cmp_ne_u16_e32 vcc, 0, v13
	s_andn2_b64 s[4:5], s[4:5], exec
	s_and_b64 s[8:9], vcc, exec
	v_mov_b32_e32 v14, 0
	s_or_b64 s[4:5], s[4:5], s[8:9]
	s_or_b64 exec, exec, s[6:7]
	s_and_saveexec_b64 s[6:7], s[4:5]
	s_cbranch_execz .LBB2_31499
; %bb.55831:
	s_getpc_b64 s[14:15]
.Lpost_getpc31499:
	s_add_u32 s14, s14, (.LBB2_5655-.Lpost_getpc31499)&4294967295
	s_addc_u32 s15, s15, (.LBB2_5655-.Lpost_getpc31499)>>32
	s_setpc_b64 s[14:15]
.LBB2_31499:
	s_getpc_b64 s[14:15]
.Lpost_getpc19333:
	s_add_u32 s14, s14, (.LBB2_5656-.Lpost_getpc19333)&4294967295
	s_addc_u32 s15, s15, (.LBB2_5656-.Lpost_getpc19333)>>32
	s_setpc_b64 s[14:15]
.LBB2_19993:
	s_movk_i32 s4, 0x80
	v_cmp_eq_u16_sdwa s[12:13], v6, s4 src0_sel:BYTE_3 src1_sel:DWORD
	s_mov_b64 s[4:5], -1
                                        ; implicit-def: $sgpr10
	s_and_saveexec_b64 s[8:9], s[12:13]
; %bb.19994:
	s_mov_b32 s10, 0x7f800001
	s_xor_b64 s[4:5], exec, -1
; %bb.19995:
	s_or_b64 exec, exec, s[8:9]
	s_and_b64 s[4:5], s[4:5], exec
	s_or_saveexec_b64 s[6:7], s[6:7]
	v_mov_b32_e32 v12, s10
	s_xor_b64 exec, exec, s[6:7]
	s_cbranch_execnz .LBB2_19996
; %bb.55833:
	s_getpc_b64 s[14:15]
.Lpost_getpc31500:
	s_add_u32 s14, s14, (.LBB2_5658-.Lpost_getpc31500)&4294967295
	s_addc_u32 s15, s15, (.LBB2_5658-.Lpost_getpc31500)>>32
	s_setpc_b64 s[14:15]
.LBB2_19996:
	v_mov_b32_e32 v12, 0
	v_cmp_ne_u16_sdwa s[8:9], v6, v12 src0_sel:BYTE_3 src1_sel:DWORD
	s_andn2_b64 s[4:5], s[4:5], exec
	s_and_b64 s[8:9], s[8:9], exec
	s_or_b64 s[4:5], s[4:5], s[8:9]
	s_or_b64 exec, exec, s[6:7]
	s_and_saveexec_b64 s[6:7], s[4:5]
	s_cbranch_execz .LBB2_31501
; %bb.55835:
	s_getpc_b64 s[14:15]
.Lpost_getpc31501:
	s_add_u32 s14, s14, (.LBB2_5659-.Lpost_getpc31501)&4294967295
	s_addc_u32 s15, s15, (.LBB2_5659-.Lpost_getpc31501)>>32
	s_setpc_b64 s[14:15]
.LBB2_31501:
	s_getpc_b64 s[14:15]
.Lpost_getpc19334:
	s_add_u32 s14, s14, (.LBB2_5660-.Lpost_getpc19334)&4294967295
	s_addc_u32 s15, s15, (.LBB2_5660-.Lpost_getpc19334)>>32
	s_setpc_b64 s[14:15]
.LBB2_19997:
	s_movk_i32 s4, 0x80
	v_cmp_eq_u16_sdwa s[12:13], v2, s4 src0_sel:BYTE_3 src1_sel:DWORD
	s_mov_b64 s[4:5], -1
                                        ; implicit-def: $sgpr10
	s_and_saveexec_b64 s[8:9], s[12:13]
; %bb.19998:
	s_mov_b32 s10, 0x7f800001
	s_xor_b64 s[4:5], exec, -1
; %bb.19999:
	s_or_b64 exec, exec, s[8:9]
	s_and_b64 s[4:5], s[4:5], exec
	s_or_saveexec_b64 s[6:7], s[6:7]
	v_mov_b32_e32 v6, s10
	s_xor_b64 exec, exec, s[6:7]
	s_cbranch_execnz .LBB2_20000
; %bb.55837:
	s_getpc_b64 s[14:15]
.Lpost_getpc31502:
	s_add_u32 s14, s14, (.LBB2_5662-.Lpost_getpc31502)&4294967295
	s_addc_u32 s15, s15, (.LBB2_5662-.Lpost_getpc31502)>>32
	s_setpc_b64 s[14:15]
.LBB2_20000:
	v_mov_b32_e32 v6, 0
	v_cmp_ne_u16_sdwa s[8:9], v2, v6 src0_sel:BYTE_3 src1_sel:DWORD
	s_andn2_b64 s[4:5], s[4:5], exec
	s_and_b64 s[8:9], s[8:9], exec
	s_or_b64 s[4:5], s[4:5], s[8:9]
	s_or_b64 exec, exec, s[6:7]
	s_and_saveexec_b64 s[6:7], s[4:5]
	s_cbranch_execz .LBB2_31503
; %bb.55839:
	s_getpc_b64 s[14:15]
.Lpost_getpc31503:
	s_add_u32 s14, s14, (.LBB2_5663-.Lpost_getpc31503)&4294967295
	s_addc_u32 s15, s15, (.LBB2_5663-.Lpost_getpc31503)>>32
	s_setpc_b64 s[14:15]
.LBB2_31503:
	s_getpc_b64 s[14:15]
.Lpost_getpc19335:
	s_add_u32 s14, s14, (.LBB2_5664-.Lpost_getpc19335)&4294967295
	s_addc_u32 s15, s15, (.LBB2_5664-.Lpost_getpc19335)>>32
	s_setpc_b64 s[14:15]
.LBB2_20001:
	s_movk_i32 s4, 0x80
	v_cmp_eq_u16_sdwa s[12:13], v7, s4 src0_sel:BYTE_0 src1_sel:DWORD
	s_mov_b64 s[4:5], -1
                                        ; implicit-def: $sgpr10
	s_and_saveexec_b64 s[8:9], s[12:13]
; %bb.20002:
	s_mov_b32 s10, 0x7f800001
	s_xor_b64 s[4:5], exec, -1
; %bb.20003:
	s_or_b64 exec, exec, s[8:9]
	s_and_b64 s[4:5], s[4:5], exec
	s_or_saveexec_b64 s[6:7], s[6:7]
	v_mov_b32_e32 v2, s10
	s_xor_b64 exec, exec, s[6:7]
	s_cbranch_execnz .LBB2_20004
; %bb.55841:
	s_getpc_b64 s[14:15]
.Lpost_getpc31504:
	s_add_u32 s14, s14, (.LBB2_5666-.Lpost_getpc31504)&4294967295
	s_addc_u32 s15, s15, (.LBB2_5666-.Lpost_getpc31504)>>32
	s_setpc_b64 s[14:15]
.LBB2_20004:
	v_mov_b32_e32 v2, 0
	v_cmp_ne_u16_sdwa s[8:9], v7, v2 src0_sel:BYTE_0 src1_sel:DWORD
	s_andn2_b64 s[4:5], s[4:5], exec
	s_and_b64 s[8:9], s[8:9], exec
	s_or_b64 s[4:5], s[4:5], s[8:9]
	s_or_b64 exec, exec, s[6:7]
	s_and_saveexec_b64 s[6:7], s[4:5]
	s_cbranch_execz .LBB2_31505
; %bb.55843:
	s_getpc_b64 s[14:15]
.Lpost_getpc31505:
	s_add_u32 s14, s14, (.LBB2_5667-.Lpost_getpc31505)&4294967295
	s_addc_u32 s15, s15, (.LBB2_5667-.Lpost_getpc31505)>>32
	s_setpc_b64 s[14:15]
.LBB2_31505:
	s_getpc_b64 s[14:15]
.Lpost_getpc19336:
	s_add_u32 s14, s14, (.LBB2_5668-.Lpost_getpc19336)&4294967295
	s_addc_u32 s15, s15, (.LBB2_5668-.Lpost_getpc19336)>>32
	s_setpc_b64 s[14:15]
.LBB2_20005:
	s_movk_i32 s4, 0x80
	v_cmp_eq_u16_sdwa s[12:13], v3, s4 src0_sel:BYTE_0 src1_sel:DWORD
	s_mov_b64 s[4:5], -1
                                        ; implicit-def: $sgpr10
	s_and_saveexec_b64 s[8:9], s[12:13]
; %bb.20006:
	s_mov_b32 s10, 0x7f800001
	s_xor_b64 s[4:5], exec, -1
; %bb.20007:
	s_or_b64 exec, exec, s[8:9]
	s_and_b64 s[4:5], s[4:5], exec
	s_or_saveexec_b64 s[6:7], s[6:7]
	v_mov_b32_e32 v6, s10
	s_xor_b64 exec, exec, s[6:7]
	s_cbranch_execnz .LBB2_20008
; %bb.55845:
	s_getpc_b64 s[14:15]
.Lpost_getpc31506:
	s_add_u32 s14, s14, (.LBB2_5670-.Lpost_getpc31506)&4294967295
	s_addc_u32 s15, s15, (.LBB2_5670-.Lpost_getpc31506)>>32
	s_setpc_b64 s[14:15]
.LBB2_20008:
	v_mov_b32_e32 v6, 0
	v_cmp_ne_u16_sdwa s[8:9], v3, v6 src0_sel:BYTE_0 src1_sel:DWORD
	s_andn2_b64 s[4:5], s[4:5], exec
	s_and_b64 s[8:9], s[8:9], exec
	s_or_b64 s[4:5], s[4:5], s[8:9]
	s_or_b64 exec, exec, s[6:7]
	s_and_saveexec_b64 s[6:7], s[4:5]
	s_cbranch_execz .LBB2_31507
; %bb.55847:
	s_getpc_b64 s[14:15]
.Lpost_getpc31507:
	s_add_u32 s14, s14, (.LBB2_5671-.Lpost_getpc31507)&4294967295
	s_addc_u32 s15, s15, (.LBB2_5671-.Lpost_getpc31507)>>32
	s_setpc_b64 s[14:15]
.LBB2_31507:
	s_getpc_b64 s[14:15]
.Lpost_getpc19337:
	s_add_u32 s14, s14, (.LBB2_5672-.Lpost_getpc19337)&4294967295
	s_addc_u32 s15, s15, (.LBB2_5672-.Lpost_getpc19337)>>32
	s_setpc_b64 s[14:15]
.LBB2_20009:
	s_movk_i32 s4, 0x80
	v_cmp_eq_u16_sdwa s[12:13], v6, s4 src0_sel:BYTE_0 src1_sel:DWORD
	s_mov_b64 s[4:5], -1
                                        ; implicit-def: $sgpr10
	s_and_saveexec_b64 s[8:9], s[12:13]
; %bb.20010:
	s_mov_b32 s10, 0x7f800001
	s_xor_b64 s[4:5], exec, -1
; %bb.20011:
	s_or_b64 exec, exec, s[8:9]
	s_and_b64 s[4:5], s[4:5], exec
	s_or_saveexec_b64 s[6:7], s[6:7]
	v_mov_b32_e32 v2, s10
	s_xor_b64 exec, exec, s[6:7]
	s_cbranch_execnz .LBB2_20012
; %bb.55849:
	s_getpc_b64 s[14:15]
.Lpost_getpc31508:
	s_add_u32 s14, s14, (.LBB2_5674-.Lpost_getpc31508)&4294967295
	s_addc_u32 s15, s15, (.LBB2_5674-.Lpost_getpc31508)>>32
	s_setpc_b64 s[14:15]
.LBB2_20012:
	v_mov_b32_e32 v2, 0
	v_cmp_ne_u16_sdwa s[8:9], v6, v2 src0_sel:BYTE_0 src1_sel:DWORD
	s_andn2_b64 s[4:5], s[4:5], exec
	s_and_b64 s[8:9], s[8:9], exec
	s_or_b64 s[4:5], s[4:5], s[8:9]
	s_or_b64 exec, exec, s[6:7]
	s_and_saveexec_b64 s[6:7], s[4:5]
	s_cbranch_execz .LBB2_31509
; %bb.55851:
	s_getpc_b64 s[14:15]
.Lpost_getpc31509:
	s_add_u32 s14, s14, (.LBB2_5675-.Lpost_getpc31509)&4294967295
	s_addc_u32 s15, s15, (.LBB2_5675-.Lpost_getpc31509)>>32
	s_setpc_b64 s[14:15]
.LBB2_31509:
	s_getpc_b64 s[14:15]
.Lpost_getpc19338:
	s_add_u32 s14, s14, (.LBB2_5676-.Lpost_getpc19338)&4294967295
	s_addc_u32 s15, s15, (.LBB2_5676-.Lpost_getpc19338)>>32
	s_setpc_b64 s[14:15]
.LBB2_20013:
	s_movk_i32 s4, 0x80
	v_cmp_eq_u16_sdwa s[12:13], v6, s4 src0_sel:BYTE_0 src1_sel:DWORD
	s_mov_b64 s[4:5], -1
                                        ; implicit-def: $sgpr10
	s_and_saveexec_b64 s[8:9], s[12:13]
; %bb.20014:
	s_mov_b32 s10, 0x7f800001
	s_xor_b64 s[4:5], exec, -1
; %bb.20015:
	s_or_b64 exec, exec, s[8:9]
	s_and_b64 s[4:5], s[4:5], exec
	s_or_saveexec_b64 s[6:7], s[6:7]
	v_mov_b32_e32 v12, s10
	s_xor_b64 exec, exec, s[6:7]
	s_cbranch_execnz .LBB2_20016
; %bb.55853:
	s_getpc_b64 s[14:15]
.Lpost_getpc31510:
	s_add_u32 s14, s14, (.LBB2_5678-.Lpost_getpc31510)&4294967295
	s_addc_u32 s15, s15, (.LBB2_5678-.Lpost_getpc31510)>>32
	s_setpc_b64 s[14:15]
.LBB2_20016:
	v_mov_b32_e32 v12, 0
	v_cmp_ne_u16_sdwa s[8:9], v6, v12 src0_sel:BYTE_0 src1_sel:DWORD
	s_andn2_b64 s[4:5], s[4:5], exec
	s_and_b64 s[8:9], s[8:9], exec
	s_or_b64 s[4:5], s[4:5], s[8:9]
	s_or_b64 exec, exec, s[6:7]
	s_and_saveexec_b64 s[6:7], s[4:5]
	s_cbranch_execz .LBB2_31511
; %bb.55855:
	s_getpc_b64 s[14:15]
.Lpost_getpc31511:
	s_add_u32 s14, s14, (.LBB2_5679-.Lpost_getpc31511)&4294967295
	s_addc_u32 s15, s15, (.LBB2_5679-.Lpost_getpc31511)>>32
	s_setpc_b64 s[14:15]
.LBB2_31511:
	s_getpc_b64 s[14:15]
.Lpost_getpc19339:
	s_add_u32 s14, s14, (.LBB2_5680-.Lpost_getpc19339)&4294967295
	s_addc_u32 s15, s15, (.LBB2_5680-.Lpost_getpc19339)>>32
	s_setpc_b64 s[14:15]
.LBB2_20017:
	s_movk_i32 s4, 0x80
	v_cmp_eq_u16_e32 vcc, s4, v6
	s_mov_b64 s[4:5], -1
                                        ; implicit-def: $sgpr10
	s_and_saveexec_b64 s[8:9], vcc
; %bb.20018:
	s_mov_b32 s10, 0x7f800001
	s_xor_b64 s[4:5], exec, -1
; %bb.20019:
	s_or_b64 exec, exec, s[8:9]
	s_and_b64 s[4:5], s[4:5], exec
                                        ; implicit-def: $vgpr6
	s_or_saveexec_b64 s[6:7], s[6:7]
	v_mov_b32_e32 v2, s10
	s_xor_b64 exec, exec, s[6:7]
	s_cbranch_execnz .LBB2_20020
; %bb.55857:
	s_getpc_b64 s[14:15]
.Lpost_getpc31512:
	s_add_u32 s14, s14, (.LBB2_5682-.Lpost_getpc31512)&4294967295
	s_addc_u32 s15, s15, (.LBB2_5682-.Lpost_getpc31512)>>32
	s_setpc_b64 s[14:15]
.LBB2_20020:
	v_cmp_ne_u16_e32 vcc, 0, v6
	s_andn2_b64 s[4:5], s[4:5], exec
	s_and_b64 s[8:9], vcc, exec
	v_mov_b32_e32 v2, 0
	s_or_b64 s[4:5], s[4:5], s[8:9]
	s_or_b64 exec, exec, s[6:7]
	s_and_saveexec_b64 s[6:7], s[4:5]
	s_cbranch_execz .LBB2_31513
; %bb.55859:
	s_getpc_b64 s[14:15]
.Lpost_getpc31513:
	s_add_u32 s14, s14, (.LBB2_5683-.Lpost_getpc31513)&4294967295
	s_addc_u32 s15, s15, (.LBB2_5683-.Lpost_getpc31513)>>32
	s_setpc_b64 s[14:15]
.LBB2_31513:
	s_getpc_b64 s[14:15]
.Lpost_getpc19340:
	s_add_u32 s14, s14, (.LBB2_5684-.Lpost_getpc19340)&4294967295
	s_addc_u32 s15, s15, (.LBB2_5684-.Lpost_getpc19340)>>32
	s_setpc_b64 s[14:15]
.LBB2_20021:
	s_movk_i32 s4, 0x80
	v_cmp_eq_u16_e32 vcc, s4, v6
	s_mov_b64 s[4:5], -1
                                        ; implicit-def: $sgpr10
	s_and_saveexec_b64 s[8:9], vcc
; %bb.20022:
	s_mov_b32 s10, 0x7f800001
	s_xor_b64 s[4:5], exec, -1
; %bb.20023:
	s_or_b64 exec, exec, s[8:9]
	s_and_b64 s[4:5], s[4:5], exec
                                        ; implicit-def: $vgpr6
	s_or_saveexec_b64 s[6:7], s[6:7]
	v_mov_b32_e32 v12, s10
	s_xor_b64 exec, exec, s[6:7]
	s_cbranch_execnz .LBB2_20024
; %bb.55861:
	s_getpc_b64 s[14:15]
.Lpost_getpc31514:
	s_add_u32 s14, s14, (.LBB2_5686-.Lpost_getpc31514)&4294967295
	s_addc_u32 s15, s15, (.LBB2_5686-.Lpost_getpc31514)>>32
	s_setpc_b64 s[14:15]
.LBB2_20024:
	v_cmp_ne_u16_e32 vcc, 0, v6
	s_andn2_b64 s[4:5], s[4:5], exec
	s_and_b64 s[8:9], vcc, exec
	v_mov_b32_e32 v12, 0
	s_or_b64 s[4:5], s[4:5], s[8:9]
	s_or_b64 exec, exec, s[6:7]
	s_and_saveexec_b64 s[6:7], s[4:5]
	s_cbranch_execz .LBB2_31515
; %bb.55863:
	s_getpc_b64 s[14:15]
.Lpost_getpc31515:
	s_add_u32 s14, s14, (.LBB2_5687-.Lpost_getpc31515)&4294967295
	s_addc_u32 s15, s15, (.LBB2_5687-.Lpost_getpc31515)>>32
	s_setpc_b64 s[14:15]
.LBB2_31515:
	s_getpc_b64 s[14:15]
.Lpost_getpc19341:
	s_add_u32 s14, s14, (.LBB2_5688-.Lpost_getpc19341)&4294967295
	s_addc_u32 s15, s15, (.LBB2_5688-.Lpost_getpc19341)>>32
	s_setpc_b64 s[14:15]
.LBB2_20025:
	s_movk_i32 s4, 0x80
	v_cmp_eq_u16_sdwa s[12:13], v7, s4 src0_sel:BYTE_3 src1_sel:DWORD
	s_mov_b64 s[4:5], -1
                                        ; implicit-def: $sgpr10
	s_and_saveexec_b64 s[8:9], s[12:13]
; %bb.20026:
	s_mov_b32 s10, 0x7f800001
	s_xor_b64 s[4:5], exec, -1
; %bb.20027:
	s_or_b64 exec, exec, s[8:9]
	s_and_b64 s[4:5], s[4:5], exec
	s_or_saveexec_b64 s[6:7], s[6:7]
	v_mov_b32_e32 v2, s10
	s_xor_b64 exec, exec, s[6:7]
	s_cbranch_execnz .LBB2_20028
; %bb.55865:
	s_getpc_b64 s[14:15]
.Lpost_getpc31516:
	s_add_u32 s14, s14, (.LBB2_5690-.Lpost_getpc31516)&4294967295
	s_addc_u32 s15, s15, (.LBB2_5690-.Lpost_getpc31516)>>32
	s_setpc_b64 s[14:15]
.LBB2_20028:
	v_mov_b32_e32 v2, 0
	v_cmp_ne_u16_sdwa s[8:9], v7, v2 src0_sel:BYTE_3 src1_sel:DWORD
	s_andn2_b64 s[4:5], s[4:5], exec
	s_and_b64 s[8:9], s[8:9], exec
	s_or_b64 s[4:5], s[4:5], s[8:9]
	s_or_b64 exec, exec, s[6:7]
	s_and_saveexec_b64 s[6:7], s[4:5]
	s_cbranch_execz .LBB2_31517
; %bb.55867:
	s_getpc_b64 s[14:15]
.Lpost_getpc31517:
	s_add_u32 s14, s14, (.LBB2_5691-.Lpost_getpc31517)&4294967295
	s_addc_u32 s15, s15, (.LBB2_5691-.Lpost_getpc31517)>>32
	s_setpc_b64 s[14:15]
.LBB2_31517:
	s_getpc_b64 s[14:15]
.Lpost_getpc19342:
	s_add_u32 s14, s14, (.LBB2_5692-.Lpost_getpc19342)&4294967295
	s_addc_u32 s15, s15, (.LBB2_5692-.Lpost_getpc19342)>>32
	s_setpc_b64 s[14:15]
.LBB2_20029:
	s_movk_i32 s4, 0x80
	v_cmp_eq_u16_sdwa s[12:13], v3, s4 src0_sel:BYTE_3 src1_sel:DWORD
	s_mov_b64 s[4:5], -1
                                        ; implicit-def: $sgpr10
	s_and_saveexec_b64 s[8:9], s[12:13]
; %bb.20030:
	s_mov_b32 s10, 0x7f800001
	s_xor_b64 s[4:5], exec, -1
; %bb.20031:
	s_or_b64 exec, exec, s[8:9]
	s_and_b64 s[4:5], s[4:5], exec
	s_or_saveexec_b64 s[6:7], s[6:7]
	v_mov_b32_e32 v6, s10
	s_xor_b64 exec, exec, s[6:7]
	s_cbranch_execnz .LBB2_20032
; %bb.55869:
	s_getpc_b64 s[14:15]
.Lpost_getpc31518:
	s_add_u32 s14, s14, (.LBB2_5694-.Lpost_getpc31518)&4294967295
	s_addc_u32 s15, s15, (.LBB2_5694-.Lpost_getpc31518)>>32
	s_setpc_b64 s[14:15]
.LBB2_20032:
	v_mov_b32_e32 v6, 0
	v_cmp_ne_u16_sdwa s[8:9], v3, v6 src0_sel:BYTE_3 src1_sel:DWORD
	s_andn2_b64 s[4:5], s[4:5], exec
	s_and_b64 s[8:9], s[8:9], exec
	s_or_b64 s[4:5], s[4:5], s[8:9]
	s_or_b64 exec, exec, s[6:7]
	s_and_saveexec_b64 s[6:7], s[4:5]
	s_cbranch_execz .LBB2_31519
; %bb.55871:
	s_getpc_b64 s[14:15]
.Lpost_getpc31519:
	s_add_u32 s14, s14, (.LBB2_5695-.Lpost_getpc31519)&4294967295
	s_addc_u32 s15, s15, (.LBB2_5695-.Lpost_getpc31519)>>32
	s_setpc_b64 s[14:15]
.LBB2_31519:
	s_getpc_b64 s[14:15]
.Lpost_getpc19343:
	s_add_u32 s14, s14, (.LBB2_5696-.Lpost_getpc19343)&4294967295
	s_addc_u32 s15, s15, (.LBB2_5696-.Lpost_getpc19343)>>32
	s_setpc_b64 s[14:15]
.LBB2_20033:
	s_movk_i32 s4, 0x80
	v_cmp_eq_u16_sdwa s[12:13], v8, s4 src0_sel:BYTE_0 src1_sel:DWORD
	s_mov_b64 s[4:5], -1
                                        ; implicit-def: $sgpr10
	s_and_saveexec_b64 s[8:9], s[12:13]
; %bb.20034:
	s_mov_b32 s10, 0x7f800001
	s_xor_b64 s[4:5], exec, -1
; %bb.20035:
	s_or_b64 exec, exec, s[8:9]
	s_and_b64 s[4:5], s[4:5], exec
	s_or_saveexec_b64 s[6:7], s[6:7]
	v_mov_b32_e32 v2, s10
	s_xor_b64 exec, exec, s[6:7]
	s_cbranch_execnz .LBB2_20036
; %bb.55873:
	s_getpc_b64 s[14:15]
.Lpost_getpc31520:
	s_add_u32 s14, s14, (.LBB2_5698-.Lpost_getpc31520)&4294967295
	s_addc_u32 s15, s15, (.LBB2_5698-.Lpost_getpc31520)>>32
	s_setpc_b64 s[14:15]
.LBB2_20036:
	v_mov_b32_e32 v2, 0
	v_cmp_ne_u16_sdwa s[8:9], v8, v2 src0_sel:BYTE_0 src1_sel:DWORD
	s_andn2_b64 s[4:5], s[4:5], exec
	s_and_b64 s[8:9], s[8:9], exec
	s_or_b64 s[4:5], s[4:5], s[8:9]
	s_or_b64 exec, exec, s[6:7]
	s_and_saveexec_b64 s[6:7], s[4:5]
	s_cbranch_execz .LBB2_31521
; %bb.55875:
	s_getpc_b64 s[14:15]
.Lpost_getpc31521:
	s_add_u32 s14, s14, (.LBB2_5699-.Lpost_getpc31521)&4294967295
	s_addc_u32 s15, s15, (.LBB2_5699-.Lpost_getpc31521)>>32
	s_setpc_b64 s[14:15]
.LBB2_31521:
	s_getpc_b64 s[14:15]
.Lpost_getpc19344:
	s_add_u32 s14, s14, (.LBB2_5700-.Lpost_getpc19344)&4294967295
	s_addc_u32 s15, s15, (.LBB2_5700-.Lpost_getpc19344)>>32
	s_setpc_b64 s[14:15]
.LBB2_20037:
	s_movk_i32 s4, 0x80
	v_cmp_eq_u16_sdwa s[12:13], v4, s4 src0_sel:BYTE_0 src1_sel:DWORD
	s_mov_b64 s[4:5], -1
                                        ; implicit-def: $sgpr10
	s_and_saveexec_b64 s[8:9], s[12:13]
; %bb.20038:
	s_mov_b32 s10, 0x7f800001
	s_xor_b64 s[4:5], exec, -1
; %bb.20039:
	s_or_b64 exec, exec, s[8:9]
	s_and_b64 s[4:5], s[4:5], exec
	s_or_saveexec_b64 s[6:7], s[6:7]
	v_mov_b32_e32 v3, s10
	s_xor_b64 exec, exec, s[6:7]
	s_cbranch_execnz .LBB2_20040
; %bb.55877:
	s_getpc_b64 s[14:15]
.Lpost_getpc31522:
	s_add_u32 s14, s14, (.LBB2_5702-.Lpost_getpc31522)&4294967295
	s_addc_u32 s15, s15, (.LBB2_5702-.Lpost_getpc31522)>>32
	s_setpc_b64 s[14:15]
.LBB2_20040:
	v_mov_b32_e32 v3, 0
	v_cmp_ne_u16_sdwa s[8:9], v4, v3 src0_sel:BYTE_0 src1_sel:DWORD
	s_andn2_b64 s[4:5], s[4:5], exec
	s_and_b64 s[8:9], s[8:9], exec
	s_or_b64 s[4:5], s[4:5], s[8:9]
	s_or_b64 exec, exec, s[6:7]
	s_and_saveexec_b64 s[6:7], s[4:5]
	s_cbranch_execz .LBB2_31523
; %bb.55879:
	s_getpc_b64 s[14:15]
.Lpost_getpc31523:
	s_add_u32 s14, s14, (.LBB2_5703-.Lpost_getpc31523)&4294967295
	s_addc_u32 s15, s15, (.LBB2_5703-.Lpost_getpc31523)>>32
	s_setpc_b64 s[14:15]
.LBB2_31523:
	s_getpc_b64 s[14:15]
.Lpost_getpc19345:
	s_add_u32 s14, s14, (.LBB2_5704-.Lpost_getpc19345)&4294967295
	s_addc_u32 s15, s15, (.LBB2_5704-.Lpost_getpc19345)>>32
	s_setpc_b64 s[14:15]
.LBB2_20041:
	s_movk_i32 s4, 0x80
	v_cmp_eq_u16_sdwa s[12:13], v3, s4 src0_sel:BYTE_0 src1_sel:DWORD
	s_mov_b64 s[4:5], -1
                                        ; implicit-def: $sgpr10
	s_and_saveexec_b64 s[8:9], s[12:13]
; %bb.20042:
	s_mov_b32 s10, 0x7f800001
	s_xor_b64 s[4:5], exec, -1
; %bb.20043:
	s_or_b64 exec, exec, s[8:9]
	s_and_b64 s[4:5], s[4:5], exec
	s_or_saveexec_b64 s[6:7], s[6:7]
	v_mov_b32_e32 v2, s10
	s_xor_b64 exec, exec, s[6:7]
	s_cbranch_execnz .LBB2_20044
; %bb.55881:
	s_getpc_b64 s[14:15]
.Lpost_getpc31524:
	s_add_u32 s14, s14, (.LBB2_5706-.Lpost_getpc31524)&4294967295
	s_addc_u32 s15, s15, (.LBB2_5706-.Lpost_getpc31524)>>32
	s_setpc_b64 s[14:15]
.LBB2_20044:
	v_mov_b32_e32 v2, 0
	v_cmp_ne_u16_sdwa s[8:9], v3, v2 src0_sel:BYTE_0 src1_sel:DWORD
	s_andn2_b64 s[4:5], s[4:5], exec
	s_and_b64 s[8:9], s[8:9], exec
	s_or_b64 s[4:5], s[4:5], s[8:9]
	s_or_b64 exec, exec, s[6:7]
	s_and_saveexec_b64 s[6:7], s[4:5]
	s_cbranch_execz .LBB2_31525
; %bb.55883:
	s_getpc_b64 s[14:15]
.Lpost_getpc31525:
	s_add_u32 s14, s14, (.LBB2_5707-.Lpost_getpc31525)&4294967295
	s_addc_u32 s15, s15, (.LBB2_5707-.Lpost_getpc31525)>>32
	s_setpc_b64 s[14:15]
.LBB2_31525:
	s_getpc_b64 s[14:15]
.Lpost_getpc19346:
	s_add_u32 s14, s14, (.LBB2_5708-.Lpost_getpc19346)&4294967295
	s_addc_u32 s15, s15, (.LBB2_5708-.Lpost_getpc19346)>>32
	s_setpc_b64 s[14:15]
.LBB2_20045:
	s_movk_i32 s4, 0x80
	v_cmp_eq_u16_sdwa s[12:13], v3, s4 src0_sel:BYTE_0 src1_sel:DWORD
	s_mov_b64 s[4:5], -1
                                        ; implicit-def: $sgpr10
	s_and_saveexec_b64 s[8:9], s[12:13]
; %bb.20046:
	s_mov_b32 s10, 0x7f800001
	s_xor_b64 s[4:5], exec, -1
; %bb.20047:
	s_or_b64 exec, exec, s[8:9]
	s_and_b64 s[4:5], s[4:5], exec
	s_or_saveexec_b64 s[6:7], s[6:7]
	v_mov_b32_e32 v6, s10
	s_xor_b64 exec, exec, s[6:7]
	s_cbranch_execnz .LBB2_20048
; %bb.55885:
	s_getpc_b64 s[14:15]
.Lpost_getpc31526:
	s_add_u32 s14, s14, (.LBB2_5710-.Lpost_getpc31526)&4294967295
	s_addc_u32 s15, s15, (.LBB2_5710-.Lpost_getpc31526)>>32
	s_setpc_b64 s[14:15]
.LBB2_20048:
	v_mov_b32_e32 v6, 0
	v_cmp_ne_u16_sdwa s[8:9], v3, v6 src0_sel:BYTE_0 src1_sel:DWORD
	s_andn2_b64 s[4:5], s[4:5], exec
	s_and_b64 s[8:9], s[8:9], exec
	s_or_b64 s[4:5], s[4:5], s[8:9]
	s_or_b64 exec, exec, s[6:7]
	s_and_saveexec_b64 s[6:7], s[4:5]
	s_cbranch_execz .LBB2_31527
; %bb.55887:
	s_getpc_b64 s[14:15]
.Lpost_getpc31527:
	s_add_u32 s14, s14, (.LBB2_5711-.Lpost_getpc31527)&4294967295
	s_addc_u32 s15, s15, (.LBB2_5711-.Lpost_getpc31527)>>32
	s_setpc_b64 s[14:15]
.LBB2_31527:
	s_getpc_b64 s[14:15]
.Lpost_getpc19347:
	s_add_u32 s14, s14, (.LBB2_5712-.Lpost_getpc19347)&4294967295
	s_addc_u32 s15, s15, (.LBB2_5712-.Lpost_getpc19347)>>32
	s_setpc_b64 s[14:15]
.LBB2_20049:
	s_movk_i32 s4, 0x80
	v_cmp_eq_u16_e32 vcc, s4, v3
	s_mov_b64 s[4:5], -1
                                        ; implicit-def: $sgpr10
	s_and_saveexec_b64 s[8:9], vcc
; %bb.20050:
	s_mov_b32 s10, 0x7f800001
	s_xor_b64 s[4:5], exec, -1
; %bb.20051:
	s_or_b64 exec, exec, s[8:9]
	s_and_b64 s[4:5], s[4:5], exec
                                        ; implicit-def: $vgpr3
	s_or_saveexec_b64 s[6:7], s[6:7]
	v_mov_b32_e32 v2, s10
	s_xor_b64 exec, exec, s[6:7]
	s_cbranch_execnz .LBB2_20052
; %bb.55889:
	s_getpc_b64 s[14:15]
.Lpost_getpc31528:
	s_add_u32 s14, s14, (.LBB2_5714-.Lpost_getpc31528)&4294967295
	s_addc_u32 s15, s15, (.LBB2_5714-.Lpost_getpc31528)>>32
	s_setpc_b64 s[14:15]
.LBB2_20052:
	v_cmp_ne_u16_e32 vcc, 0, v3
	s_andn2_b64 s[4:5], s[4:5], exec
	s_and_b64 s[8:9], vcc, exec
	v_mov_b32_e32 v2, 0
	s_or_b64 s[4:5], s[4:5], s[8:9]
	s_or_b64 exec, exec, s[6:7]
	s_and_saveexec_b64 s[6:7], s[4:5]
	s_cbranch_execz .LBB2_31529
; %bb.55891:
	s_getpc_b64 s[14:15]
.Lpost_getpc31529:
	s_add_u32 s14, s14, (.LBB2_5715-.Lpost_getpc31529)&4294967295
	s_addc_u32 s15, s15, (.LBB2_5715-.Lpost_getpc31529)>>32
	s_setpc_b64 s[14:15]
.LBB2_31529:
	s_getpc_b64 s[14:15]
.Lpost_getpc19348:
	s_add_u32 s14, s14, (.LBB2_5716-.Lpost_getpc19348)&4294967295
	s_addc_u32 s15, s15, (.LBB2_5716-.Lpost_getpc19348)>>32
	s_setpc_b64 s[14:15]
.LBB2_20053:
	s_movk_i32 s4, 0x80
	v_cmp_eq_u16_e32 vcc, s4, v3
	s_mov_b64 s[4:5], -1
                                        ; implicit-def: $sgpr10
	s_and_saveexec_b64 s[8:9], vcc
; %bb.20054:
	s_mov_b32 s10, 0x7f800001
	s_xor_b64 s[4:5], exec, -1
; %bb.20055:
	s_or_b64 exec, exec, s[8:9]
	s_and_b64 s[4:5], s[4:5], exec
                                        ; implicit-def: $vgpr3
	s_or_saveexec_b64 s[6:7], s[6:7]
	v_mov_b32_e32 v6, s10
	s_xor_b64 exec, exec, s[6:7]
	s_cbranch_execnz .LBB2_20056
; %bb.55893:
	s_getpc_b64 s[14:15]
.Lpost_getpc31530:
	s_add_u32 s14, s14, (.LBB2_5718-.Lpost_getpc31530)&4294967295
	s_addc_u32 s15, s15, (.LBB2_5718-.Lpost_getpc31530)>>32
	s_setpc_b64 s[14:15]
.LBB2_20056:
	v_cmp_ne_u16_e32 vcc, 0, v3
	s_andn2_b64 s[4:5], s[4:5], exec
	s_and_b64 s[8:9], vcc, exec
	v_mov_b32_e32 v6, 0
	s_or_b64 s[4:5], s[4:5], s[8:9]
	s_or_b64 exec, exec, s[6:7]
	s_and_saveexec_b64 s[6:7], s[4:5]
	s_cbranch_execz .LBB2_31531
; %bb.55895:
	s_getpc_b64 s[14:15]
.Lpost_getpc31531:
	s_add_u32 s14, s14, (.LBB2_5719-.Lpost_getpc31531)&4294967295
	s_addc_u32 s15, s15, (.LBB2_5719-.Lpost_getpc31531)>>32
	s_setpc_b64 s[14:15]
.LBB2_31531:
	s_getpc_b64 s[14:15]
.Lpost_getpc19349:
	s_add_u32 s14, s14, (.LBB2_5720-.Lpost_getpc19349)&4294967295
	s_addc_u32 s15, s15, (.LBB2_5720-.Lpost_getpc19349)>>32
	s_setpc_b64 s[14:15]
.LBB2_20057:
	s_movk_i32 s4, 0x80
	v_cmp_eq_u16_sdwa s[12:13], v8, s4 src0_sel:BYTE_3 src1_sel:DWORD
	s_mov_b64 s[4:5], -1
                                        ; implicit-def: $sgpr10
	s_and_saveexec_b64 s[8:9], s[12:13]
; %bb.20058:
	s_mov_b32 s10, 0x7f800001
	s_xor_b64 s[4:5], exec, -1
; %bb.20059:
	s_or_b64 exec, exec, s[8:9]
	s_and_b64 s[4:5], s[4:5], exec
	s_or_saveexec_b64 s[6:7], s[6:7]
	v_mov_b32_e32 v2, s10
	s_xor_b64 exec, exec, s[6:7]
	s_cbranch_execnz .LBB2_20060
; %bb.55897:
	s_getpc_b64 s[14:15]
.Lpost_getpc31532:
	s_add_u32 s14, s14, (.LBB2_5722-.Lpost_getpc31532)&4294967295
	s_addc_u32 s15, s15, (.LBB2_5722-.Lpost_getpc31532)>>32
	s_setpc_b64 s[14:15]
.LBB2_20060:
	v_mov_b32_e32 v2, 0
	v_cmp_ne_u16_sdwa s[8:9], v8, v2 src0_sel:BYTE_3 src1_sel:DWORD
	s_andn2_b64 s[4:5], s[4:5], exec
	s_and_b64 s[8:9], s[8:9], exec
	s_or_b64 s[4:5], s[4:5], s[8:9]
	s_or_b64 exec, exec, s[6:7]
	s_and_saveexec_b64 s[6:7], s[4:5]
	s_cbranch_execz .LBB2_31533
; %bb.55899:
	s_getpc_b64 s[14:15]
.Lpost_getpc31533:
	s_add_u32 s14, s14, (.LBB2_5723-.Lpost_getpc31533)&4294967295
	s_addc_u32 s15, s15, (.LBB2_5723-.Lpost_getpc31533)>>32
	s_setpc_b64 s[14:15]
.LBB2_31533:
	s_getpc_b64 s[14:15]
.Lpost_getpc19350:
	s_add_u32 s14, s14, (.LBB2_5724-.Lpost_getpc19350)&4294967295
	s_addc_u32 s15, s15, (.LBB2_5724-.Lpost_getpc19350)>>32
	s_setpc_b64 s[14:15]
.LBB2_20061:
	s_movk_i32 s4, 0x80
	v_cmp_eq_u16_sdwa s[12:13], v4, s4 src0_sel:BYTE_3 src1_sel:DWORD
	s_mov_b64 s[4:5], -1
                                        ; implicit-def: $sgpr10
	s_and_saveexec_b64 s[8:9], s[12:13]
; %bb.20062:
	s_mov_b32 s10, 0x7f800001
	s_xor_b64 s[4:5], exec, -1
; %bb.20063:
	s_or_b64 exec, exec, s[8:9]
	s_and_b64 s[4:5], s[4:5], exec
	s_or_saveexec_b64 s[6:7], s[6:7]
	v_mov_b32_e32 v3, s10
	s_xor_b64 exec, exec, s[6:7]
	s_cbranch_execnz .LBB2_20064
; %bb.55901:
	s_getpc_b64 s[14:15]
.Lpost_getpc31534:
	s_add_u32 s14, s14, (.LBB2_5726-.Lpost_getpc31534)&4294967295
	s_addc_u32 s15, s15, (.LBB2_5726-.Lpost_getpc31534)>>32
	s_setpc_b64 s[14:15]
.LBB2_20064:
	v_mov_b32_e32 v3, 0
	v_cmp_ne_u16_sdwa s[8:9], v4, v3 src0_sel:BYTE_3 src1_sel:DWORD
	s_andn2_b64 s[4:5], s[4:5], exec
	s_and_b64 s[8:9], s[8:9], exec
	s_or_b64 s[4:5], s[4:5], s[8:9]
	s_or_b64 exec, exec, s[6:7]
	s_and_saveexec_b64 s[6:7], s[4:5]
	s_cbranch_execz .LBB2_31535
; %bb.55903:
	s_getpc_b64 s[14:15]
.Lpost_getpc31535:
	s_add_u32 s14, s14, (.LBB2_5727-.Lpost_getpc31535)&4294967295
	s_addc_u32 s15, s15, (.LBB2_5727-.Lpost_getpc31535)>>32
	s_setpc_b64 s[14:15]
.LBB2_31535:
	s_getpc_b64 s[14:15]
.Lpost_getpc19351:
	s_add_u32 s14, s14, (.LBB2_5728-.Lpost_getpc19351)&4294967295
	s_addc_u32 s15, s15, (.LBB2_5728-.Lpost_getpc19351)>>32
	s_setpc_b64 s[14:15]
.LBB2_20065:
	s_movk_i32 s4, 0x80
	v_cmp_eq_u16_sdwa s[12:13], v9, s4 src0_sel:BYTE_0 src1_sel:DWORD
	s_mov_b64 s[4:5], -1
                                        ; implicit-def: $sgpr10
	s_and_saveexec_b64 s[8:9], s[12:13]
; %bb.20066:
	s_mov_b32 s10, 0x7f800001
	s_xor_b64 s[4:5], exec, -1
; %bb.20067:
	s_or_b64 exec, exec, s[8:9]
	s_and_b64 s[4:5], s[4:5], exec
	s_or_saveexec_b64 s[6:7], s[6:7]
	v_mov_b32_e32 v2, s10
	s_xor_b64 exec, exec, s[6:7]
	s_cbranch_execnz .LBB2_20068
; %bb.55905:
	s_getpc_b64 s[14:15]
.Lpost_getpc31536:
	s_add_u32 s14, s14, (.LBB2_5730-.Lpost_getpc31536)&4294967295
	s_addc_u32 s15, s15, (.LBB2_5730-.Lpost_getpc31536)>>32
	s_setpc_b64 s[14:15]
.LBB2_20068:
	v_mov_b32_e32 v2, 0
	v_cmp_ne_u16_sdwa s[8:9], v9, v2 src0_sel:BYTE_0 src1_sel:DWORD
	s_andn2_b64 s[4:5], s[4:5], exec
	s_and_b64 s[8:9], s[8:9], exec
	s_or_b64 s[4:5], s[4:5], s[8:9]
	s_or_b64 exec, exec, s[6:7]
	s_and_saveexec_b64 s[6:7], s[4:5]
	s_cbranch_execz .LBB2_31537
; %bb.55907:
	s_getpc_b64 s[14:15]
.Lpost_getpc31537:
	s_add_u32 s14, s14, (.LBB2_5731-.Lpost_getpc31537)&4294967295
	s_addc_u32 s15, s15, (.LBB2_5731-.Lpost_getpc31537)>>32
	s_setpc_b64 s[14:15]
.LBB2_31537:
	s_getpc_b64 s[14:15]
.Lpost_getpc19352:
	s_add_u32 s14, s14, (.LBB2_5732-.Lpost_getpc19352)&4294967295
	s_addc_u32 s15, s15, (.LBB2_5732-.Lpost_getpc19352)>>32
	s_setpc_b64 s[14:15]
.LBB2_20069:
	s_movk_i32 s4, 0x80
	v_cmp_eq_u16_sdwa s[12:13], v5, s4 src0_sel:BYTE_0 src1_sel:DWORD
	s_mov_b64 s[4:5], -1
                                        ; implicit-def: $sgpr10
	s_and_saveexec_b64 s[8:9], s[12:13]
; %bb.20070:
	s_mov_b32 s10, 0x7f800001
	s_xor_b64 s[4:5], exec, -1
; %bb.20071:
	s_or_b64 exec, exec, s[8:9]
	s_and_b64 s[4:5], s[4:5], exec
	s_or_saveexec_b64 s[6:7], s[6:7]
	v_mov_b32_e32 v3, s10
	s_xor_b64 exec, exec, s[6:7]
	s_cbranch_execnz .LBB2_20072
; %bb.55909:
	s_getpc_b64 s[14:15]
.Lpost_getpc31538:
	s_add_u32 s14, s14, (.LBB2_5734-.Lpost_getpc31538)&4294967295
	s_addc_u32 s15, s15, (.LBB2_5734-.Lpost_getpc31538)>>32
	s_setpc_b64 s[14:15]
.LBB2_20072:
	v_mov_b32_e32 v3, 0
	v_cmp_ne_u16_sdwa s[8:9], v5, v3 src0_sel:BYTE_0 src1_sel:DWORD
	s_andn2_b64 s[4:5], s[4:5], exec
	s_and_b64 s[8:9], s[8:9], exec
	s_or_b64 s[4:5], s[4:5], s[8:9]
	s_or_b64 exec, exec, s[6:7]
	s_and_saveexec_b64 s[6:7], s[4:5]
	s_cbranch_execz .LBB2_31539
; %bb.55911:
	s_getpc_b64 s[14:15]
.Lpost_getpc31539:
	s_add_u32 s14, s14, (.LBB2_5735-.Lpost_getpc31539)&4294967295
	s_addc_u32 s15, s15, (.LBB2_5735-.Lpost_getpc31539)>>32
	s_setpc_b64 s[14:15]
.LBB2_31539:
	s_getpc_b64 s[14:15]
.Lpost_getpc19353:
	s_add_u32 s14, s14, (.LBB2_5736-.Lpost_getpc19353)&4294967295
	s_addc_u32 s15, s15, (.LBB2_5736-.Lpost_getpc19353)>>32
	s_setpc_b64 s[14:15]
.LBB2_20073:
	s_movk_i32 s4, 0x80
	v_cmp_eq_u16_sdwa s[12:13], v3, s4 src0_sel:BYTE_0 src1_sel:DWORD
	s_mov_b64 s[4:5], -1
                                        ; implicit-def: $sgpr10
	s_and_saveexec_b64 s[8:9], s[12:13]
; %bb.20074:
	s_mov_b32 s10, 0x7f800001
	s_xor_b64 s[4:5], exec, -1
; %bb.20075:
	s_or_b64 exec, exec, s[8:9]
	s_and_b64 s[4:5], s[4:5], exec
	s_or_saveexec_b64 s[6:7], s[6:7]
	v_mov_b32_e32 v2, s10
	s_xor_b64 exec, exec, s[6:7]
	s_cbranch_execnz .LBB2_20076
; %bb.55913:
	s_getpc_b64 s[14:15]
.Lpost_getpc31540:
	s_add_u32 s14, s14, (.LBB2_5738-.Lpost_getpc31540)&4294967295
	s_addc_u32 s15, s15, (.LBB2_5738-.Lpost_getpc31540)>>32
	s_setpc_b64 s[14:15]
.LBB2_20076:
	v_mov_b32_e32 v2, 0
	v_cmp_ne_u16_sdwa s[8:9], v3, v2 src0_sel:BYTE_0 src1_sel:DWORD
	s_andn2_b64 s[4:5], s[4:5], exec
	s_and_b64 s[8:9], s[8:9], exec
	s_or_b64 s[4:5], s[4:5], s[8:9]
	s_or_b64 exec, exec, s[6:7]
	s_and_saveexec_b64 s[6:7], s[4:5]
	s_cbranch_execz .LBB2_31541
; %bb.55915:
	s_getpc_b64 s[14:15]
.Lpost_getpc31541:
	s_add_u32 s14, s14, (.LBB2_5739-.Lpost_getpc31541)&4294967295
	s_addc_u32 s15, s15, (.LBB2_5739-.Lpost_getpc31541)>>32
	s_setpc_b64 s[14:15]
.LBB2_31541:
	s_getpc_b64 s[14:15]
.Lpost_getpc19354:
	s_add_u32 s14, s14, (.LBB2_5740-.Lpost_getpc19354)&4294967295
	s_addc_u32 s15, s15, (.LBB2_5740-.Lpost_getpc19354)>>32
	s_setpc_b64 s[14:15]
.LBB2_20077:
	s_movk_i32 s4, 0x80
	v_cmp_eq_u16_sdwa s[12:13], v3, s4 src0_sel:BYTE_0 src1_sel:DWORD
	s_mov_b64 s[4:5], -1
                                        ; implicit-def: $sgpr10
	s_and_saveexec_b64 s[8:9], s[12:13]
; %bb.20078:
	s_mov_b32 s10, 0x7f800001
	s_xor_b64 s[4:5], exec, -1
; %bb.20079:
	s_or_b64 exec, exec, s[8:9]
	s_and_b64 s[4:5], s[4:5], exec
	s_or_saveexec_b64 s[6:7], s[6:7]
	v_mov_b32_e32 v4, s10
	s_xor_b64 exec, exec, s[6:7]
	s_cbranch_execnz .LBB2_20080
; %bb.55917:
	s_getpc_b64 s[14:15]
.Lpost_getpc31542:
	s_add_u32 s14, s14, (.LBB2_5742-.Lpost_getpc31542)&4294967295
	s_addc_u32 s15, s15, (.LBB2_5742-.Lpost_getpc31542)>>32
	s_setpc_b64 s[14:15]
.LBB2_20080:
	v_mov_b32_e32 v4, 0
	v_cmp_ne_u16_sdwa s[8:9], v3, v4 src0_sel:BYTE_0 src1_sel:DWORD
	s_andn2_b64 s[4:5], s[4:5], exec
	s_and_b64 s[8:9], s[8:9], exec
	s_or_b64 s[4:5], s[4:5], s[8:9]
	s_or_b64 exec, exec, s[6:7]
	s_and_saveexec_b64 s[6:7], s[4:5]
	s_cbranch_execz .LBB2_31543
; %bb.55919:
	s_getpc_b64 s[14:15]
.Lpost_getpc31543:
	s_add_u32 s14, s14, (.LBB2_5743-.Lpost_getpc31543)&4294967295
	s_addc_u32 s15, s15, (.LBB2_5743-.Lpost_getpc31543)>>32
	s_setpc_b64 s[14:15]
.LBB2_31543:
	s_getpc_b64 s[14:15]
.Lpost_getpc19355:
	s_add_u32 s14, s14, (.LBB2_5744-.Lpost_getpc19355)&4294967295
	s_addc_u32 s15, s15, (.LBB2_5744-.Lpost_getpc19355)>>32
	s_setpc_b64 s[14:15]
.LBB2_20081:
	s_movk_i32 s4, 0x80
	v_cmp_eq_u16_e32 vcc, s4, v3
	s_mov_b64 s[4:5], -1
                                        ; implicit-def: $sgpr10
	s_and_saveexec_b64 s[8:9], vcc
; %bb.20082:
	s_mov_b32 s10, 0x7f800001
	s_xor_b64 s[4:5], exec, -1
; %bb.20083:
	s_or_b64 exec, exec, s[8:9]
	s_and_b64 s[4:5], s[4:5], exec
                                        ; implicit-def: $vgpr3
	s_or_saveexec_b64 s[6:7], s[6:7]
	v_mov_b32_e32 v2, s10
	s_xor_b64 exec, exec, s[6:7]
	s_cbranch_execnz .LBB2_20084
; %bb.55921:
	s_getpc_b64 s[14:15]
.Lpost_getpc31544:
	s_add_u32 s14, s14, (.LBB2_5746-.Lpost_getpc31544)&4294967295
	s_addc_u32 s15, s15, (.LBB2_5746-.Lpost_getpc31544)>>32
	s_setpc_b64 s[14:15]
.LBB2_20084:
	v_cmp_ne_u16_e32 vcc, 0, v3
	s_andn2_b64 s[4:5], s[4:5], exec
	s_and_b64 s[8:9], vcc, exec
	v_mov_b32_e32 v2, 0
	s_or_b64 s[4:5], s[4:5], s[8:9]
	s_or_b64 exec, exec, s[6:7]
	s_and_saveexec_b64 s[6:7], s[4:5]
	s_cbranch_execz .LBB2_31545
; %bb.55923:
	s_getpc_b64 s[14:15]
.Lpost_getpc31545:
	s_add_u32 s14, s14, (.LBB2_5747-.Lpost_getpc31545)&4294967295
	s_addc_u32 s15, s15, (.LBB2_5747-.Lpost_getpc31545)>>32
	s_setpc_b64 s[14:15]
.LBB2_31545:
	s_getpc_b64 s[14:15]
.Lpost_getpc19356:
	s_add_u32 s14, s14, (.LBB2_5748-.Lpost_getpc19356)&4294967295
	s_addc_u32 s15, s15, (.LBB2_5748-.Lpost_getpc19356)>>32
	s_setpc_b64 s[14:15]
.LBB2_20085:
	s_movk_i32 s4, 0x80
	v_cmp_eq_u16_e32 vcc, s4, v3
	s_mov_b64 s[4:5], -1
                                        ; implicit-def: $sgpr10
	s_and_saveexec_b64 s[8:9], vcc
; %bb.20086:
	s_mov_b32 s10, 0x7f800001
	s_xor_b64 s[4:5], exec, -1
; %bb.20087:
	s_or_b64 exec, exec, s[8:9]
	s_and_b64 s[4:5], s[4:5], exec
                                        ; implicit-def: $vgpr3
	s_or_saveexec_b64 s[6:7], s[6:7]
	v_mov_b32_e32 v4, s10
	s_xor_b64 exec, exec, s[6:7]
	s_cbranch_execnz .LBB2_20088
; %bb.55925:
	s_getpc_b64 s[14:15]
.Lpost_getpc31546:
	s_add_u32 s14, s14, (.LBB2_5750-.Lpost_getpc31546)&4294967295
	s_addc_u32 s15, s15, (.LBB2_5750-.Lpost_getpc31546)>>32
	s_setpc_b64 s[14:15]
.LBB2_20088:
	v_cmp_ne_u16_e32 vcc, 0, v3
	s_andn2_b64 s[4:5], s[4:5], exec
	s_and_b64 s[8:9], vcc, exec
	v_mov_b32_e32 v4, 0
	s_or_b64 s[4:5], s[4:5], s[8:9]
	s_or_b64 exec, exec, s[6:7]
	s_and_saveexec_b64 s[6:7], s[4:5]
	s_cbranch_execz .LBB2_31547
; %bb.55927:
	s_getpc_b64 s[14:15]
.Lpost_getpc31547:
	s_add_u32 s14, s14, (.LBB2_5751-.Lpost_getpc31547)&4294967295
	s_addc_u32 s15, s15, (.LBB2_5751-.Lpost_getpc31547)>>32
	s_setpc_b64 s[14:15]
.LBB2_31547:
	s_getpc_b64 s[14:15]
.Lpost_getpc19357:
	s_add_u32 s14, s14, (.LBB2_5752-.Lpost_getpc19357)&4294967295
	s_addc_u32 s15, s15, (.LBB2_5752-.Lpost_getpc19357)>>32
	s_setpc_b64 s[14:15]
.LBB2_20089:
	s_movk_i32 s4, 0x80
	v_cmp_eq_u16_sdwa s[12:13], v9, s4 src0_sel:BYTE_3 src1_sel:DWORD
	s_mov_b64 s[4:5], -1
                                        ; implicit-def: $sgpr10
	s_and_saveexec_b64 s[8:9], s[12:13]
; %bb.20090:
	s_mov_b32 s10, 0x7f800001
	s_xor_b64 s[4:5], exec, -1
; %bb.20091:
	s_or_b64 exec, exec, s[8:9]
	s_and_b64 s[4:5], s[4:5], exec
	s_or_saveexec_b64 s[6:7], s[6:7]
	v_mov_b32_e32 v2, s10
	s_xor_b64 exec, exec, s[6:7]
	s_cbranch_execnz .LBB2_20092
; %bb.55929:
	s_getpc_b64 s[14:15]
.Lpost_getpc31548:
	s_add_u32 s14, s14, (.LBB2_5754-.Lpost_getpc31548)&4294967295
	s_addc_u32 s15, s15, (.LBB2_5754-.Lpost_getpc31548)>>32
	s_setpc_b64 s[14:15]
.LBB2_20092:
	v_mov_b32_e32 v2, 0
	v_cmp_ne_u16_sdwa s[8:9], v9, v2 src0_sel:BYTE_3 src1_sel:DWORD
	s_andn2_b64 s[4:5], s[4:5], exec
	s_and_b64 s[8:9], s[8:9], exec
	s_or_b64 s[4:5], s[4:5], s[8:9]
	s_or_b64 exec, exec, s[6:7]
	s_and_saveexec_b64 s[6:7], s[4:5]
	s_cbranch_execz .LBB2_31549
; %bb.55931:
	s_getpc_b64 s[14:15]
.Lpost_getpc31549:
	s_add_u32 s14, s14, (.LBB2_5755-.Lpost_getpc31549)&4294967295
	s_addc_u32 s15, s15, (.LBB2_5755-.Lpost_getpc31549)>>32
	s_setpc_b64 s[14:15]
.LBB2_31549:
	s_getpc_b64 s[14:15]
.Lpost_getpc19358:
	s_add_u32 s14, s14, (.LBB2_5756-.Lpost_getpc19358)&4294967295
	s_addc_u32 s15, s15, (.LBB2_5756-.Lpost_getpc19358)>>32
	s_setpc_b64 s[14:15]
.LBB2_20093:
	s_movk_i32 s4, 0x80
	v_cmp_eq_u16_sdwa s[12:13], v5, s4 src0_sel:BYTE_3 src1_sel:DWORD
	s_mov_b64 s[4:5], -1
                                        ; implicit-def: $sgpr10
	s_and_saveexec_b64 s[8:9], s[12:13]
; %bb.20094:
	s_mov_b32 s10, 0x7f800001
	s_xor_b64 s[4:5], exec, -1
; %bb.20095:
	s_or_b64 exec, exec, s[8:9]
	s_and_b64 s[4:5], s[4:5], exec
	s_or_saveexec_b64 s[6:7], s[6:7]
	v_mov_b32_e32 v3, s10
	s_xor_b64 exec, exec, s[6:7]
	s_cbranch_execnz .LBB2_20096
; %bb.55933:
	s_getpc_b64 s[14:15]
.Lpost_getpc31550:
	s_add_u32 s14, s14, (.LBB2_5758-.Lpost_getpc31550)&4294967295
	s_addc_u32 s15, s15, (.LBB2_5758-.Lpost_getpc31550)>>32
	s_setpc_b64 s[14:15]
.LBB2_20096:
	v_mov_b32_e32 v3, 0
	v_cmp_ne_u16_sdwa s[8:9], v5, v3 src0_sel:BYTE_3 src1_sel:DWORD
	s_andn2_b64 s[4:5], s[4:5], exec
	s_and_b64 s[8:9], s[8:9], exec
	s_or_b64 s[4:5], s[4:5], s[8:9]
	s_or_b64 exec, exec, s[6:7]
	s_and_saveexec_b64 s[6:7], s[4:5]
	s_cbranch_execz .LBB2_31551
; %bb.55935:
	s_getpc_b64 s[14:15]
.Lpost_getpc31551:
	s_add_u32 s14, s14, (.LBB2_5759-.Lpost_getpc31551)&4294967295
	s_addc_u32 s15, s15, (.LBB2_5759-.Lpost_getpc31551)>>32
	s_setpc_b64 s[14:15]
.LBB2_31551:
	s_getpc_b64 s[14:15]
.Lpost_getpc19359:
	s_add_u32 s14, s14, (.LBB2_5760-.Lpost_getpc19359)&4294967295
	s_addc_u32 s15, s15, (.LBB2_5760-.Lpost_getpc19359)>>32
	s_setpc_b64 s[14:15]
.LBB2_20097:
	s_movk_i32 s4, 0x80
	v_cmp_eq_u16_sdwa s[12:13], v6, s4 src0_sel:BYTE_0 src1_sel:DWORD
	s_mov_b64 s[4:5], -1
                                        ; implicit-def: $sgpr10
	s_and_saveexec_b64 s[8:9], s[12:13]
; %bb.20098:
	s_mov_b32 s10, 0x7f800001
	s_xor_b64 s[4:5], exec, -1
; %bb.20099:
	s_or_b64 exec, exec, s[8:9]
	s_and_b64 s[4:5], s[4:5], exec
	s_or_saveexec_b64 s[6:7], s[6:7]
	v_mov_b32_e32 v12, s10
	s_xor_b64 exec, exec, s[6:7]
	s_cbranch_execnz .LBB2_20100
; %bb.55937:
	s_getpc_b64 s[14:15]
.Lpost_getpc31552:
	s_add_u32 s14, s14, (.LBB2_5762-.Lpost_getpc31552)&4294967295
	s_addc_u32 s15, s15, (.LBB2_5762-.Lpost_getpc31552)>>32
	s_setpc_b64 s[14:15]
.LBB2_20100:
	v_mov_b32_e32 v12, 0
	v_cmp_ne_u16_sdwa s[8:9], v6, v12 src0_sel:BYTE_0 src1_sel:DWORD
	s_andn2_b64 s[4:5], s[4:5], exec
	s_and_b64 s[8:9], s[8:9], exec
	s_or_b64 s[4:5], s[4:5], s[8:9]
	s_or_b64 exec, exec, s[6:7]
	s_and_saveexec_b64 s[6:7], s[4:5]
	s_cbranch_execz .LBB2_31553
; %bb.55939:
	s_getpc_b64 s[14:15]
.Lpost_getpc31553:
	s_add_u32 s14, s14, (.LBB2_5763-.Lpost_getpc31553)&4294967295
	s_addc_u32 s15, s15, (.LBB2_5763-.Lpost_getpc31553)>>32
	s_setpc_b64 s[14:15]
.LBB2_31553:
	s_getpc_b64 s[14:15]
.Lpost_getpc19360:
	s_add_u32 s14, s14, (.LBB2_5764-.Lpost_getpc19360)&4294967295
	s_addc_u32 s15, s15, (.LBB2_5764-.Lpost_getpc19360)>>32
	s_setpc_b64 s[14:15]
.LBB2_20101:
	s_movk_i32 s4, 0x80
	v_cmp_eq_u16_sdwa s[12:13], v2, s4 src0_sel:BYTE_0 src1_sel:DWORD
	s_mov_b64 s[4:5], -1
                                        ; implicit-def: $sgpr10
	s_and_saveexec_b64 s[8:9], s[12:13]
; %bb.20102:
	s_mov_b32 s10, 0x7f800001
	s_xor_b64 s[4:5], exec, -1
; %bb.20103:
	s_or_b64 exec, exec, s[8:9]
	s_and_b64 s[4:5], s[4:5], exec
	s_or_saveexec_b64 s[6:7], s[6:7]
	v_mov_b32_e32 v13, s10
	s_xor_b64 exec, exec, s[6:7]
	s_cbranch_execnz .LBB2_20104
; %bb.55941:
	s_getpc_b64 s[14:15]
.Lpost_getpc31554:
	s_add_u32 s14, s14, (.LBB2_5766-.Lpost_getpc31554)&4294967295
	s_addc_u32 s15, s15, (.LBB2_5766-.Lpost_getpc31554)>>32
	s_setpc_b64 s[14:15]
.LBB2_20104:
	v_mov_b32_e32 v13, 0
	v_cmp_ne_u16_sdwa s[8:9], v2, v13 src0_sel:BYTE_0 src1_sel:DWORD
	s_andn2_b64 s[4:5], s[4:5], exec
	s_and_b64 s[8:9], s[8:9], exec
	s_or_b64 s[4:5], s[4:5], s[8:9]
	s_or_b64 exec, exec, s[6:7]
	s_and_saveexec_b64 s[6:7], s[4:5]
	s_cbranch_execz .LBB2_31555
; %bb.55943:
	s_getpc_b64 s[14:15]
.Lpost_getpc31555:
	s_add_u32 s14, s14, (.LBB2_5767-.Lpost_getpc31555)&4294967295
	s_addc_u32 s15, s15, (.LBB2_5767-.Lpost_getpc31555)>>32
	s_setpc_b64 s[14:15]
.LBB2_31555:
	s_getpc_b64 s[14:15]
.Lpost_getpc19361:
	s_add_u32 s14, s14, (.LBB2_5768-.Lpost_getpc19361)&4294967295
	s_addc_u32 s15, s15, (.LBB2_5768-.Lpost_getpc19361)>>32
	s_setpc_b64 s[14:15]
.LBB2_20105:
	s_movk_i32 s4, 0x80
	v_cmp_eq_u16_sdwa s[12:13], v13, s4 src0_sel:BYTE_0 src1_sel:DWORD
	s_mov_b64 s[4:5], -1
                                        ; implicit-def: $sgpr10
	s_and_saveexec_b64 s[8:9], s[12:13]
; %bb.20106:
	s_mov_b32 s10, 0x7f800001
	s_xor_b64 s[4:5], exec, -1
; %bb.20107:
	s_or_b64 exec, exec, s[8:9]
	s_and_b64 s[4:5], s[4:5], exec
	s_or_saveexec_b64 s[6:7], s[6:7]
	v_mov_b32_e32 v12, s10
	s_xor_b64 exec, exec, s[6:7]
	s_cbranch_execnz .LBB2_20108
; %bb.55945:
	s_getpc_b64 s[14:15]
.Lpost_getpc31556:
	s_add_u32 s14, s14, (.LBB2_5770-.Lpost_getpc31556)&4294967295
	s_addc_u32 s15, s15, (.LBB2_5770-.Lpost_getpc31556)>>32
	s_setpc_b64 s[14:15]
.LBB2_20108:
	v_mov_b32_e32 v12, 0
	v_cmp_ne_u16_sdwa s[8:9], v13, v12 src0_sel:BYTE_0 src1_sel:DWORD
	s_andn2_b64 s[4:5], s[4:5], exec
	s_and_b64 s[8:9], s[8:9], exec
	s_or_b64 s[4:5], s[4:5], s[8:9]
	s_or_b64 exec, exec, s[6:7]
	s_and_saveexec_b64 s[6:7], s[4:5]
	s_cbranch_execz .LBB2_31557
; %bb.55947:
	s_getpc_b64 s[14:15]
.Lpost_getpc31557:
	s_add_u32 s14, s14, (.LBB2_5771-.Lpost_getpc31557)&4294967295
	s_addc_u32 s15, s15, (.LBB2_5771-.Lpost_getpc31557)>>32
	s_setpc_b64 s[14:15]
.LBB2_31557:
	s_getpc_b64 s[14:15]
.Lpost_getpc19362:
	s_add_u32 s14, s14, (.LBB2_5772-.Lpost_getpc19362)&4294967295
	s_addc_u32 s15, s15, (.LBB2_5772-.Lpost_getpc19362)>>32
	s_setpc_b64 s[14:15]
.LBB2_20109:
	s_movk_i32 s4, 0x80
	v_cmp_eq_u16_sdwa s[12:13], v13, s4 src0_sel:BYTE_0 src1_sel:DWORD
	s_mov_b64 s[4:5], -1
                                        ; implicit-def: $sgpr10
	s_and_saveexec_b64 s[8:9], s[12:13]
; %bb.20110:
	s_mov_b32 s10, 0x7f800001
	s_xor_b64 s[4:5], exec, -1
; %bb.20111:
	s_or_b64 exec, exec, s[8:9]
	s_and_b64 s[4:5], s[4:5], exec
	s_or_saveexec_b64 s[6:7], s[6:7]
	v_mov_b32_e32 v14, s10
	s_xor_b64 exec, exec, s[6:7]
	s_cbranch_execnz .LBB2_20112
; %bb.55949:
	s_getpc_b64 s[14:15]
.Lpost_getpc31558:
	s_add_u32 s14, s14, (.LBB2_5774-.Lpost_getpc31558)&4294967295
	s_addc_u32 s15, s15, (.LBB2_5774-.Lpost_getpc31558)>>32
	s_setpc_b64 s[14:15]
.LBB2_20112:
	v_mov_b32_e32 v14, 0
	v_cmp_ne_u16_sdwa s[8:9], v13, v14 src0_sel:BYTE_0 src1_sel:DWORD
	s_andn2_b64 s[4:5], s[4:5], exec
	s_and_b64 s[8:9], s[8:9], exec
	s_or_b64 s[4:5], s[4:5], s[8:9]
	s_or_b64 exec, exec, s[6:7]
	s_and_saveexec_b64 s[6:7], s[4:5]
	s_cbranch_execz .LBB2_31559
; %bb.55951:
	s_getpc_b64 s[14:15]
.Lpost_getpc31559:
	s_add_u32 s14, s14, (.LBB2_5775-.Lpost_getpc31559)&4294967295
	s_addc_u32 s15, s15, (.LBB2_5775-.Lpost_getpc31559)>>32
	s_setpc_b64 s[14:15]
.LBB2_31559:
	s_getpc_b64 s[14:15]
.Lpost_getpc19363:
	s_add_u32 s14, s14, (.LBB2_5776-.Lpost_getpc19363)&4294967295
	s_addc_u32 s15, s15, (.LBB2_5776-.Lpost_getpc19363)>>32
	s_setpc_b64 s[14:15]
.LBB2_20113:
	s_movk_i32 s4, 0x80
	v_cmp_eq_u16_e32 vcc, s4, v13
	s_mov_b64 s[4:5], -1
                                        ; implicit-def: $sgpr10
	s_and_saveexec_b64 s[8:9], vcc
; %bb.20114:
	s_mov_b32 s10, 0x7f800001
	s_xor_b64 s[4:5], exec, -1
; %bb.20115:
	s_or_b64 exec, exec, s[8:9]
	s_and_b64 s[4:5], s[4:5], exec
                                        ; implicit-def: $vgpr13
	s_or_saveexec_b64 s[6:7], s[6:7]
	v_mov_b32_e32 v12, s10
	s_xor_b64 exec, exec, s[6:7]
	s_cbranch_execnz .LBB2_20116
; %bb.55953:
	s_getpc_b64 s[14:15]
.Lpost_getpc31560:
	s_add_u32 s14, s14, (.LBB2_5778-.Lpost_getpc31560)&4294967295
	s_addc_u32 s15, s15, (.LBB2_5778-.Lpost_getpc31560)>>32
	s_setpc_b64 s[14:15]
.LBB2_20116:
	v_cmp_ne_u16_e32 vcc, 0, v13
	s_andn2_b64 s[4:5], s[4:5], exec
	s_and_b64 s[8:9], vcc, exec
	v_mov_b32_e32 v12, 0
	s_or_b64 s[4:5], s[4:5], s[8:9]
	s_or_b64 exec, exec, s[6:7]
	s_and_saveexec_b64 s[6:7], s[4:5]
	s_cbranch_execz .LBB2_31561
; %bb.55955:
	s_getpc_b64 s[14:15]
.Lpost_getpc31561:
	s_add_u32 s14, s14, (.LBB2_5779-.Lpost_getpc31561)&4294967295
	s_addc_u32 s15, s15, (.LBB2_5779-.Lpost_getpc31561)>>32
	s_setpc_b64 s[14:15]
.LBB2_31561:
	s_getpc_b64 s[14:15]
.Lpost_getpc19364:
	s_add_u32 s14, s14, (.LBB2_5780-.Lpost_getpc19364)&4294967295
	s_addc_u32 s15, s15, (.LBB2_5780-.Lpost_getpc19364)>>32
	s_setpc_b64 s[14:15]
.LBB2_20117:
	s_movk_i32 s4, 0x80
	v_cmp_eq_u16_e32 vcc, s4, v13
	s_mov_b64 s[4:5], -1
                                        ; implicit-def: $sgpr10
	s_and_saveexec_b64 s[8:9], vcc
; %bb.20118:
	s_mov_b32 s10, 0x7f800001
	s_xor_b64 s[4:5], exec, -1
; %bb.20119:
	s_or_b64 exec, exec, s[8:9]
	s_and_b64 s[4:5], s[4:5], exec
                                        ; implicit-def: $vgpr13
	s_or_saveexec_b64 s[6:7], s[6:7]
	v_mov_b32_e32 v14, s10
	s_xor_b64 exec, exec, s[6:7]
	s_cbranch_execnz .LBB2_20120
; %bb.55957:
	s_getpc_b64 s[14:15]
.Lpost_getpc31562:
	s_add_u32 s14, s14, (.LBB2_5782-.Lpost_getpc31562)&4294967295
	s_addc_u32 s15, s15, (.LBB2_5782-.Lpost_getpc31562)>>32
	s_setpc_b64 s[14:15]
.LBB2_20120:
	v_cmp_ne_u16_e32 vcc, 0, v13
	s_andn2_b64 s[4:5], s[4:5], exec
	s_and_b64 s[8:9], vcc, exec
	v_mov_b32_e32 v14, 0
	s_or_b64 s[4:5], s[4:5], s[8:9]
	s_or_b64 exec, exec, s[6:7]
	s_and_saveexec_b64 s[6:7], s[4:5]
	s_cbranch_execz .LBB2_31563
; %bb.55959:
	s_getpc_b64 s[14:15]
.Lpost_getpc31563:
	s_add_u32 s14, s14, (.LBB2_5783-.Lpost_getpc31563)&4294967295
	s_addc_u32 s15, s15, (.LBB2_5783-.Lpost_getpc31563)>>32
	s_setpc_b64 s[14:15]
.LBB2_31563:
	s_getpc_b64 s[14:15]
.Lpost_getpc19365:
	s_add_u32 s14, s14, (.LBB2_5784-.Lpost_getpc19365)&4294967295
	s_addc_u32 s15, s15, (.LBB2_5784-.Lpost_getpc19365)>>32
	s_setpc_b64 s[14:15]
.LBB2_20121:
	s_movk_i32 s4, 0x80
	v_cmp_eq_u16_sdwa s[12:13], v6, s4 src0_sel:BYTE_3 src1_sel:DWORD
	s_mov_b64 s[4:5], -1
                                        ; implicit-def: $sgpr10
	s_and_saveexec_b64 s[8:9], s[12:13]
; %bb.20122:
	s_mov_b32 s10, 0x7f800001
	s_xor_b64 s[4:5], exec, -1
; %bb.20123:
	s_or_b64 exec, exec, s[8:9]
	s_and_b64 s[4:5], s[4:5], exec
	s_or_saveexec_b64 s[6:7], s[6:7]
	v_mov_b32_e32 v12, s10
	s_xor_b64 exec, exec, s[6:7]
	s_cbranch_execnz .LBB2_20124
; %bb.55961:
	s_getpc_b64 s[14:15]
.Lpost_getpc31564:
	s_add_u32 s14, s14, (.LBB2_5786-.Lpost_getpc31564)&4294967295
	s_addc_u32 s15, s15, (.LBB2_5786-.Lpost_getpc31564)>>32
	s_setpc_b64 s[14:15]
.LBB2_20124:
	v_mov_b32_e32 v12, 0
	v_cmp_ne_u16_sdwa s[8:9], v6, v12 src0_sel:BYTE_3 src1_sel:DWORD
	s_andn2_b64 s[4:5], s[4:5], exec
	s_and_b64 s[8:9], s[8:9], exec
	s_or_b64 s[4:5], s[4:5], s[8:9]
	s_or_b64 exec, exec, s[6:7]
	s_and_saveexec_b64 s[6:7], s[4:5]
	s_cbranch_execz .LBB2_31565
; %bb.55963:
	s_getpc_b64 s[14:15]
.Lpost_getpc31565:
	s_add_u32 s14, s14, (.LBB2_5787-.Lpost_getpc31565)&4294967295
	s_addc_u32 s15, s15, (.LBB2_5787-.Lpost_getpc31565)>>32
	s_setpc_b64 s[14:15]
.LBB2_31565:
	s_getpc_b64 s[14:15]
.Lpost_getpc19366:
	s_add_u32 s14, s14, (.LBB2_5788-.Lpost_getpc19366)&4294967295
	s_addc_u32 s15, s15, (.LBB2_5788-.Lpost_getpc19366)>>32
	s_setpc_b64 s[14:15]
.LBB2_20125:
	s_movk_i32 s4, 0x80
	v_cmp_eq_u16_sdwa s[12:13], v2, s4 src0_sel:BYTE_3 src1_sel:DWORD
	s_mov_b64 s[4:5], -1
                                        ; implicit-def: $sgpr10
	s_and_saveexec_b64 s[8:9], s[12:13]
; %bb.20126:
	s_mov_b32 s10, 0x7f800001
	s_xor_b64 s[4:5], exec, -1
; %bb.20127:
	s_or_b64 exec, exec, s[8:9]
	s_and_b64 s[4:5], s[4:5], exec
	s_or_saveexec_b64 s[6:7], s[6:7]
	v_mov_b32_e32 v6, s10
	s_xor_b64 exec, exec, s[6:7]
	s_cbranch_execnz .LBB2_20128
; %bb.55965:
	s_getpc_b64 s[14:15]
.Lpost_getpc31566:
	s_add_u32 s14, s14, (.LBB2_5790-.Lpost_getpc31566)&4294967295
	s_addc_u32 s15, s15, (.LBB2_5790-.Lpost_getpc31566)>>32
	s_setpc_b64 s[14:15]
.LBB2_20128:
	v_mov_b32_e32 v6, 0
	v_cmp_ne_u16_sdwa s[8:9], v2, v6 src0_sel:BYTE_3 src1_sel:DWORD
	s_andn2_b64 s[4:5], s[4:5], exec
	s_and_b64 s[8:9], s[8:9], exec
	s_or_b64 s[4:5], s[4:5], s[8:9]
	s_or_b64 exec, exec, s[6:7]
	s_and_saveexec_b64 s[6:7], s[4:5]
	s_cbranch_execz .LBB2_31567
; %bb.55967:
	s_getpc_b64 s[14:15]
.Lpost_getpc31567:
	s_add_u32 s14, s14, (.LBB2_5791-.Lpost_getpc31567)&4294967295
	s_addc_u32 s15, s15, (.LBB2_5791-.Lpost_getpc31567)>>32
	s_setpc_b64 s[14:15]
.LBB2_31567:
	s_getpc_b64 s[14:15]
.Lpost_getpc19367:
	s_add_u32 s14, s14, (.LBB2_5792-.Lpost_getpc19367)&4294967295
	s_addc_u32 s15, s15, (.LBB2_5792-.Lpost_getpc19367)>>32
	s_setpc_b64 s[14:15]
.LBB2_20129:
	s_movk_i32 s4, 0x80
	v_cmp_eq_u16_sdwa s[12:13], v7, s4 src0_sel:BYTE_0 src1_sel:DWORD
	s_mov_b64 s[4:5], -1
                                        ; implicit-def: $sgpr10
	s_and_saveexec_b64 s[8:9], s[12:13]
; %bb.20130:
	s_mov_b32 s10, 0x7f800001
	s_xor_b64 s[4:5], exec, -1
; %bb.20131:
	s_or_b64 exec, exec, s[8:9]
	s_and_b64 s[4:5], s[4:5], exec
	s_or_saveexec_b64 s[6:7], s[6:7]
	v_mov_b32_e32 v2, s10
	s_xor_b64 exec, exec, s[6:7]
	s_cbranch_execnz .LBB2_20132
; %bb.55969:
	s_getpc_b64 s[14:15]
.Lpost_getpc31568:
	s_add_u32 s14, s14, (.LBB2_5794-.Lpost_getpc31568)&4294967295
	s_addc_u32 s15, s15, (.LBB2_5794-.Lpost_getpc31568)>>32
	s_setpc_b64 s[14:15]
.LBB2_20132:
	v_mov_b32_e32 v2, 0
	v_cmp_ne_u16_sdwa s[8:9], v7, v2 src0_sel:BYTE_0 src1_sel:DWORD
	s_andn2_b64 s[4:5], s[4:5], exec
	s_and_b64 s[8:9], s[8:9], exec
	s_or_b64 s[4:5], s[4:5], s[8:9]
	s_or_b64 exec, exec, s[6:7]
	s_and_saveexec_b64 s[6:7], s[4:5]
	s_cbranch_execz .LBB2_31569
; %bb.55971:
	s_getpc_b64 s[14:15]
.Lpost_getpc31569:
	s_add_u32 s14, s14, (.LBB2_5795-.Lpost_getpc31569)&4294967295
	s_addc_u32 s15, s15, (.LBB2_5795-.Lpost_getpc31569)>>32
	s_setpc_b64 s[14:15]
.LBB2_31569:
	s_getpc_b64 s[14:15]
.Lpost_getpc19368:
	s_add_u32 s14, s14, (.LBB2_5796-.Lpost_getpc19368)&4294967295
	s_addc_u32 s15, s15, (.LBB2_5796-.Lpost_getpc19368)>>32
	s_setpc_b64 s[14:15]
.LBB2_20133:
	s_movk_i32 s4, 0x80
	v_cmp_eq_u16_sdwa s[12:13], v3, s4 src0_sel:BYTE_0 src1_sel:DWORD
	s_mov_b64 s[4:5], -1
                                        ; implicit-def: $sgpr10
	s_and_saveexec_b64 s[8:9], s[12:13]
; %bb.20134:
	s_mov_b32 s10, 0x7f800001
	s_xor_b64 s[4:5], exec, -1
; %bb.20135:
	s_or_b64 exec, exec, s[8:9]
	s_and_b64 s[4:5], s[4:5], exec
	s_or_saveexec_b64 s[6:7], s[6:7]
	v_mov_b32_e32 v6, s10
	s_xor_b64 exec, exec, s[6:7]
	s_cbranch_execnz .LBB2_20136
; %bb.55973:
	s_getpc_b64 s[14:15]
.Lpost_getpc31570:
	s_add_u32 s14, s14, (.LBB2_5798-.Lpost_getpc31570)&4294967295
	s_addc_u32 s15, s15, (.LBB2_5798-.Lpost_getpc31570)>>32
	s_setpc_b64 s[14:15]
.LBB2_20136:
	v_mov_b32_e32 v6, 0
	v_cmp_ne_u16_sdwa s[8:9], v3, v6 src0_sel:BYTE_0 src1_sel:DWORD
	s_andn2_b64 s[4:5], s[4:5], exec
	s_and_b64 s[8:9], s[8:9], exec
	s_or_b64 s[4:5], s[4:5], s[8:9]
	s_or_b64 exec, exec, s[6:7]
	s_and_saveexec_b64 s[6:7], s[4:5]
	s_cbranch_execz .LBB2_31571
; %bb.55975:
	s_getpc_b64 s[14:15]
.Lpost_getpc31571:
	s_add_u32 s14, s14, (.LBB2_5799-.Lpost_getpc31571)&4294967295
	s_addc_u32 s15, s15, (.LBB2_5799-.Lpost_getpc31571)>>32
	s_setpc_b64 s[14:15]
.LBB2_31571:
	s_getpc_b64 s[14:15]
.Lpost_getpc19369:
	s_add_u32 s14, s14, (.LBB2_5800-.Lpost_getpc19369)&4294967295
	s_addc_u32 s15, s15, (.LBB2_5800-.Lpost_getpc19369)>>32
	s_setpc_b64 s[14:15]
.LBB2_20137:
	s_movk_i32 s4, 0x80
	v_cmp_eq_u16_sdwa s[12:13], v6, s4 src0_sel:BYTE_0 src1_sel:DWORD
	s_mov_b64 s[4:5], -1
                                        ; implicit-def: $sgpr10
	s_and_saveexec_b64 s[8:9], s[12:13]
; %bb.20138:
	s_mov_b32 s10, 0x7f800001
	s_xor_b64 s[4:5], exec, -1
; %bb.20139:
	s_or_b64 exec, exec, s[8:9]
	s_and_b64 s[4:5], s[4:5], exec
	s_or_saveexec_b64 s[6:7], s[6:7]
	v_mov_b32_e32 v2, s10
	s_xor_b64 exec, exec, s[6:7]
	s_cbranch_execnz .LBB2_20140
; %bb.55977:
	s_getpc_b64 s[14:15]
.Lpost_getpc31572:
	s_add_u32 s14, s14, (.LBB2_5802-.Lpost_getpc31572)&4294967295
	s_addc_u32 s15, s15, (.LBB2_5802-.Lpost_getpc31572)>>32
	s_setpc_b64 s[14:15]
.LBB2_20140:
	v_mov_b32_e32 v2, 0
	v_cmp_ne_u16_sdwa s[8:9], v6, v2 src0_sel:BYTE_0 src1_sel:DWORD
	s_andn2_b64 s[4:5], s[4:5], exec
	s_and_b64 s[8:9], s[8:9], exec
	s_or_b64 s[4:5], s[4:5], s[8:9]
	s_or_b64 exec, exec, s[6:7]
	s_and_saveexec_b64 s[6:7], s[4:5]
	s_cbranch_execz .LBB2_31573
; %bb.55979:
	s_getpc_b64 s[14:15]
.Lpost_getpc31573:
	s_add_u32 s14, s14, (.LBB2_5803-.Lpost_getpc31573)&4294967295
	s_addc_u32 s15, s15, (.LBB2_5803-.Lpost_getpc31573)>>32
	s_setpc_b64 s[14:15]
.LBB2_31573:
	s_getpc_b64 s[14:15]
.Lpost_getpc19370:
	s_add_u32 s14, s14, (.LBB2_5804-.Lpost_getpc19370)&4294967295
	s_addc_u32 s15, s15, (.LBB2_5804-.Lpost_getpc19370)>>32
	s_setpc_b64 s[14:15]
.LBB2_20141:
	s_movk_i32 s4, 0x80
	v_cmp_eq_u16_sdwa s[12:13], v6, s4 src0_sel:BYTE_0 src1_sel:DWORD
	s_mov_b64 s[4:5], -1
                                        ; implicit-def: $sgpr10
	s_and_saveexec_b64 s[8:9], s[12:13]
; %bb.20142:
	s_mov_b32 s10, 0x7f800001
	s_xor_b64 s[4:5], exec, -1
; %bb.20143:
	s_or_b64 exec, exec, s[8:9]
	s_and_b64 s[4:5], s[4:5], exec
	s_or_saveexec_b64 s[6:7], s[6:7]
	v_mov_b32_e32 v12, s10
	s_xor_b64 exec, exec, s[6:7]
	s_cbranch_execnz .LBB2_20144
; %bb.55981:
	s_getpc_b64 s[14:15]
.Lpost_getpc31574:
	s_add_u32 s14, s14, (.LBB2_5806-.Lpost_getpc31574)&4294967295
	s_addc_u32 s15, s15, (.LBB2_5806-.Lpost_getpc31574)>>32
	s_setpc_b64 s[14:15]
.LBB2_20144:
	v_mov_b32_e32 v12, 0
	v_cmp_ne_u16_sdwa s[8:9], v6, v12 src0_sel:BYTE_0 src1_sel:DWORD
	s_andn2_b64 s[4:5], s[4:5], exec
	s_and_b64 s[8:9], s[8:9], exec
	s_or_b64 s[4:5], s[4:5], s[8:9]
	s_or_b64 exec, exec, s[6:7]
	s_and_saveexec_b64 s[6:7], s[4:5]
	s_cbranch_execz .LBB2_31575
; %bb.55983:
	s_getpc_b64 s[14:15]
.Lpost_getpc31575:
	s_add_u32 s14, s14, (.LBB2_5807-.Lpost_getpc31575)&4294967295
	s_addc_u32 s15, s15, (.LBB2_5807-.Lpost_getpc31575)>>32
	s_setpc_b64 s[14:15]
.LBB2_31575:
	s_getpc_b64 s[14:15]
.Lpost_getpc19371:
	s_add_u32 s14, s14, (.LBB2_5808-.Lpost_getpc19371)&4294967295
	s_addc_u32 s15, s15, (.LBB2_5808-.Lpost_getpc19371)>>32
	s_setpc_b64 s[14:15]
.LBB2_20145:
	s_movk_i32 s4, 0x80
	v_cmp_eq_u16_e32 vcc, s4, v6
	s_mov_b64 s[4:5], -1
                                        ; implicit-def: $sgpr10
	s_and_saveexec_b64 s[8:9], vcc
; %bb.20146:
	s_mov_b32 s10, 0x7f800001
	s_xor_b64 s[4:5], exec, -1
; %bb.20147:
	s_or_b64 exec, exec, s[8:9]
	s_and_b64 s[4:5], s[4:5], exec
                                        ; implicit-def: $vgpr6
	s_or_saveexec_b64 s[6:7], s[6:7]
	v_mov_b32_e32 v2, s10
	s_xor_b64 exec, exec, s[6:7]
	s_cbranch_execnz .LBB2_20148
; %bb.55985:
	s_getpc_b64 s[14:15]
.Lpost_getpc31576:
	s_add_u32 s14, s14, (.LBB2_5810-.Lpost_getpc31576)&4294967295
	s_addc_u32 s15, s15, (.LBB2_5810-.Lpost_getpc31576)>>32
	s_setpc_b64 s[14:15]
.LBB2_20148:
	v_cmp_ne_u16_e32 vcc, 0, v6
	s_andn2_b64 s[4:5], s[4:5], exec
	s_and_b64 s[8:9], vcc, exec
	v_mov_b32_e32 v2, 0
	s_or_b64 s[4:5], s[4:5], s[8:9]
	s_or_b64 exec, exec, s[6:7]
	s_and_saveexec_b64 s[6:7], s[4:5]
	s_cbranch_execz .LBB2_31577
; %bb.55987:
	s_getpc_b64 s[14:15]
.Lpost_getpc31577:
	s_add_u32 s14, s14, (.LBB2_5811-.Lpost_getpc31577)&4294967295
	s_addc_u32 s15, s15, (.LBB2_5811-.Lpost_getpc31577)>>32
	s_setpc_b64 s[14:15]
.LBB2_31577:
	s_getpc_b64 s[14:15]
.Lpost_getpc19372:
	s_add_u32 s14, s14, (.LBB2_5812-.Lpost_getpc19372)&4294967295
	s_addc_u32 s15, s15, (.LBB2_5812-.Lpost_getpc19372)>>32
	s_setpc_b64 s[14:15]
.LBB2_20149:
	s_movk_i32 s4, 0x80
	v_cmp_eq_u16_e32 vcc, s4, v6
	s_mov_b64 s[4:5], -1
                                        ; implicit-def: $sgpr10
	s_and_saveexec_b64 s[8:9], vcc
; %bb.20150:
	s_mov_b32 s10, 0x7f800001
	s_xor_b64 s[4:5], exec, -1
; %bb.20151:
	s_or_b64 exec, exec, s[8:9]
	s_and_b64 s[4:5], s[4:5], exec
                                        ; implicit-def: $vgpr6
	s_or_saveexec_b64 s[6:7], s[6:7]
	v_mov_b32_e32 v12, s10
	s_xor_b64 exec, exec, s[6:7]
	s_cbranch_execnz .LBB2_20152
; %bb.55989:
	s_getpc_b64 s[14:15]
.Lpost_getpc31578:
	s_add_u32 s14, s14, (.LBB2_5814-.Lpost_getpc31578)&4294967295
	s_addc_u32 s15, s15, (.LBB2_5814-.Lpost_getpc31578)>>32
	s_setpc_b64 s[14:15]
.LBB2_20152:
	v_cmp_ne_u16_e32 vcc, 0, v6
	s_andn2_b64 s[4:5], s[4:5], exec
	s_and_b64 s[8:9], vcc, exec
	v_mov_b32_e32 v12, 0
	s_or_b64 s[4:5], s[4:5], s[8:9]
	s_or_b64 exec, exec, s[6:7]
	s_and_saveexec_b64 s[6:7], s[4:5]
	s_cbranch_execz .LBB2_31579
; %bb.55991:
	s_getpc_b64 s[14:15]
.Lpost_getpc31579:
	s_add_u32 s14, s14, (.LBB2_5815-.Lpost_getpc31579)&4294967295
	s_addc_u32 s15, s15, (.LBB2_5815-.Lpost_getpc31579)>>32
	s_setpc_b64 s[14:15]
.LBB2_31579:
	s_getpc_b64 s[14:15]
.Lpost_getpc19373:
	s_add_u32 s14, s14, (.LBB2_5816-.Lpost_getpc19373)&4294967295
	s_addc_u32 s15, s15, (.LBB2_5816-.Lpost_getpc19373)>>32
	s_setpc_b64 s[14:15]
.LBB2_20153:
	s_movk_i32 s4, 0x80
	v_cmp_eq_u16_sdwa s[12:13], v7, s4 src0_sel:BYTE_3 src1_sel:DWORD
	s_mov_b64 s[4:5], -1
                                        ; implicit-def: $sgpr10
	s_and_saveexec_b64 s[8:9], s[12:13]
; %bb.20154:
	s_mov_b32 s10, 0x7f800001
	s_xor_b64 s[4:5], exec, -1
; %bb.20155:
	s_or_b64 exec, exec, s[8:9]
	s_and_b64 s[4:5], s[4:5], exec
	s_or_saveexec_b64 s[6:7], s[6:7]
	v_mov_b32_e32 v2, s10
	s_xor_b64 exec, exec, s[6:7]
	s_cbranch_execnz .LBB2_20156
; %bb.55993:
	s_getpc_b64 s[14:15]
.Lpost_getpc31580:
	s_add_u32 s14, s14, (.LBB2_5818-.Lpost_getpc31580)&4294967295
	s_addc_u32 s15, s15, (.LBB2_5818-.Lpost_getpc31580)>>32
	s_setpc_b64 s[14:15]
.LBB2_20156:
	v_mov_b32_e32 v2, 0
	v_cmp_ne_u16_sdwa s[8:9], v7, v2 src0_sel:BYTE_3 src1_sel:DWORD
	s_andn2_b64 s[4:5], s[4:5], exec
	s_and_b64 s[8:9], s[8:9], exec
	s_or_b64 s[4:5], s[4:5], s[8:9]
	s_or_b64 exec, exec, s[6:7]
	s_and_saveexec_b64 s[6:7], s[4:5]
	s_cbranch_execz .LBB2_31581
; %bb.55995:
	s_getpc_b64 s[14:15]
.Lpost_getpc31581:
	s_add_u32 s14, s14, (.LBB2_5819-.Lpost_getpc31581)&4294967295
	s_addc_u32 s15, s15, (.LBB2_5819-.Lpost_getpc31581)>>32
	s_setpc_b64 s[14:15]
.LBB2_31581:
	s_getpc_b64 s[14:15]
.Lpost_getpc19374:
	s_add_u32 s14, s14, (.LBB2_5820-.Lpost_getpc19374)&4294967295
	s_addc_u32 s15, s15, (.LBB2_5820-.Lpost_getpc19374)>>32
	s_setpc_b64 s[14:15]
.LBB2_20157:
	s_movk_i32 s4, 0x80
	v_cmp_eq_u16_sdwa s[12:13], v3, s4 src0_sel:BYTE_3 src1_sel:DWORD
	s_mov_b64 s[4:5], -1
                                        ; implicit-def: $sgpr10
	s_and_saveexec_b64 s[8:9], s[12:13]
; %bb.20158:
	s_mov_b32 s10, 0x7f800001
	s_xor_b64 s[4:5], exec, -1
; %bb.20159:
	s_or_b64 exec, exec, s[8:9]
	s_and_b64 s[4:5], s[4:5], exec
	s_or_saveexec_b64 s[6:7], s[6:7]
	v_mov_b32_e32 v6, s10
	s_xor_b64 exec, exec, s[6:7]
	s_cbranch_execnz .LBB2_20160
; %bb.55997:
	s_getpc_b64 s[14:15]
.Lpost_getpc31582:
	s_add_u32 s14, s14, (.LBB2_5822-.Lpost_getpc31582)&4294967295
	s_addc_u32 s15, s15, (.LBB2_5822-.Lpost_getpc31582)>>32
	s_setpc_b64 s[14:15]
.LBB2_20160:
	v_mov_b32_e32 v6, 0
	v_cmp_ne_u16_sdwa s[8:9], v3, v6 src0_sel:BYTE_3 src1_sel:DWORD
	s_andn2_b64 s[4:5], s[4:5], exec
	s_and_b64 s[8:9], s[8:9], exec
	s_or_b64 s[4:5], s[4:5], s[8:9]
	s_or_b64 exec, exec, s[6:7]
	s_and_saveexec_b64 s[6:7], s[4:5]
	s_cbranch_execz .LBB2_31583
; %bb.55999:
	s_getpc_b64 s[14:15]
.Lpost_getpc31583:
	s_add_u32 s14, s14, (.LBB2_5823-.Lpost_getpc31583)&4294967295
	s_addc_u32 s15, s15, (.LBB2_5823-.Lpost_getpc31583)>>32
	s_setpc_b64 s[14:15]
.LBB2_31583:
	s_getpc_b64 s[14:15]
.Lpost_getpc19375:
	s_add_u32 s14, s14, (.LBB2_5824-.Lpost_getpc19375)&4294967295
	s_addc_u32 s15, s15, (.LBB2_5824-.Lpost_getpc19375)>>32
	s_setpc_b64 s[14:15]
.LBB2_20161:
	s_movk_i32 s4, 0x80
	v_cmp_eq_u16_sdwa s[12:13], v8, s4 src0_sel:BYTE_0 src1_sel:DWORD
	s_mov_b64 s[4:5], -1
                                        ; implicit-def: $sgpr10
	s_and_saveexec_b64 s[8:9], s[12:13]
; %bb.20162:
	s_mov_b32 s10, 0x7f800001
	s_xor_b64 s[4:5], exec, -1
; %bb.20163:
	s_or_b64 exec, exec, s[8:9]
	s_and_b64 s[4:5], s[4:5], exec
	s_or_saveexec_b64 s[6:7], s[6:7]
	v_mov_b32_e32 v2, s10
	s_xor_b64 exec, exec, s[6:7]
	s_cbranch_execnz .LBB2_20164
; %bb.56001:
	s_getpc_b64 s[14:15]
.Lpost_getpc31584:
	s_add_u32 s14, s14, (.LBB2_5826-.Lpost_getpc31584)&4294967295
	s_addc_u32 s15, s15, (.LBB2_5826-.Lpost_getpc31584)>>32
	s_setpc_b64 s[14:15]
.LBB2_20164:
	v_mov_b32_e32 v2, 0
	v_cmp_ne_u16_sdwa s[8:9], v8, v2 src0_sel:BYTE_0 src1_sel:DWORD
	s_andn2_b64 s[4:5], s[4:5], exec
	s_and_b64 s[8:9], s[8:9], exec
	s_or_b64 s[4:5], s[4:5], s[8:9]
	s_or_b64 exec, exec, s[6:7]
	s_and_saveexec_b64 s[6:7], s[4:5]
	s_cbranch_execz .LBB2_31585
; %bb.56003:
	s_getpc_b64 s[14:15]
.Lpost_getpc31585:
	s_add_u32 s14, s14, (.LBB2_5827-.Lpost_getpc31585)&4294967295
	s_addc_u32 s15, s15, (.LBB2_5827-.Lpost_getpc31585)>>32
	s_setpc_b64 s[14:15]
.LBB2_31585:
	s_getpc_b64 s[14:15]
.Lpost_getpc19376:
	s_add_u32 s14, s14, (.LBB2_5828-.Lpost_getpc19376)&4294967295
	s_addc_u32 s15, s15, (.LBB2_5828-.Lpost_getpc19376)>>32
	s_setpc_b64 s[14:15]
.LBB2_20165:
	s_movk_i32 s4, 0x80
	v_cmp_eq_u16_sdwa s[12:13], v4, s4 src0_sel:BYTE_0 src1_sel:DWORD
	s_mov_b64 s[4:5], -1
                                        ; implicit-def: $sgpr10
	s_and_saveexec_b64 s[8:9], s[12:13]
; %bb.20166:
	s_mov_b32 s10, 0x7f800001
	s_xor_b64 s[4:5], exec, -1
; %bb.20167:
	s_or_b64 exec, exec, s[8:9]
	s_and_b64 s[4:5], s[4:5], exec
	s_or_saveexec_b64 s[6:7], s[6:7]
	v_mov_b32_e32 v3, s10
	s_xor_b64 exec, exec, s[6:7]
	s_cbranch_execnz .LBB2_20168
; %bb.56005:
	s_getpc_b64 s[14:15]
.Lpost_getpc31586:
	s_add_u32 s14, s14, (.LBB2_5830-.Lpost_getpc31586)&4294967295
	s_addc_u32 s15, s15, (.LBB2_5830-.Lpost_getpc31586)>>32
	s_setpc_b64 s[14:15]
.LBB2_20168:
	v_mov_b32_e32 v3, 0
	v_cmp_ne_u16_sdwa s[8:9], v4, v3 src0_sel:BYTE_0 src1_sel:DWORD
	s_andn2_b64 s[4:5], s[4:5], exec
	s_and_b64 s[8:9], s[8:9], exec
	s_or_b64 s[4:5], s[4:5], s[8:9]
	s_or_b64 exec, exec, s[6:7]
	s_and_saveexec_b64 s[6:7], s[4:5]
	s_cbranch_execz .LBB2_31587
; %bb.56007:
	s_getpc_b64 s[14:15]
.Lpost_getpc31587:
	s_add_u32 s14, s14, (.LBB2_5831-.Lpost_getpc31587)&4294967295
	s_addc_u32 s15, s15, (.LBB2_5831-.Lpost_getpc31587)>>32
	s_setpc_b64 s[14:15]
.LBB2_31587:
	s_getpc_b64 s[14:15]
.Lpost_getpc19377:
	s_add_u32 s14, s14, (.LBB2_5832-.Lpost_getpc19377)&4294967295
	s_addc_u32 s15, s15, (.LBB2_5832-.Lpost_getpc19377)>>32
	s_setpc_b64 s[14:15]
.LBB2_20169:
	s_movk_i32 s4, 0x80
	v_cmp_eq_u16_sdwa s[12:13], v3, s4 src0_sel:BYTE_0 src1_sel:DWORD
	s_mov_b64 s[4:5], -1
                                        ; implicit-def: $sgpr10
	s_and_saveexec_b64 s[8:9], s[12:13]
; %bb.20170:
	s_mov_b32 s10, 0x7f800001
	s_xor_b64 s[4:5], exec, -1
; %bb.20171:
	s_or_b64 exec, exec, s[8:9]
	s_and_b64 s[4:5], s[4:5], exec
	s_or_saveexec_b64 s[6:7], s[6:7]
	v_mov_b32_e32 v2, s10
	s_xor_b64 exec, exec, s[6:7]
	s_cbranch_execnz .LBB2_20172
; %bb.56009:
	s_getpc_b64 s[14:15]
.Lpost_getpc31588:
	s_add_u32 s14, s14, (.LBB2_5834-.Lpost_getpc31588)&4294967295
	s_addc_u32 s15, s15, (.LBB2_5834-.Lpost_getpc31588)>>32
	s_setpc_b64 s[14:15]
.LBB2_20172:
	v_mov_b32_e32 v2, 0
	v_cmp_ne_u16_sdwa s[8:9], v3, v2 src0_sel:BYTE_0 src1_sel:DWORD
	s_andn2_b64 s[4:5], s[4:5], exec
	s_and_b64 s[8:9], s[8:9], exec
	s_or_b64 s[4:5], s[4:5], s[8:9]
	s_or_b64 exec, exec, s[6:7]
	s_and_saveexec_b64 s[6:7], s[4:5]
	s_cbranch_execz .LBB2_31589
; %bb.56011:
	s_getpc_b64 s[14:15]
.Lpost_getpc31589:
	s_add_u32 s14, s14, (.LBB2_5835-.Lpost_getpc31589)&4294967295
	s_addc_u32 s15, s15, (.LBB2_5835-.Lpost_getpc31589)>>32
	s_setpc_b64 s[14:15]
.LBB2_31589:
	s_getpc_b64 s[14:15]
.Lpost_getpc19378:
	s_add_u32 s14, s14, (.LBB2_5836-.Lpost_getpc19378)&4294967295
	s_addc_u32 s15, s15, (.LBB2_5836-.Lpost_getpc19378)>>32
	s_setpc_b64 s[14:15]
.LBB2_20173:
	s_movk_i32 s4, 0x80
	v_cmp_eq_u16_sdwa s[12:13], v3, s4 src0_sel:BYTE_0 src1_sel:DWORD
	s_mov_b64 s[4:5], -1
                                        ; implicit-def: $sgpr10
	s_and_saveexec_b64 s[8:9], s[12:13]
; %bb.20174:
	s_mov_b32 s10, 0x7f800001
	s_xor_b64 s[4:5], exec, -1
; %bb.20175:
	s_or_b64 exec, exec, s[8:9]
	s_and_b64 s[4:5], s[4:5], exec
	s_or_saveexec_b64 s[6:7], s[6:7]
	v_mov_b32_e32 v6, s10
	s_xor_b64 exec, exec, s[6:7]
	s_cbranch_execnz .LBB2_20176
; %bb.56013:
	s_getpc_b64 s[14:15]
.Lpost_getpc31590:
	s_add_u32 s14, s14, (.LBB2_5838-.Lpost_getpc31590)&4294967295
	s_addc_u32 s15, s15, (.LBB2_5838-.Lpost_getpc31590)>>32
	s_setpc_b64 s[14:15]
.LBB2_20176:
	v_mov_b32_e32 v6, 0
	v_cmp_ne_u16_sdwa s[8:9], v3, v6 src0_sel:BYTE_0 src1_sel:DWORD
	s_andn2_b64 s[4:5], s[4:5], exec
	s_and_b64 s[8:9], s[8:9], exec
	s_or_b64 s[4:5], s[4:5], s[8:9]
	s_or_b64 exec, exec, s[6:7]
	s_and_saveexec_b64 s[6:7], s[4:5]
	s_cbranch_execz .LBB2_31591
; %bb.56015:
	s_getpc_b64 s[14:15]
.Lpost_getpc31591:
	s_add_u32 s14, s14, (.LBB2_5839-.Lpost_getpc31591)&4294967295
	s_addc_u32 s15, s15, (.LBB2_5839-.Lpost_getpc31591)>>32
	s_setpc_b64 s[14:15]
.LBB2_31591:
	s_getpc_b64 s[14:15]
.Lpost_getpc19379:
	s_add_u32 s14, s14, (.LBB2_5840-.Lpost_getpc19379)&4294967295
	s_addc_u32 s15, s15, (.LBB2_5840-.Lpost_getpc19379)>>32
	s_setpc_b64 s[14:15]
.LBB2_20177:
	s_movk_i32 s4, 0x80
	v_cmp_eq_u16_e32 vcc, s4, v3
	s_mov_b64 s[4:5], -1
                                        ; implicit-def: $sgpr10
	s_and_saveexec_b64 s[8:9], vcc
; %bb.20178:
	s_mov_b32 s10, 0x7f800001
	s_xor_b64 s[4:5], exec, -1
; %bb.20179:
	s_or_b64 exec, exec, s[8:9]
	s_and_b64 s[4:5], s[4:5], exec
                                        ; implicit-def: $vgpr3
	s_or_saveexec_b64 s[6:7], s[6:7]
	v_mov_b32_e32 v2, s10
	s_xor_b64 exec, exec, s[6:7]
	s_cbranch_execnz .LBB2_20180
; %bb.56017:
	s_getpc_b64 s[14:15]
.Lpost_getpc31592:
	s_add_u32 s14, s14, (.LBB2_5842-.Lpost_getpc31592)&4294967295
	s_addc_u32 s15, s15, (.LBB2_5842-.Lpost_getpc31592)>>32
	s_setpc_b64 s[14:15]
.LBB2_20180:
	v_cmp_ne_u16_e32 vcc, 0, v3
	s_andn2_b64 s[4:5], s[4:5], exec
	s_and_b64 s[8:9], vcc, exec
	v_mov_b32_e32 v2, 0
	s_or_b64 s[4:5], s[4:5], s[8:9]
	s_or_b64 exec, exec, s[6:7]
	s_and_saveexec_b64 s[6:7], s[4:5]
	s_cbranch_execz .LBB2_31593
; %bb.56019:
	s_getpc_b64 s[14:15]
.Lpost_getpc31593:
	s_add_u32 s14, s14, (.LBB2_5843-.Lpost_getpc31593)&4294967295
	s_addc_u32 s15, s15, (.LBB2_5843-.Lpost_getpc31593)>>32
	s_setpc_b64 s[14:15]
.LBB2_31593:
	s_getpc_b64 s[14:15]
.Lpost_getpc19380:
	s_add_u32 s14, s14, (.LBB2_5844-.Lpost_getpc19380)&4294967295
	s_addc_u32 s15, s15, (.LBB2_5844-.Lpost_getpc19380)>>32
	s_setpc_b64 s[14:15]
.LBB2_20181:
	s_movk_i32 s4, 0x80
	v_cmp_eq_u16_e32 vcc, s4, v3
	s_mov_b64 s[4:5], -1
                                        ; implicit-def: $sgpr10
	s_and_saveexec_b64 s[8:9], vcc
; %bb.20182:
	s_mov_b32 s10, 0x7f800001
	s_xor_b64 s[4:5], exec, -1
; %bb.20183:
	s_or_b64 exec, exec, s[8:9]
	s_and_b64 s[4:5], s[4:5], exec
                                        ; implicit-def: $vgpr3
	s_or_saveexec_b64 s[6:7], s[6:7]
	v_mov_b32_e32 v6, s10
	s_xor_b64 exec, exec, s[6:7]
	s_cbranch_execnz .LBB2_20184
; %bb.56021:
	s_getpc_b64 s[14:15]
.Lpost_getpc31594:
	s_add_u32 s14, s14, (.LBB2_5846-.Lpost_getpc31594)&4294967295
	s_addc_u32 s15, s15, (.LBB2_5846-.Lpost_getpc31594)>>32
	s_setpc_b64 s[14:15]
.LBB2_20184:
	v_cmp_ne_u16_e32 vcc, 0, v3
	s_andn2_b64 s[4:5], s[4:5], exec
	s_and_b64 s[8:9], vcc, exec
	v_mov_b32_e32 v6, 0
	s_or_b64 s[4:5], s[4:5], s[8:9]
	s_or_b64 exec, exec, s[6:7]
	s_and_saveexec_b64 s[6:7], s[4:5]
	s_cbranch_execz .LBB2_31595
; %bb.56023:
	s_getpc_b64 s[14:15]
.Lpost_getpc31595:
	s_add_u32 s14, s14, (.LBB2_5847-.Lpost_getpc31595)&4294967295
	s_addc_u32 s15, s15, (.LBB2_5847-.Lpost_getpc31595)>>32
	s_setpc_b64 s[14:15]
.LBB2_31595:
	s_getpc_b64 s[14:15]
.Lpost_getpc19381:
	s_add_u32 s14, s14, (.LBB2_5848-.Lpost_getpc19381)&4294967295
	s_addc_u32 s15, s15, (.LBB2_5848-.Lpost_getpc19381)>>32
	s_setpc_b64 s[14:15]
.LBB2_20185:
	s_movk_i32 s4, 0x80
	v_cmp_eq_u16_sdwa s[12:13], v8, s4 src0_sel:BYTE_3 src1_sel:DWORD
	s_mov_b64 s[4:5], -1
                                        ; implicit-def: $sgpr10
	s_and_saveexec_b64 s[8:9], s[12:13]
; %bb.20186:
	s_mov_b32 s10, 0x7f800001
	s_xor_b64 s[4:5], exec, -1
; %bb.20187:
	s_or_b64 exec, exec, s[8:9]
	s_and_b64 s[4:5], s[4:5], exec
	s_or_saveexec_b64 s[6:7], s[6:7]
	v_mov_b32_e32 v2, s10
	s_xor_b64 exec, exec, s[6:7]
	s_cbranch_execnz .LBB2_20188
; %bb.56025:
	s_getpc_b64 s[14:15]
.Lpost_getpc31596:
	s_add_u32 s14, s14, (.LBB2_5850-.Lpost_getpc31596)&4294967295
	s_addc_u32 s15, s15, (.LBB2_5850-.Lpost_getpc31596)>>32
	s_setpc_b64 s[14:15]
.LBB2_20188:
	v_mov_b32_e32 v2, 0
	v_cmp_ne_u16_sdwa s[8:9], v8, v2 src0_sel:BYTE_3 src1_sel:DWORD
	s_andn2_b64 s[4:5], s[4:5], exec
	s_and_b64 s[8:9], s[8:9], exec
	s_or_b64 s[4:5], s[4:5], s[8:9]
	s_or_b64 exec, exec, s[6:7]
	s_and_saveexec_b64 s[6:7], s[4:5]
	s_cbranch_execz .LBB2_31597
; %bb.56027:
	s_getpc_b64 s[14:15]
.Lpost_getpc31597:
	s_add_u32 s14, s14, (.LBB2_5851-.Lpost_getpc31597)&4294967295
	s_addc_u32 s15, s15, (.LBB2_5851-.Lpost_getpc31597)>>32
	s_setpc_b64 s[14:15]
.LBB2_31597:
	s_getpc_b64 s[14:15]
.Lpost_getpc19382:
	s_add_u32 s14, s14, (.LBB2_5852-.Lpost_getpc19382)&4294967295
	s_addc_u32 s15, s15, (.LBB2_5852-.Lpost_getpc19382)>>32
	s_setpc_b64 s[14:15]
.LBB2_20189:
	s_movk_i32 s4, 0x80
	v_cmp_eq_u16_sdwa s[12:13], v4, s4 src0_sel:BYTE_3 src1_sel:DWORD
	s_mov_b64 s[4:5], -1
                                        ; implicit-def: $sgpr10
	s_and_saveexec_b64 s[8:9], s[12:13]
; %bb.20190:
	s_mov_b32 s10, 0x7f800001
	s_xor_b64 s[4:5], exec, -1
; %bb.20191:
	s_or_b64 exec, exec, s[8:9]
	s_and_b64 s[4:5], s[4:5], exec
	s_or_saveexec_b64 s[6:7], s[6:7]
	v_mov_b32_e32 v3, s10
	s_xor_b64 exec, exec, s[6:7]
	s_cbranch_execnz .LBB2_20192
; %bb.56029:
	s_getpc_b64 s[14:15]
.Lpost_getpc31598:
	s_add_u32 s14, s14, (.LBB2_5854-.Lpost_getpc31598)&4294967295
	s_addc_u32 s15, s15, (.LBB2_5854-.Lpost_getpc31598)>>32
	s_setpc_b64 s[14:15]
.LBB2_20192:
	v_mov_b32_e32 v3, 0
	v_cmp_ne_u16_sdwa s[8:9], v4, v3 src0_sel:BYTE_3 src1_sel:DWORD
	s_andn2_b64 s[4:5], s[4:5], exec
	s_and_b64 s[8:9], s[8:9], exec
	s_or_b64 s[4:5], s[4:5], s[8:9]
	s_or_b64 exec, exec, s[6:7]
	s_and_saveexec_b64 s[6:7], s[4:5]
	s_cbranch_execz .LBB2_31599
; %bb.56031:
	s_getpc_b64 s[14:15]
.Lpost_getpc31599:
	s_add_u32 s14, s14, (.LBB2_5855-.Lpost_getpc31599)&4294967295
	s_addc_u32 s15, s15, (.LBB2_5855-.Lpost_getpc31599)>>32
	s_setpc_b64 s[14:15]
.LBB2_31599:
	s_getpc_b64 s[14:15]
.Lpost_getpc19383:
	s_add_u32 s14, s14, (.LBB2_5856-.Lpost_getpc19383)&4294967295
	s_addc_u32 s15, s15, (.LBB2_5856-.Lpost_getpc19383)>>32
	s_setpc_b64 s[14:15]
.LBB2_20193:
	s_movk_i32 s4, 0x80
	v_cmp_eq_u16_sdwa s[12:13], v9, s4 src0_sel:BYTE_0 src1_sel:DWORD
	s_mov_b64 s[4:5], -1
                                        ; implicit-def: $sgpr10
	s_and_saveexec_b64 s[8:9], s[12:13]
; %bb.20194:
	s_mov_b32 s10, 0x7f800001
	s_xor_b64 s[4:5], exec, -1
; %bb.20195:
	s_or_b64 exec, exec, s[8:9]
	s_and_b64 s[4:5], s[4:5], exec
	s_or_saveexec_b64 s[6:7], s[6:7]
	v_mov_b32_e32 v2, s10
	s_xor_b64 exec, exec, s[6:7]
	s_cbranch_execnz .LBB2_20196
; %bb.56033:
	s_getpc_b64 s[14:15]
.Lpost_getpc31600:
	s_add_u32 s14, s14, (.LBB2_5858-.Lpost_getpc31600)&4294967295
	s_addc_u32 s15, s15, (.LBB2_5858-.Lpost_getpc31600)>>32
	s_setpc_b64 s[14:15]
.LBB2_20196:
	v_mov_b32_e32 v2, 0
	v_cmp_ne_u16_sdwa s[8:9], v9, v2 src0_sel:BYTE_0 src1_sel:DWORD
	s_andn2_b64 s[4:5], s[4:5], exec
	s_and_b64 s[8:9], s[8:9], exec
	s_or_b64 s[4:5], s[4:5], s[8:9]
	s_or_b64 exec, exec, s[6:7]
	s_and_saveexec_b64 s[6:7], s[4:5]
	s_cbranch_execz .LBB2_31601
; %bb.56035:
	s_getpc_b64 s[14:15]
.Lpost_getpc31601:
	s_add_u32 s14, s14, (.LBB2_5859-.Lpost_getpc31601)&4294967295
	s_addc_u32 s15, s15, (.LBB2_5859-.Lpost_getpc31601)>>32
	s_setpc_b64 s[14:15]
.LBB2_31601:
	s_getpc_b64 s[14:15]
.Lpost_getpc19384:
	s_add_u32 s14, s14, (.LBB2_5860-.Lpost_getpc19384)&4294967295
	s_addc_u32 s15, s15, (.LBB2_5860-.Lpost_getpc19384)>>32
	s_setpc_b64 s[14:15]
.LBB2_20197:
	s_movk_i32 s4, 0x80
	v_cmp_eq_u16_sdwa s[12:13], v5, s4 src0_sel:BYTE_0 src1_sel:DWORD
	s_mov_b64 s[4:5], -1
                                        ; implicit-def: $sgpr10
	s_and_saveexec_b64 s[8:9], s[12:13]
; %bb.20198:
	s_mov_b32 s10, 0x7f800001
	s_xor_b64 s[4:5], exec, -1
; %bb.20199:
	s_or_b64 exec, exec, s[8:9]
	s_and_b64 s[4:5], s[4:5], exec
	s_or_saveexec_b64 s[6:7], s[6:7]
	v_mov_b32_e32 v3, s10
	s_xor_b64 exec, exec, s[6:7]
	s_cbranch_execnz .LBB2_20200
; %bb.56037:
	s_getpc_b64 s[14:15]
.Lpost_getpc31602:
	s_add_u32 s14, s14, (.LBB2_5862-.Lpost_getpc31602)&4294967295
	s_addc_u32 s15, s15, (.LBB2_5862-.Lpost_getpc31602)>>32
	s_setpc_b64 s[14:15]
.LBB2_20200:
	v_mov_b32_e32 v3, 0
	v_cmp_ne_u16_sdwa s[8:9], v5, v3 src0_sel:BYTE_0 src1_sel:DWORD
	s_andn2_b64 s[4:5], s[4:5], exec
	s_and_b64 s[8:9], s[8:9], exec
	s_or_b64 s[4:5], s[4:5], s[8:9]
	s_or_b64 exec, exec, s[6:7]
	s_and_saveexec_b64 s[6:7], s[4:5]
	s_cbranch_execz .LBB2_31603
; %bb.56039:
	s_getpc_b64 s[14:15]
.Lpost_getpc31603:
	s_add_u32 s14, s14, (.LBB2_5863-.Lpost_getpc31603)&4294967295
	s_addc_u32 s15, s15, (.LBB2_5863-.Lpost_getpc31603)>>32
	s_setpc_b64 s[14:15]
.LBB2_31603:
	s_getpc_b64 s[14:15]
.Lpost_getpc19385:
	s_add_u32 s14, s14, (.LBB2_5864-.Lpost_getpc19385)&4294967295
	s_addc_u32 s15, s15, (.LBB2_5864-.Lpost_getpc19385)>>32
	s_setpc_b64 s[14:15]
.LBB2_20201:
	s_movk_i32 s4, 0x80
	v_cmp_eq_u16_sdwa s[12:13], v3, s4 src0_sel:BYTE_0 src1_sel:DWORD
	s_mov_b64 s[4:5], -1
                                        ; implicit-def: $sgpr10
	s_and_saveexec_b64 s[8:9], s[12:13]
; %bb.20202:
	s_mov_b32 s10, 0x7f800001
	s_xor_b64 s[4:5], exec, -1
; %bb.20203:
	s_or_b64 exec, exec, s[8:9]
	s_and_b64 s[4:5], s[4:5], exec
	s_or_saveexec_b64 s[6:7], s[6:7]
	v_mov_b32_e32 v2, s10
	s_xor_b64 exec, exec, s[6:7]
	s_cbranch_execnz .LBB2_20204
; %bb.56041:
	s_getpc_b64 s[14:15]
.Lpost_getpc31604:
	s_add_u32 s14, s14, (.LBB2_5866-.Lpost_getpc31604)&4294967295
	s_addc_u32 s15, s15, (.LBB2_5866-.Lpost_getpc31604)>>32
	s_setpc_b64 s[14:15]
.LBB2_20204:
	v_mov_b32_e32 v2, 0
	v_cmp_ne_u16_sdwa s[8:9], v3, v2 src0_sel:BYTE_0 src1_sel:DWORD
	s_andn2_b64 s[4:5], s[4:5], exec
	s_and_b64 s[8:9], s[8:9], exec
	s_or_b64 s[4:5], s[4:5], s[8:9]
	s_or_b64 exec, exec, s[6:7]
	s_and_saveexec_b64 s[6:7], s[4:5]
	s_cbranch_execz .LBB2_31605
; %bb.56043:
	s_getpc_b64 s[14:15]
.Lpost_getpc31605:
	s_add_u32 s14, s14, (.LBB2_5867-.Lpost_getpc31605)&4294967295
	s_addc_u32 s15, s15, (.LBB2_5867-.Lpost_getpc31605)>>32
	s_setpc_b64 s[14:15]
.LBB2_31605:
	s_getpc_b64 s[14:15]
.Lpost_getpc19386:
	s_add_u32 s14, s14, (.LBB2_5868-.Lpost_getpc19386)&4294967295
	s_addc_u32 s15, s15, (.LBB2_5868-.Lpost_getpc19386)>>32
	s_setpc_b64 s[14:15]
.LBB2_20205:
	s_movk_i32 s4, 0x80
	v_cmp_eq_u16_sdwa s[12:13], v3, s4 src0_sel:BYTE_0 src1_sel:DWORD
	s_mov_b64 s[4:5], -1
                                        ; implicit-def: $sgpr10
	s_and_saveexec_b64 s[8:9], s[12:13]
; %bb.20206:
	s_mov_b32 s10, 0x7f800001
	s_xor_b64 s[4:5], exec, -1
; %bb.20207:
	s_or_b64 exec, exec, s[8:9]
	s_and_b64 s[4:5], s[4:5], exec
	s_or_saveexec_b64 s[6:7], s[6:7]
	v_mov_b32_e32 v4, s10
	s_xor_b64 exec, exec, s[6:7]
	s_cbranch_execnz .LBB2_20208
; %bb.56045:
	s_getpc_b64 s[14:15]
.Lpost_getpc31606:
	s_add_u32 s14, s14, (.LBB2_5870-.Lpost_getpc31606)&4294967295
	s_addc_u32 s15, s15, (.LBB2_5870-.Lpost_getpc31606)>>32
	s_setpc_b64 s[14:15]
.LBB2_20208:
	v_mov_b32_e32 v4, 0
	v_cmp_ne_u16_sdwa s[8:9], v3, v4 src0_sel:BYTE_0 src1_sel:DWORD
	s_andn2_b64 s[4:5], s[4:5], exec
	s_and_b64 s[8:9], s[8:9], exec
	s_or_b64 s[4:5], s[4:5], s[8:9]
	s_or_b64 exec, exec, s[6:7]
	s_and_saveexec_b64 s[6:7], s[4:5]
	s_cbranch_execz .LBB2_31607
; %bb.56047:
	s_getpc_b64 s[14:15]
.Lpost_getpc31607:
	s_add_u32 s14, s14, (.LBB2_5871-.Lpost_getpc31607)&4294967295
	s_addc_u32 s15, s15, (.LBB2_5871-.Lpost_getpc31607)>>32
	s_setpc_b64 s[14:15]
.LBB2_31607:
	s_getpc_b64 s[14:15]
.Lpost_getpc19387:
	s_add_u32 s14, s14, (.LBB2_5872-.Lpost_getpc19387)&4294967295
	s_addc_u32 s15, s15, (.LBB2_5872-.Lpost_getpc19387)>>32
	s_setpc_b64 s[14:15]
.LBB2_20209:
	s_movk_i32 s4, 0x80
	v_cmp_eq_u16_e32 vcc, s4, v3
	s_mov_b64 s[4:5], -1
                                        ; implicit-def: $sgpr10
	s_and_saveexec_b64 s[8:9], vcc
; %bb.20210:
	s_mov_b32 s10, 0x7f800001
	s_xor_b64 s[4:5], exec, -1
; %bb.20211:
	s_or_b64 exec, exec, s[8:9]
	s_and_b64 s[4:5], s[4:5], exec
                                        ; implicit-def: $vgpr3
	s_or_saveexec_b64 s[6:7], s[6:7]
	v_mov_b32_e32 v2, s10
	s_xor_b64 exec, exec, s[6:7]
	s_cbranch_execnz .LBB2_20212
; %bb.56049:
	s_getpc_b64 s[14:15]
.Lpost_getpc31608:
	s_add_u32 s14, s14, (.LBB2_5874-.Lpost_getpc31608)&4294967295
	s_addc_u32 s15, s15, (.LBB2_5874-.Lpost_getpc31608)>>32
	s_setpc_b64 s[14:15]
.LBB2_20212:
	v_cmp_ne_u16_e32 vcc, 0, v3
	s_andn2_b64 s[4:5], s[4:5], exec
	s_and_b64 s[8:9], vcc, exec
	v_mov_b32_e32 v2, 0
	s_or_b64 s[4:5], s[4:5], s[8:9]
	s_or_b64 exec, exec, s[6:7]
	s_and_saveexec_b64 s[6:7], s[4:5]
	s_cbranch_execz .LBB2_31609
; %bb.56051:
	s_getpc_b64 s[14:15]
.Lpost_getpc31609:
	s_add_u32 s14, s14, (.LBB2_5875-.Lpost_getpc31609)&4294967295
	s_addc_u32 s15, s15, (.LBB2_5875-.Lpost_getpc31609)>>32
	s_setpc_b64 s[14:15]
.LBB2_31609:
	s_getpc_b64 s[14:15]
.Lpost_getpc19388:
	s_add_u32 s14, s14, (.LBB2_5876-.Lpost_getpc19388)&4294967295
	s_addc_u32 s15, s15, (.LBB2_5876-.Lpost_getpc19388)>>32
	s_setpc_b64 s[14:15]
.LBB2_20213:
	s_movk_i32 s4, 0x80
	v_cmp_eq_u16_e32 vcc, s4, v3
	s_mov_b64 s[4:5], -1
                                        ; implicit-def: $sgpr10
	s_and_saveexec_b64 s[8:9], vcc
; %bb.20214:
	s_mov_b32 s10, 0x7f800001
	s_xor_b64 s[4:5], exec, -1
; %bb.20215:
	s_or_b64 exec, exec, s[8:9]
	s_and_b64 s[4:5], s[4:5], exec
                                        ; implicit-def: $vgpr3
	s_or_saveexec_b64 s[6:7], s[6:7]
	v_mov_b32_e32 v4, s10
	s_xor_b64 exec, exec, s[6:7]
	s_cbranch_execnz .LBB2_20216
; %bb.56053:
	s_getpc_b64 s[14:15]
.Lpost_getpc31610:
	s_add_u32 s14, s14, (.LBB2_5878-.Lpost_getpc31610)&4294967295
	s_addc_u32 s15, s15, (.LBB2_5878-.Lpost_getpc31610)>>32
	s_setpc_b64 s[14:15]
.LBB2_20216:
	v_cmp_ne_u16_e32 vcc, 0, v3
	s_andn2_b64 s[4:5], s[4:5], exec
	s_and_b64 s[8:9], vcc, exec
	v_mov_b32_e32 v4, 0
	s_or_b64 s[4:5], s[4:5], s[8:9]
	s_or_b64 exec, exec, s[6:7]
	s_and_saveexec_b64 s[6:7], s[4:5]
	s_cbranch_execz .LBB2_31611
; %bb.56055:
	s_getpc_b64 s[14:15]
.Lpost_getpc31611:
	s_add_u32 s14, s14, (.LBB2_5879-.Lpost_getpc31611)&4294967295
	s_addc_u32 s15, s15, (.LBB2_5879-.Lpost_getpc31611)>>32
	s_setpc_b64 s[14:15]
.LBB2_31611:
	s_getpc_b64 s[14:15]
.Lpost_getpc19389:
	s_add_u32 s14, s14, (.LBB2_5880-.Lpost_getpc19389)&4294967295
	s_addc_u32 s15, s15, (.LBB2_5880-.Lpost_getpc19389)>>32
	s_setpc_b64 s[14:15]
.LBB2_20217:
	s_movk_i32 s4, 0x80
	v_cmp_eq_u16_sdwa s[12:13], v9, s4 src0_sel:BYTE_3 src1_sel:DWORD
	s_mov_b64 s[4:5], -1
                                        ; implicit-def: $sgpr10
	s_and_saveexec_b64 s[8:9], s[12:13]
; %bb.20218:
	s_mov_b32 s10, 0x7f800001
	s_xor_b64 s[4:5], exec, -1
; %bb.20219:
	s_or_b64 exec, exec, s[8:9]
	s_and_b64 s[4:5], s[4:5], exec
	s_or_saveexec_b64 s[6:7], s[6:7]
	v_mov_b32_e32 v2, s10
	s_xor_b64 exec, exec, s[6:7]
	s_cbranch_execnz .LBB2_20220
; %bb.56057:
	s_getpc_b64 s[14:15]
.Lpost_getpc31612:
	s_add_u32 s14, s14, (.LBB2_5882-.Lpost_getpc31612)&4294967295
	s_addc_u32 s15, s15, (.LBB2_5882-.Lpost_getpc31612)>>32
	s_setpc_b64 s[14:15]
.LBB2_20220:
	v_mov_b32_e32 v2, 0
	v_cmp_ne_u16_sdwa s[8:9], v9, v2 src0_sel:BYTE_3 src1_sel:DWORD
	s_andn2_b64 s[4:5], s[4:5], exec
	s_and_b64 s[8:9], s[8:9], exec
	s_or_b64 s[4:5], s[4:5], s[8:9]
	s_or_b64 exec, exec, s[6:7]
	s_and_saveexec_b64 s[6:7], s[4:5]
	s_cbranch_execz .LBB2_31613
; %bb.56059:
	s_getpc_b64 s[14:15]
.Lpost_getpc31613:
	s_add_u32 s14, s14, (.LBB2_5883-.Lpost_getpc31613)&4294967295
	s_addc_u32 s15, s15, (.LBB2_5883-.Lpost_getpc31613)>>32
	s_setpc_b64 s[14:15]
.LBB2_31613:
	s_getpc_b64 s[14:15]
.Lpost_getpc19390:
	s_add_u32 s14, s14, (.LBB2_5884-.Lpost_getpc19390)&4294967295
	s_addc_u32 s15, s15, (.LBB2_5884-.Lpost_getpc19390)>>32
	s_setpc_b64 s[14:15]
.LBB2_20221:
	s_movk_i32 s4, 0x80
	v_cmp_eq_u16_sdwa s[12:13], v5, s4 src0_sel:BYTE_3 src1_sel:DWORD
	s_mov_b64 s[4:5], -1
                                        ; implicit-def: $sgpr10
	s_and_saveexec_b64 s[8:9], s[12:13]
; %bb.20222:
	s_mov_b32 s10, 0x7f800001
	s_xor_b64 s[4:5], exec, -1
; %bb.20223:
	s_or_b64 exec, exec, s[8:9]
	s_and_b64 s[4:5], s[4:5], exec
	s_or_saveexec_b64 s[6:7], s[6:7]
	v_mov_b32_e32 v3, s10
	s_xor_b64 exec, exec, s[6:7]
	s_cbranch_execnz .LBB2_20224
; %bb.56061:
	s_getpc_b64 s[14:15]
.Lpost_getpc31614:
	s_add_u32 s14, s14, (.LBB2_5886-.Lpost_getpc31614)&4294967295
	s_addc_u32 s15, s15, (.LBB2_5886-.Lpost_getpc31614)>>32
	s_setpc_b64 s[14:15]
.LBB2_20224:
	v_mov_b32_e32 v3, 0
	v_cmp_ne_u16_sdwa s[8:9], v5, v3 src0_sel:BYTE_3 src1_sel:DWORD
	s_andn2_b64 s[4:5], s[4:5], exec
	s_and_b64 s[8:9], s[8:9], exec
	s_or_b64 s[4:5], s[4:5], s[8:9]
	s_or_b64 exec, exec, s[6:7]
	s_and_saveexec_b64 s[6:7], s[4:5]
	s_cbranch_execz .LBB2_31615
; %bb.56063:
	s_getpc_b64 s[14:15]
.Lpost_getpc31615:
	s_add_u32 s14, s14, (.LBB2_5887-.Lpost_getpc31615)&4294967295
	s_addc_u32 s15, s15, (.LBB2_5887-.Lpost_getpc31615)>>32
	s_setpc_b64 s[14:15]
.LBB2_31615:
	s_getpc_b64 s[14:15]
.Lpost_getpc19391:
	s_add_u32 s14, s14, (.LBB2_5888-.Lpost_getpc19391)&4294967295
	s_addc_u32 s15, s15, (.LBB2_5888-.Lpost_getpc19391)>>32
	s_setpc_b64 s[14:15]
.LBB2_20225:
	s_movk_i32 s4, 0x80
	v_cmp_eq_u16_sdwa s[12:13], v6, s4 src0_sel:BYTE_0 src1_sel:DWORD
	s_mov_b64 s[4:5], -1
                                        ; implicit-def: $sgpr10
	s_and_saveexec_b64 s[8:9], s[12:13]
; %bb.20226:
	s_mov_b32 s10, 0x7f800001
	s_xor_b64 s[4:5], exec, -1
; %bb.20227:
	s_or_b64 exec, exec, s[8:9]
	s_and_b64 s[4:5], s[4:5], exec
	s_or_saveexec_b64 s[6:7], s[6:7]
	v_mov_b32_e32 v12, s10
	s_xor_b64 exec, exec, s[6:7]
	s_cbranch_execnz .LBB2_20228
; %bb.56065:
	s_getpc_b64 s[14:15]
.Lpost_getpc31616:
	s_add_u32 s14, s14, (.LBB2_5890-.Lpost_getpc31616)&4294967295
	s_addc_u32 s15, s15, (.LBB2_5890-.Lpost_getpc31616)>>32
	s_setpc_b64 s[14:15]
.LBB2_20228:
	v_mov_b32_e32 v12, 0
	v_cmp_ne_u16_sdwa s[8:9], v6, v12 src0_sel:BYTE_0 src1_sel:DWORD
	s_andn2_b64 s[4:5], s[4:5], exec
	s_and_b64 s[8:9], s[8:9], exec
	s_or_b64 s[4:5], s[4:5], s[8:9]
	s_or_b64 exec, exec, s[6:7]
	s_and_saveexec_b64 s[6:7], s[4:5]
	s_cbranch_execz .LBB2_31617
; %bb.56067:
	s_getpc_b64 s[14:15]
.Lpost_getpc31617:
	s_add_u32 s14, s14, (.LBB2_5891-.Lpost_getpc31617)&4294967295
	s_addc_u32 s15, s15, (.LBB2_5891-.Lpost_getpc31617)>>32
	s_setpc_b64 s[14:15]
.LBB2_31617:
	s_getpc_b64 s[14:15]
.Lpost_getpc19392:
	s_add_u32 s14, s14, (.LBB2_5892-.Lpost_getpc19392)&4294967295
	s_addc_u32 s15, s15, (.LBB2_5892-.Lpost_getpc19392)>>32
	s_setpc_b64 s[14:15]
.LBB2_20229:
	s_movk_i32 s4, 0x80
	v_cmp_eq_u16_sdwa s[12:13], v2, s4 src0_sel:BYTE_0 src1_sel:DWORD
	s_mov_b64 s[4:5], -1
                                        ; implicit-def: $sgpr10
	s_and_saveexec_b64 s[8:9], s[12:13]
; %bb.20230:
	s_mov_b32 s10, 0x7f800001
	s_xor_b64 s[4:5], exec, -1
; %bb.20231:
	s_or_b64 exec, exec, s[8:9]
	s_and_b64 s[4:5], s[4:5], exec
	s_or_saveexec_b64 s[6:7], s[6:7]
	v_mov_b32_e32 v13, s10
	s_xor_b64 exec, exec, s[6:7]
	s_cbranch_execnz .LBB2_20232
; %bb.56069:
	s_getpc_b64 s[14:15]
.Lpost_getpc31618:
	s_add_u32 s14, s14, (.LBB2_5894-.Lpost_getpc31618)&4294967295
	s_addc_u32 s15, s15, (.LBB2_5894-.Lpost_getpc31618)>>32
	s_setpc_b64 s[14:15]
.LBB2_20232:
	v_mov_b32_e32 v13, 0
	v_cmp_ne_u16_sdwa s[8:9], v2, v13 src0_sel:BYTE_0 src1_sel:DWORD
	s_andn2_b64 s[4:5], s[4:5], exec
	s_and_b64 s[8:9], s[8:9], exec
	s_or_b64 s[4:5], s[4:5], s[8:9]
	s_or_b64 exec, exec, s[6:7]
	s_and_saveexec_b64 s[6:7], s[4:5]
	s_cbranch_execz .LBB2_31619
; %bb.56071:
	s_getpc_b64 s[14:15]
.Lpost_getpc31619:
	s_add_u32 s14, s14, (.LBB2_5895-.Lpost_getpc31619)&4294967295
	s_addc_u32 s15, s15, (.LBB2_5895-.Lpost_getpc31619)>>32
	s_setpc_b64 s[14:15]
.LBB2_31619:
	s_getpc_b64 s[14:15]
.Lpost_getpc19393:
	s_add_u32 s14, s14, (.LBB2_5896-.Lpost_getpc19393)&4294967295
	s_addc_u32 s15, s15, (.LBB2_5896-.Lpost_getpc19393)>>32
	s_setpc_b64 s[14:15]
.LBB2_20233:
	s_movk_i32 s4, 0x80
	v_cmp_eq_u16_sdwa s[12:13], v13, s4 src0_sel:BYTE_0 src1_sel:DWORD
	s_mov_b64 s[4:5], -1
                                        ; implicit-def: $sgpr10
	s_and_saveexec_b64 s[8:9], s[12:13]
; %bb.20234:
	s_mov_b32 s10, 0x7f800001
	s_xor_b64 s[4:5], exec, -1
; %bb.20235:
	s_or_b64 exec, exec, s[8:9]
	s_and_b64 s[4:5], s[4:5], exec
	s_or_saveexec_b64 s[6:7], s[6:7]
	v_mov_b32_e32 v12, s10
	s_xor_b64 exec, exec, s[6:7]
	s_cbranch_execnz .LBB2_20236
; %bb.56073:
	s_getpc_b64 s[14:15]
.Lpost_getpc31620:
	s_add_u32 s14, s14, (.LBB2_5898-.Lpost_getpc31620)&4294967295
	s_addc_u32 s15, s15, (.LBB2_5898-.Lpost_getpc31620)>>32
	s_setpc_b64 s[14:15]
.LBB2_20236:
	v_mov_b32_e32 v12, 0
	v_cmp_ne_u16_sdwa s[8:9], v13, v12 src0_sel:BYTE_0 src1_sel:DWORD
	s_andn2_b64 s[4:5], s[4:5], exec
	s_and_b64 s[8:9], s[8:9], exec
	s_or_b64 s[4:5], s[4:5], s[8:9]
	s_or_b64 exec, exec, s[6:7]
	s_and_saveexec_b64 s[6:7], s[4:5]
	s_cbranch_execz .LBB2_31621
; %bb.56075:
	s_getpc_b64 s[14:15]
.Lpost_getpc31621:
	s_add_u32 s14, s14, (.LBB2_5899-.Lpost_getpc31621)&4294967295
	s_addc_u32 s15, s15, (.LBB2_5899-.Lpost_getpc31621)>>32
	s_setpc_b64 s[14:15]
.LBB2_31621:
	s_getpc_b64 s[14:15]
.Lpost_getpc19394:
	s_add_u32 s14, s14, (.LBB2_5900-.Lpost_getpc19394)&4294967295
	s_addc_u32 s15, s15, (.LBB2_5900-.Lpost_getpc19394)>>32
	s_setpc_b64 s[14:15]
.LBB2_20237:
	s_movk_i32 s4, 0x80
	v_cmp_eq_u16_sdwa s[12:13], v13, s4 src0_sel:BYTE_0 src1_sel:DWORD
	s_mov_b64 s[4:5], -1
                                        ; implicit-def: $sgpr10
	s_and_saveexec_b64 s[8:9], s[12:13]
; %bb.20238:
	s_mov_b32 s10, 0x7f800001
	s_xor_b64 s[4:5], exec, -1
; %bb.20239:
	s_or_b64 exec, exec, s[8:9]
	s_and_b64 s[4:5], s[4:5], exec
	s_or_saveexec_b64 s[6:7], s[6:7]
	v_mov_b32_e32 v14, s10
	s_xor_b64 exec, exec, s[6:7]
	s_cbranch_execnz .LBB2_20240
; %bb.56077:
	s_getpc_b64 s[14:15]
.Lpost_getpc31622:
	s_add_u32 s14, s14, (.LBB2_5902-.Lpost_getpc31622)&4294967295
	s_addc_u32 s15, s15, (.LBB2_5902-.Lpost_getpc31622)>>32
	s_setpc_b64 s[14:15]
.LBB2_20240:
	v_mov_b32_e32 v14, 0
	v_cmp_ne_u16_sdwa s[8:9], v13, v14 src0_sel:BYTE_0 src1_sel:DWORD
	s_andn2_b64 s[4:5], s[4:5], exec
	s_and_b64 s[8:9], s[8:9], exec
	s_or_b64 s[4:5], s[4:5], s[8:9]
	s_or_b64 exec, exec, s[6:7]
	s_and_saveexec_b64 s[6:7], s[4:5]
	s_cbranch_execz .LBB2_31623
; %bb.56079:
	s_getpc_b64 s[14:15]
.Lpost_getpc31623:
	s_add_u32 s14, s14, (.LBB2_5903-.Lpost_getpc31623)&4294967295
	s_addc_u32 s15, s15, (.LBB2_5903-.Lpost_getpc31623)>>32
	s_setpc_b64 s[14:15]
.LBB2_31623:
	s_getpc_b64 s[14:15]
.Lpost_getpc19395:
	s_add_u32 s14, s14, (.LBB2_5904-.Lpost_getpc19395)&4294967295
	s_addc_u32 s15, s15, (.LBB2_5904-.Lpost_getpc19395)>>32
	s_setpc_b64 s[14:15]
.LBB2_20241:
	s_movk_i32 s4, 0x80
	v_cmp_eq_u16_e32 vcc, s4, v13
	s_mov_b64 s[4:5], -1
                                        ; implicit-def: $sgpr10
	s_and_saveexec_b64 s[8:9], vcc
; %bb.20242:
	s_mov_b32 s10, 0x7f800001
	s_xor_b64 s[4:5], exec, -1
; %bb.20243:
	s_or_b64 exec, exec, s[8:9]
	s_and_b64 s[4:5], s[4:5], exec
                                        ; implicit-def: $vgpr13
	s_or_saveexec_b64 s[6:7], s[6:7]
	v_mov_b32_e32 v12, s10
	s_xor_b64 exec, exec, s[6:7]
	s_cbranch_execnz .LBB2_20244
; %bb.56081:
	s_getpc_b64 s[14:15]
.Lpost_getpc31624:
	s_add_u32 s14, s14, (.LBB2_5906-.Lpost_getpc31624)&4294967295
	s_addc_u32 s15, s15, (.LBB2_5906-.Lpost_getpc31624)>>32
	s_setpc_b64 s[14:15]
.LBB2_20244:
	v_cmp_ne_u16_e32 vcc, 0, v13
	s_andn2_b64 s[4:5], s[4:5], exec
	s_and_b64 s[8:9], vcc, exec
	v_mov_b32_e32 v12, 0
	s_or_b64 s[4:5], s[4:5], s[8:9]
	s_or_b64 exec, exec, s[6:7]
	s_and_saveexec_b64 s[6:7], s[4:5]
	s_cbranch_execz .LBB2_31625
; %bb.56083:
	s_getpc_b64 s[14:15]
.Lpost_getpc31625:
	s_add_u32 s14, s14, (.LBB2_5907-.Lpost_getpc31625)&4294967295
	s_addc_u32 s15, s15, (.LBB2_5907-.Lpost_getpc31625)>>32
	s_setpc_b64 s[14:15]
.LBB2_31625:
	s_getpc_b64 s[14:15]
.Lpost_getpc19396:
	s_add_u32 s14, s14, (.LBB2_5908-.Lpost_getpc19396)&4294967295
	s_addc_u32 s15, s15, (.LBB2_5908-.Lpost_getpc19396)>>32
	s_setpc_b64 s[14:15]
.LBB2_20245:
	s_movk_i32 s4, 0x80
	v_cmp_eq_u16_e32 vcc, s4, v13
	s_mov_b64 s[4:5], -1
                                        ; implicit-def: $sgpr10
	s_and_saveexec_b64 s[8:9], vcc
; %bb.20246:
	s_mov_b32 s10, 0x7f800001
	s_xor_b64 s[4:5], exec, -1
; %bb.20247:
	s_or_b64 exec, exec, s[8:9]
	s_and_b64 s[4:5], s[4:5], exec
                                        ; implicit-def: $vgpr13
	s_or_saveexec_b64 s[6:7], s[6:7]
	v_mov_b32_e32 v14, s10
	s_xor_b64 exec, exec, s[6:7]
	s_cbranch_execnz .LBB2_20248
; %bb.56085:
	s_getpc_b64 s[14:15]
.Lpost_getpc31626:
	s_add_u32 s14, s14, (.LBB2_5910-.Lpost_getpc31626)&4294967295
	s_addc_u32 s15, s15, (.LBB2_5910-.Lpost_getpc31626)>>32
	s_setpc_b64 s[14:15]
.LBB2_20248:
	v_cmp_ne_u16_e32 vcc, 0, v13
	s_andn2_b64 s[4:5], s[4:5], exec
	s_and_b64 s[8:9], vcc, exec
	v_mov_b32_e32 v14, 0
	s_or_b64 s[4:5], s[4:5], s[8:9]
	s_or_b64 exec, exec, s[6:7]
	s_and_saveexec_b64 s[6:7], s[4:5]
	s_cbranch_execz .LBB2_31627
; %bb.56087:
	s_getpc_b64 s[14:15]
.Lpost_getpc31627:
	s_add_u32 s14, s14, (.LBB2_5911-.Lpost_getpc31627)&4294967295
	s_addc_u32 s15, s15, (.LBB2_5911-.Lpost_getpc31627)>>32
	s_setpc_b64 s[14:15]
.LBB2_31627:
	s_getpc_b64 s[14:15]
.Lpost_getpc19397:
	s_add_u32 s14, s14, (.LBB2_5912-.Lpost_getpc19397)&4294967295
	s_addc_u32 s15, s15, (.LBB2_5912-.Lpost_getpc19397)>>32
	s_setpc_b64 s[14:15]
.LBB2_20249:
	s_movk_i32 s4, 0x80
	v_cmp_eq_u16_sdwa s[12:13], v6, s4 src0_sel:BYTE_3 src1_sel:DWORD
	s_mov_b64 s[4:5], -1
                                        ; implicit-def: $sgpr10
	s_and_saveexec_b64 s[8:9], s[12:13]
; %bb.20250:
	s_mov_b32 s10, 0x7f800001
	s_xor_b64 s[4:5], exec, -1
; %bb.20251:
	s_or_b64 exec, exec, s[8:9]
	s_and_b64 s[4:5], s[4:5], exec
	s_or_saveexec_b64 s[6:7], s[6:7]
	v_mov_b32_e32 v12, s10
	s_xor_b64 exec, exec, s[6:7]
	s_cbranch_execnz .LBB2_20252
; %bb.56089:
	s_getpc_b64 s[14:15]
.Lpost_getpc31628:
	s_add_u32 s14, s14, (.LBB2_5914-.Lpost_getpc31628)&4294967295
	s_addc_u32 s15, s15, (.LBB2_5914-.Lpost_getpc31628)>>32
	s_setpc_b64 s[14:15]
.LBB2_20252:
	v_mov_b32_e32 v12, 0
	v_cmp_ne_u16_sdwa s[8:9], v6, v12 src0_sel:BYTE_3 src1_sel:DWORD
	s_andn2_b64 s[4:5], s[4:5], exec
	s_and_b64 s[8:9], s[8:9], exec
	s_or_b64 s[4:5], s[4:5], s[8:9]
	s_or_b64 exec, exec, s[6:7]
	s_and_saveexec_b64 s[6:7], s[4:5]
	s_cbranch_execz .LBB2_31629
; %bb.56091:
	s_getpc_b64 s[14:15]
.Lpost_getpc31629:
	s_add_u32 s14, s14, (.LBB2_5915-.Lpost_getpc31629)&4294967295
	s_addc_u32 s15, s15, (.LBB2_5915-.Lpost_getpc31629)>>32
	s_setpc_b64 s[14:15]
.LBB2_31629:
	s_getpc_b64 s[14:15]
.Lpost_getpc19398:
	s_add_u32 s14, s14, (.LBB2_5916-.Lpost_getpc19398)&4294967295
	s_addc_u32 s15, s15, (.LBB2_5916-.Lpost_getpc19398)>>32
	s_setpc_b64 s[14:15]
.LBB2_20253:
	s_movk_i32 s4, 0x80
	v_cmp_eq_u16_sdwa s[12:13], v2, s4 src0_sel:BYTE_3 src1_sel:DWORD
	s_mov_b64 s[4:5], -1
                                        ; implicit-def: $sgpr10
	s_and_saveexec_b64 s[8:9], s[12:13]
; %bb.20254:
	s_mov_b32 s10, 0x7f800001
	s_xor_b64 s[4:5], exec, -1
; %bb.20255:
	s_or_b64 exec, exec, s[8:9]
	s_and_b64 s[4:5], s[4:5], exec
	s_or_saveexec_b64 s[6:7], s[6:7]
	v_mov_b32_e32 v6, s10
	s_xor_b64 exec, exec, s[6:7]
	s_cbranch_execnz .LBB2_20256
; %bb.56093:
	s_getpc_b64 s[14:15]
.Lpost_getpc31630:
	s_add_u32 s14, s14, (.LBB2_5918-.Lpost_getpc31630)&4294967295
	s_addc_u32 s15, s15, (.LBB2_5918-.Lpost_getpc31630)>>32
	s_setpc_b64 s[14:15]
.LBB2_20256:
	v_mov_b32_e32 v6, 0
	v_cmp_ne_u16_sdwa s[8:9], v2, v6 src0_sel:BYTE_3 src1_sel:DWORD
	s_andn2_b64 s[4:5], s[4:5], exec
	s_and_b64 s[8:9], s[8:9], exec
	s_or_b64 s[4:5], s[4:5], s[8:9]
	s_or_b64 exec, exec, s[6:7]
	s_and_saveexec_b64 s[6:7], s[4:5]
	s_cbranch_execz .LBB2_31631
; %bb.56095:
	s_getpc_b64 s[14:15]
.Lpost_getpc31631:
	s_add_u32 s14, s14, (.LBB2_5919-.Lpost_getpc31631)&4294967295
	s_addc_u32 s15, s15, (.LBB2_5919-.Lpost_getpc31631)>>32
	s_setpc_b64 s[14:15]
.LBB2_31631:
	s_getpc_b64 s[14:15]
.Lpost_getpc19399:
	s_add_u32 s14, s14, (.LBB2_5920-.Lpost_getpc19399)&4294967295
	s_addc_u32 s15, s15, (.LBB2_5920-.Lpost_getpc19399)>>32
	s_setpc_b64 s[14:15]
.LBB2_20257:
	s_movk_i32 s4, 0x80
	v_cmp_eq_u16_sdwa s[12:13], v7, s4 src0_sel:BYTE_0 src1_sel:DWORD
	s_mov_b64 s[4:5], -1
                                        ; implicit-def: $sgpr10
	s_and_saveexec_b64 s[8:9], s[12:13]
; %bb.20258:
	s_mov_b32 s10, 0x7f800001
	s_xor_b64 s[4:5], exec, -1
; %bb.20259:
	s_or_b64 exec, exec, s[8:9]
	s_and_b64 s[4:5], s[4:5], exec
	s_or_saveexec_b64 s[6:7], s[6:7]
	v_mov_b32_e32 v2, s10
	s_xor_b64 exec, exec, s[6:7]
	s_cbranch_execnz .LBB2_20260
; %bb.56097:
	s_getpc_b64 s[14:15]
.Lpost_getpc31632:
	s_add_u32 s14, s14, (.LBB2_5922-.Lpost_getpc31632)&4294967295
	s_addc_u32 s15, s15, (.LBB2_5922-.Lpost_getpc31632)>>32
	s_setpc_b64 s[14:15]
.LBB2_20260:
	v_mov_b32_e32 v2, 0
	v_cmp_ne_u16_sdwa s[8:9], v7, v2 src0_sel:BYTE_0 src1_sel:DWORD
	s_andn2_b64 s[4:5], s[4:5], exec
	s_and_b64 s[8:9], s[8:9], exec
	s_or_b64 s[4:5], s[4:5], s[8:9]
	s_or_b64 exec, exec, s[6:7]
	s_and_saveexec_b64 s[6:7], s[4:5]
	s_cbranch_execz .LBB2_31633
; %bb.56099:
	s_getpc_b64 s[14:15]
.Lpost_getpc31633:
	s_add_u32 s14, s14, (.LBB2_5923-.Lpost_getpc31633)&4294967295
	s_addc_u32 s15, s15, (.LBB2_5923-.Lpost_getpc31633)>>32
	s_setpc_b64 s[14:15]
.LBB2_31633:
	s_getpc_b64 s[14:15]
.Lpost_getpc19400:
	s_add_u32 s14, s14, (.LBB2_5924-.Lpost_getpc19400)&4294967295
	s_addc_u32 s15, s15, (.LBB2_5924-.Lpost_getpc19400)>>32
	s_setpc_b64 s[14:15]
.LBB2_20261:
	s_movk_i32 s4, 0x80
	v_cmp_eq_u16_sdwa s[12:13], v3, s4 src0_sel:BYTE_0 src1_sel:DWORD
	s_mov_b64 s[4:5], -1
                                        ; implicit-def: $sgpr10
	s_and_saveexec_b64 s[8:9], s[12:13]
; %bb.20262:
	s_mov_b32 s10, 0x7f800001
	s_xor_b64 s[4:5], exec, -1
; %bb.20263:
	s_or_b64 exec, exec, s[8:9]
	s_and_b64 s[4:5], s[4:5], exec
	s_or_saveexec_b64 s[6:7], s[6:7]
	v_mov_b32_e32 v6, s10
	s_xor_b64 exec, exec, s[6:7]
	s_cbranch_execnz .LBB2_20264
; %bb.56101:
	s_getpc_b64 s[14:15]
.Lpost_getpc31634:
	s_add_u32 s14, s14, (.LBB2_5926-.Lpost_getpc31634)&4294967295
	s_addc_u32 s15, s15, (.LBB2_5926-.Lpost_getpc31634)>>32
	s_setpc_b64 s[14:15]
.LBB2_20264:
	v_mov_b32_e32 v6, 0
	v_cmp_ne_u16_sdwa s[8:9], v3, v6 src0_sel:BYTE_0 src1_sel:DWORD
	s_andn2_b64 s[4:5], s[4:5], exec
	s_and_b64 s[8:9], s[8:9], exec
	s_or_b64 s[4:5], s[4:5], s[8:9]
	s_or_b64 exec, exec, s[6:7]
	s_and_saveexec_b64 s[6:7], s[4:5]
	s_cbranch_execz .LBB2_31635
; %bb.56103:
	s_getpc_b64 s[14:15]
.Lpost_getpc31635:
	s_add_u32 s14, s14, (.LBB2_5927-.Lpost_getpc31635)&4294967295
	s_addc_u32 s15, s15, (.LBB2_5927-.Lpost_getpc31635)>>32
	s_setpc_b64 s[14:15]
.LBB2_31635:
	s_getpc_b64 s[14:15]
.Lpost_getpc19401:
	s_add_u32 s14, s14, (.LBB2_5928-.Lpost_getpc19401)&4294967295
	s_addc_u32 s15, s15, (.LBB2_5928-.Lpost_getpc19401)>>32
	s_setpc_b64 s[14:15]
.LBB2_20265:
	s_movk_i32 s4, 0x80
	v_cmp_eq_u16_sdwa s[12:13], v6, s4 src0_sel:BYTE_0 src1_sel:DWORD
	s_mov_b64 s[4:5], -1
                                        ; implicit-def: $sgpr10
	s_and_saveexec_b64 s[8:9], s[12:13]
; %bb.20266:
	s_mov_b32 s10, 0x7f800001
	s_xor_b64 s[4:5], exec, -1
; %bb.20267:
	s_or_b64 exec, exec, s[8:9]
	s_and_b64 s[4:5], s[4:5], exec
	s_or_saveexec_b64 s[6:7], s[6:7]
	v_mov_b32_e32 v2, s10
	s_xor_b64 exec, exec, s[6:7]
	s_cbranch_execnz .LBB2_20268
; %bb.56105:
	s_getpc_b64 s[14:15]
.Lpost_getpc31636:
	s_add_u32 s14, s14, (.LBB2_5930-.Lpost_getpc31636)&4294967295
	s_addc_u32 s15, s15, (.LBB2_5930-.Lpost_getpc31636)>>32
	s_setpc_b64 s[14:15]
.LBB2_20268:
	v_mov_b32_e32 v2, 0
	v_cmp_ne_u16_sdwa s[8:9], v6, v2 src0_sel:BYTE_0 src1_sel:DWORD
	s_andn2_b64 s[4:5], s[4:5], exec
	s_and_b64 s[8:9], s[8:9], exec
	s_or_b64 s[4:5], s[4:5], s[8:9]
	s_or_b64 exec, exec, s[6:7]
	s_and_saveexec_b64 s[6:7], s[4:5]
	s_cbranch_execz .LBB2_31637
; %bb.56107:
	s_getpc_b64 s[14:15]
.Lpost_getpc31637:
	s_add_u32 s14, s14, (.LBB2_5931-.Lpost_getpc31637)&4294967295
	s_addc_u32 s15, s15, (.LBB2_5931-.Lpost_getpc31637)>>32
	s_setpc_b64 s[14:15]
.LBB2_31637:
	s_getpc_b64 s[14:15]
.Lpost_getpc19402:
	s_add_u32 s14, s14, (.LBB2_5932-.Lpost_getpc19402)&4294967295
	s_addc_u32 s15, s15, (.LBB2_5932-.Lpost_getpc19402)>>32
	s_setpc_b64 s[14:15]
.LBB2_20269:
	s_movk_i32 s4, 0x80
	v_cmp_eq_u16_sdwa s[12:13], v6, s4 src0_sel:BYTE_0 src1_sel:DWORD
	s_mov_b64 s[4:5], -1
                                        ; implicit-def: $sgpr10
	s_and_saveexec_b64 s[8:9], s[12:13]
; %bb.20270:
	s_mov_b32 s10, 0x7f800001
	s_xor_b64 s[4:5], exec, -1
; %bb.20271:
	s_or_b64 exec, exec, s[8:9]
	s_and_b64 s[4:5], s[4:5], exec
	s_or_saveexec_b64 s[6:7], s[6:7]
	v_mov_b32_e32 v12, s10
	s_xor_b64 exec, exec, s[6:7]
	s_cbranch_execnz .LBB2_20272
; %bb.56109:
	s_getpc_b64 s[14:15]
.Lpost_getpc31638:
	s_add_u32 s14, s14, (.LBB2_5934-.Lpost_getpc31638)&4294967295
	s_addc_u32 s15, s15, (.LBB2_5934-.Lpost_getpc31638)>>32
	s_setpc_b64 s[14:15]
.LBB2_20272:
	v_mov_b32_e32 v12, 0
	v_cmp_ne_u16_sdwa s[8:9], v6, v12 src0_sel:BYTE_0 src1_sel:DWORD
	s_andn2_b64 s[4:5], s[4:5], exec
	s_and_b64 s[8:9], s[8:9], exec
	s_or_b64 s[4:5], s[4:5], s[8:9]
	s_or_b64 exec, exec, s[6:7]
	s_and_saveexec_b64 s[6:7], s[4:5]
	s_cbranch_execz .LBB2_31639
; %bb.56111:
	s_getpc_b64 s[14:15]
.Lpost_getpc31639:
	s_add_u32 s14, s14, (.LBB2_5935-.Lpost_getpc31639)&4294967295
	s_addc_u32 s15, s15, (.LBB2_5935-.Lpost_getpc31639)>>32
	s_setpc_b64 s[14:15]
.LBB2_31639:
	s_getpc_b64 s[14:15]
.Lpost_getpc19403:
	s_add_u32 s14, s14, (.LBB2_5936-.Lpost_getpc19403)&4294967295
	s_addc_u32 s15, s15, (.LBB2_5936-.Lpost_getpc19403)>>32
	s_setpc_b64 s[14:15]
.LBB2_20273:
	s_movk_i32 s4, 0x80
	v_cmp_eq_u16_e32 vcc, s4, v6
	s_mov_b64 s[4:5], -1
                                        ; implicit-def: $sgpr10
	s_and_saveexec_b64 s[8:9], vcc
; %bb.20274:
	s_mov_b32 s10, 0x7f800001
	s_xor_b64 s[4:5], exec, -1
; %bb.20275:
	s_or_b64 exec, exec, s[8:9]
	s_and_b64 s[4:5], s[4:5], exec
                                        ; implicit-def: $vgpr6
	s_or_saveexec_b64 s[6:7], s[6:7]
	v_mov_b32_e32 v2, s10
	s_xor_b64 exec, exec, s[6:7]
	s_cbranch_execnz .LBB2_20276
; %bb.56113:
	s_getpc_b64 s[14:15]
.Lpost_getpc31640:
	s_add_u32 s14, s14, (.LBB2_5938-.Lpost_getpc31640)&4294967295
	s_addc_u32 s15, s15, (.LBB2_5938-.Lpost_getpc31640)>>32
	s_setpc_b64 s[14:15]
.LBB2_20276:
	v_cmp_ne_u16_e32 vcc, 0, v6
	s_andn2_b64 s[4:5], s[4:5], exec
	s_and_b64 s[8:9], vcc, exec
	v_mov_b32_e32 v2, 0
	s_or_b64 s[4:5], s[4:5], s[8:9]
	s_or_b64 exec, exec, s[6:7]
	s_and_saveexec_b64 s[6:7], s[4:5]
	s_cbranch_execz .LBB2_31641
; %bb.56115:
	s_getpc_b64 s[14:15]
.Lpost_getpc31641:
	s_add_u32 s14, s14, (.LBB2_5939-.Lpost_getpc31641)&4294967295
	s_addc_u32 s15, s15, (.LBB2_5939-.Lpost_getpc31641)>>32
	s_setpc_b64 s[14:15]
.LBB2_31641:
	s_getpc_b64 s[14:15]
.Lpost_getpc19404:
	s_add_u32 s14, s14, (.LBB2_5940-.Lpost_getpc19404)&4294967295
	s_addc_u32 s15, s15, (.LBB2_5940-.Lpost_getpc19404)>>32
	s_setpc_b64 s[14:15]
.LBB2_20277:
	s_movk_i32 s4, 0x80
	v_cmp_eq_u16_e32 vcc, s4, v6
	s_mov_b64 s[4:5], -1
                                        ; implicit-def: $sgpr10
	s_and_saveexec_b64 s[8:9], vcc
; %bb.20278:
	s_mov_b32 s10, 0x7f800001
	s_xor_b64 s[4:5], exec, -1
; %bb.20279:
	s_or_b64 exec, exec, s[8:9]
	s_and_b64 s[4:5], s[4:5], exec
                                        ; implicit-def: $vgpr6
	s_or_saveexec_b64 s[6:7], s[6:7]
	v_mov_b32_e32 v12, s10
	s_xor_b64 exec, exec, s[6:7]
	s_cbranch_execnz .LBB2_20280
; %bb.56117:
	s_getpc_b64 s[14:15]
.Lpost_getpc31642:
	s_add_u32 s14, s14, (.LBB2_5942-.Lpost_getpc31642)&4294967295
	s_addc_u32 s15, s15, (.LBB2_5942-.Lpost_getpc31642)>>32
	s_setpc_b64 s[14:15]
.LBB2_20280:
	v_cmp_ne_u16_e32 vcc, 0, v6
	s_andn2_b64 s[4:5], s[4:5], exec
	s_and_b64 s[8:9], vcc, exec
	v_mov_b32_e32 v12, 0
	s_or_b64 s[4:5], s[4:5], s[8:9]
	s_or_b64 exec, exec, s[6:7]
	s_and_saveexec_b64 s[6:7], s[4:5]
	s_cbranch_execz .LBB2_31643
; %bb.56119:
	s_getpc_b64 s[14:15]
.Lpost_getpc31643:
	s_add_u32 s14, s14, (.LBB2_5943-.Lpost_getpc31643)&4294967295
	s_addc_u32 s15, s15, (.LBB2_5943-.Lpost_getpc31643)>>32
	s_setpc_b64 s[14:15]
.LBB2_31643:
	s_getpc_b64 s[14:15]
.Lpost_getpc19405:
	s_add_u32 s14, s14, (.LBB2_5944-.Lpost_getpc19405)&4294967295
	s_addc_u32 s15, s15, (.LBB2_5944-.Lpost_getpc19405)>>32
	s_setpc_b64 s[14:15]
.LBB2_20281:
	s_movk_i32 s4, 0x80
	v_cmp_eq_u16_sdwa s[12:13], v7, s4 src0_sel:BYTE_3 src1_sel:DWORD
	s_mov_b64 s[4:5], -1
                                        ; implicit-def: $sgpr10
	s_and_saveexec_b64 s[8:9], s[12:13]
; %bb.20282:
	s_mov_b32 s10, 0x7f800001
	s_xor_b64 s[4:5], exec, -1
; %bb.20283:
	s_or_b64 exec, exec, s[8:9]
	s_and_b64 s[4:5], s[4:5], exec
	s_or_saveexec_b64 s[6:7], s[6:7]
	v_mov_b32_e32 v2, s10
	s_xor_b64 exec, exec, s[6:7]
	s_cbranch_execnz .LBB2_20284
; %bb.56121:
	s_getpc_b64 s[14:15]
.Lpost_getpc31644:
	s_add_u32 s14, s14, (.LBB2_5946-.Lpost_getpc31644)&4294967295
	s_addc_u32 s15, s15, (.LBB2_5946-.Lpost_getpc31644)>>32
	s_setpc_b64 s[14:15]
.LBB2_20284:
	v_mov_b32_e32 v2, 0
	v_cmp_ne_u16_sdwa s[8:9], v7, v2 src0_sel:BYTE_3 src1_sel:DWORD
	s_andn2_b64 s[4:5], s[4:5], exec
	s_and_b64 s[8:9], s[8:9], exec
	s_or_b64 s[4:5], s[4:5], s[8:9]
	s_or_b64 exec, exec, s[6:7]
	s_and_saveexec_b64 s[6:7], s[4:5]
	s_cbranch_execz .LBB2_31645
; %bb.56123:
	s_getpc_b64 s[14:15]
.Lpost_getpc31645:
	s_add_u32 s14, s14, (.LBB2_5947-.Lpost_getpc31645)&4294967295
	s_addc_u32 s15, s15, (.LBB2_5947-.Lpost_getpc31645)>>32
	s_setpc_b64 s[14:15]
.LBB2_31645:
	s_getpc_b64 s[14:15]
.Lpost_getpc19406:
	s_add_u32 s14, s14, (.LBB2_5948-.Lpost_getpc19406)&4294967295
	s_addc_u32 s15, s15, (.LBB2_5948-.Lpost_getpc19406)>>32
	s_setpc_b64 s[14:15]
.LBB2_20285:
	s_movk_i32 s4, 0x80
	v_cmp_eq_u16_sdwa s[12:13], v3, s4 src0_sel:BYTE_3 src1_sel:DWORD
	s_mov_b64 s[4:5], -1
                                        ; implicit-def: $sgpr10
	s_and_saveexec_b64 s[8:9], s[12:13]
; %bb.20286:
	s_mov_b32 s10, 0x7f800001
	s_xor_b64 s[4:5], exec, -1
; %bb.20287:
	s_or_b64 exec, exec, s[8:9]
	s_and_b64 s[4:5], s[4:5], exec
	s_or_saveexec_b64 s[6:7], s[6:7]
	v_mov_b32_e32 v6, s10
	s_xor_b64 exec, exec, s[6:7]
	s_cbranch_execnz .LBB2_20288
; %bb.56125:
	s_getpc_b64 s[14:15]
.Lpost_getpc31646:
	s_add_u32 s14, s14, (.LBB2_5950-.Lpost_getpc31646)&4294967295
	s_addc_u32 s15, s15, (.LBB2_5950-.Lpost_getpc31646)>>32
	s_setpc_b64 s[14:15]
.LBB2_20288:
	v_mov_b32_e32 v6, 0
	v_cmp_ne_u16_sdwa s[8:9], v3, v6 src0_sel:BYTE_3 src1_sel:DWORD
	s_andn2_b64 s[4:5], s[4:5], exec
	s_and_b64 s[8:9], s[8:9], exec
	s_or_b64 s[4:5], s[4:5], s[8:9]
	s_or_b64 exec, exec, s[6:7]
	s_and_saveexec_b64 s[6:7], s[4:5]
	s_cbranch_execz .LBB2_31647
; %bb.56127:
	s_getpc_b64 s[14:15]
.Lpost_getpc31647:
	s_add_u32 s14, s14, (.LBB2_5951-.Lpost_getpc31647)&4294967295
	s_addc_u32 s15, s15, (.LBB2_5951-.Lpost_getpc31647)>>32
	s_setpc_b64 s[14:15]
.LBB2_31647:
	s_getpc_b64 s[14:15]
.Lpost_getpc19407:
	s_add_u32 s14, s14, (.LBB2_5952-.Lpost_getpc19407)&4294967295
	s_addc_u32 s15, s15, (.LBB2_5952-.Lpost_getpc19407)>>32
	s_setpc_b64 s[14:15]
.LBB2_20289:
	s_movk_i32 s4, 0x80
	v_cmp_eq_u16_sdwa s[12:13], v8, s4 src0_sel:BYTE_0 src1_sel:DWORD
	s_mov_b64 s[4:5], -1
                                        ; implicit-def: $sgpr10
	s_and_saveexec_b64 s[8:9], s[12:13]
; %bb.20290:
	s_mov_b32 s10, 0x7f800001
	s_xor_b64 s[4:5], exec, -1
; %bb.20291:
	s_or_b64 exec, exec, s[8:9]
	s_and_b64 s[4:5], s[4:5], exec
	s_or_saveexec_b64 s[6:7], s[6:7]
	v_mov_b32_e32 v2, s10
	s_xor_b64 exec, exec, s[6:7]
	s_cbranch_execnz .LBB2_20292
; %bb.56129:
	s_getpc_b64 s[14:15]
.Lpost_getpc31648:
	s_add_u32 s14, s14, (.LBB2_5954-.Lpost_getpc31648)&4294967295
	s_addc_u32 s15, s15, (.LBB2_5954-.Lpost_getpc31648)>>32
	s_setpc_b64 s[14:15]
.LBB2_20292:
	v_mov_b32_e32 v2, 0
	v_cmp_ne_u16_sdwa s[8:9], v8, v2 src0_sel:BYTE_0 src1_sel:DWORD
	s_andn2_b64 s[4:5], s[4:5], exec
	s_and_b64 s[8:9], s[8:9], exec
	s_or_b64 s[4:5], s[4:5], s[8:9]
	s_or_b64 exec, exec, s[6:7]
	s_and_saveexec_b64 s[6:7], s[4:5]
	s_cbranch_execz .LBB2_31649
; %bb.56131:
	s_getpc_b64 s[14:15]
.Lpost_getpc31649:
	s_add_u32 s14, s14, (.LBB2_5955-.Lpost_getpc31649)&4294967295
	s_addc_u32 s15, s15, (.LBB2_5955-.Lpost_getpc31649)>>32
	s_setpc_b64 s[14:15]
.LBB2_31649:
	s_getpc_b64 s[14:15]
.Lpost_getpc19408:
	s_add_u32 s14, s14, (.LBB2_5956-.Lpost_getpc19408)&4294967295
	s_addc_u32 s15, s15, (.LBB2_5956-.Lpost_getpc19408)>>32
	s_setpc_b64 s[14:15]
.LBB2_20293:
	s_movk_i32 s4, 0x80
	v_cmp_eq_u16_sdwa s[12:13], v4, s4 src0_sel:BYTE_0 src1_sel:DWORD
	s_mov_b64 s[4:5], -1
                                        ; implicit-def: $sgpr10
	s_and_saveexec_b64 s[8:9], s[12:13]
; %bb.20294:
	s_mov_b32 s10, 0x7f800001
	s_xor_b64 s[4:5], exec, -1
; %bb.20295:
	s_or_b64 exec, exec, s[8:9]
	s_and_b64 s[4:5], s[4:5], exec
	s_or_saveexec_b64 s[6:7], s[6:7]
	v_mov_b32_e32 v3, s10
	s_xor_b64 exec, exec, s[6:7]
	s_cbranch_execnz .LBB2_20296
; %bb.56133:
	s_getpc_b64 s[14:15]
.Lpost_getpc31650:
	s_add_u32 s14, s14, (.LBB2_5958-.Lpost_getpc31650)&4294967295
	s_addc_u32 s15, s15, (.LBB2_5958-.Lpost_getpc31650)>>32
	s_setpc_b64 s[14:15]
.LBB2_20296:
	v_mov_b32_e32 v3, 0
	v_cmp_ne_u16_sdwa s[8:9], v4, v3 src0_sel:BYTE_0 src1_sel:DWORD
	s_andn2_b64 s[4:5], s[4:5], exec
	s_and_b64 s[8:9], s[8:9], exec
	s_or_b64 s[4:5], s[4:5], s[8:9]
	s_or_b64 exec, exec, s[6:7]
	s_and_saveexec_b64 s[6:7], s[4:5]
	s_cbranch_execz .LBB2_31651
; %bb.56135:
	s_getpc_b64 s[14:15]
.Lpost_getpc31651:
	s_add_u32 s14, s14, (.LBB2_5959-.Lpost_getpc31651)&4294967295
	s_addc_u32 s15, s15, (.LBB2_5959-.Lpost_getpc31651)>>32
	s_setpc_b64 s[14:15]
.LBB2_31651:
	s_getpc_b64 s[14:15]
.Lpost_getpc19409:
	s_add_u32 s14, s14, (.LBB2_5960-.Lpost_getpc19409)&4294967295
	s_addc_u32 s15, s15, (.LBB2_5960-.Lpost_getpc19409)>>32
	s_setpc_b64 s[14:15]
.LBB2_20297:
	s_movk_i32 s4, 0x80
	v_cmp_eq_u16_sdwa s[12:13], v3, s4 src0_sel:BYTE_0 src1_sel:DWORD
	s_mov_b64 s[4:5], -1
                                        ; implicit-def: $sgpr10
	s_and_saveexec_b64 s[8:9], s[12:13]
; %bb.20298:
	s_mov_b32 s10, 0x7f800001
	s_xor_b64 s[4:5], exec, -1
; %bb.20299:
	s_or_b64 exec, exec, s[8:9]
	s_and_b64 s[4:5], s[4:5], exec
	s_or_saveexec_b64 s[6:7], s[6:7]
	v_mov_b32_e32 v2, s10
	s_xor_b64 exec, exec, s[6:7]
	s_cbranch_execnz .LBB2_20300
; %bb.56137:
	s_getpc_b64 s[14:15]
.Lpost_getpc31652:
	s_add_u32 s14, s14, (.LBB2_5962-.Lpost_getpc31652)&4294967295
	s_addc_u32 s15, s15, (.LBB2_5962-.Lpost_getpc31652)>>32
	s_setpc_b64 s[14:15]
.LBB2_20300:
	v_mov_b32_e32 v2, 0
	v_cmp_ne_u16_sdwa s[8:9], v3, v2 src0_sel:BYTE_0 src1_sel:DWORD
	s_andn2_b64 s[4:5], s[4:5], exec
	s_and_b64 s[8:9], s[8:9], exec
	s_or_b64 s[4:5], s[4:5], s[8:9]
	s_or_b64 exec, exec, s[6:7]
	s_and_saveexec_b64 s[6:7], s[4:5]
	s_cbranch_execz .LBB2_31653
; %bb.56139:
	s_getpc_b64 s[14:15]
.Lpost_getpc31653:
	s_add_u32 s14, s14, (.LBB2_5963-.Lpost_getpc31653)&4294967295
	s_addc_u32 s15, s15, (.LBB2_5963-.Lpost_getpc31653)>>32
	s_setpc_b64 s[14:15]
.LBB2_31653:
	s_getpc_b64 s[14:15]
.Lpost_getpc19410:
	s_add_u32 s14, s14, (.LBB2_5964-.Lpost_getpc19410)&4294967295
	s_addc_u32 s15, s15, (.LBB2_5964-.Lpost_getpc19410)>>32
	s_setpc_b64 s[14:15]
.LBB2_20301:
	s_movk_i32 s4, 0x80
	v_cmp_eq_u16_sdwa s[12:13], v3, s4 src0_sel:BYTE_0 src1_sel:DWORD
	s_mov_b64 s[4:5], -1
                                        ; implicit-def: $sgpr10
	s_and_saveexec_b64 s[8:9], s[12:13]
; %bb.20302:
	s_mov_b32 s10, 0x7f800001
	s_xor_b64 s[4:5], exec, -1
; %bb.20303:
	s_or_b64 exec, exec, s[8:9]
	s_and_b64 s[4:5], s[4:5], exec
	s_or_saveexec_b64 s[6:7], s[6:7]
	v_mov_b32_e32 v6, s10
	s_xor_b64 exec, exec, s[6:7]
	s_cbranch_execnz .LBB2_20304
; %bb.56141:
	s_getpc_b64 s[14:15]
.Lpost_getpc31654:
	s_add_u32 s14, s14, (.LBB2_5966-.Lpost_getpc31654)&4294967295
	s_addc_u32 s15, s15, (.LBB2_5966-.Lpost_getpc31654)>>32
	s_setpc_b64 s[14:15]
.LBB2_20304:
	v_mov_b32_e32 v6, 0
	v_cmp_ne_u16_sdwa s[8:9], v3, v6 src0_sel:BYTE_0 src1_sel:DWORD
	s_andn2_b64 s[4:5], s[4:5], exec
	s_and_b64 s[8:9], s[8:9], exec
	s_or_b64 s[4:5], s[4:5], s[8:9]
	s_or_b64 exec, exec, s[6:7]
	s_and_saveexec_b64 s[6:7], s[4:5]
	s_cbranch_execz .LBB2_31655
; %bb.56143:
	s_getpc_b64 s[14:15]
.Lpost_getpc31655:
	s_add_u32 s14, s14, (.LBB2_5967-.Lpost_getpc31655)&4294967295
	s_addc_u32 s15, s15, (.LBB2_5967-.Lpost_getpc31655)>>32
	s_setpc_b64 s[14:15]
.LBB2_31655:
	s_getpc_b64 s[14:15]
.Lpost_getpc19411:
	s_add_u32 s14, s14, (.LBB2_5968-.Lpost_getpc19411)&4294967295
	s_addc_u32 s15, s15, (.LBB2_5968-.Lpost_getpc19411)>>32
	s_setpc_b64 s[14:15]
.LBB2_20305:
	s_movk_i32 s4, 0x80
	v_cmp_eq_u16_e32 vcc, s4, v3
	s_mov_b64 s[4:5], -1
                                        ; implicit-def: $sgpr10
	s_and_saveexec_b64 s[8:9], vcc
; %bb.20306:
	s_mov_b32 s10, 0x7f800001
	s_xor_b64 s[4:5], exec, -1
; %bb.20307:
	s_or_b64 exec, exec, s[8:9]
	s_and_b64 s[4:5], s[4:5], exec
                                        ; implicit-def: $vgpr3
	s_or_saveexec_b64 s[6:7], s[6:7]
	v_mov_b32_e32 v2, s10
	s_xor_b64 exec, exec, s[6:7]
	s_cbranch_execnz .LBB2_20308
; %bb.56145:
	s_getpc_b64 s[14:15]
.Lpost_getpc31656:
	s_add_u32 s14, s14, (.LBB2_5970-.Lpost_getpc31656)&4294967295
	s_addc_u32 s15, s15, (.LBB2_5970-.Lpost_getpc31656)>>32
	s_setpc_b64 s[14:15]
.LBB2_20308:
	v_cmp_ne_u16_e32 vcc, 0, v3
	s_andn2_b64 s[4:5], s[4:5], exec
	s_and_b64 s[8:9], vcc, exec
	v_mov_b32_e32 v2, 0
	s_or_b64 s[4:5], s[4:5], s[8:9]
	s_or_b64 exec, exec, s[6:7]
	s_and_saveexec_b64 s[6:7], s[4:5]
	s_cbranch_execz .LBB2_31657
; %bb.56147:
	s_getpc_b64 s[14:15]
.Lpost_getpc31657:
	s_add_u32 s14, s14, (.LBB2_5971-.Lpost_getpc31657)&4294967295
	s_addc_u32 s15, s15, (.LBB2_5971-.Lpost_getpc31657)>>32
	s_setpc_b64 s[14:15]
.LBB2_31657:
	s_getpc_b64 s[14:15]
.Lpost_getpc19412:
	s_add_u32 s14, s14, (.LBB2_5972-.Lpost_getpc19412)&4294967295
	s_addc_u32 s15, s15, (.LBB2_5972-.Lpost_getpc19412)>>32
	s_setpc_b64 s[14:15]
.LBB2_20309:
	s_movk_i32 s4, 0x80
	v_cmp_eq_u16_e32 vcc, s4, v3
	s_mov_b64 s[4:5], -1
                                        ; implicit-def: $sgpr10
	s_and_saveexec_b64 s[8:9], vcc
; %bb.20310:
	s_mov_b32 s10, 0x7f800001
	s_xor_b64 s[4:5], exec, -1
; %bb.20311:
	s_or_b64 exec, exec, s[8:9]
	s_and_b64 s[4:5], s[4:5], exec
                                        ; implicit-def: $vgpr3
	s_or_saveexec_b64 s[6:7], s[6:7]
	v_mov_b32_e32 v6, s10
	s_xor_b64 exec, exec, s[6:7]
	s_cbranch_execnz .LBB2_20312
; %bb.56149:
	s_getpc_b64 s[14:15]
.Lpost_getpc31658:
	s_add_u32 s14, s14, (.LBB2_5974-.Lpost_getpc31658)&4294967295
	s_addc_u32 s15, s15, (.LBB2_5974-.Lpost_getpc31658)>>32
	s_setpc_b64 s[14:15]
.LBB2_20312:
	v_cmp_ne_u16_e32 vcc, 0, v3
	s_andn2_b64 s[4:5], s[4:5], exec
	s_and_b64 s[8:9], vcc, exec
	v_mov_b32_e32 v6, 0
	s_or_b64 s[4:5], s[4:5], s[8:9]
	s_or_b64 exec, exec, s[6:7]
	s_and_saveexec_b64 s[6:7], s[4:5]
	s_cbranch_execz .LBB2_31659
; %bb.56151:
	s_getpc_b64 s[14:15]
.Lpost_getpc31659:
	s_add_u32 s14, s14, (.LBB2_5975-.Lpost_getpc31659)&4294967295
	s_addc_u32 s15, s15, (.LBB2_5975-.Lpost_getpc31659)>>32
	s_setpc_b64 s[14:15]
.LBB2_31659:
	s_getpc_b64 s[14:15]
.Lpost_getpc19413:
	s_add_u32 s14, s14, (.LBB2_5976-.Lpost_getpc19413)&4294967295
	s_addc_u32 s15, s15, (.LBB2_5976-.Lpost_getpc19413)>>32
	s_setpc_b64 s[14:15]
.LBB2_20313:
	s_movk_i32 s4, 0x80
	v_cmp_eq_u16_sdwa s[12:13], v8, s4 src0_sel:BYTE_3 src1_sel:DWORD
	s_mov_b64 s[4:5], -1
                                        ; implicit-def: $sgpr10
	s_and_saveexec_b64 s[8:9], s[12:13]
; %bb.20314:
	s_mov_b32 s10, 0x7f800001
	s_xor_b64 s[4:5], exec, -1
; %bb.20315:
	s_or_b64 exec, exec, s[8:9]
	s_and_b64 s[4:5], s[4:5], exec
	s_or_saveexec_b64 s[6:7], s[6:7]
	v_mov_b32_e32 v2, s10
	s_xor_b64 exec, exec, s[6:7]
	s_cbranch_execnz .LBB2_20316
; %bb.56153:
	s_getpc_b64 s[14:15]
.Lpost_getpc31660:
	s_add_u32 s14, s14, (.LBB2_5978-.Lpost_getpc31660)&4294967295
	s_addc_u32 s15, s15, (.LBB2_5978-.Lpost_getpc31660)>>32
	s_setpc_b64 s[14:15]
.LBB2_20316:
	v_mov_b32_e32 v2, 0
	v_cmp_ne_u16_sdwa s[8:9], v8, v2 src0_sel:BYTE_3 src1_sel:DWORD
	s_andn2_b64 s[4:5], s[4:5], exec
	s_and_b64 s[8:9], s[8:9], exec
	s_or_b64 s[4:5], s[4:5], s[8:9]
	s_or_b64 exec, exec, s[6:7]
	s_and_saveexec_b64 s[6:7], s[4:5]
	s_cbranch_execz .LBB2_31661
; %bb.56155:
	s_getpc_b64 s[14:15]
.Lpost_getpc31661:
	s_add_u32 s14, s14, (.LBB2_5979-.Lpost_getpc31661)&4294967295
	s_addc_u32 s15, s15, (.LBB2_5979-.Lpost_getpc31661)>>32
	s_setpc_b64 s[14:15]
.LBB2_31661:
	s_getpc_b64 s[14:15]
.Lpost_getpc19414:
	s_add_u32 s14, s14, (.LBB2_5980-.Lpost_getpc19414)&4294967295
	s_addc_u32 s15, s15, (.LBB2_5980-.Lpost_getpc19414)>>32
	s_setpc_b64 s[14:15]
.LBB2_20317:
	s_movk_i32 s4, 0x80
	v_cmp_eq_u16_sdwa s[12:13], v4, s4 src0_sel:BYTE_3 src1_sel:DWORD
	s_mov_b64 s[4:5], -1
                                        ; implicit-def: $sgpr10
	s_and_saveexec_b64 s[8:9], s[12:13]
; %bb.20318:
	s_mov_b32 s10, 0x7f800001
	s_xor_b64 s[4:5], exec, -1
; %bb.20319:
	s_or_b64 exec, exec, s[8:9]
	s_and_b64 s[4:5], s[4:5], exec
	s_or_saveexec_b64 s[6:7], s[6:7]
	v_mov_b32_e32 v3, s10
	s_xor_b64 exec, exec, s[6:7]
	s_cbranch_execnz .LBB2_20320
; %bb.56157:
	s_getpc_b64 s[14:15]
.Lpost_getpc31662:
	s_add_u32 s14, s14, (.LBB2_5982-.Lpost_getpc31662)&4294967295
	s_addc_u32 s15, s15, (.LBB2_5982-.Lpost_getpc31662)>>32
	s_setpc_b64 s[14:15]
.LBB2_20320:
	v_mov_b32_e32 v3, 0
	v_cmp_ne_u16_sdwa s[8:9], v4, v3 src0_sel:BYTE_3 src1_sel:DWORD
	s_andn2_b64 s[4:5], s[4:5], exec
	s_and_b64 s[8:9], s[8:9], exec
	s_or_b64 s[4:5], s[4:5], s[8:9]
	s_or_b64 exec, exec, s[6:7]
	s_and_saveexec_b64 s[6:7], s[4:5]
	s_cbranch_execz .LBB2_31663
; %bb.56159:
	s_getpc_b64 s[14:15]
.Lpost_getpc31663:
	s_add_u32 s14, s14, (.LBB2_5983-.Lpost_getpc31663)&4294967295
	s_addc_u32 s15, s15, (.LBB2_5983-.Lpost_getpc31663)>>32
	s_setpc_b64 s[14:15]
.LBB2_31663:
	s_getpc_b64 s[14:15]
.Lpost_getpc19415:
	s_add_u32 s14, s14, (.LBB2_5984-.Lpost_getpc19415)&4294967295
	s_addc_u32 s15, s15, (.LBB2_5984-.Lpost_getpc19415)>>32
	s_setpc_b64 s[14:15]
.LBB2_20321:
	s_movk_i32 s4, 0x80
	v_cmp_eq_u16_sdwa s[12:13], v9, s4 src0_sel:BYTE_0 src1_sel:DWORD
	s_mov_b64 s[4:5], -1
                                        ; implicit-def: $sgpr10
	s_and_saveexec_b64 s[8:9], s[12:13]
; %bb.20322:
	s_mov_b32 s10, 0x7f800001
	s_xor_b64 s[4:5], exec, -1
; %bb.20323:
	s_or_b64 exec, exec, s[8:9]
	s_and_b64 s[4:5], s[4:5], exec
	s_or_saveexec_b64 s[6:7], s[6:7]
	v_mov_b32_e32 v2, s10
	s_xor_b64 exec, exec, s[6:7]
	s_cbranch_execnz .LBB2_20324
; %bb.56161:
	s_getpc_b64 s[14:15]
.Lpost_getpc31664:
	s_add_u32 s14, s14, (.LBB2_5986-.Lpost_getpc31664)&4294967295
	s_addc_u32 s15, s15, (.LBB2_5986-.Lpost_getpc31664)>>32
	s_setpc_b64 s[14:15]
.LBB2_20324:
	v_mov_b32_e32 v2, 0
	v_cmp_ne_u16_sdwa s[8:9], v9, v2 src0_sel:BYTE_0 src1_sel:DWORD
	s_andn2_b64 s[4:5], s[4:5], exec
	s_and_b64 s[8:9], s[8:9], exec
	s_or_b64 s[4:5], s[4:5], s[8:9]
	s_or_b64 exec, exec, s[6:7]
	s_and_saveexec_b64 s[6:7], s[4:5]
	s_cbranch_execz .LBB2_31665
; %bb.56163:
	s_getpc_b64 s[14:15]
.Lpost_getpc31665:
	s_add_u32 s14, s14, (.LBB2_5987-.Lpost_getpc31665)&4294967295
	s_addc_u32 s15, s15, (.LBB2_5987-.Lpost_getpc31665)>>32
	s_setpc_b64 s[14:15]
.LBB2_31665:
	s_getpc_b64 s[14:15]
.Lpost_getpc19416:
	s_add_u32 s14, s14, (.LBB2_5988-.Lpost_getpc19416)&4294967295
	s_addc_u32 s15, s15, (.LBB2_5988-.Lpost_getpc19416)>>32
	s_setpc_b64 s[14:15]
.LBB2_20325:
	s_movk_i32 s4, 0x80
	v_cmp_eq_u16_sdwa s[12:13], v5, s4 src0_sel:BYTE_0 src1_sel:DWORD
	s_mov_b64 s[4:5], -1
                                        ; implicit-def: $sgpr10
	s_and_saveexec_b64 s[8:9], s[12:13]
; %bb.20326:
	s_mov_b32 s10, 0x7f800001
	s_xor_b64 s[4:5], exec, -1
; %bb.20327:
	s_or_b64 exec, exec, s[8:9]
	s_and_b64 s[4:5], s[4:5], exec
	s_or_saveexec_b64 s[6:7], s[6:7]
	v_mov_b32_e32 v3, s10
	s_xor_b64 exec, exec, s[6:7]
	s_cbranch_execnz .LBB2_20328
; %bb.56165:
	s_getpc_b64 s[14:15]
.Lpost_getpc31666:
	s_add_u32 s14, s14, (.LBB2_5990-.Lpost_getpc31666)&4294967295
	s_addc_u32 s15, s15, (.LBB2_5990-.Lpost_getpc31666)>>32
	s_setpc_b64 s[14:15]
.LBB2_20328:
	v_mov_b32_e32 v3, 0
	v_cmp_ne_u16_sdwa s[8:9], v5, v3 src0_sel:BYTE_0 src1_sel:DWORD
	s_andn2_b64 s[4:5], s[4:5], exec
	s_and_b64 s[8:9], s[8:9], exec
	s_or_b64 s[4:5], s[4:5], s[8:9]
	s_or_b64 exec, exec, s[6:7]
	s_and_saveexec_b64 s[6:7], s[4:5]
	s_cbranch_execz .LBB2_31667
; %bb.56167:
	s_getpc_b64 s[14:15]
.Lpost_getpc31667:
	s_add_u32 s14, s14, (.LBB2_5991-.Lpost_getpc31667)&4294967295
	s_addc_u32 s15, s15, (.LBB2_5991-.Lpost_getpc31667)>>32
	s_setpc_b64 s[14:15]
.LBB2_31667:
	s_getpc_b64 s[14:15]
.Lpost_getpc19417:
	s_add_u32 s14, s14, (.LBB2_5992-.Lpost_getpc19417)&4294967295
	s_addc_u32 s15, s15, (.LBB2_5992-.Lpost_getpc19417)>>32
	s_setpc_b64 s[14:15]
.LBB2_20329:
	s_movk_i32 s4, 0x80
	v_cmp_eq_u16_sdwa s[12:13], v3, s4 src0_sel:BYTE_0 src1_sel:DWORD
	s_mov_b64 s[4:5], -1
                                        ; implicit-def: $sgpr10
	s_and_saveexec_b64 s[8:9], s[12:13]
; %bb.20330:
	s_mov_b32 s10, 0x7f800001
	s_xor_b64 s[4:5], exec, -1
; %bb.20331:
	s_or_b64 exec, exec, s[8:9]
	s_and_b64 s[4:5], s[4:5], exec
	s_or_saveexec_b64 s[6:7], s[6:7]
	v_mov_b32_e32 v2, s10
	s_xor_b64 exec, exec, s[6:7]
	s_cbranch_execnz .LBB2_20332
; %bb.56169:
	s_getpc_b64 s[14:15]
.Lpost_getpc31668:
	s_add_u32 s14, s14, (.LBB2_5994-.Lpost_getpc31668)&4294967295
	s_addc_u32 s15, s15, (.LBB2_5994-.Lpost_getpc31668)>>32
	s_setpc_b64 s[14:15]
.LBB2_20332:
	v_mov_b32_e32 v2, 0
	v_cmp_ne_u16_sdwa s[8:9], v3, v2 src0_sel:BYTE_0 src1_sel:DWORD
	s_andn2_b64 s[4:5], s[4:5], exec
	s_and_b64 s[8:9], s[8:9], exec
	s_or_b64 s[4:5], s[4:5], s[8:9]
	s_or_b64 exec, exec, s[6:7]
	s_and_saveexec_b64 s[6:7], s[4:5]
	s_cbranch_execz .LBB2_31669
; %bb.56171:
	s_getpc_b64 s[14:15]
.Lpost_getpc31669:
	s_add_u32 s14, s14, (.LBB2_5995-.Lpost_getpc31669)&4294967295
	s_addc_u32 s15, s15, (.LBB2_5995-.Lpost_getpc31669)>>32
	s_setpc_b64 s[14:15]
.LBB2_31669:
	s_getpc_b64 s[14:15]
.Lpost_getpc19418:
	s_add_u32 s14, s14, (.LBB2_5996-.Lpost_getpc19418)&4294967295
	s_addc_u32 s15, s15, (.LBB2_5996-.Lpost_getpc19418)>>32
	s_setpc_b64 s[14:15]
.LBB2_20333:
	s_movk_i32 s4, 0x80
	v_cmp_eq_u16_sdwa s[12:13], v3, s4 src0_sel:BYTE_0 src1_sel:DWORD
	s_mov_b64 s[4:5], -1
                                        ; implicit-def: $sgpr10
	s_and_saveexec_b64 s[8:9], s[12:13]
; %bb.20334:
	s_mov_b32 s10, 0x7f800001
	s_xor_b64 s[4:5], exec, -1
; %bb.20335:
	s_or_b64 exec, exec, s[8:9]
	s_and_b64 s[4:5], s[4:5], exec
	s_or_saveexec_b64 s[6:7], s[6:7]
	v_mov_b32_e32 v4, s10
	s_xor_b64 exec, exec, s[6:7]
	s_cbranch_execnz .LBB2_20336
; %bb.56173:
	s_getpc_b64 s[14:15]
.Lpost_getpc31670:
	s_add_u32 s14, s14, (.LBB2_5998-.Lpost_getpc31670)&4294967295
	s_addc_u32 s15, s15, (.LBB2_5998-.Lpost_getpc31670)>>32
	s_setpc_b64 s[14:15]
.LBB2_20336:
	v_mov_b32_e32 v4, 0
	v_cmp_ne_u16_sdwa s[8:9], v3, v4 src0_sel:BYTE_0 src1_sel:DWORD
	s_andn2_b64 s[4:5], s[4:5], exec
	s_and_b64 s[8:9], s[8:9], exec
	s_or_b64 s[4:5], s[4:5], s[8:9]
	s_or_b64 exec, exec, s[6:7]
	s_and_saveexec_b64 s[6:7], s[4:5]
	s_cbranch_execz .LBB2_31671
; %bb.56175:
	s_getpc_b64 s[14:15]
.Lpost_getpc31671:
	s_add_u32 s14, s14, (.LBB2_5999-.Lpost_getpc31671)&4294967295
	s_addc_u32 s15, s15, (.LBB2_5999-.Lpost_getpc31671)>>32
	s_setpc_b64 s[14:15]
.LBB2_31671:
	s_getpc_b64 s[14:15]
.Lpost_getpc19419:
	s_add_u32 s14, s14, (.LBB2_6000-.Lpost_getpc19419)&4294967295
	s_addc_u32 s15, s15, (.LBB2_6000-.Lpost_getpc19419)>>32
	s_setpc_b64 s[14:15]
.LBB2_20337:
	s_movk_i32 s4, 0x80
	v_cmp_eq_u16_e32 vcc, s4, v3
	s_mov_b64 s[4:5], -1
                                        ; implicit-def: $sgpr10
	s_and_saveexec_b64 s[8:9], vcc
; %bb.20338:
	s_mov_b32 s10, 0x7f800001
	s_xor_b64 s[4:5], exec, -1
; %bb.20339:
	s_or_b64 exec, exec, s[8:9]
	s_and_b64 s[4:5], s[4:5], exec
                                        ; implicit-def: $vgpr3
	s_or_saveexec_b64 s[6:7], s[6:7]
	v_mov_b32_e32 v2, s10
	s_xor_b64 exec, exec, s[6:7]
	s_cbranch_execnz .LBB2_20340
; %bb.56177:
	s_getpc_b64 s[14:15]
.Lpost_getpc31672:
	s_add_u32 s14, s14, (.LBB2_6002-.Lpost_getpc31672)&4294967295
	s_addc_u32 s15, s15, (.LBB2_6002-.Lpost_getpc31672)>>32
	s_setpc_b64 s[14:15]
.LBB2_20340:
	v_cmp_ne_u16_e32 vcc, 0, v3
	s_andn2_b64 s[4:5], s[4:5], exec
	s_and_b64 s[8:9], vcc, exec
	v_mov_b32_e32 v2, 0
	s_or_b64 s[4:5], s[4:5], s[8:9]
	s_or_b64 exec, exec, s[6:7]
	s_and_saveexec_b64 s[6:7], s[4:5]
	s_cbranch_execz .LBB2_31673
; %bb.56179:
	s_getpc_b64 s[14:15]
.Lpost_getpc31673:
	s_add_u32 s14, s14, (.LBB2_6003-.Lpost_getpc31673)&4294967295
	s_addc_u32 s15, s15, (.LBB2_6003-.Lpost_getpc31673)>>32
	s_setpc_b64 s[14:15]
.LBB2_31673:
	s_getpc_b64 s[14:15]
.Lpost_getpc19420:
	s_add_u32 s14, s14, (.LBB2_6004-.Lpost_getpc19420)&4294967295
	s_addc_u32 s15, s15, (.LBB2_6004-.Lpost_getpc19420)>>32
	s_setpc_b64 s[14:15]
.LBB2_20341:
	s_movk_i32 s4, 0x80
	v_cmp_eq_u16_e32 vcc, s4, v3
	s_mov_b64 s[4:5], -1
                                        ; implicit-def: $sgpr10
	s_and_saveexec_b64 s[8:9], vcc
; %bb.20342:
	s_mov_b32 s10, 0x7f800001
	s_xor_b64 s[4:5], exec, -1
; %bb.20343:
	s_or_b64 exec, exec, s[8:9]
	s_and_b64 s[4:5], s[4:5], exec
                                        ; implicit-def: $vgpr3
	s_or_saveexec_b64 s[6:7], s[6:7]
	v_mov_b32_e32 v4, s10
	s_xor_b64 exec, exec, s[6:7]
	s_cbranch_execnz .LBB2_20344
; %bb.56181:
	s_getpc_b64 s[14:15]
.Lpost_getpc31674:
	s_add_u32 s14, s14, (.LBB2_6006-.Lpost_getpc31674)&4294967295
	s_addc_u32 s15, s15, (.LBB2_6006-.Lpost_getpc31674)>>32
	s_setpc_b64 s[14:15]
.LBB2_20344:
	v_cmp_ne_u16_e32 vcc, 0, v3
	s_andn2_b64 s[4:5], s[4:5], exec
	s_and_b64 s[8:9], vcc, exec
	v_mov_b32_e32 v4, 0
	s_or_b64 s[4:5], s[4:5], s[8:9]
	s_or_b64 exec, exec, s[6:7]
	s_and_saveexec_b64 s[6:7], s[4:5]
	s_cbranch_execz .LBB2_31675
; %bb.56183:
	s_getpc_b64 s[14:15]
.Lpost_getpc31675:
	s_add_u32 s14, s14, (.LBB2_6007-.Lpost_getpc31675)&4294967295
	s_addc_u32 s15, s15, (.LBB2_6007-.Lpost_getpc31675)>>32
	s_setpc_b64 s[14:15]
.LBB2_31675:
	s_getpc_b64 s[14:15]
.Lpost_getpc19421:
	s_add_u32 s14, s14, (.LBB2_6008-.Lpost_getpc19421)&4294967295
	s_addc_u32 s15, s15, (.LBB2_6008-.Lpost_getpc19421)>>32
	s_setpc_b64 s[14:15]
.LBB2_20345:
	s_movk_i32 s4, 0x80
	v_cmp_eq_u16_sdwa s[12:13], v9, s4 src0_sel:BYTE_3 src1_sel:DWORD
	s_mov_b64 s[4:5], -1
                                        ; implicit-def: $sgpr10
	s_and_saveexec_b64 s[8:9], s[12:13]
; %bb.20346:
	s_mov_b32 s10, 0x7f800001
	s_xor_b64 s[4:5], exec, -1
; %bb.20347:
	s_or_b64 exec, exec, s[8:9]
	s_and_b64 s[4:5], s[4:5], exec
	s_or_saveexec_b64 s[6:7], s[6:7]
	v_mov_b32_e32 v2, s10
	s_xor_b64 exec, exec, s[6:7]
	s_cbranch_execnz .LBB2_20348
; %bb.56185:
	s_getpc_b64 s[14:15]
.Lpost_getpc31676:
	s_add_u32 s14, s14, (.LBB2_6010-.Lpost_getpc31676)&4294967295
	s_addc_u32 s15, s15, (.LBB2_6010-.Lpost_getpc31676)>>32
	s_setpc_b64 s[14:15]
.LBB2_20348:
	v_mov_b32_e32 v2, 0
	v_cmp_ne_u16_sdwa s[8:9], v9, v2 src0_sel:BYTE_3 src1_sel:DWORD
	s_andn2_b64 s[4:5], s[4:5], exec
	s_and_b64 s[8:9], s[8:9], exec
	s_or_b64 s[4:5], s[4:5], s[8:9]
	s_or_b64 exec, exec, s[6:7]
	s_and_saveexec_b64 s[6:7], s[4:5]
	s_cbranch_execz .LBB2_31677
; %bb.56187:
	s_getpc_b64 s[14:15]
.Lpost_getpc31677:
	s_add_u32 s14, s14, (.LBB2_6011-.Lpost_getpc31677)&4294967295
	s_addc_u32 s15, s15, (.LBB2_6011-.Lpost_getpc31677)>>32
	s_setpc_b64 s[14:15]
.LBB2_31677:
	s_getpc_b64 s[14:15]
.Lpost_getpc19422:
	s_add_u32 s14, s14, (.LBB2_6012-.Lpost_getpc19422)&4294967295
	s_addc_u32 s15, s15, (.LBB2_6012-.Lpost_getpc19422)>>32
	s_setpc_b64 s[14:15]
.LBB2_20349:
	s_movk_i32 s4, 0x80
	v_cmp_eq_u16_sdwa s[12:13], v5, s4 src0_sel:BYTE_3 src1_sel:DWORD
	s_mov_b64 s[4:5], -1
                                        ; implicit-def: $sgpr10
	s_and_saveexec_b64 s[8:9], s[12:13]
; %bb.20350:
	s_mov_b32 s10, 0x7f800001
	s_xor_b64 s[4:5], exec, -1
; %bb.20351:
	s_or_b64 exec, exec, s[8:9]
	s_and_b64 s[4:5], s[4:5], exec
	s_or_saveexec_b64 s[6:7], s[6:7]
	v_mov_b32_e32 v3, s10
	s_xor_b64 exec, exec, s[6:7]
	s_cbranch_execnz .LBB2_20352
; %bb.56189:
	s_getpc_b64 s[14:15]
.Lpost_getpc31678:
	s_add_u32 s14, s14, (.LBB2_6014-.Lpost_getpc31678)&4294967295
	s_addc_u32 s15, s15, (.LBB2_6014-.Lpost_getpc31678)>>32
	s_setpc_b64 s[14:15]
.LBB2_20352:
	v_mov_b32_e32 v3, 0
	v_cmp_ne_u16_sdwa s[8:9], v5, v3 src0_sel:BYTE_3 src1_sel:DWORD
	s_andn2_b64 s[4:5], s[4:5], exec
	s_and_b64 s[8:9], s[8:9], exec
	s_or_b64 s[4:5], s[4:5], s[8:9]
	s_or_b64 exec, exec, s[6:7]
	s_and_saveexec_b64 s[6:7], s[4:5]
	s_cbranch_execz .LBB2_31679
; %bb.56191:
	s_getpc_b64 s[14:15]
.Lpost_getpc31679:
	s_add_u32 s14, s14, (.LBB2_6015-.Lpost_getpc31679)&4294967295
	s_addc_u32 s15, s15, (.LBB2_6015-.Lpost_getpc31679)>>32
	s_setpc_b64 s[14:15]
.LBB2_31679:
	s_getpc_b64 s[14:15]
.Lpost_getpc19423:
	s_add_u32 s14, s14, (.LBB2_6016-.Lpost_getpc19423)&4294967295
	s_addc_u32 s15, s15, (.LBB2_6016-.Lpost_getpc19423)>>32
	s_setpc_b64 s[14:15]
.LBB2_20353:
	s_movk_i32 s4, 0x80
	v_cmp_eq_u16_sdwa s[12:13], v6, s4 src0_sel:BYTE_0 src1_sel:DWORD
	s_mov_b64 s[4:5], -1
                                        ; implicit-def: $sgpr10
	s_and_saveexec_b64 s[8:9], s[12:13]
; %bb.20354:
	s_mov_b32 s10, 0x7f800001
	s_xor_b64 s[4:5], exec, -1
; %bb.20355:
	s_or_b64 exec, exec, s[8:9]
	s_and_b64 s[4:5], s[4:5], exec
	s_or_saveexec_b64 s[6:7], s[6:7]
	v_mov_b32_e32 v12, s10
	s_xor_b64 exec, exec, s[6:7]
	s_cbranch_execnz .LBB2_20356
; %bb.56193:
	s_getpc_b64 s[14:15]
.Lpost_getpc31680:
	s_add_u32 s14, s14, (.LBB2_6018-.Lpost_getpc31680)&4294967295
	s_addc_u32 s15, s15, (.LBB2_6018-.Lpost_getpc31680)>>32
	s_setpc_b64 s[14:15]
.LBB2_20356:
	v_mov_b32_e32 v12, 0
	v_cmp_ne_u16_sdwa s[8:9], v6, v12 src0_sel:BYTE_0 src1_sel:DWORD
	s_andn2_b64 s[4:5], s[4:5], exec
	s_and_b64 s[8:9], s[8:9], exec
	s_or_b64 s[4:5], s[4:5], s[8:9]
	s_or_b64 exec, exec, s[6:7]
	s_and_saveexec_b64 s[6:7], s[4:5]
	s_cbranch_execz .LBB2_31681
; %bb.56195:
	s_getpc_b64 s[14:15]
.Lpost_getpc31681:
	s_add_u32 s14, s14, (.LBB2_6019-.Lpost_getpc31681)&4294967295
	s_addc_u32 s15, s15, (.LBB2_6019-.Lpost_getpc31681)>>32
	s_setpc_b64 s[14:15]
.LBB2_31681:
	s_getpc_b64 s[14:15]
.Lpost_getpc19424:
	s_add_u32 s14, s14, (.LBB2_6020-.Lpost_getpc19424)&4294967295
	s_addc_u32 s15, s15, (.LBB2_6020-.Lpost_getpc19424)>>32
	s_setpc_b64 s[14:15]
.LBB2_20357:
	s_movk_i32 s4, 0x80
	v_cmp_eq_u16_sdwa s[12:13], v2, s4 src0_sel:BYTE_0 src1_sel:DWORD
	s_mov_b64 s[4:5], -1
                                        ; implicit-def: $sgpr10
	s_and_saveexec_b64 s[8:9], s[12:13]
; %bb.20358:
	s_mov_b32 s10, 0x7f800001
	s_xor_b64 s[4:5], exec, -1
; %bb.20359:
	s_or_b64 exec, exec, s[8:9]
	s_and_b64 s[4:5], s[4:5], exec
	s_or_saveexec_b64 s[6:7], s[6:7]
	v_mov_b32_e32 v13, s10
	s_xor_b64 exec, exec, s[6:7]
	s_cbranch_execnz .LBB2_20360
; %bb.56197:
	s_getpc_b64 s[14:15]
.Lpost_getpc31682:
	s_add_u32 s14, s14, (.LBB2_6022-.Lpost_getpc31682)&4294967295
	s_addc_u32 s15, s15, (.LBB2_6022-.Lpost_getpc31682)>>32
	s_setpc_b64 s[14:15]
.LBB2_20360:
	v_mov_b32_e32 v13, 0
	v_cmp_ne_u16_sdwa s[8:9], v2, v13 src0_sel:BYTE_0 src1_sel:DWORD
	s_andn2_b64 s[4:5], s[4:5], exec
	s_and_b64 s[8:9], s[8:9], exec
	s_or_b64 s[4:5], s[4:5], s[8:9]
	s_or_b64 exec, exec, s[6:7]
	s_and_saveexec_b64 s[6:7], s[4:5]
	s_cbranch_execz .LBB2_31683
; %bb.56199:
	s_getpc_b64 s[14:15]
.Lpost_getpc31683:
	s_add_u32 s14, s14, (.LBB2_6023-.Lpost_getpc31683)&4294967295
	s_addc_u32 s15, s15, (.LBB2_6023-.Lpost_getpc31683)>>32
	s_setpc_b64 s[14:15]
.LBB2_31683:
	s_getpc_b64 s[14:15]
.Lpost_getpc19425:
	s_add_u32 s14, s14, (.LBB2_6024-.Lpost_getpc19425)&4294967295
	s_addc_u32 s15, s15, (.LBB2_6024-.Lpost_getpc19425)>>32
	s_setpc_b64 s[14:15]
.LBB2_20361:
	s_movk_i32 s4, 0x80
	v_cmp_eq_u16_sdwa s[12:13], v13, s4 src0_sel:BYTE_0 src1_sel:DWORD
	s_mov_b64 s[4:5], -1
                                        ; implicit-def: $sgpr10
	s_and_saveexec_b64 s[8:9], s[12:13]
; %bb.20362:
	s_mov_b32 s10, 0x7f800001
	s_xor_b64 s[4:5], exec, -1
; %bb.20363:
	s_or_b64 exec, exec, s[8:9]
	s_and_b64 s[4:5], s[4:5], exec
	s_or_saveexec_b64 s[6:7], s[6:7]
	v_mov_b32_e32 v12, s10
	s_xor_b64 exec, exec, s[6:7]
	s_cbranch_execnz .LBB2_20364
; %bb.56201:
	s_getpc_b64 s[14:15]
.Lpost_getpc31684:
	s_add_u32 s14, s14, (.LBB2_6026-.Lpost_getpc31684)&4294967295
	s_addc_u32 s15, s15, (.LBB2_6026-.Lpost_getpc31684)>>32
	s_setpc_b64 s[14:15]
.LBB2_20364:
	v_mov_b32_e32 v12, 0
	v_cmp_ne_u16_sdwa s[8:9], v13, v12 src0_sel:BYTE_0 src1_sel:DWORD
	s_andn2_b64 s[4:5], s[4:5], exec
	s_and_b64 s[8:9], s[8:9], exec
	s_or_b64 s[4:5], s[4:5], s[8:9]
	s_or_b64 exec, exec, s[6:7]
	s_and_saveexec_b64 s[6:7], s[4:5]
	s_cbranch_execz .LBB2_31685
; %bb.56203:
	s_getpc_b64 s[14:15]
.Lpost_getpc31685:
	s_add_u32 s14, s14, (.LBB2_6027-.Lpost_getpc31685)&4294967295
	s_addc_u32 s15, s15, (.LBB2_6027-.Lpost_getpc31685)>>32
	s_setpc_b64 s[14:15]
.LBB2_31685:
	s_getpc_b64 s[14:15]
.Lpost_getpc19426:
	s_add_u32 s14, s14, (.LBB2_6028-.Lpost_getpc19426)&4294967295
	s_addc_u32 s15, s15, (.LBB2_6028-.Lpost_getpc19426)>>32
	s_setpc_b64 s[14:15]
.LBB2_20365:
	s_movk_i32 s4, 0x80
	v_cmp_eq_u16_sdwa s[12:13], v13, s4 src0_sel:BYTE_0 src1_sel:DWORD
	s_mov_b64 s[4:5], -1
                                        ; implicit-def: $sgpr10
	s_and_saveexec_b64 s[8:9], s[12:13]
; %bb.20366:
	s_mov_b32 s10, 0x7f800001
	s_xor_b64 s[4:5], exec, -1
; %bb.20367:
	s_or_b64 exec, exec, s[8:9]
	s_and_b64 s[4:5], s[4:5], exec
	s_or_saveexec_b64 s[6:7], s[6:7]
	v_mov_b32_e32 v14, s10
	s_xor_b64 exec, exec, s[6:7]
	s_cbranch_execnz .LBB2_20368
; %bb.56205:
	s_getpc_b64 s[14:15]
.Lpost_getpc31686:
	s_add_u32 s14, s14, (.LBB2_6030-.Lpost_getpc31686)&4294967295
	s_addc_u32 s15, s15, (.LBB2_6030-.Lpost_getpc31686)>>32
	s_setpc_b64 s[14:15]
.LBB2_20368:
	v_mov_b32_e32 v14, 0
	v_cmp_ne_u16_sdwa s[8:9], v13, v14 src0_sel:BYTE_0 src1_sel:DWORD
	s_andn2_b64 s[4:5], s[4:5], exec
	s_and_b64 s[8:9], s[8:9], exec
	s_or_b64 s[4:5], s[4:5], s[8:9]
	s_or_b64 exec, exec, s[6:7]
	s_and_saveexec_b64 s[6:7], s[4:5]
	s_cbranch_execz .LBB2_31687
; %bb.56207:
	s_getpc_b64 s[14:15]
.Lpost_getpc31687:
	s_add_u32 s14, s14, (.LBB2_6031-.Lpost_getpc31687)&4294967295
	s_addc_u32 s15, s15, (.LBB2_6031-.Lpost_getpc31687)>>32
	s_setpc_b64 s[14:15]
.LBB2_31687:
	s_getpc_b64 s[14:15]
.Lpost_getpc19427:
	s_add_u32 s14, s14, (.LBB2_6032-.Lpost_getpc19427)&4294967295
	s_addc_u32 s15, s15, (.LBB2_6032-.Lpost_getpc19427)>>32
	s_setpc_b64 s[14:15]
.LBB2_20369:
	s_movk_i32 s4, 0x80
	v_cmp_eq_u16_e32 vcc, s4, v13
	s_mov_b64 s[4:5], -1
                                        ; implicit-def: $sgpr10
	s_and_saveexec_b64 s[8:9], vcc
; %bb.20370:
	s_mov_b32 s10, 0x7f800001
	s_xor_b64 s[4:5], exec, -1
; %bb.20371:
	s_or_b64 exec, exec, s[8:9]
	s_and_b64 s[4:5], s[4:5], exec
                                        ; implicit-def: $vgpr13
	s_or_saveexec_b64 s[6:7], s[6:7]
	v_mov_b32_e32 v12, s10
	s_xor_b64 exec, exec, s[6:7]
	s_cbranch_execnz .LBB2_20372
; %bb.56209:
	s_getpc_b64 s[14:15]
.Lpost_getpc31688:
	s_add_u32 s14, s14, (.LBB2_6034-.Lpost_getpc31688)&4294967295
	s_addc_u32 s15, s15, (.LBB2_6034-.Lpost_getpc31688)>>32
	s_setpc_b64 s[14:15]
.LBB2_20372:
	v_cmp_ne_u16_e32 vcc, 0, v13
	s_andn2_b64 s[4:5], s[4:5], exec
	s_and_b64 s[8:9], vcc, exec
	v_mov_b32_e32 v12, 0
	s_or_b64 s[4:5], s[4:5], s[8:9]
	s_or_b64 exec, exec, s[6:7]
	s_and_saveexec_b64 s[6:7], s[4:5]
	s_cbranch_execz .LBB2_31689
; %bb.56211:
	s_getpc_b64 s[14:15]
.Lpost_getpc31689:
	s_add_u32 s14, s14, (.LBB2_6035-.Lpost_getpc31689)&4294967295
	s_addc_u32 s15, s15, (.LBB2_6035-.Lpost_getpc31689)>>32
	s_setpc_b64 s[14:15]
.LBB2_31689:
	s_getpc_b64 s[14:15]
.Lpost_getpc19428:
	s_add_u32 s14, s14, (.LBB2_6036-.Lpost_getpc19428)&4294967295
	s_addc_u32 s15, s15, (.LBB2_6036-.Lpost_getpc19428)>>32
	s_setpc_b64 s[14:15]
.LBB2_20373:
	s_movk_i32 s4, 0x80
	v_cmp_eq_u16_e32 vcc, s4, v13
	s_mov_b64 s[4:5], -1
                                        ; implicit-def: $sgpr10
	s_and_saveexec_b64 s[8:9], vcc
; %bb.20374:
	s_mov_b32 s10, 0x7f800001
	s_xor_b64 s[4:5], exec, -1
; %bb.20375:
	s_or_b64 exec, exec, s[8:9]
	s_and_b64 s[4:5], s[4:5], exec
                                        ; implicit-def: $vgpr13
	s_or_saveexec_b64 s[6:7], s[6:7]
	v_mov_b32_e32 v14, s10
	s_xor_b64 exec, exec, s[6:7]
	s_cbranch_execnz .LBB2_20376
; %bb.56213:
	s_getpc_b64 s[14:15]
.Lpost_getpc31690:
	s_add_u32 s14, s14, (.LBB2_6038-.Lpost_getpc31690)&4294967295
	s_addc_u32 s15, s15, (.LBB2_6038-.Lpost_getpc31690)>>32
	s_setpc_b64 s[14:15]
.LBB2_20376:
	v_cmp_ne_u16_e32 vcc, 0, v13
	s_andn2_b64 s[4:5], s[4:5], exec
	s_and_b64 s[8:9], vcc, exec
	v_mov_b32_e32 v14, 0
	s_or_b64 s[4:5], s[4:5], s[8:9]
	s_or_b64 exec, exec, s[6:7]
	s_and_saveexec_b64 s[6:7], s[4:5]
	s_cbranch_execz .LBB2_31691
; %bb.56215:
	s_getpc_b64 s[14:15]
.Lpost_getpc31691:
	s_add_u32 s14, s14, (.LBB2_6039-.Lpost_getpc31691)&4294967295
	s_addc_u32 s15, s15, (.LBB2_6039-.Lpost_getpc31691)>>32
	s_setpc_b64 s[14:15]
.LBB2_31691:
	s_getpc_b64 s[14:15]
.Lpost_getpc19429:
	s_add_u32 s14, s14, (.LBB2_6040-.Lpost_getpc19429)&4294967295
	s_addc_u32 s15, s15, (.LBB2_6040-.Lpost_getpc19429)>>32
	s_setpc_b64 s[14:15]
.LBB2_20377:
	s_movk_i32 s4, 0x80
	v_cmp_eq_u16_sdwa s[12:13], v6, s4 src0_sel:BYTE_3 src1_sel:DWORD
	s_mov_b64 s[4:5], -1
                                        ; implicit-def: $sgpr10
	s_and_saveexec_b64 s[8:9], s[12:13]
; %bb.20378:
	s_mov_b32 s10, 0x7f800001
	s_xor_b64 s[4:5], exec, -1
; %bb.20379:
	s_or_b64 exec, exec, s[8:9]
	s_and_b64 s[4:5], s[4:5], exec
	s_or_saveexec_b64 s[6:7], s[6:7]
	v_mov_b32_e32 v12, s10
	s_xor_b64 exec, exec, s[6:7]
	s_cbranch_execnz .LBB2_20380
; %bb.56217:
	s_getpc_b64 s[14:15]
.Lpost_getpc31692:
	s_add_u32 s14, s14, (.LBB2_6042-.Lpost_getpc31692)&4294967295
	s_addc_u32 s15, s15, (.LBB2_6042-.Lpost_getpc31692)>>32
	s_setpc_b64 s[14:15]
.LBB2_20380:
	v_mov_b32_e32 v12, 0
	v_cmp_ne_u16_sdwa s[8:9], v6, v12 src0_sel:BYTE_3 src1_sel:DWORD
	s_andn2_b64 s[4:5], s[4:5], exec
	s_and_b64 s[8:9], s[8:9], exec
	s_or_b64 s[4:5], s[4:5], s[8:9]
	s_or_b64 exec, exec, s[6:7]
	s_and_saveexec_b64 s[6:7], s[4:5]
	s_cbranch_execz .LBB2_31693
; %bb.56219:
	s_getpc_b64 s[14:15]
.Lpost_getpc31693:
	s_add_u32 s14, s14, (.LBB2_6043-.Lpost_getpc31693)&4294967295
	s_addc_u32 s15, s15, (.LBB2_6043-.Lpost_getpc31693)>>32
	s_setpc_b64 s[14:15]
.LBB2_31693:
	s_getpc_b64 s[14:15]
.Lpost_getpc19430:
	s_add_u32 s14, s14, (.LBB2_6044-.Lpost_getpc19430)&4294967295
	s_addc_u32 s15, s15, (.LBB2_6044-.Lpost_getpc19430)>>32
	s_setpc_b64 s[14:15]
.LBB2_20381:
	s_movk_i32 s4, 0x80
	v_cmp_eq_u16_sdwa s[12:13], v2, s4 src0_sel:BYTE_3 src1_sel:DWORD
	s_mov_b64 s[4:5], -1
                                        ; implicit-def: $sgpr10
	s_and_saveexec_b64 s[8:9], s[12:13]
; %bb.20382:
	s_mov_b32 s10, 0x7f800001
	s_xor_b64 s[4:5], exec, -1
; %bb.20383:
	s_or_b64 exec, exec, s[8:9]
	s_and_b64 s[4:5], s[4:5], exec
	s_or_saveexec_b64 s[6:7], s[6:7]
	v_mov_b32_e32 v6, s10
	s_xor_b64 exec, exec, s[6:7]
	s_cbranch_execnz .LBB2_20384
; %bb.56221:
	s_getpc_b64 s[14:15]
.Lpost_getpc31694:
	s_add_u32 s14, s14, (.LBB2_6046-.Lpost_getpc31694)&4294967295
	s_addc_u32 s15, s15, (.LBB2_6046-.Lpost_getpc31694)>>32
	s_setpc_b64 s[14:15]
.LBB2_20384:
	v_mov_b32_e32 v6, 0
	v_cmp_ne_u16_sdwa s[8:9], v2, v6 src0_sel:BYTE_3 src1_sel:DWORD
	s_andn2_b64 s[4:5], s[4:5], exec
	s_and_b64 s[8:9], s[8:9], exec
	s_or_b64 s[4:5], s[4:5], s[8:9]
	s_or_b64 exec, exec, s[6:7]
	s_and_saveexec_b64 s[6:7], s[4:5]
	s_cbranch_execz .LBB2_31695
; %bb.56223:
	s_getpc_b64 s[14:15]
.Lpost_getpc31695:
	s_add_u32 s14, s14, (.LBB2_6047-.Lpost_getpc31695)&4294967295
	s_addc_u32 s15, s15, (.LBB2_6047-.Lpost_getpc31695)>>32
	s_setpc_b64 s[14:15]
.LBB2_31695:
	s_getpc_b64 s[14:15]
.Lpost_getpc19431:
	s_add_u32 s14, s14, (.LBB2_6048-.Lpost_getpc19431)&4294967295
	s_addc_u32 s15, s15, (.LBB2_6048-.Lpost_getpc19431)>>32
	s_setpc_b64 s[14:15]
.LBB2_20385:
	s_movk_i32 s4, 0x80
	v_cmp_eq_u16_sdwa s[12:13], v7, s4 src0_sel:BYTE_0 src1_sel:DWORD
	s_mov_b64 s[4:5], -1
                                        ; implicit-def: $sgpr10
	s_and_saveexec_b64 s[8:9], s[12:13]
; %bb.20386:
	s_mov_b32 s10, 0x7f800001
	s_xor_b64 s[4:5], exec, -1
; %bb.20387:
	s_or_b64 exec, exec, s[8:9]
	s_and_b64 s[4:5], s[4:5], exec
	s_or_saveexec_b64 s[6:7], s[6:7]
	v_mov_b32_e32 v2, s10
	s_xor_b64 exec, exec, s[6:7]
	s_cbranch_execnz .LBB2_20388
; %bb.56225:
	s_getpc_b64 s[14:15]
.Lpost_getpc31696:
	s_add_u32 s14, s14, (.LBB2_6050-.Lpost_getpc31696)&4294967295
	s_addc_u32 s15, s15, (.LBB2_6050-.Lpost_getpc31696)>>32
	s_setpc_b64 s[14:15]
.LBB2_20388:
	v_mov_b32_e32 v2, 0
	v_cmp_ne_u16_sdwa s[8:9], v7, v2 src0_sel:BYTE_0 src1_sel:DWORD
	s_andn2_b64 s[4:5], s[4:5], exec
	s_and_b64 s[8:9], s[8:9], exec
	s_or_b64 s[4:5], s[4:5], s[8:9]
	s_or_b64 exec, exec, s[6:7]
	s_and_saveexec_b64 s[6:7], s[4:5]
	s_cbranch_execz .LBB2_31697
; %bb.56227:
	s_getpc_b64 s[14:15]
.Lpost_getpc31697:
	s_add_u32 s14, s14, (.LBB2_6051-.Lpost_getpc31697)&4294967295
	s_addc_u32 s15, s15, (.LBB2_6051-.Lpost_getpc31697)>>32
	s_setpc_b64 s[14:15]
.LBB2_31697:
	s_getpc_b64 s[14:15]
.Lpost_getpc19432:
	s_add_u32 s14, s14, (.LBB2_6052-.Lpost_getpc19432)&4294967295
	s_addc_u32 s15, s15, (.LBB2_6052-.Lpost_getpc19432)>>32
	s_setpc_b64 s[14:15]
.LBB2_20389:
	s_movk_i32 s4, 0x80
	v_cmp_eq_u16_sdwa s[12:13], v3, s4 src0_sel:BYTE_0 src1_sel:DWORD
	s_mov_b64 s[4:5], -1
                                        ; implicit-def: $sgpr10
	s_and_saveexec_b64 s[8:9], s[12:13]
; %bb.20390:
	s_mov_b32 s10, 0x7f800001
	s_xor_b64 s[4:5], exec, -1
; %bb.20391:
	s_or_b64 exec, exec, s[8:9]
	s_and_b64 s[4:5], s[4:5], exec
	s_or_saveexec_b64 s[6:7], s[6:7]
	v_mov_b32_e32 v6, s10
	s_xor_b64 exec, exec, s[6:7]
	s_cbranch_execnz .LBB2_20392
; %bb.56229:
	s_getpc_b64 s[14:15]
.Lpost_getpc31698:
	s_add_u32 s14, s14, (.LBB2_6054-.Lpost_getpc31698)&4294967295
	s_addc_u32 s15, s15, (.LBB2_6054-.Lpost_getpc31698)>>32
	s_setpc_b64 s[14:15]
.LBB2_20392:
	v_mov_b32_e32 v6, 0
	v_cmp_ne_u16_sdwa s[8:9], v3, v6 src0_sel:BYTE_0 src1_sel:DWORD
	s_andn2_b64 s[4:5], s[4:5], exec
	s_and_b64 s[8:9], s[8:9], exec
	s_or_b64 s[4:5], s[4:5], s[8:9]
	s_or_b64 exec, exec, s[6:7]
	s_and_saveexec_b64 s[6:7], s[4:5]
	s_cbranch_execz .LBB2_31699
; %bb.56231:
	s_getpc_b64 s[14:15]
.Lpost_getpc31699:
	s_add_u32 s14, s14, (.LBB2_6055-.Lpost_getpc31699)&4294967295
	s_addc_u32 s15, s15, (.LBB2_6055-.Lpost_getpc31699)>>32
	s_setpc_b64 s[14:15]
.LBB2_31699:
	s_getpc_b64 s[14:15]
.Lpost_getpc19433:
	s_add_u32 s14, s14, (.LBB2_6056-.Lpost_getpc19433)&4294967295
	s_addc_u32 s15, s15, (.LBB2_6056-.Lpost_getpc19433)>>32
	s_setpc_b64 s[14:15]
.LBB2_20393:
	s_movk_i32 s4, 0x80
	v_cmp_eq_u16_sdwa s[12:13], v6, s4 src0_sel:BYTE_0 src1_sel:DWORD
	s_mov_b64 s[4:5], -1
                                        ; implicit-def: $sgpr10
	s_and_saveexec_b64 s[8:9], s[12:13]
; %bb.20394:
	s_mov_b32 s10, 0x7f800001
	s_xor_b64 s[4:5], exec, -1
; %bb.20395:
	s_or_b64 exec, exec, s[8:9]
	s_and_b64 s[4:5], s[4:5], exec
	s_or_saveexec_b64 s[6:7], s[6:7]
	v_mov_b32_e32 v2, s10
	s_xor_b64 exec, exec, s[6:7]
	s_cbranch_execnz .LBB2_20396
; %bb.56233:
	s_getpc_b64 s[14:15]
.Lpost_getpc31700:
	s_add_u32 s14, s14, (.LBB2_6058-.Lpost_getpc31700)&4294967295
	s_addc_u32 s15, s15, (.LBB2_6058-.Lpost_getpc31700)>>32
	s_setpc_b64 s[14:15]
.LBB2_20396:
	v_mov_b32_e32 v2, 0
	v_cmp_ne_u16_sdwa s[8:9], v6, v2 src0_sel:BYTE_0 src1_sel:DWORD
	s_andn2_b64 s[4:5], s[4:5], exec
	s_and_b64 s[8:9], s[8:9], exec
	s_or_b64 s[4:5], s[4:5], s[8:9]
	s_or_b64 exec, exec, s[6:7]
	s_and_saveexec_b64 s[6:7], s[4:5]
	s_cbranch_execz .LBB2_31701
; %bb.56235:
	s_getpc_b64 s[14:15]
.Lpost_getpc31701:
	s_add_u32 s14, s14, (.LBB2_6059-.Lpost_getpc31701)&4294967295
	s_addc_u32 s15, s15, (.LBB2_6059-.Lpost_getpc31701)>>32
	s_setpc_b64 s[14:15]
.LBB2_31701:
	s_getpc_b64 s[14:15]
.Lpost_getpc19434:
	s_add_u32 s14, s14, (.LBB2_6060-.Lpost_getpc19434)&4294967295
	s_addc_u32 s15, s15, (.LBB2_6060-.Lpost_getpc19434)>>32
	s_setpc_b64 s[14:15]
.LBB2_20397:
	s_movk_i32 s4, 0x80
	v_cmp_eq_u16_sdwa s[12:13], v6, s4 src0_sel:BYTE_0 src1_sel:DWORD
	s_mov_b64 s[4:5], -1
                                        ; implicit-def: $sgpr10
	s_and_saveexec_b64 s[8:9], s[12:13]
; %bb.20398:
	s_mov_b32 s10, 0x7f800001
	s_xor_b64 s[4:5], exec, -1
; %bb.20399:
	s_or_b64 exec, exec, s[8:9]
	s_and_b64 s[4:5], s[4:5], exec
	s_or_saveexec_b64 s[6:7], s[6:7]
	v_mov_b32_e32 v12, s10
	s_xor_b64 exec, exec, s[6:7]
	s_cbranch_execnz .LBB2_20400
; %bb.56237:
	s_getpc_b64 s[14:15]
.Lpost_getpc31702:
	s_add_u32 s14, s14, (.LBB2_6062-.Lpost_getpc31702)&4294967295
	s_addc_u32 s15, s15, (.LBB2_6062-.Lpost_getpc31702)>>32
	s_setpc_b64 s[14:15]
.LBB2_20400:
	v_mov_b32_e32 v12, 0
	v_cmp_ne_u16_sdwa s[8:9], v6, v12 src0_sel:BYTE_0 src1_sel:DWORD
	s_andn2_b64 s[4:5], s[4:5], exec
	s_and_b64 s[8:9], s[8:9], exec
	s_or_b64 s[4:5], s[4:5], s[8:9]
	s_or_b64 exec, exec, s[6:7]
	s_and_saveexec_b64 s[6:7], s[4:5]
	s_cbranch_execz .LBB2_31703
; %bb.56239:
	s_getpc_b64 s[14:15]
.Lpost_getpc31703:
	s_add_u32 s14, s14, (.LBB2_6063-.Lpost_getpc31703)&4294967295
	s_addc_u32 s15, s15, (.LBB2_6063-.Lpost_getpc31703)>>32
	s_setpc_b64 s[14:15]
.LBB2_31703:
	s_getpc_b64 s[14:15]
.Lpost_getpc19435:
	s_add_u32 s14, s14, (.LBB2_6064-.Lpost_getpc19435)&4294967295
	s_addc_u32 s15, s15, (.LBB2_6064-.Lpost_getpc19435)>>32
	s_setpc_b64 s[14:15]
.LBB2_20401:
	s_movk_i32 s4, 0x80
	v_cmp_eq_u16_e32 vcc, s4, v6
	s_mov_b64 s[4:5], -1
                                        ; implicit-def: $sgpr10
	s_and_saveexec_b64 s[8:9], vcc
; %bb.20402:
	s_mov_b32 s10, 0x7f800001
	s_xor_b64 s[4:5], exec, -1
; %bb.20403:
	s_or_b64 exec, exec, s[8:9]
	s_and_b64 s[4:5], s[4:5], exec
                                        ; implicit-def: $vgpr6
	s_or_saveexec_b64 s[6:7], s[6:7]
	v_mov_b32_e32 v2, s10
	s_xor_b64 exec, exec, s[6:7]
	s_cbranch_execnz .LBB2_20404
; %bb.56241:
	s_getpc_b64 s[14:15]
.Lpost_getpc31704:
	s_add_u32 s14, s14, (.LBB2_6066-.Lpost_getpc31704)&4294967295
	s_addc_u32 s15, s15, (.LBB2_6066-.Lpost_getpc31704)>>32
	s_setpc_b64 s[14:15]
.LBB2_20404:
	v_cmp_ne_u16_e32 vcc, 0, v6
	s_andn2_b64 s[4:5], s[4:5], exec
	s_and_b64 s[8:9], vcc, exec
	v_mov_b32_e32 v2, 0
	s_or_b64 s[4:5], s[4:5], s[8:9]
	s_or_b64 exec, exec, s[6:7]
	s_and_saveexec_b64 s[6:7], s[4:5]
	s_cbranch_execz .LBB2_31705
; %bb.56243:
	s_getpc_b64 s[14:15]
.Lpost_getpc31705:
	s_add_u32 s14, s14, (.LBB2_6067-.Lpost_getpc31705)&4294967295
	s_addc_u32 s15, s15, (.LBB2_6067-.Lpost_getpc31705)>>32
	s_setpc_b64 s[14:15]
.LBB2_31705:
	s_getpc_b64 s[14:15]
.Lpost_getpc19436:
	s_add_u32 s14, s14, (.LBB2_6068-.Lpost_getpc19436)&4294967295
	s_addc_u32 s15, s15, (.LBB2_6068-.Lpost_getpc19436)>>32
	s_setpc_b64 s[14:15]
.LBB2_20405:
	s_movk_i32 s4, 0x80
	v_cmp_eq_u16_e32 vcc, s4, v6
	s_mov_b64 s[4:5], -1
                                        ; implicit-def: $sgpr10
	s_and_saveexec_b64 s[8:9], vcc
; %bb.20406:
	s_mov_b32 s10, 0x7f800001
	s_xor_b64 s[4:5], exec, -1
; %bb.20407:
	s_or_b64 exec, exec, s[8:9]
	s_and_b64 s[4:5], s[4:5], exec
                                        ; implicit-def: $vgpr6
	s_or_saveexec_b64 s[6:7], s[6:7]
	v_mov_b32_e32 v12, s10
	s_xor_b64 exec, exec, s[6:7]
	s_cbranch_execnz .LBB2_20408
; %bb.56245:
	s_getpc_b64 s[14:15]
.Lpost_getpc31706:
	s_add_u32 s14, s14, (.LBB2_6070-.Lpost_getpc31706)&4294967295
	s_addc_u32 s15, s15, (.LBB2_6070-.Lpost_getpc31706)>>32
	s_setpc_b64 s[14:15]
.LBB2_20408:
	v_cmp_ne_u16_e32 vcc, 0, v6
	s_andn2_b64 s[4:5], s[4:5], exec
	s_and_b64 s[8:9], vcc, exec
	v_mov_b32_e32 v12, 0
	s_or_b64 s[4:5], s[4:5], s[8:9]
	s_or_b64 exec, exec, s[6:7]
	s_and_saveexec_b64 s[6:7], s[4:5]
	s_cbranch_execz .LBB2_31707
; %bb.56247:
	s_getpc_b64 s[14:15]
.Lpost_getpc31707:
	s_add_u32 s14, s14, (.LBB2_6071-.Lpost_getpc31707)&4294967295
	s_addc_u32 s15, s15, (.LBB2_6071-.Lpost_getpc31707)>>32
	s_setpc_b64 s[14:15]
.LBB2_31707:
	s_getpc_b64 s[14:15]
.Lpost_getpc19437:
	s_add_u32 s14, s14, (.LBB2_6072-.Lpost_getpc19437)&4294967295
	s_addc_u32 s15, s15, (.LBB2_6072-.Lpost_getpc19437)>>32
	s_setpc_b64 s[14:15]
.LBB2_20409:
	s_movk_i32 s4, 0x80
	v_cmp_eq_u16_sdwa s[12:13], v7, s4 src0_sel:BYTE_3 src1_sel:DWORD
	s_mov_b64 s[4:5], -1
                                        ; implicit-def: $sgpr10
	s_and_saveexec_b64 s[8:9], s[12:13]
; %bb.20410:
	s_mov_b32 s10, 0x7f800001
	s_xor_b64 s[4:5], exec, -1
; %bb.20411:
	s_or_b64 exec, exec, s[8:9]
	s_and_b64 s[4:5], s[4:5], exec
	s_or_saveexec_b64 s[6:7], s[6:7]
	v_mov_b32_e32 v2, s10
	s_xor_b64 exec, exec, s[6:7]
	s_cbranch_execnz .LBB2_20412
; %bb.56249:
	s_getpc_b64 s[14:15]
.Lpost_getpc31708:
	s_add_u32 s14, s14, (.LBB2_6074-.Lpost_getpc31708)&4294967295
	s_addc_u32 s15, s15, (.LBB2_6074-.Lpost_getpc31708)>>32
	s_setpc_b64 s[14:15]
.LBB2_20412:
	v_mov_b32_e32 v2, 0
	v_cmp_ne_u16_sdwa s[8:9], v7, v2 src0_sel:BYTE_3 src1_sel:DWORD
	s_andn2_b64 s[4:5], s[4:5], exec
	s_and_b64 s[8:9], s[8:9], exec
	s_or_b64 s[4:5], s[4:5], s[8:9]
	s_or_b64 exec, exec, s[6:7]
	s_and_saveexec_b64 s[6:7], s[4:5]
	s_cbranch_execz .LBB2_31709
; %bb.56251:
	s_getpc_b64 s[14:15]
.Lpost_getpc31709:
	s_add_u32 s14, s14, (.LBB2_6075-.Lpost_getpc31709)&4294967295
	s_addc_u32 s15, s15, (.LBB2_6075-.Lpost_getpc31709)>>32
	s_setpc_b64 s[14:15]
.LBB2_31709:
	s_getpc_b64 s[14:15]
.Lpost_getpc19438:
	s_add_u32 s14, s14, (.LBB2_6076-.Lpost_getpc19438)&4294967295
	s_addc_u32 s15, s15, (.LBB2_6076-.Lpost_getpc19438)>>32
	s_setpc_b64 s[14:15]
.LBB2_20413:
	s_movk_i32 s4, 0x80
	v_cmp_eq_u16_sdwa s[12:13], v3, s4 src0_sel:BYTE_3 src1_sel:DWORD
	s_mov_b64 s[4:5], -1
                                        ; implicit-def: $sgpr10
	s_and_saveexec_b64 s[8:9], s[12:13]
; %bb.20414:
	s_mov_b32 s10, 0x7f800001
	s_xor_b64 s[4:5], exec, -1
; %bb.20415:
	s_or_b64 exec, exec, s[8:9]
	s_and_b64 s[4:5], s[4:5], exec
	s_or_saveexec_b64 s[6:7], s[6:7]
	v_mov_b32_e32 v6, s10
	s_xor_b64 exec, exec, s[6:7]
	s_cbranch_execnz .LBB2_20416
; %bb.56253:
	s_getpc_b64 s[14:15]
.Lpost_getpc31710:
	s_add_u32 s14, s14, (.LBB2_6078-.Lpost_getpc31710)&4294967295
	s_addc_u32 s15, s15, (.LBB2_6078-.Lpost_getpc31710)>>32
	s_setpc_b64 s[14:15]
.LBB2_20416:
	v_mov_b32_e32 v6, 0
	v_cmp_ne_u16_sdwa s[8:9], v3, v6 src0_sel:BYTE_3 src1_sel:DWORD
	s_andn2_b64 s[4:5], s[4:5], exec
	s_and_b64 s[8:9], s[8:9], exec
	s_or_b64 s[4:5], s[4:5], s[8:9]
	s_or_b64 exec, exec, s[6:7]
	s_and_saveexec_b64 s[6:7], s[4:5]
	s_cbranch_execz .LBB2_31711
; %bb.56255:
	s_getpc_b64 s[14:15]
.Lpost_getpc31711:
	s_add_u32 s14, s14, (.LBB2_6079-.Lpost_getpc31711)&4294967295
	s_addc_u32 s15, s15, (.LBB2_6079-.Lpost_getpc31711)>>32
	s_setpc_b64 s[14:15]
.LBB2_31711:
	s_getpc_b64 s[14:15]
.Lpost_getpc19439:
	s_add_u32 s14, s14, (.LBB2_6080-.Lpost_getpc19439)&4294967295
	s_addc_u32 s15, s15, (.LBB2_6080-.Lpost_getpc19439)>>32
	s_setpc_b64 s[14:15]
.LBB2_20417:
	s_movk_i32 s4, 0x80
	v_cmp_eq_u16_sdwa s[12:13], v8, s4 src0_sel:BYTE_0 src1_sel:DWORD
	s_mov_b64 s[4:5], -1
                                        ; implicit-def: $sgpr10
	s_and_saveexec_b64 s[8:9], s[12:13]
; %bb.20418:
	s_mov_b32 s10, 0x7f800001
	s_xor_b64 s[4:5], exec, -1
; %bb.20419:
	s_or_b64 exec, exec, s[8:9]
	s_and_b64 s[4:5], s[4:5], exec
	s_or_saveexec_b64 s[6:7], s[6:7]
	v_mov_b32_e32 v2, s10
	s_xor_b64 exec, exec, s[6:7]
	s_cbranch_execnz .LBB2_20420
; %bb.56257:
	s_getpc_b64 s[14:15]
.Lpost_getpc31712:
	s_add_u32 s14, s14, (.LBB2_6082-.Lpost_getpc31712)&4294967295
	s_addc_u32 s15, s15, (.LBB2_6082-.Lpost_getpc31712)>>32
	s_setpc_b64 s[14:15]
.LBB2_20420:
	v_mov_b32_e32 v2, 0
	v_cmp_ne_u16_sdwa s[8:9], v8, v2 src0_sel:BYTE_0 src1_sel:DWORD
	s_andn2_b64 s[4:5], s[4:5], exec
	s_and_b64 s[8:9], s[8:9], exec
	s_or_b64 s[4:5], s[4:5], s[8:9]
	s_or_b64 exec, exec, s[6:7]
	s_and_saveexec_b64 s[6:7], s[4:5]
	s_cbranch_execz .LBB2_31713
; %bb.56259:
	s_getpc_b64 s[14:15]
.Lpost_getpc31713:
	s_add_u32 s14, s14, (.LBB2_6083-.Lpost_getpc31713)&4294967295
	s_addc_u32 s15, s15, (.LBB2_6083-.Lpost_getpc31713)>>32
	s_setpc_b64 s[14:15]
.LBB2_31713:
	s_getpc_b64 s[14:15]
.Lpost_getpc19440:
	s_add_u32 s14, s14, (.LBB2_6084-.Lpost_getpc19440)&4294967295
	s_addc_u32 s15, s15, (.LBB2_6084-.Lpost_getpc19440)>>32
	s_setpc_b64 s[14:15]
.LBB2_20421:
	s_movk_i32 s4, 0x80
	v_cmp_eq_u16_sdwa s[12:13], v4, s4 src0_sel:BYTE_0 src1_sel:DWORD
	s_mov_b64 s[4:5], -1
                                        ; implicit-def: $sgpr10
	s_and_saveexec_b64 s[8:9], s[12:13]
; %bb.20422:
	s_mov_b32 s10, 0x7f800001
	s_xor_b64 s[4:5], exec, -1
; %bb.20423:
	s_or_b64 exec, exec, s[8:9]
	s_and_b64 s[4:5], s[4:5], exec
	s_or_saveexec_b64 s[6:7], s[6:7]
	v_mov_b32_e32 v3, s10
	s_xor_b64 exec, exec, s[6:7]
	s_cbranch_execnz .LBB2_20424
; %bb.56261:
	s_getpc_b64 s[14:15]
.Lpost_getpc31714:
	s_add_u32 s14, s14, (.LBB2_6086-.Lpost_getpc31714)&4294967295
	s_addc_u32 s15, s15, (.LBB2_6086-.Lpost_getpc31714)>>32
	s_setpc_b64 s[14:15]
.LBB2_20424:
	v_mov_b32_e32 v3, 0
	v_cmp_ne_u16_sdwa s[8:9], v4, v3 src0_sel:BYTE_0 src1_sel:DWORD
	s_andn2_b64 s[4:5], s[4:5], exec
	s_and_b64 s[8:9], s[8:9], exec
	s_or_b64 s[4:5], s[4:5], s[8:9]
	s_or_b64 exec, exec, s[6:7]
	s_and_saveexec_b64 s[6:7], s[4:5]
	s_cbranch_execz .LBB2_31715
; %bb.56263:
	s_getpc_b64 s[14:15]
.Lpost_getpc31715:
	s_add_u32 s14, s14, (.LBB2_6087-.Lpost_getpc31715)&4294967295
	s_addc_u32 s15, s15, (.LBB2_6087-.Lpost_getpc31715)>>32
	s_setpc_b64 s[14:15]
.LBB2_31715:
	s_getpc_b64 s[14:15]
.Lpost_getpc19441:
	s_add_u32 s14, s14, (.LBB2_6088-.Lpost_getpc19441)&4294967295
	s_addc_u32 s15, s15, (.LBB2_6088-.Lpost_getpc19441)>>32
	s_setpc_b64 s[14:15]
.LBB2_20425:
	s_movk_i32 s4, 0x80
	v_cmp_eq_u16_sdwa s[12:13], v3, s4 src0_sel:BYTE_0 src1_sel:DWORD
	s_mov_b64 s[4:5], -1
                                        ; implicit-def: $sgpr10
	s_and_saveexec_b64 s[8:9], s[12:13]
; %bb.20426:
	s_mov_b32 s10, 0x7f800001
	s_xor_b64 s[4:5], exec, -1
; %bb.20427:
	s_or_b64 exec, exec, s[8:9]
	s_and_b64 s[4:5], s[4:5], exec
	s_or_saveexec_b64 s[6:7], s[6:7]
	v_mov_b32_e32 v2, s10
	s_xor_b64 exec, exec, s[6:7]
	s_cbranch_execnz .LBB2_20428
; %bb.56265:
	s_getpc_b64 s[14:15]
.Lpost_getpc31716:
	s_add_u32 s14, s14, (.LBB2_6090-.Lpost_getpc31716)&4294967295
	s_addc_u32 s15, s15, (.LBB2_6090-.Lpost_getpc31716)>>32
	s_setpc_b64 s[14:15]
.LBB2_20428:
	v_mov_b32_e32 v2, 0
	v_cmp_ne_u16_sdwa s[8:9], v3, v2 src0_sel:BYTE_0 src1_sel:DWORD
	s_andn2_b64 s[4:5], s[4:5], exec
	s_and_b64 s[8:9], s[8:9], exec
	s_or_b64 s[4:5], s[4:5], s[8:9]
	s_or_b64 exec, exec, s[6:7]
	s_and_saveexec_b64 s[6:7], s[4:5]
	s_cbranch_execz .LBB2_31717
; %bb.56267:
	s_getpc_b64 s[14:15]
.Lpost_getpc31717:
	s_add_u32 s14, s14, (.LBB2_6091-.Lpost_getpc31717)&4294967295
	s_addc_u32 s15, s15, (.LBB2_6091-.Lpost_getpc31717)>>32
	s_setpc_b64 s[14:15]
.LBB2_31717:
	s_getpc_b64 s[14:15]
.Lpost_getpc19442:
	s_add_u32 s14, s14, (.LBB2_6092-.Lpost_getpc19442)&4294967295
	s_addc_u32 s15, s15, (.LBB2_6092-.Lpost_getpc19442)>>32
	s_setpc_b64 s[14:15]
.LBB2_20429:
	s_movk_i32 s4, 0x80
	v_cmp_eq_u16_sdwa s[12:13], v3, s4 src0_sel:BYTE_0 src1_sel:DWORD
	s_mov_b64 s[4:5], -1
                                        ; implicit-def: $sgpr10
	s_and_saveexec_b64 s[8:9], s[12:13]
; %bb.20430:
	s_mov_b32 s10, 0x7f800001
	s_xor_b64 s[4:5], exec, -1
; %bb.20431:
	s_or_b64 exec, exec, s[8:9]
	s_and_b64 s[4:5], s[4:5], exec
	s_or_saveexec_b64 s[6:7], s[6:7]
	v_mov_b32_e32 v6, s10
	s_xor_b64 exec, exec, s[6:7]
	s_cbranch_execnz .LBB2_20432
; %bb.56269:
	s_getpc_b64 s[14:15]
.Lpost_getpc31718:
	s_add_u32 s14, s14, (.LBB2_6094-.Lpost_getpc31718)&4294967295
	s_addc_u32 s15, s15, (.LBB2_6094-.Lpost_getpc31718)>>32
	s_setpc_b64 s[14:15]
.LBB2_20432:
	v_mov_b32_e32 v6, 0
	v_cmp_ne_u16_sdwa s[8:9], v3, v6 src0_sel:BYTE_0 src1_sel:DWORD
	s_andn2_b64 s[4:5], s[4:5], exec
	s_and_b64 s[8:9], s[8:9], exec
	s_or_b64 s[4:5], s[4:5], s[8:9]
	s_or_b64 exec, exec, s[6:7]
	s_and_saveexec_b64 s[6:7], s[4:5]
	s_cbranch_execz .LBB2_31719
; %bb.56271:
	s_getpc_b64 s[14:15]
.Lpost_getpc31719:
	s_add_u32 s14, s14, (.LBB2_6095-.Lpost_getpc31719)&4294967295
	s_addc_u32 s15, s15, (.LBB2_6095-.Lpost_getpc31719)>>32
	s_setpc_b64 s[14:15]
.LBB2_31719:
	s_getpc_b64 s[14:15]
.Lpost_getpc19443:
	s_add_u32 s14, s14, (.LBB2_6096-.Lpost_getpc19443)&4294967295
	s_addc_u32 s15, s15, (.LBB2_6096-.Lpost_getpc19443)>>32
	s_setpc_b64 s[14:15]
.LBB2_20433:
	s_movk_i32 s4, 0x80
	v_cmp_eq_u16_e32 vcc, s4, v3
	s_mov_b64 s[4:5], -1
                                        ; implicit-def: $sgpr10
	s_and_saveexec_b64 s[8:9], vcc
; %bb.20434:
	s_mov_b32 s10, 0x7f800001
	s_xor_b64 s[4:5], exec, -1
; %bb.20435:
	s_or_b64 exec, exec, s[8:9]
	s_and_b64 s[4:5], s[4:5], exec
                                        ; implicit-def: $vgpr3
	s_or_saveexec_b64 s[6:7], s[6:7]
	v_mov_b32_e32 v2, s10
	s_xor_b64 exec, exec, s[6:7]
	s_cbranch_execnz .LBB2_20436
; %bb.56273:
	s_getpc_b64 s[14:15]
.Lpost_getpc31720:
	s_add_u32 s14, s14, (.LBB2_6098-.Lpost_getpc31720)&4294967295
	s_addc_u32 s15, s15, (.LBB2_6098-.Lpost_getpc31720)>>32
	s_setpc_b64 s[14:15]
.LBB2_20436:
	v_cmp_ne_u16_e32 vcc, 0, v3
	s_andn2_b64 s[4:5], s[4:5], exec
	s_and_b64 s[8:9], vcc, exec
	v_mov_b32_e32 v2, 0
	s_or_b64 s[4:5], s[4:5], s[8:9]
	s_or_b64 exec, exec, s[6:7]
	s_and_saveexec_b64 s[6:7], s[4:5]
	s_cbranch_execz .LBB2_31721
; %bb.56275:
	s_getpc_b64 s[14:15]
.Lpost_getpc31721:
	s_add_u32 s14, s14, (.LBB2_6099-.Lpost_getpc31721)&4294967295
	s_addc_u32 s15, s15, (.LBB2_6099-.Lpost_getpc31721)>>32
	s_setpc_b64 s[14:15]
.LBB2_31721:
	s_getpc_b64 s[14:15]
.Lpost_getpc19444:
	s_add_u32 s14, s14, (.LBB2_6100-.Lpost_getpc19444)&4294967295
	s_addc_u32 s15, s15, (.LBB2_6100-.Lpost_getpc19444)>>32
	s_setpc_b64 s[14:15]
.LBB2_20437:
	s_movk_i32 s4, 0x80
	v_cmp_eq_u16_e32 vcc, s4, v3
	s_mov_b64 s[4:5], -1
                                        ; implicit-def: $sgpr10
	s_and_saveexec_b64 s[8:9], vcc
; %bb.20438:
	s_mov_b32 s10, 0x7f800001
	s_xor_b64 s[4:5], exec, -1
; %bb.20439:
	s_or_b64 exec, exec, s[8:9]
	s_and_b64 s[4:5], s[4:5], exec
                                        ; implicit-def: $vgpr3
	s_or_saveexec_b64 s[6:7], s[6:7]
	v_mov_b32_e32 v6, s10
	s_xor_b64 exec, exec, s[6:7]
	s_cbranch_execnz .LBB2_20440
; %bb.56277:
	s_getpc_b64 s[14:15]
.Lpost_getpc31722:
	s_add_u32 s14, s14, (.LBB2_6102-.Lpost_getpc31722)&4294967295
	s_addc_u32 s15, s15, (.LBB2_6102-.Lpost_getpc31722)>>32
	s_setpc_b64 s[14:15]
.LBB2_20440:
	v_cmp_ne_u16_e32 vcc, 0, v3
	s_andn2_b64 s[4:5], s[4:5], exec
	s_and_b64 s[8:9], vcc, exec
	v_mov_b32_e32 v6, 0
	s_or_b64 s[4:5], s[4:5], s[8:9]
	s_or_b64 exec, exec, s[6:7]
	s_and_saveexec_b64 s[6:7], s[4:5]
	s_cbranch_execz .LBB2_31723
; %bb.56279:
	s_getpc_b64 s[14:15]
.Lpost_getpc31723:
	s_add_u32 s14, s14, (.LBB2_6103-.Lpost_getpc31723)&4294967295
	s_addc_u32 s15, s15, (.LBB2_6103-.Lpost_getpc31723)>>32
	s_setpc_b64 s[14:15]
.LBB2_31723:
	s_getpc_b64 s[14:15]
.Lpost_getpc19445:
	s_add_u32 s14, s14, (.LBB2_6104-.Lpost_getpc19445)&4294967295
	s_addc_u32 s15, s15, (.LBB2_6104-.Lpost_getpc19445)>>32
	s_setpc_b64 s[14:15]
.LBB2_20441:
	s_movk_i32 s4, 0x80
	v_cmp_eq_u16_sdwa s[12:13], v8, s4 src0_sel:BYTE_3 src1_sel:DWORD
	s_mov_b64 s[4:5], -1
                                        ; implicit-def: $sgpr10
	s_and_saveexec_b64 s[8:9], s[12:13]
; %bb.20442:
	s_mov_b32 s10, 0x7f800001
	s_xor_b64 s[4:5], exec, -1
; %bb.20443:
	s_or_b64 exec, exec, s[8:9]
	s_and_b64 s[4:5], s[4:5], exec
	s_or_saveexec_b64 s[6:7], s[6:7]
	v_mov_b32_e32 v2, s10
	s_xor_b64 exec, exec, s[6:7]
	s_cbranch_execnz .LBB2_20444
; %bb.56281:
	s_getpc_b64 s[14:15]
.Lpost_getpc31724:
	s_add_u32 s14, s14, (.LBB2_6106-.Lpost_getpc31724)&4294967295
	s_addc_u32 s15, s15, (.LBB2_6106-.Lpost_getpc31724)>>32
	s_setpc_b64 s[14:15]
.LBB2_20444:
	v_mov_b32_e32 v2, 0
	v_cmp_ne_u16_sdwa s[8:9], v8, v2 src0_sel:BYTE_3 src1_sel:DWORD
	s_andn2_b64 s[4:5], s[4:5], exec
	s_and_b64 s[8:9], s[8:9], exec
	s_or_b64 s[4:5], s[4:5], s[8:9]
	s_or_b64 exec, exec, s[6:7]
	s_and_saveexec_b64 s[6:7], s[4:5]
	s_cbranch_execz .LBB2_31725
; %bb.56283:
	s_getpc_b64 s[14:15]
.Lpost_getpc31725:
	s_add_u32 s14, s14, (.LBB2_6107-.Lpost_getpc31725)&4294967295
	s_addc_u32 s15, s15, (.LBB2_6107-.Lpost_getpc31725)>>32
	s_setpc_b64 s[14:15]
.LBB2_31725:
	s_getpc_b64 s[14:15]
.Lpost_getpc19446:
	s_add_u32 s14, s14, (.LBB2_6108-.Lpost_getpc19446)&4294967295
	s_addc_u32 s15, s15, (.LBB2_6108-.Lpost_getpc19446)>>32
	s_setpc_b64 s[14:15]
.LBB2_20445:
	s_movk_i32 s4, 0x80
	v_cmp_eq_u16_sdwa s[12:13], v4, s4 src0_sel:BYTE_3 src1_sel:DWORD
	s_mov_b64 s[4:5], -1
                                        ; implicit-def: $sgpr10
	s_and_saveexec_b64 s[8:9], s[12:13]
; %bb.20446:
	s_mov_b32 s10, 0x7f800001
	s_xor_b64 s[4:5], exec, -1
; %bb.20447:
	s_or_b64 exec, exec, s[8:9]
	s_and_b64 s[4:5], s[4:5], exec
	s_or_saveexec_b64 s[6:7], s[6:7]
	v_mov_b32_e32 v3, s10
	s_xor_b64 exec, exec, s[6:7]
	s_cbranch_execnz .LBB2_20448
; %bb.56285:
	s_getpc_b64 s[14:15]
.Lpost_getpc31726:
	s_add_u32 s14, s14, (.LBB2_6110-.Lpost_getpc31726)&4294967295
	s_addc_u32 s15, s15, (.LBB2_6110-.Lpost_getpc31726)>>32
	s_setpc_b64 s[14:15]
.LBB2_20448:
	v_mov_b32_e32 v3, 0
	v_cmp_ne_u16_sdwa s[8:9], v4, v3 src0_sel:BYTE_3 src1_sel:DWORD
	s_andn2_b64 s[4:5], s[4:5], exec
	s_and_b64 s[8:9], s[8:9], exec
	s_or_b64 s[4:5], s[4:5], s[8:9]
	s_or_b64 exec, exec, s[6:7]
	s_and_saveexec_b64 s[6:7], s[4:5]
	s_cbranch_execz .LBB2_31727
; %bb.56287:
	s_getpc_b64 s[14:15]
.Lpost_getpc31727:
	s_add_u32 s14, s14, (.LBB2_6111-.Lpost_getpc31727)&4294967295
	s_addc_u32 s15, s15, (.LBB2_6111-.Lpost_getpc31727)>>32
	s_setpc_b64 s[14:15]
.LBB2_31727:
	s_getpc_b64 s[14:15]
.Lpost_getpc19447:
	s_add_u32 s14, s14, (.LBB2_6112-.Lpost_getpc19447)&4294967295
	s_addc_u32 s15, s15, (.LBB2_6112-.Lpost_getpc19447)>>32
	s_setpc_b64 s[14:15]
.LBB2_20449:
	s_movk_i32 s4, 0x80
	v_cmp_eq_u16_sdwa s[12:13], v9, s4 src0_sel:BYTE_0 src1_sel:DWORD
	s_mov_b64 s[4:5], -1
                                        ; implicit-def: $sgpr10
	s_and_saveexec_b64 s[8:9], s[12:13]
; %bb.20450:
	s_mov_b32 s10, 0x7f800001
	s_xor_b64 s[4:5], exec, -1
; %bb.20451:
	s_or_b64 exec, exec, s[8:9]
	s_and_b64 s[4:5], s[4:5], exec
	s_or_saveexec_b64 s[6:7], s[6:7]
	v_mov_b32_e32 v2, s10
	s_xor_b64 exec, exec, s[6:7]
	s_cbranch_execnz .LBB2_20452
; %bb.56289:
	s_getpc_b64 s[14:15]
.Lpost_getpc31728:
	s_add_u32 s14, s14, (.LBB2_6114-.Lpost_getpc31728)&4294967295
	s_addc_u32 s15, s15, (.LBB2_6114-.Lpost_getpc31728)>>32
	s_setpc_b64 s[14:15]
.LBB2_20452:
	v_mov_b32_e32 v2, 0
	v_cmp_ne_u16_sdwa s[8:9], v9, v2 src0_sel:BYTE_0 src1_sel:DWORD
	s_andn2_b64 s[4:5], s[4:5], exec
	s_and_b64 s[8:9], s[8:9], exec
	s_or_b64 s[4:5], s[4:5], s[8:9]
	s_or_b64 exec, exec, s[6:7]
	s_and_saveexec_b64 s[6:7], s[4:5]
	s_cbranch_execz .LBB2_31729
; %bb.56291:
	s_getpc_b64 s[14:15]
.Lpost_getpc31729:
	s_add_u32 s14, s14, (.LBB2_6115-.Lpost_getpc31729)&4294967295
	s_addc_u32 s15, s15, (.LBB2_6115-.Lpost_getpc31729)>>32
	s_setpc_b64 s[14:15]
.LBB2_31729:
	s_getpc_b64 s[14:15]
.Lpost_getpc19448:
	s_add_u32 s14, s14, (.LBB2_6116-.Lpost_getpc19448)&4294967295
	s_addc_u32 s15, s15, (.LBB2_6116-.Lpost_getpc19448)>>32
	s_setpc_b64 s[14:15]
.LBB2_20453:
	s_movk_i32 s4, 0x80
	v_cmp_eq_u16_sdwa s[12:13], v5, s4 src0_sel:BYTE_0 src1_sel:DWORD
	s_mov_b64 s[4:5], -1
                                        ; implicit-def: $sgpr10
	s_and_saveexec_b64 s[8:9], s[12:13]
; %bb.20454:
	s_mov_b32 s10, 0x7f800001
	s_xor_b64 s[4:5], exec, -1
; %bb.20455:
	s_or_b64 exec, exec, s[8:9]
	s_and_b64 s[4:5], s[4:5], exec
	s_or_saveexec_b64 s[6:7], s[6:7]
	v_mov_b32_e32 v3, s10
	s_xor_b64 exec, exec, s[6:7]
	s_cbranch_execnz .LBB2_20456
; %bb.56293:
	s_getpc_b64 s[14:15]
.Lpost_getpc31730:
	s_add_u32 s14, s14, (.LBB2_6118-.Lpost_getpc31730)&4294967295
	s_addc_u32 s15, s15, (.LBB2_6118-.Lpost_getpc31730)>>32
	s_setpc_b64 s[14:15]
.LBB2_20456:
	v_mov_b32_e32 v3, 0
	v_cmp_ne_u16_sdwa s[8:9], v5, v3 src0_sel:BYTE_0 src1_sel:DWORD
	s_andn2_b64 s[4:5], s[4:5], exec
	s_and_b64 s[8:9], s[8:9], exec
	s_or_b64 s[4:5], s[4:5], s[8:9]
	s_or_b64 exec, exec, s[6:7]
	s_and_saveexec_b64 s[6:7], s[4:5]
	s_cbranch_execz .LBB2_31731
; %bb.56295:
	s_getpc_b64 s[14:15]
.Lpost_getpc31731:
	s_add_u32 s14, s14, (.LBB2_6119-.Lpost_getpc31731)&4294967295
	s_addc_u32 s15, s15, (.LBB2_6119-.Lpost_getpc31731)>>32
	s_setpc_b64 s[14:15]
.LBB2_31731:
	s_getpc_b64 s[14:15]
.Lpost_getpc19449:
	s_add_u32 s14, s14, (.LBB2_6120-.Lpost_getpc19449)&4294967295
	s_addc_u32 s15, s15, (.LBB2_6120-.Lpost_getpc19449)>>32
	s_setpc_b64 s[14:15]
.LBB2_20457:
	s_movk_i32 s4, 0x80
	v_cmp_eq_u16_sdwa s[12:13], v3, s4 src0_sel:BYTE_0 src1_sel:DWORD
	s_mov_b64 s[4:5], -1
                                        ; implicit-def: $sgpr10
	s_and_saveexec_b64 s[8:9], s[12:13]
; %bb.20458:
	s_mov_b32 s10, 0x7f800001
	s_xor_b64 s[4:5], exec, -1
; %bb.20459:
	s_or_b64 exec, exec, s[8:9]
	s_and_b64 s[4:5], s[4:5], exec
	s_or_saveexec_b64 s[6:7], s[6:7]
	v_mov_b32_e32 v2, s10
	s_xor_b64 exec, exec, s[6:7]
	s_cbranch_execnz .LBB2_20460
; %bb.56297:
	s_getpc_b64 s[14:15]
.Lpost_getpc31732:
	s_add_u32 s14, s14, (.LBB2_6122-.Lpost_getpc31732)&4294967295
	s_addc_u32 s15, s15, (.LBB2_6122-.Lpost_getpc31732)>>32
	s_setpc_b64 s[14:15]
.LBB2_20460:
	v_mov_b32_e32 v2, 0
	v_cmp_ne_u16_sdwa s[8:9], v3, v2 src0_sel:BYTE_0 src1_sel:DWORD
	s_andn2_b64 s[4:5], s[4:5], exec
	s_and_b64 s[8:9], s[8:9], exec
	s_or_b64 s[4:5], s[4:5], s[8:9]
	s_or_b64 exec, exec, s[6:7]
	s_and_saveexec_b64 s[6:7], s[4:5]
	s_cbranch_execz .LBB2_31733
; %bb.56299:
	s_getpc_b64 s[14:15]
.Lpost_getpc31733:
	s_add_u32 s14, s14, (.LBB2_6123-.Lpost_getpc31733)&4294967295
	s_addc_u32 s15, s15, (.LBB2_6123-.Lpost_getpc31733)>>32
	s_setpc_b64 s[14:15]
.LBB2_31733:
	s_getpc_b64 s[14:15]
.Lpost_getpc19450:
	s_add_u32 s14, s14, (.LBB2_6124-.Lpost_getpc19450)&4294967295
	s_addc_u32 s15, s15, (.LBB2_6124-.Lpost_getpc19450)>>32
	s_setpc_b64 s[14:15]
.LBB2_20461:
	s_movk_i32 s4, 0x80
	v_cmp_eq_u16_sdwa s[12:13], v3, s4 src0_sel:BYTE_0 src1_sel:DWORD
	s_mov_b64 s[4:5], -1
                                        ; implicit-def: $sgpr10
	s_and_saveexec_b64 s[8:9], s[12:13]
; %bb.20462:
	s_mov_b32 s10, 0x7f800001
	s_xor_b64 s[4:5], exec, -1
; %bb.20463:
	s_or_b64 exec, exec, s[8:9]
	s_and_b64 s[4:5], s[4:5], exec
	s_or_saveexec_b64 s[6:7], s[6:7]
	v_mov_b32_e32 v4, s10
	s_xor_b64 exec, exec, s[6:7]
	s_cbranch_execnz .LBB2_20464
; %bb.56301:
	s_getpc_b64 s[14:15]
.Lpost_getpc31734:
	s_add_u32 s14, s14, (.LBB2_6126-.Lpost_getpc31734)&4294967295
	s_addc_u32 s15, s15, (.LBB2_6126-.Lpost_getpc31734)>>32
	s_setpc_b64 s[14:15]
.LBB2_20464:
	v_mov_b32_e32 v4, 0
	v_cmp_ne_u16_sdwa s[8:9], v3, v4 src0_sel:BYTE_0 src1_sel:DWORD
	s_andn2_b64 s[4:5], s[4:5], exec
	s_and_b64 s[8:9], s[8:9], exec
	s_or_b64 s[4:5], s[4:5], s[8:9]
	s_or_b64 exec, exec, s[6:7]
	s_and_saveexec_b64 s[6:7], s[4:5]
	s_cbranch_execz .LBB2_31735
; %bb.56303:
	s_getpc_b64 s[14:15]
.Lpost_getpc31735:
	s_add_u32 s14, s14, (.LBB2_6127-.Lpost_getpc31735)&4294967295
	s_addc_u32 s15, s15, (.LBB2_6127-.Lpost_getpc31735)>>32
	s_setpc_b64 s[14:15]
.LBB2_31735:
	s_getpc_b64 s[14:15]
.Lpost_getpc19451:
	s_add_u32 s14, s14, (.LBB2_6128-.Lpost_getpc19451)&4294967295
	s_addc_u32 s15, s15, (.LBB2_6128-.Lpost_getpc19451)>>32
	s_setpc_b64 s[14:15]
.LBB2_20465:
	s_movk_i32 s4, 0x80
	v_cmp_eq_u16_e32 vcc, s4, v3
	s_mov_b64 s[4:5], -1
                                        ; implicit-def: $sgpr10
	s_and_saveexec_b64 s[8:9], vcc
; %bb.20466:
	s_mov_b32 s10, 0x7f800001
	s_xor_b64 s[4:5], exec, -1
; %bb.20467:
	s_or_b64 exec, exec, s[8:9]
	s_and_b64 s[4:5], s[4:5], exec
                                        ; implicit-def: $vgpr3
	s_or_saveexec_b64 s[6:7], s[6:7]
	v_mov_b32_e32 v2, s10
	s_xor_b64 exec, exec, s[6:7]
	s_cbranch_execnz .LBB2_20468
; %bb.56305:
	s_getpc_b64 s[14:15]
.Lpost_getpc31736:
	s_add_u32 s14, s14, (.LBB2_6130-.Lpost_getpc31736)&4294967295
	s_addc_u32 s15, s15, (.LBB2_6130-.Lpost_getpc31736)>>32
	s_setpc_b64 s[14:15]
.LBB2_20468:
	v_cmp_ne_u16_e32 vcc, 0, v3
	s_andn2_b64 s[4:5], s[4:5], exec
	s_and_b64 s[8:9], vcc, exec
	v_mov_b32_e32 v2, 0
	s_or_b64 s[4:5], s[4:5], s[8:9]
	s_or_b64 exec, exec, s[6:7]
	s_and_saveexec_b64 s[6:7], s[4:5]
	s_cbranch_execz .LBB2_31737
; %bb.56307:
	s_getpc_b64 s[14:15]
.Lpost_getpc31737:
	s_add_u32 s14, s14, (.LBB2_6131-.Lpost_getpc31737)&4294967295
	s_addc_u32 s15, s15, (.LBB2_6131-.Lpost_getpc31737)>>32
	s_setpc_b64 s[14:15]
.LBB2_31737:
	s_getpc_b64 s[14:15]
.Lpost_getpc19452:
	s_add_u32 s14, s14, (.LBB2_6132-.Lpost_getpc19452)&4294967295
	s_addc_u32 s15, s15, (.LBB2_6132-.Lpost_getpc19452)>>32
	s_setpc_b64 s[14:15]
.LBB2_20469:
	s_movk_i32 s4, 0x80
	v_cmp_eq_u16_e32 vcc, s4, v3
	s_mov_b64 s[4:5], -1
                                        ; implicit-def: $sgpr10
	s_and_saveexec_b64 s[8:9], vcc
; %bb.20470:
	s_mov_b32 s10, 0x7f800001
	s_xor_b64 s[4:5], exec, -1
; %bb.20471:
	s_or_b64 exec, exec, s[8:9]
	s_and_b64 s[4:5], s[4:5], exec
                                        ; implicit-def: $vgpr3
	s_or_saveexec_b64 s[6:7], s[6:7]
	v_mov_b32_e32 v4, s10
	s_xor_b64 exec, exec, s[6:7]
	s_cbranch_execnz .LBB2_20472
; %bb.56309:
	s_getpc_b64 s[14:15]
.Lpost_getpc31738:
	s_add_u32 s14, s14, (.LBB2_6134-.Lpost_getpc31738)&4294967295
	s_addc_u32 s15, s15, (.LBB2_6134-.Lpost_getpc31738)>>32
	s_setpc_b64 s[14:15]
.LBB2_20472:
	v_cmp_ne_u16_e32 vcc, 0, v3
	s_andn2_b64 s[4:5], s[4:5], exec
	s_and_b64 s[8:9], vcc, exec
	v_mov_b32_e32 v4, 0
	s_or_b64 s[4:5], s[4:5], s[8:9]
	s_or_b64 exec, exec, s[6:7]
	s_and_saveexec_b64 s[6:7], s[4:5]
	s_cbranch_execz .LBB2_31739
; %bb.56311:
	s_getpc_b64 s[14:15]
.Lpost_getpc31739:
	s_add_u32 s14, s14, (.LBB2_6135-.Lpost_getpc31739)&4294967295
	s_addc_u32 s15, s15, (.LBB2_6135-.Lpost_getpc31739)>>32
	s_setpc_b64 s[14:15]
.LBB2_31739:
	s_getpc_b64 s[14:15]
.Lpost_getpc19453:
	s_add_u32 s14, s14, (.LBB2_6136-.Lpost_getpc19453)&4294967295
	s_addc_u32 s15, s15, (.LBB2_6136-.Lpost_getpc19453)>>32
	s_setpc_b64 s[14:15]
.LBB2_20473:
	s_movk_i32 s4, 0x80
	v_cmp_eq_u16_sdwa s[12:13], v9, s4 src0_sel:BYTE_3 src1_sel:DWORD
	s_mov_b64 s[4:5], -1
                                        ; implicit-def: $sgpr10
	s_and_saveexec_b64 s[8:9], s[12:13]
; %bb.20474:
	s_mov_b32 s10, 0x7f800001
	s_xor_b64 s[4:5], exec, -1
; %bb.20475:
	s_or_b64 exec, exec, s[8:9]
	s_and_b64 s[4:5], s[4:5], exec
	s_or_saveexec_b64 s[6:7], s[6:7]
	v_mov_b32_e32 v2, s10
	s_xor_b64 exec, exec, s[6:7]
	s_cbranch_execnz .LBB2_20476
; %bb.56313:
	s_getpc_b64 s[14:15]
.Lpost_getpc31740:
	s_add_u32 s14, s14, (.LBB2_6138-.Lpost_getpc31740)&4294967295
	s_addc_u32 s15, s15, (.LBB2_6138-.Lpost_getpc31740)>>32
	s_setpc_b64 s[14:15]
.LBB2_20476:
	v_mov_b32_e32 v2, 0
	v_cmp_ne_u16_sdwa s[8:9], v9, v2 src0_sel:BYTE_3 src1_sel:DWORD
	s_andn2_b64 s[4:5], s[4:5], exec
	s_and_b64 s[8:9], s[8:9], exec
	s_or_b64 s[4:5], s[4:5], s[8:9]
	s_or_b64 exec, exec, s[6:7]
	s_and_saveexec_b64 s[6:7], s[4:5]
	s_cbranch_execz .LBB2_31741
; %bb.56315:
	s_getpc_b64 s[14:15]
.Lpost_getpc31741:
	s_add_u32 s14, s14, (.LBB2_6139-.Lpost_getpc31741)&4294967295
	s_addc_u32 s15, s15, (.LBB2_6139-.Lpost_getpc31741)>>32
	s_setpc_b64 s[14:15]
.LBB2_31741:
	s_getpc_b64 s[14:15]
.Lpost_getpc19454:
	s_add_u32 s14, s14, (.LBB2_6140-.Lpost_getpc19454)&4294967295
	s_addc_u32 s15, s15, (.LBB2_6140-.Lpost_getpc19454)>>32
	s_setpc_b64 s[14:15]
.LBB2_20477:
	s_movk_i32 s4, 0x80
	v_cmp_eq_u16_sdwa s[12:13], v5, s4 src0_sel:BYTE_3 src1_sel:DWORD
	s_mov_b64 s[4:5], -1
                                        ; implicit-def: $sgpr10
	s_and_saveexec_b64 s[8:9], s[12:13]
; %bb.20478:
	s_mov_b32 s10, 0x7f800001
	s_xor_b64 s[4:5], exec, -1
; %bb.20479:
	s_or_b64 exec, exec, s[8:9]
	s_and_b64 s[4:5], s[4:5], exec
	s_or_saveexec_b64 s[6:7], s[6:7]
	v_mov_b32_e32 v3, s10
	s_xor_b64 exec, exec, s[6:7]
	s_cbranch_execnz .LBB2_20480
; %bb.56317:
	s_getpc_b64 s[14:15]
.Lpost_getpc31742:
	s_add_u32 s14, s14, (.LBB2_6142-.Lpost_getpc31742)&4294967295
	s_addc_u32 s15, s15, (.LBB2_6142-.Lpost_getpc31742)>>32
	s_setpc_b64 s[14:15]
.LBB2_20480:
	v_mov_b32_e32 v3, 0
	v_cmp_ne_u16_sdwa s[8:9], v5, v3 src0_sel:BYTE_3 src1_sel:DWORD
	s_andn2_b64 s[4:5], s[4:5], exec
	s_and_b64 s[8:9], s[8:9], exec
	s_or_b64 s[4:5], s[4:5], s[8:9]
	s_or_b64 exec, exec, s[6:7]
	s_and_saveexec_b64 s[6:7], s[4:5]
	s_cbranch_execz .LBB2_31743
; %bb.56319:
	s_getpc_b64 s[14:15]
.Lpost_getpc31743:
	s_add_u32 s14, s14, (.LBB2_6143-.Lpost_getpc31743)&4294967295
	s_addc_u32 s15, s15, (.LBB2_6143-.Lpost_getpc31743)>>32
	s_setpc_b64 s[14:15]
.LBB2_31743:
	s_getpc_b64 s[14:15]
.Lpost_getpc19455:
	s_add_u32 s14, s14, (.LBB2_6144-.Lpost_getpc19455)&4294967295
	s_addc_u32 s15, s15, (.LBB2_6144-.Lpost_getpc19455)>>32
	s_setpc_b64 s[14:15]
.LBB2_20481:
	s_movk_i32 s4, 0x80
	v_cmp_eq_u16_sdwa s[12:13], v6, s4 src0_sel:BYTE_0 src1_sel:DWORD
	s_mov_b64 s[4:5], -1
                                        ; implicit-def: $sgpr10
	s_and_saveexec_b64 s[8:9], s[12:13]
; %bb.20482:
	s_mov_b32 s10, 0x7f800001
	s_xor_b64 s[4:5], exec, -1
; %bb.20483:
	s_or_b64 exec, exec, s[8:9]
	s_and_b64 s[4:5], s[4:5], exec
	s_or_saveexec_b64 s[6:7], s[6:7]
	v_mov_b32_e32 v12, s10
	s_xor_b64 exec, exec, s[6:7]
	s_cbranch_execnz .LBB2_20484
; %bb.56321:
	s_getpc_b64 s[14:15]
.Lpost_getpc31744:
	s_add_u32 s14, s14, (.LBB2_6146-.Lpost_getpc31744)&4294967295
	s_addc_u32 s15, s15, (.LBB2_6146-.Lpost_getpc31744)>>32
	s_setpc_b64 s[14:15]
.LBB2_20484:
	v_mov_b32_e32 v12, 0
	v_cmp_ne_u16_sdwa s[8:9], v6, v12 src0_sel:BYTE_0 src1_sel:DWORD
	s_andn2_b64 s[4:5], s[4:5], exec
	s_and_b64 s[8:9], s[8:9], exec
	s_or_b64 s[4:5], s[4:5], s[8:9]
	s_or_b64 exec, exec, s[6:7]
	s_and_saveexec_b64 s[6:7], s[4:5]
	s_cbranch_execz .LBB2_31745
; %bb.56323:
	s_getpc_b64 s[14:15]
.Lpost_getpc31745:
	s_add_u32 s14, s14, (.LBB2_6147-.Lpost_getpc31745)&4294967295
	s_addc_u32 s15, s15, (.LBB2_6147-.Lpost_getpc31745)>>32
	s_setpc_b64 s[14:15]
.LBB2_31745:
	s_getpc_b64 s[14:15]
.Lpost_getpc19456:
	s_add_u32 s14, s14, (.LBB2_6148-.Lpost_getpc19456)&4294967295
	s_addc_u32 s15, s15, (.LBB2_6148-.Lpost_getpc19456)>>32
	s_setpc_b64 s[14:15]
.LBB2_20485:
	s_movk_i32 s4, 0x80
	v_cmp_eq_u16_sdwa s[12:13], v2, s4 src0_sel:BYTE_0 src1_sel:DWORD
	s_mov_b64 s[4:5], -1
                                        ; implicit-def: $sgpr10
	s_and_saveexec_b64 s[8:9], s[12:13]
; %bb.20486:
	s_mov_b32 s10, 0x7f800001
	s_xor_b64 s[4:5], exec, -1
; %bb.20487:
	s_or_b64 exec, exec, s[8:9]
	s_and_b64 s[4:5], s[4:5], exec
	s_or_saveexec_b64 s[6:7], s[6:7]
	v_mov_b32_e32 v13, s10
	s_xor_b64 exec, exec, s[6:7]
	s_cbranch_execnz .LBB2_20488
; %bb.56325:
	s_getpc_b64 s[14:15]
.Lpost_getpc31746:
	s_add_u32 s14, s14, (.LBB2_6150-.Lpost_getpc31746)&4294967295
	s_addc_u32 s15, s15, (.LBB2_6150-.Lpost_getpc31746)>>32
	s_setpc_b64 s[14:15]
.LBB2_20488:
	v_mov_b32_e32 v13, 0
	v_cmp_ne_u16_sdwa s[8:9], v2, v13 src0_sel:BYTE_0 src1_sel:DWORD
	s_andn2_b64 s[4:5], s[4:5], exec
	s_and_b64 s[8:9], s[8:9], exec
	s_or_b64 s[4:5], s[4:5], s[8:9]
	s_or_b64 exec, exec, s[6:7]
	s_and_saveexec_b64 s[6:7], s[4:5]
	s_cbranch_execz .LBB2_31747
; %bb.56327:
	s_getpc_b64 s[14:15]
.Lpost_getpc31747:
	s_add_u32 s14, s14, (.LBB2_6151-.Lpost_getpc31747)&4294967295
	s_addc_u32 s15, s15, (.LBB2_6151-.Lpost_getpc31747)>>32
	s_setpc_b64 s[14:15]
.LBB2_31747:
	s_getpc_b64 s[14:15]
.Lpost_getpc19457:
	s_add_u32 s14, s14, (.LBB2_6152-.Lpost_getpc19457)&4294967295
	s_addc_u32 s15, s15, (.LBB2_6152-.Lpost_getpc19457)>>32
	s_setpc_b64 s[14:15]
.LBB2_20489:
	s_movk_i32 s4, 0x80
	v_cmp_eq_u16_sdwa s[12:13], v13, s4 src0_sel:BYTE_0 src1_sel:DWORD
	s_mov_b64 s[4:5], -1
                                        ; implicit-def: $sgpr10
	s_and_saveexec_b64 s[8:9], s[12:13]
; %bb.20490:
	s_mov_b32 s10, 0x7f800001
	s_xor_b64 s[4:5], exec, -1
; %bb.20491:
	s_or_b64 exec, exec, s[8:9]
	s_and_b64 s[4:5], s[4:5], exec
	s_or_saveexec_b64 s[6:7], s[6:7]
	v_mov_b32_e32 v12, s10
	s_xor_b64 exec, exec, s[6:7]
	s_cbranch_execnz .LBB2_20492
; %bb.56329:
	s_getpc_b64 s[14:15]
.Lpost_getpc31748:
	s_add_u32 s14, s14, (.LBB2_6154-.Lpost_getpc31748)&4294967295
	s_addc_u32 s15, s15, (.LBB2_6154-.Lpost_getpc31748)>>32
	s_setpc_b64 s[14:15]
.LBB2_20492:
	v_mov_b32_e32 v12, 0
	v_cmp_ne_u16_sdwa s[8:9], v13, v12 src0_sel:BYTE_0 src1_sel:DWORD
	s_andn2_b64 s[4:5], s[4:5], exec
	s_and_b64 s[8:9], s[8:9], exec
	s_or_b64 s[4:5], s[4:5], s[8:9]
	s_or_b64 exec, exec, s[6:7]
	s_and_saveexec_b64 s[6:7], s[4:5]
	s_cbranch_execz .LBB2_31749
; %bb.56331:
	s_getpc_b64 s[14:15]
.Lpost_getpc31749:
	s_add_u32 s14, s14, (.LBB2_6155-.Lpost_getpc31749)&4294967295
	s_addc_u32 s15, s15, (.LBB2_6155-.Lpost_getpc31749)>>32
	s_setpc_b64 s[14:15]
.LBB2_31749:
	s_getpc_b64 s[14:15]
.Lpost_getpc19458:
	s_add_u32 s14, s14, (.LBB2_6156-.Lpost_getpc19458)&4294967295
	s_addc_u32 s15, s15, (.LBB2_6156-.Lpost_getpc19458)>>32
	s_setpc_b64 s[14:15]
.LBB2_20493:
	s_movk_i32 s4, 0x80
	v_cmp_eq_u16_sdwa s[12:13], v13, s4 src0_sel:BYTE_0 src1_sel:DWORD
	s_mov_b64 s[4:5], -1
                                        ; implicit-def: $sgpr10
	s_and_saveexec_b64 s[8:9], s[12:13]
; %bb.20494:
	s_mov_b32 s10, 0x7f800001
	s_xor_b64 s[4:5], exec, -1
; %bb.20495:
	s_or_b64 exec, exec, s[8:9]
	s_and_b64 s[4:5], s[4:5], exec
	s_or_saveexec_b64 s[6:7], s[6:7]
	v_mov_b32_e32 v14, s10
	s_xor_b64 exec, exec, s[6:7]
	s_cbranch_execnz .LBB2_20496
; %bb.56333:
	s_getpc_b64 s[14:15]
.Lpost_getpc31750:
	s_add_u32 s14, s14, (.LBB2_6158-.Lpost_getpc31750)&4294967295
	s_addc_u32 s15, s15, (.LBB2_6158-.Lpost_getpc31750)>>32
	s_setpc_b64 s[14:15]
.LBB2_20496:
	v_mov_b32_e32 v14, 0
	v_cmp_ne_u16_sdwa s[8:9], v13, v14 src0_sel:BYTE_0 src1_sel:DWORD
	s_andn2_b64 s[4:5], s[4:5], exec
	s_and_b64 s[8:9], s[8:9], exec
	s_or_b64 s[4:5], s[4:5], s[8:9]
	s_or_b64 exec, exec, s[6:7]
	s_and_saveexec_b64 s[6:7], s[4:5]
	s_cbranch_execz .LBB2_31751
; %bb.56335:
	s_getpc_b64 s[14:15]
.Lpost_getpc31751:
	s_add_u32 s14, s14, (.LBB2_6159-.Lpost_getpc31751)&4294967295
	s_addc_u32 s15, s15, (.LBB2_6159-.Lpost_getpc31751)>>32
	s_setpc_b64 s[14:15]
.LBB2_31751:
	s_getpc_b64 s[14:15]
.Lpost_getpc19459:
	s_add_u32 s14, s14, (.LBB2_6160-.Lpost_getpc19459)&4294967295
	s_addc_u32 s15, s15, (.LBB2_6160-.Lpost_getpc19459)>>32
	s_setpc_b64 s[14:15]
.LBB2_20497:
	s_movk_i32 s4, 0x80
	v_cmp_eq_u16_e32 vcc, s4, v13
	s_mov_b64 s[4:5], -1
                                        ; implicit-def: $sgpr10
	s_and_saveexec_b64 s[8:9], vcc
; %bb.20498:
	s_mov_b32 s10, 0x7f800001
	s_xor_b64 s[4:5], exec, -1
; %bb.20499:
	s_or_b64 exec, exec, s[8:9]
	s_and_b64 s[4:5], s[4:5], exec
                                        ; implicit-def: $vgpr13
	s_or_saveexec_b64 s[6:7], s[6:7]
	v_mov_b32_e32 v12, s10
	s_xor_b64 exec, exec, s[6:7]
	s_cbranch_execnz .LBB2_20500
; %bb.56337:
	s_getpc_b64 s[14:15]
.Lpost_getpc31752:
	s_add_u32 s14, s14, (.LBB2_6162-.Lpost_getpc31752)&4294967295
	s_addc_u32 s15, s15, (.LBB2_6162-.Lpost_getpc31752)>>32
	s_setpc_b64 s[14:15]
.LBB2_20500:
	v_cmp_ne_u16_e32 vcc, 0, v13
	s_andn2_b64 s[4:5], s[4:5], exec
	s_and_b64 s[8:9], vcc, exec
	v_mov_b32_e32 v12, 0
	s_or_b64 s[4:5], s[4:5], s[8:9]
	s_or_b64 exec, exec, s[6:7]
	s_and_saveexec_b64 s[6:7], s[4:5]
	s_cbranch_execz .LBB2_31753
; %bb.56339:
	s_getpc_b64 s[14:15]
.Lpost_getpc31753:
	s_add_u32 s14, s14, (.LBB2_6163-.Lpost_getpc31753)&4294967295
	s_addc_u32 s15, s15, (.LBB2_6163-.Lpost_getpc31753)>>32
	s_setpc_b64 s[14:15]
.LBB2_31753:
	s_getpc_b64 s[14:15]
.Lpost_getpc19460:
	s_add_u32 s14, s14, (.LBB2_6164-.Lpost_getpc19460)&4294967295
	s_addc_u32 s15, s15, (.LBB2_6164-.Lpost_getpc19460)>>32
	s_setpc_b64 s[14:15]
.LBB2_20501:
	s_movk_i32 s4, 0x80
	v_cmp_eq_u16_e32 vcc, s4, v13
	s_mov_b64 s[4:5], -1
                                        ; implicit-def: $sgpr10
	s_and_saveexec_b64 s[8:9], vcc
; %bb.20502:
	s_mov_b32 s10, 0x7f800001
	s_xor_b64 s[4:5], exec, -1
; %bb.20503:
	s_or_b64 exec, exec, s[8:9]
	s_and_b64 s[4:5], s[4:5], exec
                                        ; implicit-def: $vgpr13
	s_or_saveexec_b64 s[6:7], s[6:7]
	v_mov_b32_e32 v14, s10
	s_xor_b64 exec, exec, s[6:7]
	s_cbranch_execnz .LBB2_20504
; %bb.56341:
	s_getpc_b64 s[14:15]
.Lpost_getpc31754:
	s_add_u32 s14, s14, (.LBB2_6166-.Lpost_getpc31754)&4294967295
	s_addc_u32 s15, s15, (.LBB2_6166-.Lpost_getpc31754)>>32
	s_setpc_b64 s[14:15]
.LBB2_20504:
	v_cmp_ne_u16_e32 vcc, 0, v13
	s_andn2_b64 s[4:5], s[4:5], exec
	s_and_b64 s[8:9], vcc, exec
	v_mov_b32_e32 v14, 0
	s_or_b64 s[4:5], s[4:5], s[8:9]
	s_or_b64 exec, exec, s[6:7]
	s_and_saveexec_b64 s[6:7], s[4:5]
	s_cbranch_execz .LBB2_31755
; %bb.56343:
	s_getpc_b64 s[14:15]
.Lpost_getpc31755:
	s_add_u32 s14, s14, (.LBB2_6167-.Lpost_getpc31755)&4294967295
	s_addc_u32 s15, s15, (.LBB2_6167-.Lpost_getpc31755)>>32
	s_setpc_b64 s[14:15]
.LBB2_31755:
	s_getpc_b64 s[14:15]
.Lpost_getpc19461:
	s_add_u32 s14, s14, (.LBB2_6168-.Lpost_getpc19461)&4294967295
	s_addc_u32 s15, s15, (.LBB2_6168-.Lpost_getpc19461)>>32
	s_setpc_b64 s[14:15]
.LBB2_20505:
	s_movk_i32 s4, 0x80
	v_cmp_eq_u16_sdwa s[12:13], v6, s4 src0_sel:BYTE_3 src1_sel:DWORD
	s_mov_b64 s[4:5], -1
                                        ; implicit-def: $sgpr10
	s_and_saveexec_b64 s[8:9], s[12:13]
; %bb.20506:
	s_mov_b32 s10, 0x7f800001
	s_xor_b64 s[4:5], exec, -1
; %bb.20507:
	s_or_b64 exec, exec, s[8:9]
	s_and_b64 s[4:5], s[4:5], exec
	s_or_saveexec_b64 s[6:7], s[6:7]
	v_mov_b32_e32 v12, s10
	s_xor_b64 exec, exec, s[6:7]
	s_cbranch_execnz .LBB2_20508
; %bb.56345:
	s_getpc_b64 s[14:15]
.Lpost_getpc31756:
	s_add_u32 s14, s14, (.LBB2_6170-.Lpost_getpc31756)&4294967295
	s_addc_u32 s15, s15, (.LBB2_6170-.Lpost_getpc31756)>>32
	s_setpc_b64 s[14:15]
.LBB2_20508:
	v_mov_b32_e32 v12, 0
	v_cmp_ne_u16_sdwa s[8:9], v6, v12 src0_sel:BYTE_3 src1_sel:DWORD
	s_andn2_b64 s[4:5], s[4:5], exec
	s_and_b64 s[8:9], s[8:9], exec
	s_or_b64 s[4:5], s[4:5], s[8:9]
	s_or_b64 exec, exec, s[6:7]
	s_and_saveexec_b64 s[6:7], s[4:5]
	s_cbranch_execz .LBB2_31757
; %bb.56347:
	s_getpc_b64 s[14:15]
.Lpost_getpc31757:
	s_add_u32 s14, s14, (.LBB2_6171-.Lpost_getpc31757)&4294967295
	s_addc_u32 s15, s15, (.LBB2_6171-.Lpost_getpc31757)>>32
	s_setpc_b64 s[14:15]
.LBB2_31757:
	s_getpc_b64 s[14:15]
.Lpost_getpc19462:
	s_add_u32 s14, s14, (.LBB2_6172-.Lpost_getpc19462)&4294967295
	s_addc_u32 s15, s15, (.LBB2_6172-.Lpost_getpc19462)>>32
	s_setpc_b64 s[14:15]
.LBB2_20509:
	s_movk_i32 s4, 0x80
	v_cmp_eq_u16_sdwa s[12:13], v2, s4 src0_sel:BYTE_3 src1_sel:DWORD
	s_mov_b64 s[4:5], -1
                                        ; implicit-def: $sgpr10
	s_and_saveexec_b64 s[8:9], s[12:13]
; %bb.20510:
	s_mov_b32 s10, 0x7f800001
	s_xor_b64 s[4:5], exec, -1
; %bb.20511:
	s_or_b64 exec, exec, s[8:9]
	s_and_b64 s[4:5], s[4:5], exec
	s_or_saveexec_b64 s[6:7], s[6:7]
	v_mov_b32_e32 v6, s10
	s_xor_b64 exec, exec, s[6:7]
	s_cbranch_execnz .LBB2_20512
; %bb.56349:
	s_getpc_b64 s[14:15]
.Lpost_getpc31758:
	s_add_u32 s14, s14, (.LBB2_6174-.Lpost_getpc31758)&4294967295
	s_addc_u32 s15, s15, (.LBB2_6174-.Lpost_getpc31758)>>32
	s_setpc_b64 s[14:15]
.LBB2_20512:
	v_mov_b32_e32 v6, 0
	v_cmp_ne_u16_sdwa s[8:9], v2, v6 src0_sel:BYTE_3 src1_sel:DWORD
	s_andn2_b64 s[4:5], s[4:5], exec
	s_and_b64 s[8:9], s[8:9], exec
	s_or_b64 s[4:5], s[4:5], s[8:9]
	s_or_b64 exec, exec, s[6:7]
	s_and_saveexec_b64 s[6:7], s[4:5]
	s_cbranch_execz .LBB2_31759
; %bb.56351:
	s_getpc_b64 s[14:15]
.Lpost_getpc31759:
	s_add_u32 s14, s14, (.LBB2_6175-.Lpost_getpc31759)&4294967295
	s_addc_u32 s15, s15, (.LBB2_6175-.Lpost_getpc31759)>>32
	s_setpc_b64 s[14:15]
.LBB2_31759:
	s_getpc_b64 s[14:15]
.Lpost_getpc19463:
	s_add_u32 s14, s14, (.LBB2_6176-.Lpost_getpc19463)&4294967295
	s_addc_u32 s15, s15, (.LBB2_6176-.Lpost_getpc19463)>>32
	s_setpc_b64 s[14:15]
.LBB2_20513:
	s_movk_i32 s4, 0x80
	v_cmp_eq_u16_sdwa s[12:13], v7, s4 src0_sel:BYTE_0 src1_sel:DWORD
	s_mov_b64 s[4:5], -1
                                        ; implicit-def: $sgpr10
	s_and_saveexec_b64 s[8:9], s[12:13]
; %bb.20514:
	s_mov_b32 s10, 0x7f800001
	s_xor_b64 s[4:5], exec, -1
; %bb.20515:
	s_or_b64 exec, exec, s[8:9]
	s_and_b64 s[4:5], s[4:5], exec
	s_or_saveexec_b64 s[6:7], s[6:7]
	v_mov_b32_e32 v2, s10
	s_xor_b64 exec, exec, s[6:7]
	s_cbranch_execnz .LBB2_20516
; %bb.56353:
	s_getpc_b64 s[14:15]
.Lpost_getpc31760:
	s_add_u32 s14, s14, (.LBB2_6178-.Lpost_getpc31760)&4294967295
	s_addc_u32 s15, s15, (.LBB2_6178-.Lpost_getpc31760)>>32
	s_setpc_b64 s[14:15]
.LBB2_20516:
	v_mov_b32_e32 v2, 0
	v_cmp_ne_u16_sdwa s[8:9], v7, v2 src0_sel:BYTE_0 src1_sel:DWORD
	s_andn2_b64 s[4:5], s[4:5], exec
	s_and_b64 s[8:9], s[8:9], exec
	s_or_b64 s[4:5], s[4:5], s[8:9]
	s_or_b64 exec, exec, s[6:7]
	s_and_saveexec_b64 s[6:7], s[4:5]
	s_cbranch_execz .LBB2_31761
; %bb.56355:
	s_getpc_b64 s[14:15]
.Lpost_getpc31761:
	s_add_u32 s14, s14, (.LBB2_6179-.Lpost_getpc31761)&4294967295
	s_addc_u32 s15, s15, (.LBB2_6179-.Lpost_getpc31761)>>32
	s_setpc_b64 s[14:15]
.LBB2_31761:
	s_getpc_b64 s[14:15]
.Lpost_getpc19464:
	s_add_u32 s14, s14, (.LBB2_6180-.Lpost_getpc19464)&4294967295
	s_addc_u32 s15, s15, (.LBB2_6180-.Lpost_getpc19464)>>32
	s_setpc_b64 s[14:15]
.LBB2_20517:
	s_movk_i32 s4, 0x80
	v_cmp_eq_u16_sdwa s[12:13], v3, s4 src0_sel:BYTE_0 src1_sel:DWORD
	s_mov_b64 s[4:5], -1
                                        ; implicit-def: $sgpr10
	s_and_saveexec_b64 s[8:9], s[12:13]
; %bb.20518:
	s_mov_b32 s10, 0x7f800001
	s_xor_b64 s[4:5], exec, -1
; %bb.20519:
	s_or_b64 exec, exec, s[8:9]
	s_and_b64 s[4:5], s[4:5], exec
	s_or_saveexec_b64 s[6:7], s[6:7]
	v_mov_b32_e32 v6, s10
	s_xor_b64 exec, exec, s[6:7]
	s_cbranch_execnz .LBB2_20520
; %bb.56357:
	s_getpc_b64 s[14:15]
.Lpost_getpc31762:
	s_add_u32 s14, s14, (.LBB2_6182-.Lpost_getpc31762)&4294967295
	s_addc_u32 s15, s15, (.LBB2_6182-.Lpost_getpc31762)>>32
	s_setpc_b64 s[14:15]
.LBB2_20520:
	v_mov_b32_e32 v6, 0
	v_cmp_ne_u16_sdwa s[8:9], v3, v6 src0_sel:BYTE_0 src1_sel:DWORD
	s_andn2_b64 s[4:5], s[4:5], exec
	s_and_b64 s[8:9], s[8:9], exec
	s_or_b64 s[4:5], s[4:5], s[8:9]
	s_or_b64 exec, exec, s[6:7]
	s_and_saveexec_b64 s[6:7], s[4:5]
	s_cbranch_execz .LBB2_31763
; %bb.56359:
	s_getpc_b64 s[14:15]
.Lpost_getpc31763:
	s_add_u32 s14, s14, (.LBB2_6183-.Lpost_getpc31763)&4294967295
	s_addc_u32 s15, s15, (.LBB2_6183-.Lpost_getpc31763)>>32
	s_setpc_b64 s[14:15]
.LBB2_31763:
	s_getpc_b64 s[14:15]
.Lpost_getpc19465:
	s_add_u32 s14, s14, (.LBB2_6184-.Lpost_getpc19465)&4294967295
	s_addc_u32 s15, s15, (.LBB2_6184-.Lpost_getpc19465)>>32
	s_setpc_b64 s[14:15]
.LBB2_20521:
	s_movk_i32 s4, 0x80
	v_cmp_eq_u16_sdwa s[12:13], v6, s4 src0_sel:BYTE_0 src1_sel:DWORD
	s_mov_b64 s[4:5], -1
                                        ; implicit-def: $sgpr10
	s_and_saveexec_b64 s[8:9], s[12:13]
; %bb.20522:
	s_mov_b32 s10, 0x7f800001
	s_xor_b64 s[4:5], exec, -1
; %bb.20523:
	s_or_b64 exec, exec, s[8:9]
	s_and_b64 s[4:5], s[4:5], exec
	s_or_saveexec_b64 s[6:7], s[6:7]
	v_mov_b32_e32 v2, s10
	s_xor_b64 exec, exec, s[6:7]
	s_cbranch_execnz .LBB2_20524
; %bb.56361:
	s_getpc_b64 s[14:15]
.Lpost_getpc31764:
	s_add_u32 s14, s14, (.LBB2_6186-.Lpost_getpc31764)&4294967295
	s_addc_u32 s15, s15, (.LBB2_6186-.Lpost_getpc31764)>>32
	s_setpc_b64 s[14:15]
.LBB2_20524:
	v_mov_b32_e32 v2, 0
	v_cmp_ne_u16_sdwa s[8:9], v6, v2 src0_sel:BYTE_0 src1_sel:DWORD
	s_andn2_b64 s[4:5], s[4:5], exec
	s_and_b64 s[8:9], s[8:9], exec
	s_or_b64 s[4:5], s[4:5], s[8:9]
	s_or_b64 exec, exec, s[6:7]
	s_and_saveexec_b64 s[6:7], s[4:5]
	s_cbranch_execz .LBB2_31765
; %bb.56363:
	s_getpc_b64 s[14:15]
.Lpost_getpc31765:
	s_add_u32 s14, s14, (.LBB2_6187-.Lpost_getpc31765)&4294967295
	s_addc_u32 s15, s15, (.LBB2_6187-.Lpost_getpc31765)>>32
	s_setpc_b64 s[14:15]
.LBB2_31765:
	s_getpc_b64 s[14:15]
.Lpost_getpc19466:
	s_add_u32 s14, s14, (.LBB2_6188-.Lpost_getpc19466)&4294967295
	s_addc_u32 s15, s15, (.LBB2_6188-.Lpost_getpc19466)>>32
	s_setpc_b64 s[14:15]
.LBB2_20525:
	s_movk_i32 s4, 0x80
	v_cmp_eq_u16_sdwa s[12:13], v6, s4 src0_sel:BYTE_0 src1_sel:DWORD
	s_mov_b64 s[4:5], -1
                                        ; implicit-def: $sgpr10
	s_and_saveexec_b64 s[8:9], s[12:13]
; %bb.20526:
	s_mov_b32 s10, 0x7f800001
	s_xor_b64 s[4:5], exec, -1
; %bb.20527:
	s_or_b64 exec, exec, s[8:9]
	s_and_b64 s[4:5], s[4:5], exec
	s_or_saveexec_b64 s[6:7], s[6:7]
	v_mov_b32_e32 v12, s10
	s_xor_b64 exec, exec, s[6:7]
	s_cbranch_execnz .LBB2_20528
; %bb.56365:
	s_getpc_b64 s[14:15]
.Lpost_getpc31766:
	s_add_u32 s14, s14, (.LBB2_6190-.Lpost_getpc31766)&4294967295
	s_addc_u32 s15, s15, (.LBB2_6190-.Lpost_getpc31766)>>32
	s_setpc_b64 s[14:15]
.LBB2_20528:
	v_mov_b32_e32 v12, 0
	v_cmp_ne_u16_sdwa s[8:9], v6, v12 src0_sel:BYTE_0 src1_sel:DWORD
	s_andn2_b64 s[4:5], s[4:5], exec
	s_and_b64 s[8:9], s[8:9], exec
	s_or_b64 s[4:5], s[4:5], s[8:9]
	s_or_b64 exec, exec, s[6:7]
	s_and_saveexec_b64 s[6:7], s[4:5]
	s_cbranch_execz .LBB2_31767
; %bb.56367:
	s_getpc_b64 s[14:15]
.Lpost_getpc31767:
	s_add_u32 s14, s14, (.LBB2_6191-.Lpost_getpc31767)&4294967295
	s_addc_u32 s15, s15, (.LBB2_6191-.Lpost_getpc31767)>>32
	s_setpc_b64 s[14:15]
.LBB2_31767:
	s_getpc_b64 s[14:15]
.Lpost_getpc19467:
	s_add_u32 s14, s14, (.LBB2_6192-.Lpost_getpc19467)&4294967295
	s_addc_u32 s15, s15, (.LBB2_6192-.Lpost_getpc19467)>>32
	s_setpc_b64 s[14:15]
.LBB2_20529:
	s_movk_i32 s4, 0x80
	v_cmp_eq_u16_e32 vcc, s4, v6
	s_mov_b64 s[4:5], -1
                                        ; implicit-def: $sgpr10
	s_and_saveexec_b64 s[8:9], vcc
; %bb.20530:
	s_mov_b32 s10, 0x7f800001
	s_xor_b64 s[4:5], exec, -1
; %bb.20531:
	s_or_b64 exec, exec, s[8:9]
	s_and_b64 s[4:5], s[4:5], exec
                                        ; implicit-def: $vgpr6
	s_or_saveexec_b64 s[6:7], s[6:7]
	v_mov_b32_e32 v2, s10
	s_xor_b64 exec, exec, s[6:7]
	s_cbranch_execnz .LBB2_20532
; %bb.56369:
	s_getpc_b64 s[14:15]
.Lpost_getpc31768:
	s_add_u32 s14, s14, (.LBB2_6194-.Lpost_getpc31768)&4294967295
	s_addc_u32 s15, s15, (.LBB2_6194-.Lpost_getpc31768)>>32
	s_setpc_b64 s[14:15]
.LBB2_20532:
	v_cmp_ne_u16_e32 vcc, 0, v6
	s_andn2_b64 s[4:5], s[4:5], exec
	s_and_b64 s[8:9], vcc, exec
	v_mov_b32_e32 v2, 0
	s_or_b64 s[4:5], s[4:5], s[8:9]
	s_or_b64 exec, exec, s[6:7]
	s_and_saveexec_b64 s[6:7], s[4:5]
	s_cbranch_execz .LBB2_31769
; %bb.56371:
	s_getpc_b64 s[14:15]
.Lpost_getpc31769:
	s_add_u32 s14, s14, (.LBB2_6195-.Lpost_getpc31769)&4294967295
	s_addc_u32 s15, s15, (.LBB2_6195-.Lpost_getpc31769)>>32
	s_setpc_b64 s[14:15]
.LBB2_31769:
	s_getpc_b64 s[14:15]
.Lpost_getpc19468:
	s_add_u32 s14, s14, (.LBB2_6196-.Lpost_getpc19468)&4294967295
	s_addc_u32 s15, s15, (.LBB2_6196-.Lpost_getpc19468)>>32
	s_setpc_b64 s[14:15]
.LBB2_20533:
	s_movk_i32 s4, 0x80
	v_cmp_eq_u16_e32 vcc, s4, v6
	s_mov_b64 s[4:5], -1
                                        ; implicit-def: $sgpr10
	s_and_saveexec_b64 s[8:9], vcc
; %bb.20534:
	s_mov_b32 s10, 0x7f800001
	s_xor_b64 s[4:5], exec, -1
; %bb.20535:
	s_or_b64 exec, exec, s[8:9]
	s_and_b64 s[4:5], s[4:5], exec
                                        ; implicit-def: $vgpr6
	s_or_saveexec_b64 s[6:7], s[6:7]
	v_mov_b32_e32 v12, s10
	s_xor_b64 exec, exec, s[6:7]
	s_cbranch_execnz .LBB2_20536
; %bb.56373:
	s_getpc_b64 s[14:15]
.Lpost_getpc31770:
	s_add_u32 s14, s14, (.LBB2_6198-.Lpost_getpc31770)&4294967295
	s_addc_u32 s15, s15, (.LBB2_6198-.Lpost_getpc31770)>>32
	s_setpc_b64 s[14:15]
.LBB2_20536:
	v_cmp_ne_u16_e32 vcc, 0, v6
	s_andn2_b64 s[4:5], s[4:5], exec
	s_and_b64 s[8:9], vcc, exec
	v_mov_b32_e32 v12, 0
	s_or_b64 s[4:5], s[4:5], s[8:9]
	s_or_b64 exec, exec, s[6:7]
	s_and_saveexec_b64 s[6:7], s[4:5]
	s_cbranch_execz .LBB2_31771
; %bb.56375:
	s_getpc_b64 s[14:15]
.Lpost_getpc31771:
	s_add_u32 s14, s14, (.LBB2_6199-.Lpost_getpc31771)&4294967295
	s_addc_u32 s15, s15, (.LBB2_6199-.Lpost_getpc31771)>>32
	s_setpc_b64 s[14:15]
.LBB2_31771:
	s_getpc_b64 s[14:15]
.Lpost_getpc19469:
	s_add_u32 s14, s14, (.LBB2_6200-.Lpost_getpc19469)&4294967295
	s_addc_u32 s15, s15, (.LBB2_6200-.Lpost_getpc19469)>>32
	s_setpc_b64 s[14:15]
.LBB2_20537:
	s_movk_i32 s4, 0x80
	v_cmp_eq_u16_sdwa s[12:13], v7, s4 src0_sel:BYTE_3 src1_sel:DWORD
	s_mov_b64 s[4:5], -1
                                        ; implicit-def: $sgpr10
	s_and_saveexec_b64 s[8:9], s[12:13]
; %bb.20538:
	s_mov_b32 s10, 0x7f800001
	s_xor_b64 s[4:5], exec, -1
; %bb.20539:
	s_or_b64 exec, exec, s[8:9]
	s_and_b64 s[4:5], s[4:5], exec
	s_or_saveexec_b64 s[6:7], s[6:7]
	v_mov_b32_e32 v2, s10
	s_xor_b64 exec, exec, s[6:7]
	s_cbranch_execnz .LBB2_20540
; %bb.56377:
	s_getpc_b64 s[14:15]
.Lpost_getpc31772:
	s_add_u32 s14, s14, (.LBB2_6202-.Lpost_getpc31772)&4294967295
	s_addc_u32 s15, s15, (.LBB2_6202-.Lpost_getpc31772)>>32
	s_setpc_b64 s[14:15]
.LBB2_20540:
	v_mov_b32_e32 v2, 0
	v_cmp_ne_u16_sdwa s[8:9], v7, v2 src0_sel:BYTE_3 src1_sel:DWORD
	s_andn2_b64 s[4:5], s[4:5], exec
	s_and_b64 s[8:9], s[8:9], exec
	s_or_b64 s[4:5], s[4:5], s[8:9]
	s_or_b64 exec, exec, s[6:7]
	s_and_saveexec_b64 s[6:7], s[4:5]
	s_cbranch_execz .LBB2_31773
; %bb.56379:
	s_getpc_b64 s[14:15]
.Lpost_getpc31773:
	s_add_u32 s14, s14, (.LBB2_6203-.Lpost_getpc31773)&4294967295
	s_addc_u32 s15, s15, (.LBB2_6203-.Lpost_getpc31773)>>32
	s_setpc_b64 s[14:15]
.LBB2_31773:
	s_getpc_b64 s[14:15]
.Lpost_getpc19470:
	s_add_u32 s14, s14, (.LBB2_6204-.Lpost_getpc19470)&4294967295
	s_addc_u32 s15, s15, (.LBB2_6204-.Lpost_getpc19470)>>32
	s_setpc_b64 s[14:15]
.LBB2_20541:
	s_movk_i32 s4, 0x80
	v_cmp_eq_u16_sdwa s[12:13], v3, s4 src0_sel:BYTE_3 src1_sel:DWORD
	s_mov_b64 s[4:5], -1
                                        ; implicit-def: $sgpr10
	s_and_saveexec_b64 s[8:9], s[12:13]
; %bb.20542:
	s_mov_b32 s10, 0x7f800001
	s_xor_b64 s[4:5], exec, -1
; %bb.20543:
	s_or_b64 exec, exec, s[8:9]
	s_and_b64 s[4:5], s[4:5], exec
	s_or_saveexec_b64 s[6:7], s[6:7]
	v_mov_b32_e32 v6, s10
	s_xor_b64 exec, exec, s[6:7]
	s_cbranch_execnz .LBB2_20544
; %bb.56381:
	s_getpc_b64 s[14:15]
.Lpost_getpc31774:
	s_add_u32 s14, s14, (.LBB2_6206-.Lpost_getpc31774)&4294967295
	s_addc_u32 s15, s15, (.LBB2_6206-.Lpost_getpc31774)>>32
	s_setpc_b64 s[14:15]
.LBB2_20544:
	v_mov_b32_e32 v6, 0
	v_cmp_ne_u16_sdwa s[8:9], v3, v6 src0_sel:BYTE_3 src1_sel:DWORD
	s_andn2_b64 s[4:5], s[4:5], exec
	s_and_b64 s[8:9], s[8:9], exec
	s_or_b64 s[4:5], s[4:5], s[8:9]
	s_or_b64 exec, exec, s[6:7]
	s_and_saveexec_b64 s[6:7], s[4:5]
	s_cbranch_execz .LBB2_31775
; %bb.56383:
	s_getpc_b64 s[14:15]
.Lpost_getpc31775:
	s_add_u32 s14, s14, (.LBB2_6207-.Lpost_getpc31775)&4294967295
	s_addc_u32 s15, s15, (.LBB2_6207-.Lpost_getpc31775)>>32
	s_setpc_b64 s[14:15]
.LBB2_31775:
	s_getpc_b64 s[14:15]
.Lpost_getpc19471:
	s_add_u32 s14, s14, (.LBB2_6208-.Lpost_getpc19471)&4294967295
	s_addc_u32 s15, s15, (.LBB2_6208-.Lpost_getpc19471)>>32
	s_setpc_b64 s[14:15]
.LBB2_20545:
	s_movk_i32 s4, 0x80
	v_cmp_eq_u16_sdwa s[12:13], v8, s4 src0_sel:BYTE_0 src1_sel:DWORD
	s_mov_b64 s[4:5], -1
                                        ; implicit-def: $sgpr10
	s_and_saveexec_b64 s[8:9], s[12:13]
; %bb.20546:
	s_mov_b32 s10, 0x7f800001
	s_xor_b64 s[4:5], exec, -1
; %bb.20547:
	s_or_b64 exec, exec, s[8:9]
	s_and_b64 s[4:5], s[4:5], exec
	s_or_saveexec_b64 s[6:7], s[6:7]
	v_mov_b32_e32 v2, s10
	s_xor_b64 exec, exec, s[6:7]
	s_cbranch_execnz .LBB2_20548
; %bb.56385:
	s_getpc_b64 s[14:15]
.Lpost_getpc31776:
	s_add_u32 s14, s14, (.LBB2_6210-.Lpost_getpc31776)&4294967295
	s_addc_u32 s15, s15, (.LBB2_6210-.Lpost_getpc31776)>>32
	s_setpc_b64 s[14:15]
.LBB2_20548:
	v_mov_b32_e32 v2, 0
	v_cmp_ne_u16_sdwa s[8:9], v8, v2 src0_sel:BYTE_0 src1_sel:DWORD
	s_andn2_b64 s[4:5], s[4:5], exec
	s_and_b64 s[8:9], s[8:9], exec
	s_or_b64 s[4:5], s[4:5], s[8:9]
	s_or_b64 exec, exec, s[6:7]
	s_and_saveexec_b64 s[6:7], s[4:5]
	s_cbranch_execz .LBB2_31777
; %bb.56387:
	s_getpc_b64 s[14:15]
.Lpost_getpc31777:
	s_add_u32 s14, s14, (.LBB2_6211-.Lpost_getpc31777)&4294967295
	s_addc_u32 s15, s15, (.LBB2_6211-.Lpost_getpc31777)>>32
	s_setpc_b64 s[14:15]
.LBB2_31777:
	s_getpc_b64 s[14:15]
.Lpost_getpc19472:
	s_add_u32 s14, s14, (.LBB2_6212-.Lpost_getpc19472)&4294967295
	s_addc_u32 s15, s15, (.LBB2_6212-.Lpost_getpc19472)>>32
	s_setpc_b64 s[14:15]
.LBB2_20549:
	s_movk_i32 s4, 0x80
	v_cmp_eq_u16_sdwa s[12:13], v4, s4 src0_sel:BYTE_0 src1_sel:DWORD
	s_mov_b64 s[4:5], -1
                                        ; implicit-def: $sgpr10
	s_and_saveexec_b64 s[8:9], s[12:13]
; %bb.20550:
	s_mov_b32 s10, 0x7f800001
	s_xor_b64 s[4:5], exec, -1
; %bb.20551:
	s_or_b64 exec, exec, s[8:9]
	s_and_b64 s[4:5], s[4:5], exec
	s_or_saveexec_b64 s[6:7], s[6:7]
	v_mov_b32_e32 v3, s10
	s_xor_b64 exec, exec, s[6:7]
	s_cbranch_execnz .LBB2_20552
; %bb.56389:
	s_getpc_b64 s[14:15]
.Lpost_getpc31778:
	s_add_u32 s14, s14, (.LBB2_6214-.Lpost_getpc31778)&4294967295
	s_addc_u32 s15, s15, (.LBB2_6214-.Lpost_getpc31778)>>32
	s_setpc_b64 s[14:15]
.LBB2_20552:
	v_mov_b32_e32 v3, 0
	v_cmp_ne_u16_sdwa s[8:9], v4, v3 src0_sel:BYTE_0 src1_sel:DWORD
	s_andn2_b64 s[4:5], s[4:5], exec
	s_and_b64 s[8:9], s[8:9], exec
	s_or_b64 s[4:5], s[4:5], s[8:9]
	s_or_b64 exec, exec, s[6:7]
	s_and_saveexec_b64 s[6:7], s[4:5]
	s_cbranch_execz .LBB2_31779
; %bb.56391:
	s_getpc_b64 s[14:15]
.Lpost_getpc31779:
	s_add_u32 s14, s14, (.LBB2_6215-.Lpost_getpc31779)&4294967295
	s_addc_u32 s15, s15, (.LBB2_6215-.Lpost_getpc31779)>>32
	s_setpc_b64 s[14:15]
.LBB2_31779:
	s_getpc_b64 s[14:15]
.Lpost_getpc19473:
	s_add_u32 s14, s14, (.LBB2_6216-.Lpost_getpc19473)&4294967295
	s_addc_u32 s15, s15, (.LBB2_6216-.Lpost_getpc19473)>>32
	s_setpc_b64 s[14:15]
.LBB2_20553:
	s_movk_i32 s4, 0x80
	v_cmp_eq_u16_sdwa s[12:13], v3, s4 src0_sel:BYTE_0 src1_sel:DWORD
	s_mov_b64 s[4:5], -1
                                        ; implicit-def: $sgpr10
	s_and_saveexec_b64 s[8:9], s[12:13]
; %bb.20554:
	s_mov_b32 s10, 0x7f800001
	s_xor_b64 s[4:5], exec, -1
; %bb.20555:
	s_or_b64 exec, exec, s[8:9]
	s_and_b64 s[4:5], s[4:5], exec
	s_or_saveexec_b64 s[6:7], s[6:7]
	v_mov_b32_e32 v2, s10
	s_xor_b64 exec, exec, s[6:7]
	s_cbranch_execnz .LBB2_20556
; %bb.56393:
	s_getpc_b64 s[14:15]
.Lpost_getpc31780:
	s_add_u32 s14, s14, (.LBB2_6218-.Lpost_getpc31780)&4294967295
	s_addc_u32 s15, s15, (.LBB2_6218-.Lpost_getpc31780)>>32
	s_setpc_b64 s[14:15]
.LBB2_20556:
	v_mov_b32_e32 v2, 0
	v_cmp_ne_u16_sdwa s[8:9], v3, v2 src0_sel:BYTE_0 src1_sel:DWORD
	s_andn2_b64 s[4:5], s[4:5], exec
	s_and_b64 s[8:9], s[8:9], exec
	s_or_b64 s[4:5], s[4:5], s[8:9]
	s_or_b64 exec, exec, s[6:7]
	s_and_saveexec_b64 s[6:7], s[4:5]
	s_cbranch_execz .LBB2_31781
; %bb.56395:
	s_getpc_b64 s[14:15]
.Lpost_getpc31781:
	s_add_u32 s14, s14, (.LBB2_6219-.Lpost_getpc31781)&4294967295
	s_addc_u32 s15, s15, (.LBB2_6219-.Lpost_getpc31781)>>32
	s_setpc_b64 s[14:15]
.LBB2_31781:
	s_getpc_b64 s[14:15]
.Lpost_getpc19474:
	s_add_u32 s14, s14, (.LBB2_6220-.Lpost_getpc19474)&4294967295
	s_addc_u32 s15, s15, (.LBB2_6220-.Lpost_getpc19474)>>32
	s_setpc_b64 s[14:15]
.LBB2_20557:
	s_movk_i32 s4, 0x80
	v_cmp_eq_u16_sdwa s[12:13], v3, s4 src0_sel:BYTE_0 src1_sel:DWORD
	s_mov_b64 s[4:5], -1
                                        ; implicit-def: $sgpr10
	s_and_saveexec_b64 s[8:9], s[12:13]
; %bb.20558:
	s_mov_b32 s10, 0x7f800001
	s_xor_b64 s[4:5], exec, -1
; %bb.20559:
	s_or_b64 exec, exec, s[8:9]
	s_and_b64 s[4:5], s[4:5], exec
	s_or_saveexec_b64 s[6:7], s[6:7]
	v_mov_b32_e32 v6, s10
	s_xor_b64 exec, exec, s[6:7]
	s_cbranch_execnz .LBB2_20560
; %bb.56397:
	s_getpc_b64 s[14:15]
.Lpost_getpc31782:
	s_add_u32 s14, s14, (.LBB2_6222-.Lpost_getpc31782)&4294967295
	s_addc_u32 s15, s15, (.LBB2_6222-.Lpost_getpc31782)>>32
	s_setpc_b64 s[14:15]
.LBB2_20560:
	v_mov_b32_e32 v6, 0
	v_cmp_ne_u16_sdwa s[8:9], v3, v6 src0_sel:BYTE_0 src1_sel:DWORD
	s_andn2_b64 s[4:5], s[4:5], exec
	s_and_b64 s[8:9], s[8:9], exec
	s_or_b64 s[4:5], s[4:5], s[8:9]
	s_or_b64 exec, exec, s[6:7]
	s_and_saveexec_b64 s[6:7], s[4:5]
	s_cbranch_execz .LBB2_31783
; %bb.56399:
	s_getpc_b64 s[14:15]
.Lpost_getpc31783:
	s_add_u32 s14, s14, (.LBB2_6223-.Lpost_getpc31783)&4294967295
	s_addc_u32 s15, s15, (.LBB2_6223-.Lpost_getpc31783)>>32
	s_setpc_b64 s[14:15]
.LBB2_31783:
	s_getpc_b64 s[14:15]
.Lpost_getpc19475:
	s_add_u32 s14, s14, (.LBB2_6224-.Lpost_getpc19475)&4294967295
	s_addc_u32 s15, s15, (.LBB2_6224-.Lpost_getpc19475)>>32
	s_setpc_b64 s[14:15]
.LBB2_20561:
	s_movk_i32 s4, 0x80
	v_cmp_eq_u16_e32 vcc, s4, v3
	s_mov_b64 s[4:5], -1
                                        ; implicit-def: $sgpr10
	s_and_saveexec_b64 s[8:9], vcc
; %bb.20562:
	s_mov_b32 s10, 0x7f800001
	s_xor_b64 s[4:5], exec, -1
; %bb.20563:
	s_or_b64 exec, exec, s[8:9]
	s_and_b64 s[4:5], s[4:5], exec
                                        ; implicit-def: $vgpr3
	s_or_saveexec_b64 s[6:7], s[6:7]
	v_mov_b32_e32 v2, s10
	s_xor_b64 exec, exec, s[6:7]
	s_cbranch_execnz .LBB2_20564
; %bb.56401:
	s_getpc_b64 s[14:15]
.Lpost_getpc31784:
	s_add_u32 s14, s14, (.LBB2_6226-.Lpost_getpc31784)&4294967295
	s_addc_u32 s15, s15, (.LBB2_6226-.Lpost_getpc31784)>>32
	s_setpc_b64 s[14:15]
.LBB2_20564:
	v_cmp_ne_u16_e32 vcc, 0, v3
	s_andn2_b64 s[4:5], s[4:5], exec
	s_and_b64 s[8:9], vcc, exec
	v_mov_b32_e32 v2, 0
	s_or_b64 s[4:5], s[4:5], s[8:9]
	s_or_b64 exec, exec, s[6:7]
	s_and_saveexec_b64 s[6:7], s[4:5]
	s_cbranch_execz .LBB2_31785
; %bb.56403:
	s_getpc_b64 s[14:15]
.Lpost_getpc31785:
	s_add_u32 s14, s14, (.LBB2_6227-.Lpost_getpc31785)&4294967295
	s_addc_u32 s15, s15, (.LBB2_6227-.Lpost_getpc31785)>>32
	s_setpc_b64 s[14:15]
.LBB2_31785:
	s_getpc_b64 s[14:15]
.Lpost_getpc19476:
	s_add_u32 s14, s14, (.LBB2_6228-.Lpost_getpc19476)&4294967295
	s_addc_u32 s15, s15, (.LBB2_6228-.Lpost_getpc19476)>>32
	s_setpc_b64 s[14:15]
.LBB2_20565:
	s_movk_i32 s4, 0x80
	v_cmp_eq_u16_e32 vcc, s4, v3
	s_mov_b64 s[4:5], -1
                                        ; implicit-def: $sgpr10
	s_and_saveexec_b64 s[8:9], vcc
; %bb.20566:
	s_mov_b32 s10, 0x7f800001
	s_xor_b64 s[4:5], exec, -1
; %bb.20567:
	s_or_b64 exec, exec, s[8:9]
	s_and_b64 s[4:5], s[4:5], exec
                                        ; implicit-def: $vgpr3
	s_or_saveexec_b64 s[6:7], s[6:7]
	v_mov_b32_e32 v6, s10
	s_xor_b64 exec, exec, s[6:7]
	s_cbranch_execnz .LBB2_20568
; %bb.56405:
	s_getpc_b64 s[14:15]
.Lpost_getpc31786:
	s_add_u32 s14, s14, (.LBB2_6230-.Lpost_getpc31786)&4294967295
	s_addc_u32 s15, s15, (.LBB2_6230-.Lpost_getpc31786)>>32
	s_setpc_b64 s[14:15]
.LBB2_20568:
	v_cmp_ne_u16_e32 vcc, 0, v3
	s_andn2_b64 s[4:5], s[4:5], exec
	s_and_b64 s[8:9], vcc, exec
	v_mov_b32_e32 v6, 0
	s_or_b64 s[4:5], s[4:5], s[8:9]
	s_or_b64 exec, exec, s[6:7]
	s_and_saveexec_b64 s[6:7], s[4:5]
	s_cbranch_execz .LBB2_31787
; %bb.56407:
	s_getpc_b64 s[14:15]
.Lpost_getpc31787:
	s_add_u32 s14, s14, (.LBB2_6231-.Lpost_getpc31787)&4294967295
	s_addc_u32 s15, s15, (.LBB2_6231-.Lpost_getpc31787)>>32
	s_setpc_b64 s[14:15]
.LBB2_31787:
	s_getpc_b64 s[14:15]
.Lpost_getpc19477:
	s_add_u32 s14, s14, (.LBB2_6232-.Lpost_getpc19477)&4294967295
	s_addc_u32 s15, s15, (.LBB2_6232-.Lpost_getpc19477)>>32
	s_setpc_b64 s[14:15]
.LBB2_20569:
	s_movk_i32 s4, 0x80
	v_cmp_eq_u16_sdwa s[12:13], v8, s4 src0_sel:BYTE_3 src1_sel:DWORD
	s_mov_b64 s[4:5], -1
                                        ; implicit-def: $sgpr10
	s_and_saveexec_b64 s[8:9], s[12:13]
; %bb.20570:
	s_mov_b32 s10, 0x7f800001
	s_xor_b64 s[4:5], exec, -1
; %bb.20571:
	s_or_b64 exec, exec, s[8:9]
	s_and_b64 s[4:5], s[4:5], exec
	s_or_saveexec_b64 s[6:7], s[6:7]
	v_mov_b32_e32 v2, s10
	s_xor_b64 exec, exec, s[6:7]
	s_cbranch_execnz .LBB2_20572
; %bb.56409:
	s_getpc_b64 s[14:15]
.Lpost_getpc31788:
	s_add_u32 s14, s14, (.LBB2_6234-.Lpost_getpc31788)&4294967295
	s_addc_u32 s15, s15, (.LBB2_6234-.Lpost_getpc31788)>>32
	s_setpc_b64 s[14:15]
.LBB2_20572:
	v_mov_b32_e32 v2, 0
	v_cmp_ne_u16_sdwa s[8:9], v8, v2 src0_sel:BYTE_3 src1_sel:DWORD
	s_andn2_b64 s[4:5], s[4:5], exec
	s_and_b64 s[8:9], s[8:9], exec
	s_or_b64 s[4:5], s[4:5], s[8:9]
	s_or_b64 exec, exec, s[6:7]
	s_and_saveexec_b64 s[6:7], s[4:5]
	s_cbranch_execz .LBB2_31789
; %bb.56411:
	s_getpc_b64 s[14:15]
.Lpost_getpc31789:
	s_add_u32 s14, s14, (.LBB2_6235-.Lpost_getpc31789)&4294967295
	s_addc_u32 s15, s15, (.LBB2_6235-.Lpost_getpc31789)>>32
	s_setpc_b64 s[14:15]
.LBB2_31789:
	s_getpc_b64 s[14:15]
.Lpost_getpc19478:
	s_add_u32 s14, s14, (.LBB2_6236-.Lpost_getpc19478)&4294967295
	s_addc_u32 s15, s15, (.LBB2_6236-.Lpost_getpc19478)>>32
	s_setpc_b64 s[14:15]
.LBB2_20573:
	s_movk_i32 s4, 0x80
	v_cmp_eq_u16_sdwa s[12:13], v4, s4 src0_sel:BYTE_3 src1_sel:DWORD
	s_mov_b64 s[4:5], -1
                                        ; implicit-def: $sgpr10
	s_and_saveexec_b64 s[8:9], s[12:13]
; %bb.20574:
	s_mov_b32 s10, 0x7f800001
	s_xor_b64 s[4:5], exec, -1
; %bb.20575:
	s_or_b64 exec, exec, s[8:9]
	s_and_b64 s[4:5], s[4:5], exec
	s_or_saveexec_b64 s[6:7], s[6:7]
	v_mov_b32_e32 v3, s10
	s_xor_b64 exec, exec, s[6:7]
	s_cbranch_execnz .LBB2_20576
; %bb.56413:
	s_getpc_b64 s[14:15]
.Lpost_getpc31790:
	s_add_u32 s14, s14, (.LBB2_6238-.Lpost_getpc31790)&4294967295
	s_addc_u32 s15, s15, (.LBB2_6238-.Lpost_getpc31790)>>32
	s_setpc_b64 s[14:15]
.LBB2_20576:
	v_mov_b32_e32 v3, 0
	v_cmp_ne_u16_sdwa s[8:9], v4, v3 src0_sel:BYTE_3 src1_sel:DWORD
	s_andn2_b64 s[4:5], s[4:5], exec
	s_and_b64 s[8:9], s[8:9], exec
	s_or_b64 s[4:5], s[4:5], s[8:9]
	s_or_b64 exec, exec, s[6:7]
	s_and_saveexec_b64 s[6:7], s[4:5]
	s_cbranch_execz .LBB2_31791
; %bb.56415:
	s_getpc_b64 s[14:15]
.Lpost_getpc31791:
	s_add_u32 s14, s14, (.LBB2_6239-.Lpost_getpc31791)&4294967295
	s_addc_u32 s15, s15, (.LBB2_6239-.Lpost_getpc31791)>>32
	s_setpc_b64 s[14:15]
.LBB2_31791:
	s_getpc_b64 s[14:15]
.Lpost_getpc19479:
	s_add_u32 s14, s14, (.LBB2_6240-.Lpost_getpc19479)&4294967295
	s_addc_u32 s15, s15, (.LBB2_6240-.Lpost_getpc19479)>>32
	s_setpc_b64 s[14:15]
.LBB2_20577:
	s_movk_i32 s4, 0x80
	v_cmp_eq_u16_sdwa s[12:13], v9, s4 src0_sel:BYTE_0 src1_sel:DWORD
	s_mov_b64 s[4:5], -1
                                        ; implicit-def: $sgpr10
	s_and_saveexec_b64 s[8:9], s[12:13]
; %bb.20578:
	s_mov_b32 s10, 0x7f800001
	s_xor_b64 s[4:5], exec, -1
; %bb.20579:
	s_or_b64 exec, exec, s[8:9]
	s_and_b64 s[4:5], s[4:5], exec
	s_or_saveexec_b64 s[6:7], s[6:7]
	v_mov_b32_e32 v2, s10
	s_xor_b64 exec, exec, s[6:7]
	s_cbranch_execnz .LBB2_20580
; %bb.56417:
	s_getpc_b64 s[14:15]
.Lpost_getpc31792:
	s_add_u32 s14, s14, (.LBB2_6242-.Lpost_getpc31792)&4294967295
	s_addc_u32 s15, s15, (.LBB2_6242-.Lpost_getpc31792)>>32
	s_setpc_b64 s[14:15]
.LBB2_20580:
	v_mov_b32_e32 v2, 0
	v_cmp_ne_u16_sdwa s[8:9], v9, v2 src0_sel:BYTE_0 src1_sel:DWORD
	s_andn2_b64 s[4:5], s[4:5], exec
	s_and_b64 s[8:9], s[8:9], exec
	s_or_b64 s[4:5], s[4:5], s[8:9]
	s_or_b64 exec, exec, s[6:7]
	s_and_saveexec_b64 s[6:7], s[4:5]
	s_cbranch_execz .LBB2_31793
; %bb.56419:
	s_getpc_b64 s[14:15]
.Lpost_getpc31793:
	s_add_u32 s14, s14, (.LBB2_6243-.Lpost_getpc31793)&4294967295
	s_addc_u32 s15, s15, (.LBB2_6243-.Lpost_getpc31793)>>32
	s_setpc_b64 s[14:15]
.LBB2_31793:
	s_getpc_b64 s[14:15]
.Lpost_getpc19480:
	s_add_u32 s14, s14, (.LBB2_6244-.Lpost_getpc19480)&4294967295
	s_addc_u32 s15, s15, (.LBB2_6244-.Lpost_getpc19480)>>32
	s_setpc_b64 s[14:15]
.LBB2_20581:
	s_movk_i32 s4, 0x80
	v_cmp_eq_u16_sdwa s[12:13], v5, s4 src0_sel:BYTE_0 src1_sel:DWORD
	s_mov_b64 s[4:5], -1
                                        ; implicit-def: $sgpr10
	s_and_saveexec_b64 s[8:9], s[12:13]
; %bb.20582:
	s_mov_b32 s10, 0x7f800001
	s_xor_b64 s[4:5], exec, -1
; %bb.20583:
	s_or_b64 exec, exec, s[8:9]
	s_and_b64 s[4:5], s[4:5], exec
	s_or_saveexec_b64 s[6:7], s[6:7]
	v_mov_b32_e32 v3, s10
	s_xor_b64 exec, exec, s[6:7]
	s_cbranch_execnz .LBB2_20584
; %bb.56421:
	s_getpc_b64 s[14:15]
.Lpost_getpc31794:
	s_add_u32 s14, s14, (.LBB2_6246-.Lpost_getpc31794)&4294967295
	s_addc_u32 s15, s15, (.LBB2_6246-.Lpost_getpc31794)>>32
	s_setpc_b64 s[14:15]
.LBB2_20584:
	v_mov_b32_e32 v3, 0
	v_cmp_ne_u16_sdwa s[8:9], v5, v3 src0_sel:BYTE_0 src1_sel:DWORD
	s_andn2_b64 s[4:5], s[4:5], exec
	s_and_b64 s[8:9], s[8:9], exec
	s_or_b64 s[4:5], s[4:5], s[8:9]
	s_or_b64 exec, exec, s[6:7]
	s_and_saveexec_b64 s[6:7], s[4:5]
	s_cbranch_execz .LBB2_31795
; %bb.56423:
	s_getpc_b64 s[14:15]
.Lpost_getpc31795:
	s_add_u32 s14, s14, (.LBB2_6247-.Lpost_getpc31795)&4294967295
	s_addc_u32 s15, s15, (.LBB2_6247-.Lpost_getpc31795)>>32
	s_setpc_b64 s[14:15]
.LBB2_31795:
	s_getpc_b64 s[14:15]
.Lpost_getpc19481:
	s_add_u32 s14, s14, (.LBB2_6248-.Lpost_getpc19481)&4294967295
	s_addc_u32 s15, s15, (.LBB2_6248-.Lpost_getpc19481)>>32
	s_setpc_b64 s[14:15]
.LBB2_20585:
	s_movk_i32 s4, 0x80
	v_cmp_eq_u16_sdwa s[12:13], v3, s4 src0_sel:BYTE_0 src1_sel:DWORD
	s_mov_b64 s[4:5], -1
                                        ; implicit-def: $sgpr10
	s_and_saveexec_b64 s[8:9], s[12:13]
; %bb.20586:
	s_mov_b32 s10, 0x7f800001
	s_xor_b64 s[4:5], exec, -1
; %bb.20587:
	s_or_b64 exec, exec, s[8:9]
	s_and_b64 s[4:5], s[4:5], exec
	s_or_saveexec_b64 s[6:7], s[6:7]
	v_mov_b32_e32 v2, s10
	s_xor_b64 exec, exec, s[6:7]
	s_cbranch_execnz .LBB2_20588
; %bb.56425:
	s_getpc_b64 s[14:15]
.Lpost_getpc31796:
	s_add_u32 s14, s14, (.LBB2_6250-.Lpost_getpc31796)&4294967295
	s_addc_u32 s15, s15, (.LBB2_6250-.Lpost_getpc31796)>>32
	s_setpc_b64 s[14:15]
.LBB2_20588:
	v_mov_b32_e32 v2, 0
	v_cmp_ne_u16_sdwa s[8:9], v3, v2 src0_sel:BYTE_0 src1_sel:DWORD
	s_andn2_b64 s[4:5], s[4:5], exec
	s_and_b64 s[8:9], s[8:9], exec
	s_or_b64 s[4:5], s[4:5], s[8:9]
	s_or_b64 exec, exec, s[6:7]
	s_and_saveexec_b64 s[6:7], s[4:5]
	s_cbranch_execz .LBB2_31797
; %bb.56427:
	s_getpc_b64 s[14:15]
.Lpost_getpc31797:
	s_add_u32 s14, s14, (.LBB2_6251-.Lpost_getpc31797)&4294967295
	s_addc_u32 s15, s15, (.LBB2_6251-.Lpost_getpc31797)>>32
	s_setpc_b64 s[14:15]
.LBB2_31797:
	s_getpc_b64 s[14:15]
.Lpost_getpc19482:
	s_add_u32 s14, s14, (.LBB2_6252-.Lpost_getpc19482)&4294967295
	s_addc_u32 s15, s15, (.LBB2_6252-.Lpost_getpc19482)>>32
	s_setpc_b64 s[14:15]
.LBB2_20589:
	s_movk_i32 s4, 0x80
	v_cmp_eq_u16_sdwa s[12:13], v3, s4 src0_sel:BYTE_0 src1_sel:DWORD
	s_mov_b64 s[4:5], -1
                                        ; implicit-def: $sgpr10
	s_and_saveexec_b64 s[8:9], s[12:13]
; %bb.20590:
	s_mov_b32 s10, 0x7f800001
	s_xor_b64 s[4:5], exec, -1
; %bb.20591:
	s_or_b64 exec, exec, s[8:9]
	s_and_b64 s[4:5], s[4:5], exec
	s_or_saveexec_b64 s[6:7], s[6:7]
	v_mov_b32_e32 v4, s10
	s_xor_b64 exec, exec, s[6:7]
	s_cbranch_execnz .LBB2_20592
; %bb.56429:
	s_getpc_b64 s[14:15]
.Lpost_getpc31798:
	s_add_u32 s14, s14, (.LBB2_6254-.Lpost_getpc31798)&4294967295
	s_addc_u32 s15, s15, (.LBB2_6254-.Lpost_getpc31798)>>32
	s_setpc_b64 s[14:15]
.LBB2_20592:
	v_mov_b32_e32 v4, 0
	v_cmp_ne_u16_sdwa s[8:9], v3, v4 src0_sel:BYTE_0 src1_sel:DWORD
	s_andn2_b64 s[4:5], s[4:5], exec
	s_and_b64 s[8:9], s[8:9], exec
	s_or_b64 s[4:5], s[4:5], s[8:9]
	s_or_b64 exec, exec, s[6:7]
	s_and_saveexec_b64 s[6:7], s[4:5]
	s_cbranch_execz .LBB2_31799
; %bb.56431:
	s_getpc_b64 s[14:15]
.Lpost_getpc31799:
	s_add_u32 s14, s14, (.LBB2_6255-.Lpost_getpc31799)&4294967295
	s_addc_u32 s15, s15, (.LBB2_6255-.Lpost_getpc31799)>>32
	s_setpc_b64 s[14:15]
.LBB2_31799:
	s_getpc_b64 s[14:15]
.Lpost_getpc19483:
	s_add_u32 s14, s14, (.LBB2_6256-.Lpost_getpc19483)&4294967295
	s_addc_u32 s15, s15, (.LBB2_6256-.Lpost_getpc19483)>>32
	s_setpc_b64 s[14:15]
.LBB2_20593:
	s_movk_i32 s4, 0x80
	v_cmp_eq_u16_e32 vcc, s4, v3
	s_mov_b64 s[4:5], -1
                                        ; implicit-def: $sgpr10
	s_and_saveexec_b64 s[8:9], vcc
; %bb.20594:
	s_mov_b32 s10, 0x7f800001
	s_xor_b64 s[4:5], exec, -1
; %bb.20595:
	s_or_b64 exec, exec, s[8:9]
	s_and_b64 s[4:5], s[4:5], exec
                                        ; implicit-def: $vgpr3
	s_or_saveexec_b64 s[6:7], s[6:7]
	v_mov_b32_e32 v2, s10
	s_xor_b64 exec, exec, s[6:7]
	s_cbranch_execnz .LBB2_20596
; %bb.56433:
	s_getpc_b64 s[14:15]
.Lpost_getpc31800:
	s_add_u32 s14, s14, (.LBB2_6258-.Lpost_getpc31800)&4294967295
	s_addc_u32 s15, s15, (.LBB2_6258-.Lpost_getpc31800)>>32
	s_setpc_b64 s[14:15]
.LBB2_20596:
	v_cmp_ne_u16_e32 vcc, 0, v3
	s_andn2_b64 s[4:5], s[4:5], exec
	s_and_b64 s[8:9], vcc, exec
	v_mov_b32_e32 v2, 0
	s_or_b64 s[4:5], s[4:5], s[8:9]
	s_or_b64 exec, exec, s[6:7]
	s_and_saveexec_b64 s[6:7], s[4:5]
	s_cbranch_execz .LBB2_31801
; %bb.56435:
	s_getpc_b64 s[14:15]
.Lpost_getpc31801:
	s_add_u32 s14, s14, (.LBB2_6259-.Lpost_getpc31801)&4294967295
	s_addc_u32 s15, s15, (.LBB2_6259-.Lpost_getpc31801)>>32
	s_setpc_b64 s[14:15]
.LBB2_31801:
	s_getpc_b64 s[14:15]
.Lpost_getpc19484:
	s_add_u32 s14, s14, (.LBB2_6260-.Lpost_getpc19484)&4294967295
	s_addc_u32 s15, s15, (.LBB2_6260-.Lpost_getpc19484)>>32
	s_setpc_b64 s[14:15]
.LBB2_20597:
	s_movk_i32 s4, 0x80
	v_cmp_eq_u16_e32 vcc, s4, v3
	s_mov_b64 s[4:5], -1
                                        ; implicit-def: $sgpr10
	s_and_saveexec_b64 s[8:9], vcc
; %bb.20598:
	s_mov_b32 s10, 0x7f800001
	s_xor_b64 s[4:5], exec, -1
; %bb.20599:
	s_or_b64 exec, exec, s[8:9]
	s_and_b64 s[4:5], s[4:5], exec
                                        ; implicit-def: $vgpr3
	s_or_saveexec_b64 s[6:7], s[6:7]
	v_mov_b32_e32 v4, s10
	s_xor_b64 exec, exec, s[6:7]
	s_cbranch_execnz .LBB2_20600
; %bb.56437:
	s_getpc_b64 s[14:15]
.Lpost_getpc31802:
	s_add_u32 s14, s14, (.LBB2_6262-.Lpost_getpc31802)&4294967295
	s_addc_u32 s15, s15, (.LBB2_6262-.Lpost_getpc31802)>>32
	s_setpc_b64 s[14:15]
.LBB2_20600:
	v_cmp_ne_u16_e32 vcc, 0, v3
	s_andn2_b64 s[4:5], s[4:5], exec
	s_and_b64 s[8:9], vcc, exec
	v_mov_b32_e32 v4, 0
	s_or_b64 s[4:5], s[4:5], s[8:9]
	s_or_b64 exec, exec, s[6:7]
	s_and_saveexec_b64 s[6:7], s[4:5]
	s_cbranch_execz .LBB2_31803
; %bb.56439:
	s_getpc_b64 s[14:15]
.Lpost_getpc31803:
	s_add_u32 s14, s14, (.LBB2_6263-.Lpost_getpc31803)&4294967295
	s_addc_u32 s15, s15, (.LBB2_6263-.Lpost_getpc31803)>>32
	s_setpc_b64 s[14:15]
.LBB2_31803:
	s_getpc_b64 s[14:15]
.Lpost_getpc19485:
	s_add_u32 s14, s14, (.LBB2_6264-.Lpost_getpc19485)&4294967295
	s_addc_u32 s15, s15, (.LBB2_6264-.Lpost_getpc19485)>>32
	s_setpc_b64 s[14:15]
.LBB2_20601:
	s_movk_i32 s4, 0x80
	v_cmp_eq_u16_sdwa s[12:13], v9, s4 src0_sel:BYTE_3 src1_sel:DWORD
	s_mov_b64 s[4:5], -1
                                        ; implicit-def: $sgpr10
	s_and_saveexec_b64 s[8:9], s[12:13]
; %bb.20602:
	s_mov_b32 s10, 0x7f800001
	s_xor_b64 s[4:5], exec, -1
; %bb.20603:
	s_or_b64 exec, exec, s[8:9]
	s_and_b64 s[4:5], s[4:5], exec
	s_or_saveexec_b64 s[6:7], s[6:7]
	v_mov_b32_e32 v2, s10
	s_xor_b64 exec, exec, s[6:7]
	s_cbranch_execnz .LBB2_20604
; %bb.56441:
	s_getpc_b64 s[14:15]
.Lpost_getpc31804:
	s_add_u32 s14, s14, (.LBB2_6266-.Lpost_getpc31804)&4294967295
	s_addc_u32 s15, s15, (.LBB2_6266-.Lpost_getpc31804)>>32
	s_setpc_b64 s[14:15]
.LBB2_20604:
	v_mov_b32_e32 v2, 0
	v_cmp_ne_u16_sdwa s[8:9], v9, v2 src0_sel:BYTE_3 src1_sel:DWORD
	s_andn2_b64 s[4:5], s[4:5], exec
	s_and_b64 s[8:9], s[8:9], exec
	s_or_b64 s[4:5], s[4:5], s[8:9]
	s_or_b64 exec, exec, s[6:7]
	s_and_saveexec_b64 s[6:7], s[4:5]
	s_cbranch_execz .LBB2_31805
; %bb.56443:
	s_getpc_b64 s[14:15]
.Lpost_getpc31805:
	s_add_u32 s14, s14, (.LBB2_6267-.Lpost_getpc31805)&4294967295
	s_addc_u32 s15, s15, (.LBB2_6267-.Lpost_getpc31805)>>32
	s_setpc_b64 s[14:15]
.LBB2_31805:
	s_getpc_b64 s[14:15]
.Lpost_getpc19486:
	s_add_u32 s14, s14, (.LBB2_6268-.Lpost_getpc19486)&4294967295
	s_addc_u32 s15, s15, (.LBB2_6268-.Lpost_getpc19486)>>32
	s_setpc_b64 s[14:15]
.LBB2_20605:
	s_movk_i32 s4, 0x80
	v_cmp_eq_u16_sdwa s[12:13], v5, s4 src0_sel:BYTE_3 src1_sel:DWORD
	s_mov_b64 s[4:5], -1
                                        ; implicit-def: $sgpr10
	s_and_saveexec_b64 s[8:9], s[12:13]
; %bb.20606:
	s_mov_b32 s10, 0x7f800001
	s_xor_b64 s[4:5], exec, -1
; %bb.20607:
	s_or_b64 exec, exec, s[8:9]
	s_and_b64 s[4:5], s[4:5], exec
	s_or_saveexec_b64 s[6:7], s[6:7]
	v_mov_b32_e32 v3, s10
	s_xor_b64 exec, exec, s[6:7]
	s_cbranch_execnz .LBB2_20608
; %bb.56445:
	s_getpc_b64 s[14:15]
.Lpost_getpc31806:
	s_add_u32 s14, s14, (.LBB2_6270-.Lpost_getpc31806)&4294967295
	s_addc_u32 s15, s15, (.LBB2_6270-.Lpost_getpc31806)>>32
	s_setpc_b64 s[14:15]
.LBB2_20608:
	v_mov_b32_e32 v3, 0
	v_cmp_ne_u16_sdwa s[8:9], v5, v3 src0_sel:BYTE_3 src1_sel:DWORD
	s_andn2_b64 s[4:5], s[4:5], exec
	s_and_b64 s[8:9], s[8:9], exec
	s_or_b64 s[4:5], s[4:5], s[8:9]
	s_or_b64 exec, exec, s[6:7]
	s_and_saveexec_b64 s[6:7], s[4:5]
	s_cbranch_execz .LBB2_31807
; %bb.56447:
	s_getpc_b64 s[14:15]
.Lpost_getpc31807:
	s_add_u32 s14, s14, (.LBB2_6271-.Lpost_getpc31807)&4294967295
	s_addc_u32 s15, s15, (.LBB2_6271-.Lpost_getpc31807)>>32
	s_setpc_b64 s[14:15]
.LBB2_31807:
	s_getpc_b64 s[14:15]
.Lpost_getpc19487:
	s_add_u32 s14, s14, (.LBB2_6272-.Lpost_getpc19487)&4294967295
	s_addc_u32 s15, s15, (.LBB2_6272-.Lpost_getpc19487)>>32
	s_setpc_b64 s[14:15]
.LBB2_20609:
	s_movk_i32 s4, 0x80
	v_cmp_eq_u16_sdwa s[12:13], v6, s4 src0_sel:BYTE_0 src1_sel:DWORD
	s_mov_b64 s[4:5], -1
                                        ; implicit-def: $sgpr10
	s_and_saveexec_b64 s[8:9], s[12:13]
; %bb.20610:
	s_mov_b32 s10, 0x7f800001
	s_xor_b64 s[4:5], exec, -1
; %bb.20611:
	s_or_b64 exec, exec, s[8:9]
	s_and_b64 s[4:5], s[4:5], exec
	s_or_saveexec_b64 s[6:7], s[6:7]
	v_mov_b32_e32 v12, s10
	s_xor_b64 exec, exec, s[6:7]
	s_cbranch_execnz .LBB2_20612
; %bb.56449:
	s_getpc_b64 s[14:15]
.Lpost_getpc31808:
	s_add_u32 s14, s14, (.LBB2_6274-.Lpost_getpc31808)&4294967295
	s_addc_u32 s15, s15, (.LBB2_6274-.Lpost_getpc31808)>>32
	s_setpc_b64 s[14:15]
.LBB2_20612:
	v_mov_b32_e32 v12, 0
	v_cmp_ne_u16_sdwa s[8:9], v6, v12 src0_sel:BYTE_0 src1_sel:DWORD
	s_andn2_b64 s[4:5], s[4:5], exec
	s_and_b64 s[8:9], s[8:9], exec
	s_or_b64 s[4:5], s[4:5], s[8:9]
	s_or_b64 exec, exec, s[6:7]
	s_and_saveexec_b64 s[6:7], s[4:5]
	s_cbranch_execz .LBB2_31809
; %bb.56451:
	s_getpc_b64 s[14:15]
.Lpost_getpc31809:
	s_add_u32 s14, s14, (.LBB2_6275-.Lpost_getpc31809)&4294967295
	s_addc_u32 s15, s15, (.LBB2_6275-.Lpost_getpc31809)>>32
	s_setpc_b64 s[14:15]
.LBB2_31809:
	s_getpc_b64 s[14:15]
.Lpost_getpc19488:
	s_add_u32 s14, s14, (.LBB2_6276-.Lpost_getpc19488)&4294967295
	s_addc_u32 s15, s15, (.LBB2_6276-.Lpost_getpc19488)>>32
	s_setpc_b64 s[14:15]
.LBB2_20613:
	s_movk_i32 s4, 0x80
	v_cmp_eq_u16_sdwa s[12:13], v2, s4 src0_sel:BYTE_0 src1_sel:DWORD
	s_mov_b64 s[4:5], -1
                                        ; implicit-def: $sgpr10
	s_and_saveexec_b64 s[8:9], s[12:13]
; %bb.20614:
	s_mov_b32 s10, 0x7f800001
	s_xor_b64 s[4:5], exec, -1
; %bb.20615:
	s_or_b64 exec, exec, s[8:9]
	s_and_b64 s[4:5], s[4:5], exec
	s_or_saveexec_b64 s[6:7], s[6:7]
	v_mov_b32_e32 v13, s10
	s_xor_b64 exec, exec, s[6:7]
	s_cbranch_execnz .LBB2_20616
; %bb.56453:
	s_getpc_b64 s[14:15]
.Lpost_getpc31810:
	s_add_u32 s14, s14, (.LBB2_6278-.Lpost_getpc31810)&4294967295
	s_addc_u32 s15, s15, (.LBB2_6278-.Lpost_getpc31810)>>32
	s_setpc_b64 s[14:15]
.LBB2_20616:
	v_mov_b32_e32 v13, 0
	v_cmp_ne_u16_sdwa s[8:9], v2, v13 src0_sel:BYTE_0 src1_sel:DWORD
	s_andn2_b64 s[4:5], s[4:5], exec
	s_and_b64 s[8:9], s[8:9], exec
	s_or_b64 s[4:5], s[4:5], s[8:9]
	s_or_b64 exec, exec, s[6:7]
	s_and_saveexec_b64 s[6:7], s[4:5]
	s_cbranch_execz .LBB2_31811
; %bb.56455:
	s_getpc_b64 s[14:15]
.Lpost_getpc31811:
	s_add_u32 s14, s14, (.LBB2_6279-.Lpost_getpc31811)&4294967295
	s_addc_u32 s15, s15, (.LBB2_6279-.Lpost_getpc31811)>>32
	s_setpc_b64 s[14:15]
.LBB2_31811:
	s_getpc_b64 s[14:15]
.Lpost_getpc19489:
	s_add_u32 s14, s14, (.LBB2_6280-.Lpost_getpc19489)&4294967295
	s_addc_u32 s15, s15, (.LBB2_6280-.Lpost_getpc19489)>>32
	s_setpc_b64 s[14:15]
.LBB2_20617:
	s_movk_i32 s4, 0x80
	v_cmp_eq_u16_sdwa s[12:13], v13, s4 src0_sel:BYTE_0 src1_sel:DWORD
	s_mov_b64 s[4:5], -1
                                        ; implicit-def: $sgpr10
	s_and_saveexec_b64 s[8:9], s[12:13]
; %bb.20618:
	s_mov_b32 s10, 0x7f800001
	s_xor_b64 s[4:5], exec, -1
; %bb.20619:
	s_or_b64 exec, exec, s[8:9]
	s_and_b64 s[4:5], s[4:5], exec
	s_or_saveexec_b64 s[6:7], s[6:7]
	v_mov_b32_e32 v12, s10
	s_xor_b64 exec, exec, s[6:7]
	s_cbranch_execnz .LBB2_20620
; %bb.56457:
	s_getpc_b64 s[14:15]
.Lpost_getpc31812:
	s_add_u32 s14, s14, (.LBB2_6282-.Lpost_getpc31812)&4294967295
	s_addc_u32 s15, s15, (.LBB2_6282-.Lpost_getpc31812)>>32
	s_setpc_b64 s[14:15]
.LBB2_20620:
	v_mov_b32_e32 v12, 0
	v_cmp_ne_u16_sdwa s[8:9], v13, v12 src0_sel:BYTE_0 src1_sel:DWORD
	s_andn2_b64 s[4:5], s[4:5], exec
	s_and_b64 s[8:9], s[8:9], exec
	s_or_b64 s[4:5], s[4:5], s[8:9]
	s_or_b64 exec, exec, s[6:7]
	s_and_saveexec_b64 s[6:7], s[4:5]
	s_cbranch_execz .LBB2_31813
; %bb.56459:
	s_getpc_b64 s[14:15]
.Lpost_getpc31813:
	s_add_u32 s14, s14, (.LBB2_6283-.Lpost_getpc31813)&4294967295
	s_addc_u32 s15, s15, (.LBB2_6283-.Lpost_getpc31813)>>32
	s_setpc_b64 s[14:15]
.LBB2_31813:
	s_getpc_b64 s[14:15]
.Lpost_getpc19490:
	s_add_u32 s14, s14, (.LBB2_6284-.Lpost_getpc19490)&4294967295
	s_addc_u32 s15, s15, (.LBB2_6284-.Lpost_getpc19490)>>32
	s_setpc_b64 s[14:15]
.LBB2_20621:
	s_movk_i32 s4, 0x80
	v_cmp_eq_u16_sdwa s[12:13], v13, s4 src0_sel:BYTE_0 src1_sel:DWORD
	s_mov_b64 s[4:5], -1
                                        ; implicit-def: $sgpr10
	s_and_saveexec_b64 s[8:9], s[12:13]
; %bb.20622:
	s_mov_b32 s10, 0x7f800001
	s_xor_b64 s[4:5], exec, -1
; %bb.20623:
	s_or_b64 exec, exec, s[8:9]
	s_and_b64 s[4:5], s[4:5], exec
	s_or_saveexec_b64 s[6:7], s[6:7]
	v_mov_b32_e32 v14, s10
	s_xor_b64 exec, exec, s[6:7]
	s_cbranch_execnz .LBB2_20624
; %bb.56461:
	s_getpc_b64 s[14:15]
.Lpost_getpc31814:
	s_add_u32 s14, s14, (.LBB2_6286-.Lpost_getpc31814)&4294967295
	s_addc_u32 s15, s15, (.LBB2_6286-.Lpost_getpc31814)>>32
	s_setpc_b64 s[14:15]
.LBB2_20624:
	v_mov_b32_e32 v14, 0
	v_cmp_ne_u16_sdwa s[8:9], v13, v14 src0_sel:BYTE_0 src1_sel:DWORD
	s_andn2_b64 s[4:5], s[4:5], exec
	s_and_b64 s[8:9], s[8:9], exec
	s_or_b64 s[4:5], s[4:5], s[8:9]
	s_or_b64 exec, exec, s[6:7]
	s_and_saveexec_b64 s[6:7], s[4:5]
	s_cbranch_execz .LBB2_31815
; %bb.56463:
	s_getpc_b64 s[14:15]
.Lpost_getpc31815:
	s_add_u32 s14, s14, (.LBB2_6287-.Lpost_getpc31815)&4294967295
	s_addc_u32 s15, s15, (.LBB2_6287-.Lpost_getpc31815)>>32
	s_setpc_b64 s[14:15]
.LBB2_31815:
	s_getpc_b64 s[14:15]
.Lpost_getpc19491:
	s_add_u32 s14, s14, (.LBB2_6288-.Lpost_getpc19491)&4294967295
	s_addc_u32 s15, s15, (.LBB2_6288-.Lpost_getpc19491)>>32
	s_setpc_b64 s[14:15]
.LBB2_20625:
	s_movk_i32 s4, 0x80
	v_cmp_eq_u16_e32 vcc, s4, v13
	s_mov_b64 s[4:5], -1
                                        ; implicit-def: $sgpr10
	s_and_saveexec_b64 s[8:9], vcc
; %bb.20626:
	s_mov_b32 s10, 0x7f800001
	s_xor_b64 s[4:5], exec, -1
; %bb.20627:
	s_or_b64 exec, exec, s[8:9]
	s_and_b64 s[4:5], s[4:5], exec
                                        ; implicit-def: $vgpr13
	s_or_saveexec_b64 s[6:7], s[6:7]
	v_mov_b32_e32 v12, s10
	s_xor_b64 exec, exec, s[6:7]
	s_cbranch_execnz .LBB2_20628
; %bb.56465:
	s_getpc_b64 s[14:15]
.Lpost_getpc31816:
	s_add_u32 s14, s14, (.LBB2_6290-.Lpost_getpc31816)&4294967295
	s_addc_u32 s15, s15, (.LBB2_6290-.Lpost_getpc31816)>>32
	s_setpc_b64 s[14:15]
.LBB2_20628:
	v_cmp_ne_u16_e32 vcc, 0, v13
	s_andn2_b64 s[4:5], s[4:5], exec
	s_and_b64 s[8:9], vcc, exec
	v_mov_b32_e32 v12, 0
	s_or_b64 s[4:5], s[4:5], s[8:9]
	s_or_b64 exec, exec, s[6:7]
	s_and_saveexec_b64 s[6:7], s[4:5]
	s_cbranch_execz .LBB2_31817
; %bb.56467:
	s_getpc_b64 s[14:15]
.Lpost_getpc31817:
	s_add_u32 s14, s14, (.LBB2_6291-.Lpost_getpc31817)&4294967295
	s_addc_u32 s15, s15, (.LBB2_6291-.Lpost_getpc31817)>>32
	s_setpc_b64 s[14:15]
.LBB2_31817:
	s_getpc_b64 s[14:15]
.Lpost_getpc19492:
	s_add_u32 s14, s14, (.LBB2_6292-.Lpost_getpc19492)&4294967295
	s_addc_u32 s15, s15, (.LBB2_6292-.Lpost_getpc19492)>>32
	s_setpc_b64 s[14:15]
.LBB2_20629:
	s_movk_i32 s4, 0x80
	v_cmp_eq_u16_e32 vcc, s4, v13
	s_mov_b64 s[4:5], -1
                                        ; implicit-def: $sgpr10
	s_and_saveexec_b64 s[8:9], vcc
; %bb.20630:
	s_mov_b32 s10, 0x7f800001
	s_xor_b64 s[4:5], exec, -1
; %bb.20631:
	s_or_b64 exec, exec, s[8:9]
	s_and_b64 s[4:5], s[4:5], exec
                                        ; implicit-def: $vgpr13
	s_or_saveexec_b64 s[6:7], s[6:7]
	v_mov_b32_e32 v14, s10
	s_xor_b64 exec, exec, s[6:7]
	s_cbranch_execnz .LBB2_20632
; %bb.56469:
	s_getpc_b64 s[14:15]
.Lpost_getpc31818:
	s_add_u32 s14, s14, (.LBB2_6294-.Lpost_getpc31818)&4294967295
	s_addc_u32 s15, s15, (.LBB2_6294-.Lpost_getpc31818)>>32
	s_setpc_b64 s[14:15]
.LBB2_20632:
	v_cmp_ne_u16_e32 vcc, 0, v13
	s_andn2_b64 s[4:5], s[4:5], exec
	s_and_b64 s[8:9], vcc, exec
	v_mov_b32_e32 v14, 0
	s_or_b64 s[4:5], s[4:5], s[8:9]
	s_or_b64 exec, exec, s[6:7]
	s_and_saveexec_b64 s[6:7], s[4:5]
	s_cbranch_execz .LBB2_31819
; %bb.56471:
	s_getpc_b64 s[14:15]
.Lpost_getpc31819:
	s_add_u32 s14, s14, (.LBB2_6295-.Lpost_getpc31819)&4294967295
	s_addc_u32 s15, s15, (.LBB2_6295-.Lpost_getpc31819)>>32
	s_setpc_b64 s[14:15]
.LBB2_31819:
	s_getpc_b64 s[14:15]
.Lpost_getpc19493:
	s_add_u32 s14, s14, (.LBB2_6296-.Lpost_getpc19493)&4294967295
	s_addc_u32 s15, s15, (.LBB2_6296-.Lpost_getpc19493)>>32
	s_setpc_b64 s[14:15]
.LBB2_20633:
	s_movk_i32 s4, 0x80
	v_cmp_eq_u16_sdwa s[12:13], v6, s4 src0_sel:BYTE_3 src1_sel:DWORD
	s_mov_b64 s[4:5], -1
                                        ; implicit-def: $sgpr10
	s_and_saveexec_b64 s[8:9], s[12:13]
; %bb.20634:
	s_mov_b32 s10, 0x7f800001
	s_xor_b64 s[4:5], exec, -1
; %bb.20635:
	s_or_b64 exec, exec, s[8:9]
	s_and_b64 s[4:5], s[4:5], exec
	s_or_saveexec_b64 s[6:7], s[6:7]
	v_mov_b32_e32 v12, s10
	s_xor_b64 exec, exec, s[6:7]
	s_cbranch_execnz .LBB2_20636
; %bb.56473:
	s_getpc_b64 s[14:15]
.Lpost_getpc31820:
	s_add_u32 s14, s14, (.LBB2_6298-.Lpost_getpc31820)&4294967295
	s_addc_u32 s15, s15, (.LBB2_6298-.Lpost_getpc31820)>>32
	s_setpc_b64 s[14:15]
.LBB2_20636:
	v_mov_b32_e32 v12, 0
	v_cmp_ne_u16_sdwa s[8:9], v6, v12 src0_sel:BYTE_3 src1_sel:DWORD
	s_andn2_b64 s[4:5], s[4:5], exec
	s_and_b64 s[8:9], s[8:9], exec
	s_or_b64 s[4:5], s[4:5], s[8:9]
	s_or_b64 exec, exec, s[6:7]
	s_and_saveexec_b64 s[6:7], s[4:5]
	s_cbranch_execz .LBB2_31821
; %bb.56475:
	s_getpc_b64 s[14:15]
.Lpost_getpc31821:
	s_add_u32 s14, s14, (.LBB2_6299-.Lpost_getpc31821)&4294967295
	s_addc_u32 s15, s15, (.LBB2_6299-.Lpost_getpc31821)>>32
	s_setpc_b64 s[14:15]
.LBB2_31821:
	s_getpc_b64 s[14:15]
.Lpost_getpc19494:
	s_add_u32 s14, s14, (.LBB2_6300-.Lpost_getpc19494)&4294967295
	s_addc_u32 s15, s15, (.LBB2_6300-.Lpost_getpc19494)>>32
	s_setpc_b64 s[14:15]
.LBB2_20637:
	s_movk_i32 s4, 0x80
	v_cmp_eq_u16_sdwa s[12:13], v2, s4 src0_sel:BYTE_3 src1_sel:DWORD
	s_mov_b64 s[4:5], -1
                                        ; implicit-def: $sgpr10
	s_and_saveexec_b64 s[8:9], s[12:13]
; %bb.20638:
	s_mov_b32 s10, 0x7f800001
	s_xor_b64 s[4:5], exec, -1
; %bb.20639:
	s_or_b64 exec, exec, s[8:9]
	s_and_b64 s[4:5], s[4:5], exec
	s_or_saveexec_b64 s[6:7], s[6:7]
	v_mov_b32_e32 v6, s10
	s_xor_b64 exec, exec, s[6:7]
	s_cbranch_execnz .LBB2_20640
; %bb.56477:
	s_getpc_b64 s[14:15]
.Lpost_getpc31822:
	s_add_u32 s14, s14, (.LBB2_6302-.Lpost_getpc31822)&4294967295
	s_addc_u32 s15, s15, (.LBB2_6302-.Lpost_getpc31822)>>32
	s_setpc_b64 s[14:15]
.LBB2_20640:
	v_mov_b32_e32 v6, 0
	v_cmp_ne_u16_sdwa s[8:9], v2, v6 src0_sel:BYTE_3 src1_sel:DWORD
	s_andn2_b64 s[4:5], s[4:5], exec
	s_and_b64 s[8:9], s[8:9], exec
	s_or_b64 s[4:5], s[4:5], s[8:9]
	s_or_b64 exec, exec, s[6:7]
	s_and_saveexec_b64 s[6:7], s[4:5]
	s_cbranch_execz .LBB2_31823
; %bb.56479:
	s_getpc_b64 s[14:15]
.Lpost_getpc31823:
	s_add_u32 s14, s14, (.LBB2_6303-.Lpost_getpc31823)&4294967295
	s_addc_u32 s15, s15, (.LBB2_6303-.Lpost_getpc31823)>>32
	s_setpc_b64 s[14:15]
.LBB2_31823:
	s_getpc_b64 s[14:15]
.Lpost_getpc19495:
	s_add_u32 s14, s14, (.LBB2_6304-.Lpost_getpc19495)&4294967295
	s_addc_u32 s15, s15, (.LBB2_6304-.Lpost_getpc19495)>>32
	s_setpc_b64 s[14:15]
.LBB2_20641:
	s_movk_i32 s4, 0x80
	v_cmp_eq_u16_sdwa s[12:13], v7, s4 src0_sel:BYTE_0 src1_sel:DWORD
	s_mov_b64 s[4:5], -1
                                        ; implicit-def: $sgpr10
	s_and_saveexec_b64 s[8:9], s[12:13]
; %bb.20642:
	s_mov_b32 s10, 0x7f800001
	s_xor_b64 s[4:5], exec, -1
; %bb.20643:
	s_or_b64 exec, exec, s[8:9]
	s_and_b64 s[4:5], s[4:5], exec
	s_or_saveexec_b64 s[6:7], s[6:7]
	v_mov_b32_e32 v2, s10
	s_xor_b64 exec, exec, s[6:7]
	s_cbranch_execnz .LBB2_20644
; %bb.56481:
	s_getpc_b64 s[14:15]
.Lpost_getpc31824:
	s_add_u32 s14, s14, (.LBB2_6306-.Lpost_getpc31824)&4294967295
	s_addc_u32 s15, s15, (.LBB2_6306-.Lpost_getpc31824)>>32
	s_setpc_b64 s[14:15]
.LBB2_20644:
	v_mov_b32_e32 v2, 0
	v_cmp_ne_u16_sdwa s[8:9], v7, v2 src0_sel:BYTE_0 src1_sel:DWORD
	s_andn2_b64 s[4:5], s[4:5], exec
	s_and_b64 s[8:9], s[8:9], exec
	s_or_b64 s[4:5], s[4:5], s[8:9]
	s_or_b64 exec, exec, s[6:7]
	s_and_saveexec_b64 s[6:7], s[4:5]
	s_cbranch_execz .LBB2_31825
; %bb.56483:
	s_getpc_b64 s[14:15]
.Lpost_getpc31825:
	s_add_u32 s14, s14, (.LBB2_6307-.Lpost_getpc31825)&4294967295
	s_addc_u32 s15, s15, (.LBB2_6307-.Lpost_getpc31825)>>32
	s_setpc_b64 s[14:15]
.LBB2_31825:
	s_getpc_b64 s[14:15]
.Lpost_getpc19496:
	s_add_u32 s14, s14, (.LBB2_6308-.Lpost_getpc19496)&4294967295
	s_addc_u32 s15, s15, (.LBB2_6308-.Lpost_getpc19496)>>32
	s_setpc_b64 s[14:15]
.LBB2_20645:
	s_movk_i32 s4, 0x80
	v_cmp_eq_u16_sdwa s[12:13], v3, s4 src0_sel:BYTE_0 src1_sel:DWORD
	s_mov_b64 s[4:5], -1
                                        ; implicit-def: $sgpr10
	s_and_saveexec_b64 s[8:9], s[12:13]
; %bb.20646:
	s_mov_b32 s10, 0x7f800001
	s_xor_b64 s[4:5], exec, -1
; %bb.20647:
	s_or_b64 exec, exec, s[8:9]
	s_and_b64 s[4:5], s[4:5], exec
	s_or_saveexec_b64 s[6:7], s[6:7]
	v_mov_b32_e32 v6, s10
	s_xor_b64 exec, exec, s[6:7]
	s_cbranch_execnz .LBB2_20648
; %bb.56485:
	s_getpc_b64 s[14:15]
.Lpost_getpc31826:
	s_add_u32 s14, s14, (.LBB2_6310-.Lpost_getpc31826)&4294967295
	s_addc_u32 s15, s15, (.LBB2_6310-.Lpost_getpc31826)>>32
	s_setpc_b64 s[14:15]
.LBB2_20648:
	v_mov_b32_e32 v6, 0
	v_cmp_ne_u16_sdwa s[8:9], v3, v6 src0_sel:BYTE_0 src1_sel:DWORD
	s_andn2_b64 s[4:5], s[4:5], exec
	s_and_b64 s[8:9], s[8:9], exec
	s_or_b64 s[4:5], s[4:5], s[8:9]
	s_or_b64 exec, exec, s[6:7]
	s_and_saveexec_b64 s[6:7], s[4:5]
	s_cbranch_execz .LBB2_31827
; %bb.56487:
	s_getpc_b64 s[14:15]
.Lpost_getpc31827:
	s_add_u32 s14, s14, (.LBB2_6311-.Lpost_getpc31827)&4294967295
	s_addc_u32 s15, s15, (.LBB2_6311-.Lpost_getpc31827)>>32
	s_setpc_b64 s[14:15]
.LBB2_31827:
	s_getpc_b64 s[14:15]
.Lpost_getpc19497:
	s_add_u32 s14, s14, (.LBB2_6312-.Lpost_getpc19497)&4294967295
	s_addc_u32 s15, s15, (.LBB2_6312-.Lpost_getpc19497)>>32
	s_setpc_b64 s[14:15]
.LBB2_20649:
	s_movk_i32 s4, 0x80
	v_cmp_eq_u16_sdwa s[12:13], v6, s4 src0_sel:BYTE_0 src1_sel:DWORD
	s_mov_b64 s[4:5], -1
                                        ; implicit-def: $sgpr10
	s_and_saveexec_b64 s[8:9], s[12:13]
; %bb.20650:
	s_mov_b32 s10, 0x7f800001
	s_xor_b64 s[4:5], exec, -1
; %bb.20651:
	s_or_b64 exec, exec, s[8:9]
	s_and_b64 s[4:5], s[4:5], exec
	s_or_saveexec_b64 s[6:7], s[6:7]
	v_mov_b32_e32 v2, s10
	s_xor_b64 exec, exec, s[6:7]
	s_cbranch_execnz .LBB2_20652
; %bb.56489:
	s_getpc_b64 s[14:15]
.Lpost_getpc31828:
	s_add_u32 s14, s14, (.LBB2_6314-.Lpost_getpc31828)&4294967295
	s_addc_u32 s15, s15, (.LBB2_6314-.Lpost_getpc31828)>>32
	s_setpc_b64 s[14:15]
.LBB2_20652:
	v_mov_b32_e32 v2, 0
	v_cmp_ne_u16_sdwa s[8:9], v6, v2 src0_sel:BYTE_0 src1_sel:DWORD
	s_andn2_b64 s[4:5], s[4:5], exec
	s_and_b64 s[8:9], s[8:9], exec
	s_or_b64 s[4:5], s[4:5], s[8:9]
	s_or_b64 exec, exec, s[6:7]
	s_and_saveexec_b64 s[6:7], s[4:5]
	s_cbranch_execz .LBB2_31829
; %bb.56491:
	s_getpc_b64 s[14:15]
.Lpost_getpc31829:
	s_add_u32 s14, s14, (.LBB2_6315-.Lpost_getpc31829)&4294967295
	s_addc_u32 s15, s15, (.LBB2_6315-.Lpost_getpc31829)>>32
	s_setpc_b64 s[14:15]
.LBB2_31829:
	s_getpc_b64 s[14:15]
.Lpost_getpc19498:
	s_add_u32 s14, s14, (.LBB2_6316-.Lpost_getpc19498)&4294967295
	s_addc_u32 s15, s15, (.LBB2_6316-.Lpost_getpc19498)>>32
	s_setpc_b64 s[14:15]
.LBB2_20653:
	s_movk_i32 s4, 0x80
	v_cmp_eq_u16_sdwa s[12:13], v6, s4 src0_sel:BYTE_0 src1_sel:DWORD
	s_mov_b64 s[4:5], -1
                                        ; implicit-def: $sgpr10
	s_and_saveexec_b64 s[8:9], s[12:13]
; %bb.20654:
	s_mov_b32 s10, 0x7f800001
	s_xor_b64 s[4:5], exec, -1
; %bb.20655:
	s_or_b64 exec, exec, s[8:9]
	s_and_b64 s[4:5], s[4:5], exec
	s_or_saveexec_b64 s[6:7], s[6:7]
	v_mov_b32_e32 v12, s10
	s_xor_b64 exec, exec, s[6:7]
	s_cbranch_execnz .LBB2_20656
; %bb.56493:
	s_getpc_b64 s[14:15]
.Lpost_getpc31830:
	s_add_u32 s14, s14, (.LBB2_6318-.Lpost_getpc31830)&4294967295
	s_addc_u32 s15, s15, (.LBB2_6318-.Lpost_getpc31830)>>32
	s_setpc_b64 s[14:15]
.LBB2_20656:
	v_mov_b32_e32 v12, 0
	v_cmp_ne_u16_sdwa s[8:9], v6, v12 src0_sel:BYTE_0 src1_sel:DWORD
	s_andn2_b64 s[4:5], s[4:5], exec
	s_and_b64 s[8:9], s[8:9], exec
	s_or_b64 s[4:5], s[4:5], s[8:9]
	s_or_b64 exec, exec, s[6:7]
	s_and_saveexec_b64 s[6:7], s[4:5]
	s_cbranch_execz .LBB2_31831
; %bb.56495:
	s_getpc_b64 s[14:15]
.Lpost_getpc31831:
	s_add_u32 s14, s14, (.LBB2_6319-.Lpost_getpc31831)&4294967295
	s_addc_u32 s15, s15, (.LBB2_6319-.Lpost_getpc31831)>>32
	s_setpc_b64 s[14:15]
.LBB2_31831:
	s_getpc_b64 s[14:15]
.Lpost_getpc19499:
	s_add_u32 s14, s14, (.LBB2_6320-.Lpost_getpc19499)&4294967295
	s_addc_u32 s15, s15, (.LBB2_6320-.Lpost_getpc19499)>>32
	s_setpc_b64 s[14:15]
.LBB2_20657:
	s_movk_i32 s4, 0x80
	v_cmp_eq_u16_e32 vcc, s4, v6
	s_mov_b64 s[4:5], -1
                                        ; implicit-def: $sgpr10
	s_and_saveexec_b64 s[8:9], vcc
; %bb.20658:
	s_mov_b32 s10, 0x7f800001
	s_xor_b64 s[4:5], exec, -1
; %bb.20659:
	s_or_b64 exec, exec, s[8:9]
	s_and_b64 s[4:5], s[4:5], exec
                                        ; implicit-def: $vgpr6
	s_or_saveexec_b64 s[6:7], s[6:7]
	v_mov_b32_e32 v2, s10
	s_xor_b64 exec, exec, s[6:7]
	s_cbranch_execnz .LBB2_20660
; %bb.56497:
	s_getpc_b64 s[14:15]
.Lpost_getpc31832:
	s_add_u32 s14, s14, (.LBB2_6322-.Lpost_getpc31832)&4294967295
	s_addc_u32 s15, s15, (.LBB2_6322-.Lpost_getpc31832)>>32
	s_setpc_b64 s[14:15]
.LBB2_20660:
	v_cmp_ne_u16_e32 vcc, 0, v6
	s_andn2_b64 s[4:5], s[4:5], exec
	s_and_b64 s[8:9], vcc, exec
	v_mov_b32_e32 v2, 0
	s_or_b64 s[4:5], s[4:5], s[8:9]
	s_or_b64 exec, exec, s[6:7]
	s_and_saveexec_b64 s[6:7], s[4:5]
	s_cbranch_execz .LBB2_31833
; %bb.56499:
	s_getpc_b64 s[14:15]
.Lpost_getpc31833:
	s_add_u32 s14, s14, (.LBB2_6323-.Lpost_getpc31833)&4294967295
	s_addc_u32 s15, s15, (.LBB2_6323-.Lpost_getpc31833)>>32
	s_setpc_b64 s[14:15]
.LBB2_31833:
	s_getpc_b64 s[14:15]
.Lpost_getpc19500:
	s_add_u32 s14, s14, (.LBB2_6324-.Lpost_getpc19500)&4294967295
	s_addc_u32 s15, s15, (.LBB2_6324-.Lpost_getpc19500)>>32
	s_setpc_b64 s[14:15]
.LBB2_20661:
	s_movk_i32 s4, 0x80
	v_cmp_eq_u16_e32 vcc, s4, v6
	s_mov_b64 s[4:5], -1
                                        ; implicit-def: $sgpr10
	s_and_saveexec_b64 s[8:9], vcc
; %bb.20662:
	s_mov_b32 s10, 0x7f800001
	s_xor_b64 s[4:5], exec, -1
; %bb.20663:
	s_or_b64 exec, exec, s[8:9]
	s_and_b64 s[4:5], s[4:5], exec
                                        ; implicit-def: $vgpr6
	s_or_saveexec_b64 s[6:7], s[6:7]
	v_mov_b32_e32 v12, s10
	s_xor_b64 exec, exec, s[6:7]
	s_cbranch_execnz .LBB2_20664
; %bb.56501:
	s_getpc_b64 s[14:15]
.Lpost_getpc31834:
	s_add_u32 s14, s14, (.LBB2_6326-.Lpost_getpc31834)&4294967295
	s_addc_u32 s15, s15, (.LBB2_6326-.Lpost_getpc31834)>>32
	s_setpc_b64 s[14:15]
.LBB2_20664:
	v_cmp_ne_u16_e32 vcc, 0, v6
	s_andn2_b64 s[4:5], s[4:5], exec
	s_and_b64 s[8:9], vcc, exec
	v_mov_b32_e32 v12, 0
	s_or_b64 s[4:5], s[4:5], s[8:9]
	s_or_b64 exec, exec, s[6:7]
	s_and_saveexec_b64 s[6:7], s[4:5]
	s_cbranch_execz .LBB2_31835
; %bb.56503:
	s_getpc_b64 s[14:15]
.Lpost_getpc31835:
	s_add_u32 s14, s14, (.LBB2_6327-.Lpost_getpc31835)&4294967295
	s_addc_u32 s15, s15, (.LBB2_6327-.Lpost_getpc31835)>>32
	s_setpc_b64 s[14:15]
.LBB2_31835:
	s_getpc_b64 s[14:15]
.Lpost_getpc19501:
	s_add_u32 s14, s14, (.LBB2_6328-.Lpost_getpc19501)&4294967295
	s_addc_u32 s15, s15, (.LBB2_6328-.Lpost_getpc19501)>>32
	s_setpc_b64 s[14:15]
.LBB2_20665:
	s_movk_i32 s4, 0x80
	v_cmp_eq_u16_sdwa s[12:13], v7, s4 src0_sel:BYTE_3 src1_sel:DWORD
	s_mov_b64 s[4:5], -1
                                        ; implicit-def: $sgpr10
	s_and_saveexec_b64 s[8:9], s[12:13]
; %bb.20666:
	s_mov_b32 s10, 0x7f800001
	s_xor_b64 s[4:5], exec, -1
; %bb.20667:
	s_or_b64 exec, exec, s[8:9]
	s_and_b64 s[4:5], s[4:5], exec
	s_or_saveexec_b64 s[6:7], s[6:7]
	v_mov_b32_e32 v2, s10
	s_xor_b64 exec, exec, s[6:7]
	s_cbranch_execnz .LBB2_20668
; %bb.56505:
	s_getpc_b64 s[14:15]
.Lpost_getpc31836:
	s_add_u32 s14, s14, (.LBB2_6330-.Lpost_getpc31836)&4294967295
	s_addc_u32 s15, s15, (.LBB2_6330-.Lpost_getpc31836)>>32
	s_setpc_b64 s[14:15]
.LBB2_20668:
	v_mov_b32_e32 v2, 0
	v_cmp_ne_u16_sdwa s[8:9], v7, v2 src0_sel:BYTE_3 src1_sel:DWORD
	s_andn2_b64 s[4:5], s[4:5], exec
	s_and_b64 s[8:9], s[8:9], exec
	s_or_b64 s[4:5], s[4:5], s[8:9]
	s_or_b64 exec, exec, s[6:7]
	s_and_saveexec_b64 s[6:7], s[4:5]
	s_cbranch_execz .LBB2_31837
; %bb.56507:
	s_getpc_b64 s[14:15]
.Lpost_getpc31837:
	s_add_u32 s14, s14, (.LBB2_6331-.Lpost_getpc31837)&4294967295
	s_addc_u32 s15, s15, (.LBB2_6331-.Lpost_getpc31837)>>32
	s_setpc_b64 s[14:15]
.LBB2_31837:
	s_getpc_b64 s[14:15]
.Lpost_getpc19502:
	s_add_u32 s14, s14, (.LBB2_6332-.Lpost_getpc19502)&4294967295
	s_addc_u32 s15, s15, (.LBB2_6332-.Lpost_getpc19502)>>32
	s_setpc_b64 s[14:15]
.LBB2_20669:
	s_movk_i32 s4, 0x80
	v_cmp_eq_u16_sdwa s[12:13], v3, s4 src0_sel:BYTE_3 src1_sel:DWORD
	s_mov_b64 s[4:5], -1
                                        ; implicit-def: $sgpr10
	s_and_saveexec_b64 s[8:9], s[12:13]
; %bb.20670:
	s_mov_b32 s10, 0x7f800001
	s_xor_b64 s[4:5], exec, -1
; %bb.20671:
	s_or_b64 exec, exec, s[8:9]
	s_and_b64 s[4:5], s[4:5], exec
	s_or_saveexec_b64 s[6:7], s[6:7]
	v_mov_b32_e32 v6, s10
	s_xor_b64 exec, exec, s[6:7]
	s_cbranch_execnz .LBB2_20672
; %bb.56509:
	s_getpc_b64 s[14:15]
.Lpost_getpc31838:
	s_add_u32 s14, s14, (.LBB2_6334-.Lpost_getpc31838)&4294967295
	s_addc_u32 s15, s15, (.LBB2_6334-.Lpost_getpc31838)>>32
	s_setpc_b64 s[14:15]
.LBB2_20672:
	v_mov_b32_e32 v6, 0
	v_cmp_ne_u16_sdwa s[8:9], v3, v6 src0_sel:BYTE_3 src1_sel:DWORD
	s_andn2_b64 s[4:5], s[4:5], exec
	s_and_b64 s[8:9], s[8:9], exec
	s_or_b64 s[4:5], s[4:5], s[8:9]
	s_or_b64 exec, exec, s[6:7]
	s_and_saveexec_b64 s[6:7], s[4:5]
	s_cbranch_execz .LBB2_31839
; %bb.56511:
	s_getpc_b64 s[14:15]
.Lpost_getpc31839:
	s_add_u32 s14, s14, (.LBB2_6335-.Lpost_getpc31839)&4294967295
	s_addc_u32 s15, s15, (.LBB2_6335-.Lpost_getpc31839)>>32
	s_setpc_b64 s[14:15]
.LBB2_31839:
	s_getpc_b64 s[14:15]
.Lpost_getpc19503:
	s_add_u32 s14, s14, (.LBB2_6336-.Lpost_getpc19503)&4294967295
	s_addc_u32 s15, s15, (.LBB2_6336-.Lpost_getpc19503)>>32
	s_setpc_b64 s[14:15]
.LBB2_20673:
	s_movk_i32 s4, 0x80
	v_cmp_eq_u16_sdwa s[12:13], v8, s4 src0_sel:BYTE_0 src1_sel:DWORD
	s_mov_b64 s[4:5], -1
                                        ; implicit-def: $sgpr10
	s_and_saveexec_b64 s[8:9], s[12:13]
; %bb.20674:
	s_mov_b32 s10, 0x7f800001
	s_xor_b64 s[4:5], exec, -1
; %bb.20675:
	s_or_b64 exec, exec, s[8:9]
	s_and_b64 s[4:5], s[4:5], exec
	s_or_saveexec_b64 s[6:7], s[6:7]
	v_mov_b32_e32 v2, s10
	s_xor_b64 exec, exec, s[6:7]
	s_cbranch_execnz .LBB2_20676
; %bb.56513:
	s_getpc_b64 s[14:15]
.Lpost_getpc31840:
	s_add_u32 s14, s14, (.LBB2_6338-.Lpost_getpc31840)&4294967295
	s_addc_u32 s15, s15, (.LBB2_6338-.Lpost_getpc31840)>>32
	s_setpc_b64 s[14:15]
.LBB2_20676:
	v_mov_b32_e32 v2, 0
	v_cmp_ne_u16_sdwa s[8:9], v8, v2 src0_sel:BYTE_0 src1_sel:DWORD
	s_andn2_b64 s[4:5], s[4:5], exec
	s_and_b64 s[8:9], s[8:9], exec
	s_or_b64 s[4:5], s[4:5], s[8:9]
	s_or_b64 exec, exec, s[6:7]
	s_and_saveexec_b64 s[6:7], s[4:5]
	s_cbranch_execz .LBB2_31841
; %bb.56515:
	s_getpc_b64 s[14:15]
.Lpost_getpc31841:
	s_add_u32 s14, s14, (.LBB2_6339-.Lpost_getpc31841)&4294967295
	s_addc_u32 s15, s15, (.LBB2_6339-.Lpost_getpc31841)>>32
	s_setpc_b64 s[14:15]
.LBB2_31841:
	s_getpc_b64 s[14:15]
.Lpost_getpc19504:
	s_add_u32 s14, s14, (.LBB2_6340-.Lpost_getpc19504)&4294967295
	s_addc_u32 s15, s15, (.LBB2_6340-.Lpost_getpc19504)>>32
	s_setpc_b64 s[14:15]
.LBB2_20677:
	s_movk_i32 s4, 0x80
	v_cmp_eq_u16_sdwa s[12:13], v4, s4 src0_sel:BYTE_0 src1_sel:DWORD
	s_mov_b64 s[4:5], -1
                                        ; implicit-def: $sgpr10
	s_and_saveexec_b64 s[8:9], s[12:13]
; %bb.20678:
	s_mov_b32 s10, 0x7f800001
	s_xor_b64 s[4:5], exec, -1
; %bb.20679:
	s_or_b64 exec, exec, s[8:9]
	s_and_b64 s[4:5], s[4:5], exec
	s_or_saveexec_b64 s[6:7], s[6:7]
	v_mov_b32_e32 v3, s10
	s_xor_b64 exec, exec, s[6:7]
	s_cbranch_execnz .LBB2_20680
; %bb.56517:
	s_getpc_b64 s[14:15]
.Lpost_getpc31842:
	s_add_u32 s14, s14, (.LBB2_6342-.Lpost_getpc31842)&4294967295
	s_addc_u32 s15, s15, (.LBB2_6342-.Lpost_getpc31842)>>32
	s_setpc_b64 s[14:15]
.LBB2_20680:
	v_mov_b32_e32 v3, 0
	v_cmp_ne_u16_sdwa s[8:9], v4, v3 src0_sel:BYTE_0 src1_sel:DWORD
	s_andn2_b64 s[4:5], s[4:5], exec
	s_and_b64 s[8:9], s[8:9], exec
	s_or_b64 s[4:5], s[4:5], s[8:9]
	s_or_b64 exec, exec, s[6:7]
	s_and_saveexec_b64 s[6:7], s[4:5]
	s_cbranch_execz .LBB2_31843
; %bb.56519:
	s_getpc_b64 s[14:15]
.Lpost_getpc31843:
	s_add_u32 s14, s14, (.LBB2_6343-.Lpost_getpc31843)&4294967295
	s_addc_u32 s15, s15, (.LBB2_6343-.Lpost_getpc31843)>>32
	s_setpc_b64 s[14:15]
.LBB2_31843:
	s_getpc_b64 s[14:15]
.Lpost_getpc19505:
	s_add_u32 s14, s14, (.LBB2_6344-.Lpost_getpc19505)&4294967295
	s_addc_u32 s15, s15, (.LBB2_6344-.Lpost_getpc19505)>>32
	s_setpc_b64 s[14:15]
.LBB2_20681:
	s_movk_i32 s4, 0x80
	v_cmp_eq_u16_sdwa s[12:13], v3, s4 src0_sel:BYTE_0 src1_sel:DWORD
	s_mov_b64 s[4:5], -1
                                        ; implicit-def: $sgpr10
	s_and_saveexec_b64 s[8:9], s[12:13]
; %bb.20682:
	s_mov_b32 s10, 0x7f800001
	s_xor_b64 s[4:5], exec, -1
; %bb.20683:
	s_or_b64 exec, exec, s[8:9]
	s_and_b64 s[4:5], s[4:5], exec
	s_or_saveexec_b64 s[6:7], s[6:7]
	v_mov_b32_e32 v2, s10
	s_xor_b64 exec, exec, s[6:7]
	s_cbranch_execnz .LBB2_20684
; %bb.56521:
	s_getpc_b64 s[14:15]
.Lpost_getpc31844:
	s_add_u32 s14, s14, (.LBB2_6346-.Lpost_getpc31844)&4294967295
	s_addc_u32 s15, s15, (.LBB2_6346-.Lpost_getpc31844)>>32
	s_setpc_b64 s[14:15]
.LBB2_20684:
	v_mov_b32_e32 v2, 0
	v_cmp_ne_u16_sdwa s[8:9], v3, v2 src0_sel:BYTE_0 src1_sel:DWORD
	s_andn2_b64 s[4:5], s[4:5], exec
	s_and_b64 s[8:9], s[8:9], exec
	s_or_b64 s[4:5], s[4:5], s[8:9]
	s_or_b64 exec, exec, s[6:7]
	s_and_saveexec_b64 s[6:7], s[4:5]
	s_cbranch_execz .LBB2_31845
; %bb.56523:
	s_getpc_b64 s[14:15]
.Lpost_getpc31845:
	s_add_u32 s14, s14, (.LBB2_6347-.Lpost_getpc31845)&4294967295
	s_addc_u32 s15, s15, (.LBB2_6347-.Lpost_getpc31845)>>32
	s_setpc_b64 s[14:15]
.LBB2_31845:
	s_getpc_b64 s[14:15]
.Lpost_getpc19506:
	s_add_u32 s14, s14, (.LBB2_6348-.Lpost_getpc19506)&4294967295
	s_addc_u32 s15, s15, (.LBB2_6348-.Lpost_getpc19506)>>32
	s_setpc_b64 s[14:15]
.LBB2_20685:
	s_movk_i32 s4, 0x80
	v_cmp_eq_u16_sdwa s[12:13], v3, s4 src0_sel:BYTE_0 src1_sel:DWORD
	s_mov_b64 s[4:5], -1
                                        ; implicit-def: $sgpr10
	s_and_saveexec_b64 s[8:9], s[12:13]
; %bb.20686:
	s_mov_b32 s10, 0x7f800001
	s_xor_b64 s[4:5], exec, -1
; %bb.20687:
	s_or_b64 exec, exec, s[8:9]
	s_and_b64 s[4:5], s[4:5], exec
	s_or_saveexec_b64 s[6:7], s[6:7]
	v_mov_b32_e32 v6, s10
	s_xor_b64 exec, exec, s[6:7]
	s_cbranch_execnz .LBB2_20688
; %bb.56525:
	s_getpc_b64 s[14:15]
.Lpost_getpc31846:
	s_add_u32 s14, s14, (.LBB2_6350-.Lpost_getpc31846)&4294967295
	s_addc_u32 s15, s15, (.LBB2_6350-.Lpost_getpc31846)>>32
	s_setpc_b64 s[14:15]
.LBB2_20688:
	v_mov_b32_e32 v6, 0
	v_cmp_ne_u16_sdwa s[8:9], v3, v6 src0_sel:BYTE_0 src1_sel:DWORD
	s_andn2_b64 s[4:5], s[4:5], exec
	s_and_b64 s[8:9], s[8:9], exec
	s_or_b64 s[4:5], s[4:5], s[8:9]
	s_or_b64 exec, exec, s[6:7]
	s_and_saveexec_b64 s[6:7], s[4:5]
	s_cbranch_execz .LBB2_31847
; %bb.56527:
	s_getpc_b64 s[14:15]
.Lpost_getpc31847:
	s_add_u32 s14, s14, (.LBB2_6351-.Lpost_getpc31847)&4294967295
	s_addc_u32 s15, s15, (.LBB2_6351-.Lpost_getpc31847)>>32
	s_setpc_b64 s[14:15]
.LBB2_31847:
	s_getpc_b64 s[14:15]
.Lpost_getpc19507:
	s_add_u32 s14, s14, (.LBB2_6352-.Lpost_getpc19507)&4294967295
	s_addc_u32 s15, s15, (.LBB2_6352-.Lpost_getpc19507)>>32
	s_setpc_b64 s[14:15]
.LBB2_20689:
	s_movk_i32 s4, 0x80
	v_cmp_eq_u16_e32 vcc, s4, v3
	s_mov_b64 s[4:5], -1
                                        ; implicit-def: $sgpr10
	s_and_saveexec_b64 s[8:9], vcc
; %bb.20690:
	s_mov_b32 s10, 0x7f800001
	s_xor_b64 s[4:5], exec, -1
; %bb.20691:
	s_or_b64 exec, exec, s[8:9]
	s_and_b64 s[4:5], s[4:5], exec
                                        ; implicit-def: $vgpr3
	s_or_saveexec_b64 s[6:7], s[6:7]
	v_mov_b32_e32 v2, s10
	s_xor_b64 exec, exec, s[6:7]
	s_cbranch_execnz .LBB2_20692
; %bb.56529:
	s_getpc_b64 s[14:15]
.Lpost_getpc31848:
	s_add_u32 s14, s14, (.LBB2_6354-.Lpost_getpc31848)&4294967295
	s_addc_u32 s15, s15, (.LBB2_6354-.Lpost_getpc31848)>>32
	s_setpc_b64 s[14:15]
.LBB2_20692:
	v_cmp_ne_u16_e32 vcc, 0, v3
	s_andn2_b64 s[4:5], s[4:5], exec
	s_and_b64 s[8:9], vcc, exec
	v_mov_b32_e32 v2, 0
	s_or_b64 s[4:5], s[4:5], s[8:9]
	s_or_b64 exec, exec, s[6:7]
	s_and_saveexec_b64 s[6:7], s[4:5]
	s_cbranch_execz .LBB2_31849
; %bb.56531:
	s_getpc_b64 s[14:15]
.Lpost_getpc31849:
	s_add_u32 s14, s14, (.LBB2_6355-.Lpost_getpc31849)&4294967295
	s_addc_u32 s15, s15, (.LBB2_6355-.Lpost_getpc31849)>>32
	s_setpc_b64 s[14:15]
.LBB2_31849:
	s_getpc_b64 s[14:15]
.Lpost_getpc19508:
	s_add_u32 s14, s14, (.LBB2_6356-.Lpost_getpc19508)&4294967295
	s_addc_u32 s15, s15, (.LBB2_6356-.Lpost_getpc19508)>>32
	s_setpc_b64 s[14:15]
.LBB2_20693:
	s_movk_i32 s4, 0x80
	v_cmp_eq_u16_e32 vcc, s4, v3
	s_mov_b64 s[4:5], -1
                                        ; implicit-def: $sgpr10
	s_and_saveexec_b64 s[8:9], vcc
; %bb.20694:
	s_mov_b32 s10, 0x7f800001
	s_xor_b64 s[4:5], exec, -1
; %bb.20695:
	s_or_b64 exec, exec, s[8:9]
	s_and_b64 s[4:5], s[4:5], exec
                                        ; implicit-def: $vgpr3
	s_or_saveexec_b64 s[6:7], s[6:7]
	v_mov_b32_e32 v6, s10
	s_xor_b64 exec, exec, s[6:7]
	s_cbranch_execnz .LBB2_20696
; %bb.56533:
	s_getpc_b64 s[14:15]
.Lpost_getpc31850:
	s_add_u32 s14, s14, (.LBB2_6358-.Lpost_getpc31850)&4294967295
	s_addc_u32 s15, s15, (.LBB2_6358-.Lpost_getpc31850)>>32
	s_setpc_b64 s[14:15]
.LBB2_20696:
	v_cmp_ne_u16_e32 vcc, 0, v3
	s_andn2_b64 s[4:5], s[4:5], exec
	s_and_b64 s[8:9], vcc, exec
	v_mov_b32_e32 v6, 0
	s_or_b64 s[4:5], s[4:5], s[8:9]
	s_or_b64 exec, exec, s[6:7]
	s_and_saveexec_b64 s[6:7], s[4:5]
	s_cbranch_execz .LBB2_31851
; %bb.56535:
	s_getpc_b64 s[14:15]
.Lpost_getpc31851:
	s_add_u32 s14, s14, (.LBB2_6359-.Lpost_getpc31851)&4294967295
	s_addc_u32 s15, s15, (.LBB2_6359-.Lpost_getpc31851)>>32
	s_setpc_b64 s[14:15]
.LBB2_31851:
	s_getpc_b64 s[14:15]
.Lpost_getpc19509:
	s_add_u32 s14, s14, (.LBB2_6360-.Lpost_getpc19509)&4294967295
	s_addc_u32 s15, s15, (.LBB2_6360-.Lpost_getpc19509)>>32
	s_setpc_b64 s[14:15]
.LBB2_20697:
	s_movk_i32 s4, 0x80
	v_cmp_eq_u16_sdwa s[12:13], v8, s4 src0_sel:BYTE_3 src1_sel:DWORD
	s_mov_b64 s[4:5], -1
                                        ; implicit-def: $sgpr10
	s_and_saveexec_b64 s[8:9], s[12:13]
; %bb.20698:
	s_mov_b32 s10, 0x7f800001
	s_xor_b64 s[4:5], exec, -1
; %bb.20699:
	s_or_b64 exec, exec, s[8:9]
	s_and_b64 s[4:5], s[4:5], exec
	s_or_saveexec_b64 s[6:7], s[6:7]
	v_mov_b32_e32 v2, s10
	s_xor_b64 exec, exec, s[6:7]
	s_cbranch_execnz .LBB2_20700
; %bb.56537:
	s_getpc_b64 s[14:15]
.Lpost_getpc31852:
	s_add_u32 s14, s14, (.LBB2_6362-.Lpost_getpc31852)&4294967295
	s_addc_u32 s15, s15, (.LBB2_6362-.Lpost_getpc31852)>>32
	s_setpc_b64 s[14:15]
.LBB2_20700:
	v_mov_b32_e32 v2, 0
	v_cmp_ne_u16_sdwa s[8:9], v8, v2 src0_sel:BYTE_3 src1_sel:DWORD
	s_andn2_b64 s[4:5], s[4:5], exec
	s_and_b64 s[8:9], s[8:9], exec
	s_or_b64 s[4:5], s[4:5], s[8:9]
	s_or_b64 exec, exec, s[6:7]
	s_and_saveexec_b64 s[6:7], s[4:5]
	s_cbranch_execz .LBB2_31853
; %bb.56539:
	s_getpc_b64 s[14:15]
.Lpost_getpc31853:
	s_add_u32 s14, s14, (.LBB2_6363-.Lpost_getpc31853)&4294967295
	s_addc_u32 s15, s15, (.LBB2_6363-.Lpost_getpc31853)>>32
	s_setpc_b64 s[14:15]
.LBB2_31853:
	s_getpc_b64 s[14:15]
.Lpost_getpc19510:
	s_add_u32 s14, s14, (.LBB2_6364-.Lpost_getpc19510)&4294967295
	s_addc_u32 s15, s15, (.LBB2_6364-.Lpost_getpc19510)>>32
	s_setpc_b64 s[14:15]
.LBB2_20701:
	s_movk_i32 s4, 0x80
	v_cmp_eq_u16_sdwa s[12:13], v4, s4 src0_sel:BYTE_3 src1_sel:DWORD
	s_mov_b64 s[4:5], -1
                                        ; implicit-def: $sgpr10
	s_and_saveexec_b64 s[8:9], s[12:13]
; %bb.20702:
	s_mov_b32 s10, 0x7f800001
	s_xor_b64 s[4:5], exec, -1
; %bb.20703:
	s_or_b64 exec, exec, s[8:9]
	s_and_b64 s[4:5], s[4:5], exec
	s_or_saveexec_b64 s[6:7], s[6:7]
	v_mov_b32_e32 v3, s10
	s_xor_b64 exec, exec, s[6:7]
	s_cbranch_execnz .LBB2_20704
; %bb.56541:
	s_getpc_b64 s[14:15]
.Lpost_getpc31854:
	s_add_u32 s14, s14, (.LBB2_6366-.Lpost_getpc31854)&4294967295
	s_addc_u32 s15, s15, (.LBB2_6366-.Lpost_getpc31854)>>32
	s_setpc_b64 s[14:15]
.LBB2_20704:
	v_mov_b32_e32 v3, 0
	v_cmp_ne_u16_sdwa s[8:9], v4, v3 src0_sel:BYTE_3 src1_sel:DWORD
	s_andn2_b64 s[4:5], s[4:5], exec
	s_and_b64 s[8:9], s[8:9], exec
	s_or_b64 s[4:5], s[4:5], s[8:9]
	s_or_b64 exec, exec, s[6:7]
	s_and_saveexec_b64 s[6:7], s[4:5]
	s_cbranch_execz .LBB2_31855
; %bb.56543:
	s_getpc_b64 s[14:15]
.Lpost_getpc31855:
	s_add_u32 s14, s14, (.LBB2_6367-.Lpost_getpc31855)&4294967295
	s_addc_u32 s15, s15, (.LBB2_6367-.Lpost_getpc31855)>>32
	s_setpc_b64 s[14:15]
.LBB2_31855:
	s_getpc_b64 s[14:15]
.Lpost_getpc19511:
	s_add_u32 s14, s14, (.LBB2_6368-.Lpost_getpc19511)&4294967295
	s_addc_u32 s15, s15, (.LBB2_6368-.Lpost_getpc19511)>>32
	s_setpc_b64 s[14:15]
.LBB2_20705:
	s_movk_i32 s4, 0x80
	v_cmp_eq_u16_sdwa s[12:13], v9, s4 src0_sel:BYTE_0 src1_sel:DWORD
	s_mov_b64 s[4:5], -1
                                        ; implicit-def: $sgpr10
	s_and_saveexec_b64 s[8:9], s[12:13]
; %bb.20706:
	s_mov_b32 s10, 0x7f800001
	s_xor_b64 s[4:5], exec, -1
; %bb.20707:
	s_or_b64 exec, exec, s[8:9]
	s_and_b64 s[4:5], s[4:5], exec
	s_or_saveexec_b64 s[6:7], s[6:7]
	v_mov_b32_e32 v2, s10
	s_xor_b64 exec, exec, s[6:7]
	s_cbranch_execnz .LBB2_20708
; %bb.56545:
	s_getpc_b64 s[14:15]
.Lpost_getpc31856:
	s_add_u32 s14, s14, (.LBB2_6370-.Lpost_getpc31856)&4294967295
	s_addc_u32 s15, s15, (.LBB2_6370-.Lpost_getpc31856)>>32
	s_setpc_b64 s[14:15]
.LBB2_20708:
	v_mov_b32_e32 v2, 0
	v_cmp_ne_u16_sdwa s[8:9], v9, v2 src0_sel:BYTE_0 src1_sel:DWORD
	s_andn2_b64 s[4:5], s[4:5], exec
	s_and_b64 s[8:9], s[8:9], exec
	s_or_b64 s[4:5], s[4:5], s[8:9]
	s_or_b64 exec, exec, s[6:7]
	s_and_saveexec_b64 s[6:7], s[4:5]
	s_cbranch_execz .LBB2_31857
; %bb.56547:
	s_getpc_b64 s[14:15]
.Lpost_getpc31857:
	s_add_u32 s14, s14, (.LBB2_6371-.Lpost_getpc31857)&4294967295
	s_addc_u32 s15, s15, (.LBB2_6371-.Lpost_getpc31857)>>32
	s_setpc_b64 s[14:15]
.LBB2_31857:
	s_getpc_b64 s[14:15]
.Lpost_getpc19512:
	s_add_u32 s14, s14, (.LBB2_6372-.Lpost_getpc19512)&4294967295
	s_addc_u32 s15, s15, (.LBB2_6372-.Lpost_getpc19512)>>32
	s_setpc_b64 s[14:15]
.LBB2_20709:
	s_movk_i32 s4, 0x80
	v_cmp_eq_u16_sdwa s[12:13], v5, s4 src0_sel:BYTE_0 src1_sel:DWORD
	s_mov_b64 s[4:5], -1
                                        ; implicit-def: $sgpr10
	s_and_saveexec_b64 s[8:9], s[12:13]
; %bb.20710:
	s_mov_b32 s10, 0x7f800001
	s_xor_b64 s[4:5], exec, -1
; %bb.20711:
	s_or_b64 exec, exec, s[8:9]
	s_and_b64 s[4:5], s[4:5], exec
	s_or_saveexec_b64 s[6:7], s[6:7]
	v_mov_b32_e32 v3, s10
	s_xor_b64 exec, exec, s[6:7]
	s_cbranch_execnz .LBB2_20712
; %bb.56549:
	s_getpc_b64 s[14:15]
.Lpost_getpc31858:
	s_add_u32 s14, s14, (.LBB2_6374-.Lpost_getpc31858)&4294967295
	s_addc_u32 s15, s15, (.LBB2_6374-.Lpost_getpc31858)>>32
	s_setpc_b64 s[14:15]
.LBB2_20712:
	v_mov_b32_e32 v3, 0
	v_cmp_ne_u16_sdwa s[8:9], v5, v3 src0_sel:BYTE_0 src1_sel:DWORD
	s_andn2_b64 s[4:5], s[4:5], exec
	s_and_b64 s[8:9], s[8:9], exec
	s_or_b64 s[4:5], s[4:5], s[8:9]
	s_or_b64 exec, exec, s[6:7]
	s_and_saveexec_b64 s[6:7], s[4:5]
	s_cbranch_execz .LBB2_31859
; %bb.56551:
	s_getpc_b64 s[14:15]
.Lpost_getpc31859:
	s_add_u32 s14, s14, (.LBB2_6375-.Lpost_getpc31859)&4294967295
	s_addc_u32 s15, s15, (.LBB2_6375-.Lpost_getpc31859)>>32
	s_setpc_b64 s[14:15]
.LBB2_31859:
	s_getpc_b64 s[14:15]
.Lpost_getpc19513:
	s_add_u32 s14, s14, (.LBB2_6376-.Lpost_getpc19513)&4294967295
	s_addc_u32 s15, s15, (.LBB2_6376-.Lpost_getpc19513)>>32
	s_setpc_b64 s[14:15]
.LBB2_20713:
	s_movk_i32 s4, 0x80
	v_cmp_eq_u16_sdwa s[12:13], v3, s4 src0_sel:BYTE_0 src1_sel:DWORD
	s_mov_b64 s[4:5], -1
                                        ; implicit-def: $sgpr10
	s_and_saveexec_b64 s[8:9], s[12:13]
; %bb.20714:
	s_mov_b32 s10, 0x7f800001
	s_xor_b64 s[4:5], exec, -1
; %bb.20715:
	s_or_b64 exec, exec, s[8:9]
	s_and_b64 s[4:5], s[4:5], exec
	s_or_saveexec_b64 s[6:7], s[6:7]
	v_mov_b32_e32 v2, s10
	s_xor_b64 exec, exec, s[6:7]
	s_cbranch_execnz .LBB2_20716
; %bb.56553:
	s_getpc_b64 s[14:15]
.Lpost_getpc31860:
	s_add_u32 s14, s14, (.LBB2_6378-.Lpost_getpc31860)&4294967295
	s_addc_u32 s15, s15, (.LBB2_6378-.Lpost_getpc31860)>>32
	s_setpc_b64 s[14:15]
.LBB2_20716:
	v_mov_b32_e32 v2, 0
	v_cmp_ne_u16_sdwa s[8:9], v3, v2 src0_sel:BYTE_0 src1_sel:DWORD
	s_andn2_b64 s[4:5], s[4:5], exec
	s_and_b64 s[8:9], s[8:9], exec
	s_or_b64 s[4:5], s[4:5], s[8:9]
	s_or_b64 exec, exec, s[6:7]
	s_and_saveexec_b64 s[6:7], s[4:5]
	s_cbranch_execz .LBB2_31861
; %bb.56555:
	s_getpc_b64 s[14:15]
.Lpost_getpc31861:
	s_add_u32 s14, s14, (.LBB2_6379-.Lpost_getpc31861)&4294967295
	s_addc_u32 s15, s15, (.LBB2_6379-.Lpost_getpc31861)>>32
	s_setpc_b64 s[14:15]
.LBB2_31861:
	s_getpc_b64 s[14:15]
.Lpost_getpc19514:
	s_add_u32 s14, s14, (.LBB2_6380-.Lpost_getpc19514)&4294967295
	s_addc_u32 s15, s15, (.LBB2_6380-.Lpost_getpc19514)>>32
	s_setpc_b64 s[14:15]
.LBB2_20717:
	s_movk_i32 s4, 0x80
	v_cmp_eq_u16_sdwa s[12:13], v3, s4 src0_sel:BYTE_0 src1_sel:DWORD
	s_mov_b64 s[4:5], -1
                                        ; implicit-def: $sgpr10
	s_and_saveexec_b64 s[8:9], s[12:13]
; %bb.20718:
	s_mov_b32 s10, 0x7f800001
	s_xor_b64 s[4:5], exec, -1
; %bb.20719:
	s_or_b64 exec, exec, s[8:9]
	s_and_b64 s[4:5], s[4:5], exec
	s_or_saveexec_b64 s[6:7], s[6:7]
	v_mov_b32_e32 v4, s10
	s_xor_b64 exec, exec, s[6:7]
	s_cbranch_execnz .LBB2_20720
; %bb.56557:
	s_getpc_b64 s[14:15]
.Lpost_getpc31862:
	s_add_u32 s14, s14, (.LBB2_6382-.Lpost_getpc31862)&4294967295
	s_addc_u32 s15, s15, (.LBB2_6382-.Lpost_getpc31862)>>32
	s_setpc_b64 s[14:15]
.LBB2_20720:
	v_mov_b32_e32 v4, 0
	v_cmp_ne_u16_sdwa s[8:9], v3, v4 src0_sel:BYTE_0 src1_sel:DWORD
	s_andn2_b64 s[4:5], s[4:5], exec
	s_and_b64 s[8:9], s[8:9], exec
	s_or_b64 s[4:5], s[4:5], s[8:9]
	s_or_b64 exec, exec, s[6:7]
	s_and_saveexec_b64 s[6:7], s[4:5]
	s_cbranch_execz .LBB2_31863
; %bb.56559:
	s_getpc_b64 s[14:15]
.Lpost_getpc31863:
	s_add_u32 s14, s14, (.LBB2_6383-.Lpost_getpc31863)&4294967295
	s_addc_u32 s15, s15, (.LBB2_6383-.Lpost_getpc31863)>>32
	s_setpc_b64 s[14:15]
.LBB2_31863:
	s_getpc_b64 s[14:15]
.Lpost_getpc19515:
	s_add_u32 s14, s14, (.LBB2_6384-.Lpost_getpc19515)&4294967295
	s_addc_u32 s15, s15, (.LBB2_6384-.Lpost_getpc19515)>>32
	s_setpc_b64 s[14:15]
.LBB2_20721:
	s_movk_i32 s4, 0x80
	v_cmp_eq_u16_e32 vcc, s4, v3
	s_mov_b64 s[4:5], -1
                                        ; implicit-def: $sgpr10
	s_and_saveexec_b64 s[8:9], vcc
; %bb.20722:
	s_mov_b32 s10, 0x7f800001
	s_xor_b64 s[4:5], exec, -1
; %bb.20723:
	s_or_b64 exec, exec, s[8:9]
	s_and_b64 s[4:5], s[4:5], exec
                                        ; implicit-def: $vgpr3
	s_or_saveexec_b64 s[6:7], s[6:7]
	v_mov_b32_e32 v2, s10
	s_xor_b64 exec, exec, s[6:7]
	s_cbranch_execnz .LBB2_20724
; %bb.56561:
	s_getpc_b64 s[14:15]
.Lpost_getpc31864:
	s_add_u32 s14, s14, (.LBB2_6386-.Lpost_getpc31864)&4294967295
	s_addc_u32 s15, s15, (.LBB2_6386-.Lpost_getpc31864)>>32
	s_setpc_b64 s[14:15]
.LBB2_20724:
	v_cmp_ne_u16_e32 vcc, 0, v3
	s_andn2_b64 s[4:5], s[4:5], exec
	s_and_b64 s[8:9], vcc, exec
	v_mov_b32_e32 v2, 0
	s_or_b64 s[4:5], s[4:5], s[8:9]
	s_or_b64 exec, exec, s[6:7]
	s_and_saveexec_b64 s[6:7], s[4:5]
	s_cbranch_execz .LBB2_31865
; %bb.56563:
	s_getpc_b64 s[14:15]
.Lpost_getpc31865:
	s_add_u32 s14, s14, (.LBB2_6387-.Lpost_getpc31865)&4294967295
	s_addc_u32 s15, s15, (.LBB2_6387-.Lpost_getpc31865)>>32
	s_setpc_b64 s[14:15]
.LBB2_31865:
	s_getpc_b64 s[14:15]
.Lpost_getpc19516:
	s_add_u32 s14, s14, (.LBB2_6388-.Lpost_getpc19516)&4294967295
	s_addc_u32 s15, s15, (.LBB2_6388-.Lpost_getpc19516)>>32
	s_setpc_b64 s[14:15]
.LBB2_20725:
	s_movk_i32 s4, 0x80
	v_cmp_eq_u16_e32 vcc, s4, v3
	s_mov_b64 s[4:5], -1
                                        ; implicit-def: $sgpr10
	s_and_saveexec_b64 s[8:9], vcc
; %bb.20726:
	s_mov_b32 s10, 0x7f800001
	s_xor_b64 s[4:5], exec, -1
; %bb.20727:
	s_or_b64 exec, exec, s[8:9]
	s_and_b64 s[4:5], s[4:5], exec
                                        ; implicit-def: $vgpr3
	s_or_saveexec_b64 s[6:7], s[6:7]
	v_mov_b32_e32 v4, s10
	s_xor_b64 exec, exec, s[6:7]
	s_cbranch_execnz .LBB2_20728
; %bb.56565:
	s_getpc_b64 s[14:15]
.Lpost_getpc31866:
	s_add_u32 s14, s14, (.LBB2_6390-.Lpost_getpc31866)&4294967295
	s_addc_u32 s15, s15, (.LBB2_6390-.Lpost_getpc31866)>>32
	s_setpc_b64 s[14:15]
.LBB2_20728:
	v_cmp_ne_u16_e32 vcc, 0, v3
	s_andn2_b64 s[4:5], s[4:5], exec
	s_and_b64 s[8:9], vcc, exec
	v_mov_b32_e32 v4, 0
	s_or_b64 s[4:5], s[4:5], s[8:9]
	s_or_b64 exec, exec, s[6:7]
	s_and_saveexec_b64 s[6:7], s[4:5]
	s_cbranch_execz .LBB2_31867
; %bb.56567:
	s_getpc_b64 s[14:15]
.Lpost_getpc31867:
	s_add_u32 s14, s14, (.LBB2_6391-.Lpost_getpc31867)&4294967295
	s_addc_u32 s15, s15, (.LBB2_6391-.Lpost_getpc31867)>>32
	s_setpc_b64 s[14:15]
.LBB2_31867:
	s_getpc_b64 s[14:15]
.Lpost_getpc19517:
	s_add_u32 s14, s14, (.LBB2_6392-.Lpost_getpc19517)&4294967295
	s_addc_u32 s15, s15, (.LBB2_6392-.Lpost_getpc19517)>>32
	s_setpc_b64 s[14:15]
.LBB2_20729:
	s_movk_i32 s4, 0x80
	v_cmp_eq_u16_sdwa s[12:13], v9, s4 src0_sel:BYTE_3 src1_sel:DWORD
	s_mov_b64 s[4:5], -1
                                        ; implicit-def: $sgpr10
	s_and_saveexec_b64 s[8:9], s[12:13]
; %bb.20730:
	s_mov_b32 s10, 0x7f800001
	s_xor_b64 s[4:5], exec, -1
; %bb.20731:
	s_or_b64 exec, exec, s[8:9]
	s_and_b64 s[4:5], s[4:5], exec
	s_or_saveexec_b64 s[6:7], s[6:7]
	v_mov_b32_e32 v2, s10
	s_xor_b64 exec, exec, s[6:7]
	s_cbranch_execnz .LBB2_20732
; %bb.56569:
	s_getpc_b64 s[14:15]
.Lpost_getpc31868:
	s_add_u32 s14, s14, (.LBB2_6394-.Lpost_getpc31868)&4294967295
	s_addc_u32 s15, s15, (.LBB2_6394-.Lpost_getpc31868)>>32
	s_setpc_b64 s[14:15]
.LBB2_20732:
	v_mov_b32_e32 v2, 0
	v_cmp_ne_u16_sdwa s[8:9], v9, v2 src0_sel:BYTE_3 src1_sel:DWORD
	s_andn2_b64 s[4:5], s[4:5], exec
	s_and_b64 s[8:9], s[8:9], exec
	s_or_b64 s[4:5], s[4:5], s[8:9]
	s_or_b64 exec, exec, s[6:7]
	s_and_saveexec_b64 s[6:7], s[4:5]
	s_cbranch_execz .LBB2_31869
; %bb.56571:
	s_getpc_b64 s[14:15]
.Lpost_getpc31869:
	s_add_u32 s14, s14, (.LBB2_6395-.Lpost_getpc31869)&4294967295
	s_addc_u32 s15, s15, (.LBB2_6395-.Lpost_getpc31869)>>32
	s_setpc_b64 s[14:15]
.LBB2_31869:
	s_getpc_b64 s[14:15]
.Lpost_getpc19518:
	s_add_u32 s14, s14, (.LBB2_6396-.Lpost_getpc19518)&4294967295
	s_addc_u32 s15, s15, (.LBB2_6396-.Lpost_getpc19518)>>32
	s_setpc_b64 s[14:15]
.LBB2_20733:
	s_movk_i32 s4, 0x80
	v_cmp_eq_u16_sdwa s[12:13], v5, s4 src0_sel:BYTE_3 src1_sel:DWORD
	s_mov_b64 s[4:5], -1
                                        ; implicit-def: $sgpr10
	s_and_saveexec_b64 s[8:9], s[12:13]
; %bb.20734:
	s_mov_b32 s10, 0x7f800001
	s_xor_b64 s[4:5], exec, -1
; %bb.20735:
	s_or_b64 exec, exec, s[8:9]
	s_and_b64 s[4:5], s[4:5], exec
	s_or_saveexec_b64 s[6:7], s[6:7]
	v_mov_b32_e32 v3, s10
	s_xor_b64 exec, exec, s[6:7]
	s_cbranch_execnz .LBB2_20736
; %bb.56573:
	s_getpc_b64 s[14:15]
.Lpost_getpc31870:
	s_add_u32 s14, s14, (.LBB2_6398-.Lpost_getpc31870)&4294967295
	s_addc_u32 s15, s15, (.LBB2_6398-.Lpost_getpc31870)>>32
	s_setpc_b64 s[14:15]
.LBB2_20736:
	v_mov_b32_e32 v3, 0
	v_cmp_ne_u16_sdwa s[8:9], v5, v3 src0_sel:BYTE_3 src1_sel:DWORD
	s_andn2_b64 s[4:5], s[4:5], exec
	s_and_b64 s[8:9], s[8:9], exec
	s_or_b64 s[4:5], s[4:5], s[8:9]
	s_or_b64 exec, exec, s[6:7]
	s_and_saveexec_b64 s[6:7], s[4:5]
	s_cbranch_execz .LBB2_31871
; %bb.56575:
	s_getpc_b64 s[14:15]
.Lpost_getpc31871:
	s_add_u32 s14, s14, (.LBB2_6399-.Lpost_getpc31871)&4294967295
	s_addc_u32 s15, s15, (.LBB2_6399-.Lpost_getpc31871)>>32
	s_setpc_b64 s[14:15]
.LBB2_31871:
	s_getpc_b64 s[14:15]
.Lpost_getpc19519:
	s_add_u32 s14, s14, (.LBB2_6400-.Lpost_getpc19519)&4294967295
	s_addc_u32 s15, s15, (.LBB2_6400-.Lpost_getpc19519)>>32
	s_setpc_b64 s[14:15]
.LBB2_20737:
	s_movk_i32 s4, 0x80
	v_cmp_eq_u16_sdwa s[12:13], v6, s4 src0_sel:BYTE_0 src1_sel:DWORD
	s_mov_b64 s[4:5], -1
                                        ; implicit-def: $sgpr10
	s_and_saveexec_b64 s[8:9], s[12:13]
; %bb.20738:
	s_mov_b32 s10, 0x7f800001
	s_xor_b64 s[4:5], exec, -1
; %bb.20739:
	s_or_b64 exec, exec, s[8:9]
	s_and_b64 s[4:5], s[4:5], exec
	s_or_saveexec_b64 s[6:7], s[6:7]
	v_mov_b32_e32 v12, s10
	s_xor_b64 exec, exec, s[6:7]
	s_cbranch_execnz .LBB2_20740
; %bb.56577:
	s_getpc_b64 s[14:15]
.Lpost_getpc31872:
	s_add_u32 s14, s14, (.LBB2_6402-.Lpost_getpc31872)&4294967295
	s_addc_u32 s15, s15, (.LBB2_6402-.Lpost_getpc31872)>>32
	s_setpc_b64 s[14:15]
.LBB2_20740:
	v_mov_b32_e32 v12, 0
	v_cmp_ne_u16_sdwa s[8:9], v6, v12 src0_sel:BYTE_0 src1_sel:DWORD
	s_andn2_b64 s[4:5], s[4:5], exec
	s_and_b64 s[8:9], s[8:9], exec
	s_or_b64 s[4:5], s[4:5], s[8:9]
	s_or_b64 exec, exec, s[6:7]
	s_and_saveexec_b64 s[6:7], s[4:5]
	s_cbranch_execz .LBB2_31873
; %bb.56579:
	s_getpc_b64 s[14:15]
.Lpost_getpc31873:
	s_add_u32 s14, s14, (.LBB2_6403-.Lpost_getpc31873)&4294967295
	s_addc_u32 s15, s15, (.LBB2_6403-.Lpost_getpc31873)>>32
	s_setpc_b64 s[14:15]
.LBB2_31873:
	s_getpc_b64 s[14:15]
.Lpost_getpc19520:
	s_add_u32 s14, s14, (.LBB2_6404-.Lpost_getpc19520)&4294967295
	s_addc_u32 s15, s15, (.LBB2_6404-.Lpost_getpc19520)>>32
	s_setpc_b64 s[14:15]
.LBB2_20741:
	s_movk_i32 s4, 0x80
	v_cmp_eq_u16_sdwa s[12:13], v2, s4 src0_sel:BYTE_0 src1_sel:DWORD
	s_mov_b64 s[4:5], -1
                                        ; implicit-def: $sgpr10
	s_and_saveexec_b64 s[8:9], s[12:13]
; %bb.20742:
	s_mov_b32 s10, 0x7f800001
	s_xor_b64 s[4:5], exec, -1
; %bb.20743:
	s_or_b64 exec, exec, s[8:9]
	s_and_b64 s[4:5], s[4:5], exec
	s_or_saveexec_b64 s[6:7], s[6:7]
	v_mov_b32_e32 v13, s10
	s_xor_b64 exec, exec, s[6:7]
	s_cbranch_execnz .LBB2_20744
; %bb.56581:
	s_getpc_b64 s[14:15]
.Lpost_getpc31874:
	s_add_u32 s14, s14, (.LBB2_6406-.Lpost_getpc31874)&4294967295
	s_addc_u32 s15, s15, (.LBB2_6406-.Lpost_getpc31874)>>32
	s_setpc_b64 s[14:15]
.LBB2_20744:
	v_mov_b32_e32 v13, 0
	v_cmp_ne_u16_sdwa s[8:9], v2, v13 src0_sel:BYTE_0 src1_sel:DWORD
	s_andn2_b64 s[4:5], s[4:5], exec
	s_and_b64 s[8:9], s[8:9], exec
	s_or_b64 s[4:5], s[4:5], s[8:9]
	s_or_b64 exec, exec, s[6:7]
	s_and_saveexec_b64 s[6:7], s[4:5]
	s_cbranch_execz .LBB2_31875
; %bb.56583:
	s_getpc_b64 s[14:15]
.Lpost_getpc31875:
	s_add_u32 s14, s14, (.LBB2_6407-.Lpost_getpc31875)&4294967295
	s_addc_u32 s15, s15, (.LBB2_6407-.Lpost_getpc31875)>>32
	s_setpc_b64 s[14:15]
.LBB2_31875:
	s_getpc_b64 s[14:15]
.Lpost_getpc19521:
	s_add_u32 s14, s14, (.LBB2_6408-.Lpost_getpc19521)&4294967295
	s_addc_u32 s15, s15, (.LBB2_6408-.Lpost_getpc19521)>>32
	s_setpc_b64 s[14:15]
.LBB2_20745:
	s_movk_i32 s4, 0x80
	v_cmp_eq_u16_sdwa s[12:13], v13, s4 src0_sel:BYTE_0 src1_sel:DWORD
	s_mov_b64 s[4:5], -1
                                        ; implicit-def: $sgpr10
	s_and_saveexec_b64 s[8:9], s[12:13]
; %bb.20746:
	s_mov_b32 s10, 0x7f800001
	s_xor_b64 s[4:5], exec, -1
; %bb.20747:
	s_or_b64 exec, exec, s[8:9]
	s_and_b64 s[4:5], s[4:5], exec
	s_or_saveexec_b64 s[6:7], s[6:7]
	v_mov_b32_e32 v12, s10
	s_xor_b64 exec, exec, s[6:7]
	s_cbranch_execnz .LBB2_20748
; %bb.56585:
	s_getpc_b64 s[14:15]
.Lpost_getpc31876:
	s_add_u32 s14, s14, (.LBB2_6410-.Lpost_getpc31876)&4294967295
	s_addc_u32 s15, s15, (.LBB2_6410-.Lpost_getpc31876)>>32
	s_setpc_b64 s[14:15]
.LBB2_20748:
	v_mov_b32_e32 v12, 0
	v_cmp_ne_u16_sdwa s[8:9], v13, v12 src0_sel:BYTE_0 src1_sel:DWORD
	s_andn2_b64 s[4:5], s[4:5], exec
	s_and_b64 s[8:9], s[8:9], exec
	s_or_b64 s[4:5], s[4:5], s[8:9]
	s_or_b64 exec, exec, s[6:7]
	s_and_saveexec_b64 s[6:7], s[4:5]
	s_cbranch_execz .LBB2_31877
; %bb.56587:
	s_getpc_b64 s[14:15]
.Lpost_getpc31877:
	s_add_u32 s14, s14, (.LBB2_6411-.Lpost_getpc31877)&4294967295
	s_addc_u32 s15, s15, (.LBB2_6411-.Lpost_getpc31877)>>32
	s_setpc_b64 s[14:15]
.LBB2_31877:
	s_getpc_b64 s[14:15]
.Lpost_getpc19522:
	s_add_u32 s14, s14, (.LBB2_6412-.Lpost_getpc19522)&4294967295
	s_addc_u32 s15, s15, (.LBB2_6412-.Lpost_getpc19522)>>32
	s_setpc_b64 s[14:15]
.LBB2_20749:
	s_movk_i32 s4, 0x80
	v_cmp_eq_u16_sdwa s[12:13], v13, s4 src0_sel:BYTE_0 src1_sel:DWORD
	s_mov_b64 s[4:5], -1
                                        ; implicit-def: $sgpr10
	s_and_saveexec_b64 s[8:9], s[12:13]
; %bb.20750:
	s_mov_b32 s10, 0x7f800001
	s_xor_b64 s[4:5], exec, -1
; %bb.20751:
	s_or_b64 exec, exec, s[8:9]
	s_and_b64 s[4:5], s[4:5], exec
	s_or_saveexec_b64 s[6:7], s[6:7]
	v_mov_b32_e32 v14, s10
	s_xor_b64 exec, exec, s[6:7]
	s_cbranch_execnz .LBB2_20752
; %bb.56589:
	s_getpc_b64 s[14:15]
.Lpost_getpc31878:
	s_add_u32 s14, s14, (.LBB2_6414-.Lpost_getpc31878)&4294967295
	s_addc_u32 s15, s15, (.LBB2_6414-.Lpost_getpc31878)>>32
	s_setpc_b64 s[14:15]
.LBB2_20752:
	v_mov_b32_e32 v14, 0
	v_cmp_ne_u16_sdwa s[8:9], v13, v14 src0_sel:BYTE_0 src1_sel:DWORD
	s_andn2_b64 s[4:5], s[4:5], exec
	s_and_b64 s[8:9], s[8:9], exec
	s_or_b64 s[4:5], s[4:5], s[8:9]
	s_or_b64 exec, exec, s[6:7]
	s_and_saveexec_b64 s[6:7], s[4:5]
	s_cbranch_execz .LBB2_31879
; %bb.56591:
	s_getpc_b64 s[14:15]
.Lpost_getpc31879:
	s_add_u32 s14, s14, (.LBB2_6415-.Lpost_getpc31879)&4294967295
	s_addc_u32 s15, s15, (.LBB2_6415-.Lpost_getpc31879)>>32
	s_setpc_b64 s[14:15]
.LBB2_31879:
	s_getpc_b64 s[14:15]
.Lpost_getpc19523:
	s_add_u32 s14, s14, (.LBB2_6416-.Lpost_getpc19523)&4294967295
	s_addc_u32 s15, s15, (.LBB2_6416-.Lpost_getpc19523)>>32
	s_setpc_b64 s[14:15]
.LBB2_20753:
	s_movk_i32 s4, 0x80
	v_cmp_eq_u16_e32 vcc, s4, v13
	s_mov_b64 s[4:5], -1
                                        ; implicit-def: $sgpr10
	s_and_saveexec_b64 s[8:9], vcc
; %bb.20754:
	s_mov_b32 s10, 0x7f800001
	s_xor_b64 s[4:5], exec, -1
; %bb.20755:
	s_or_b64 exec, exec, s[8:9]
	s_and_b64 s[4:5], s[4:5], exec
                                        ; implicit-def: $vgpr13
	s_or_saveexec_b64 s[6:7], s[6:7]
	v_mov_b32_e32 v12, s10
	s_xor_b64 exec, exec, s[6:7]
	s_cbranch_execnz .LBB2_20756
; %bb.56593:
	s_getpc_b64 s[14:15]
.Lpost_getpc31880:
	s_add_u32 s14, s14, (.LBB2_6418-.Lpost_getpc31880)&4294967295
	s_addc_u32 s15, s15, (.LBB2_6418-.Lpost_getpc31880)>>32
	s_setpc_b64 s[14:15]
.LBB2_20756:
	v_cmp_ne_u16_e32 vcc, 0, v13
	s_andn2_b64 s[4:5], s[4:5], exec
	s_and_b64 s[8:9], vcc, exec
	v_mov_b32_e32 v12, 0
	s_or_b64 s[4:5], s[4:5], s[8:9]
	s_or_b64 exec, exec, s[6:7]
	s_and_saveexec_b64 s[6:7], s[4:5]
	s_cbranch_execz .LBB2_31881
; %bb.56595:
	s_getpc_b64 s[14:15]
.Lpost_getpc31881:
	s_add_u32 s14, s14, (.LBB2_6419-.Lpost_getpc31881)&4294967295
	s_addc_u32 s15, s15, (.LBB2_6419-.Lpost_getpc31881)>>32
	s_setpc_b64 s[14:15]
.LBB2_31881:
	s_getpc_b64 s[14:15]
.Lpost_getpc19524:
	s_add_u32 s14, s14, (.LBB2_6420-.Lpost_getpc19524)&4294967295
	s_addc_u32 s15, s15, (.LBB2_6420-.Lpost_getpc19524)>>32
	s_setpc_b64 s[14:15]
.LBB2_20757:
	s_movk_i32 s4, 0x80
	v_cmp_eq_u16_e32 vcc, s4, v13
	s_mov_b64 s[4:5], -1
                                        ; implicit-def: $sgpr10
	s_and_saveexec_b64 s[8:9], vcc
; %bb.20758:
	s_mov_b32 s10, 0x7f800001
	s_xor_b64 s[4:5], exec, -1
; %bb.20759:
	s_or_b64 exec, exec, s[8:9]
	s_and_b64 s[4:5], s[4:5], exec
                                        ; implicit-def: $vgpr13
	s_or_saveexec_b64 s[6:7], s[6:7]
	v_mov_b32_e32 v14, s10
	s_xor_b64 exec, exec, s[6:7]
	s_cbranch_execnz .LBB2_20760
; %bb.56597:
	s_getpc_b64 s[14:15]
.Lpost_getpc31882:
	s_add_u32 s14, s14, (.LBB2_6422-.Lpost_getpc31882)&4294967295
	s_addc_u32 s15, s15, (.LBB2_6422-.Lpost_getpc31882)>>32
	s_setpc_b64 s[14:15]
.LBB2_20760:
	v_cmp_ne_u16_e32 vcc, 0, v13
	s_andn2_b64 s[4:5], s[4:5], exec
	s_and_b64 s[8:9], vcc, exec
	v_mov_b32_e32 v14, 0
	s_or_b64 s[4:5], s[4:5], s[8:9]
	s_or_b64 exec, exec, s[6:7]
	s_and_saveexec_b64 s[6:7], s[4:5]
	s_cbranch_execz .LBB2_31883
; %bb.56599:
	s_getpc_b64 s[14:15]
.Lpost_getpc31883:
	s_add_u32 s14, s14, (.LBB2_6423-.Lpost_getpc31883)&4294967295
	s_addc_u32 s15, s15, (.LBB2_6423-.Lpost_getpc31883)>>32
	s_setpc_b64 s[14:15]
.LBB2_31883:
	s_getpc_b64 s[14:15]
.Lpost_getpc19525:
	s_add_u32 s14, s14, (.LBB2_6424-.Lpost_getpc19525)&4294967295
	s_addc_u32 s15, s15, (.LBB2_6424-.Lpost_getpc19525)>>32
	s_setpc_b64 s[14:15]
.LBB2_20761:
	s_movk_i32 s4, 0x80
	v_cmp_eq_u16_sdwa s[12:13], v6, s4 src0_sel:BYTE_3 src1_sel:DWORD
	s_mov_b64 s[4:5], -1
                                        ; implicit-def: $sgpr10
	s_and_saveexec_b64 s[8:9], s[12:13]
; %bb.20762:
	s_mov_b32 s10, 0x7f800001
	s_xor_b64 s[4:5], exec, -1
; %bb.20763:
	s_or_b64 exec, exec, s[8:9]
	s_and_b64 s[4:5], s[4:5], exec
	s_or_saveexec_b64 s[6:7], s[6:7]
	v_mov_b32_e32 v12, s10
	s_xor_b64 exec, exec, s[6:7]
	s_cbranch_execnz .LBB2_20764
; %bb.56601:
	s_getpc_b64 s[14:15]
.Lpost_getpc31884:
	s_add_u32 s14, s14, (.LBB2_6426-.Lpost_getpc31884)&4294967295
	s_addc_u32 s15, s15, (.LBB2_6426-.Lpost_getpc31884)>>32
	s_setpc_b64 s[14:15]
.LBB2_20764:
	v_mov_b32_e32 v12, 0
	v_cmp_ne_u16_sdwa s[8:9], v6, v12 src0_sel:BYTE_3 src1_sel:DWORD
	s_andn2_b64 s[4:5], s[4:5], exec
	s_and_b64 s[8:9], s[8:9], exec
	s_or_b64 s[4:5], s[4:5], s[8:9]
	s_or_b64 exec, exec, s[6:7]
	s_and_saveexec_b64 s[6:7], s[4:5]
	s_cbranch_execz .LBB2_31885
; %bb.56603:
	s_getpc_b64 s[14:15]
.Lpost_getpc31885:
	s_add_u32 s14, s14, (.LBB2_6427-.Lpost_getpc31885)&4294967295
	s_addc_u32 s15, s15, (.LBB2_6427-.Lpost_getpc31885)>>32
	s_setpc_b64 s[14:15]
.LBB2_31885:
	s_getpc_b64 s[14:15]
.Lpost_getpc19526:
	s_add_u32 s14, s14, (.LBB2_6428-.Lpost_getpc19526)&4294967295
	s_addc_u32 s15, s15, (.LBB2_6428-.Lpost_getpc19526)>>32
	s_setpc_b64 s[14:15]
.LBB2_20765:
	s_movk_i32 s4, 0x80
	v_cmp_eq_u16_sdwa s[12:13], v2, s4 src0_sel:BYTE_3 src1_sel:DWORD
	s_mov_b64 s[4:5], -1
                                        ; implicit-def: $sgpr10
	s_and_saveexec_b64 s[8:9], s[12:13]
; %bb.20766:
	s_mov_b32 s10, 0x7f800001
	s_xor_b64 s[4:5], exec, -1
; %bb.20767:
	s_or_b64 exec, exec, s[8:9]
	s_and_b64 s[4:5], s[4:5], exec
	s_or_saveexec_b64 s[6:7], s[6:7]
	v_mov_b32_e32 v6, s10
	s_xor_b64 exec, exec, s[6:7]
	s_cbranch_execnz .LBB2_20768
; %bb.56605:
	s_getpc_b64 s[14:15]
.Lpost_getpc31886:
	s_add_u32 s14, s14, (.LBB2_6430-.Lpost_getpc31886)&4294967295
	s_addc_u32 s15, s15, (.LBB2_6430-.Lpost_getpc31886)>>32
	s_setpc_b64 s[14:15]
.LBB2_20768:
	v_mov_b32_e32 v6, 0
	v_cmp_ne_u16_sdwa s[8:9], v2, v6 src0_sel:BYTE_3 src1_sel:DWORD
	s_andn2_b64 s[4:5], s[4:5], exec
	s_and_b64 s[8:9], s[8:9], exec
	s_or_b64 s[4:5], s[4:5], s[8:9]
	s_or_b64 exec, exec, s[6:7]
	s_and_saveexec_b64 s[6:7], s[4:5]
	s_cbranch_execz .LBB2_31887
; %bb.56607:
	s_getpc_b64 s[14:15]
.Lpost_getpc31887:
	s_add_u32 s14, s14, (.LBB2_6431-.Lpost_getpc31887)&4294967295
	s_addc_u32 s15, s15, (.LBB2_6431-.Lpost_getpc31887)>>32
	s_setpc_b64 s[14:15]
.LBB2_31887:
	s_getpc_b64 s[14:15]
.Lpost_getpc19527:
	s_add_u32 s14, s14, (.LBB2_6432-.Lpost_getpc19527)&4294967295
	s_addc_u32 s15, s15, (.LBB2_6432-.Lpost_getpc19527)>>32
	s_setpc_b64 s[14:15]
.LBB2_20769:
	s_movk_i32 s4, 0x80
	v_cmp_eq_u16_sdwa s[12:13], v7, s4 src0_sel:BYTE_0 src1_sel:DWORD
	s_mov_b64 s[4:5], -1
                                        ; implicit-def: $sgpr10
	s_and_saveexec_b64 s[8:9], s[12:13]
; %bb.20770:
	s_mov_b32 s10, 0x7f800001
	s_xor_b64 s[4:5], exec, -1
; %bb.20771:
	s_or_b64 exec, exec, s[8:9]
	s_and_b64 s[4:5], s[4:5], exec
	s_or_saveexec_b64 s[6:7], s[6:7]
	v_mov_b32_e32 v2, s10
	s_xor_b64 exec, exec, s[6:7]
	s_cbranch_execnz .LBB2_20772
; %bb.56609:
	s_getpc_b64 s[14:15]
.Lpost_getpc31888:
	s_add_u32 s14, s14, (.LBB2_6434-.Lpost_getpc31888)&4294967295
	s_addc_u32 s15, s15, (.LBB2_6434-.Lpost_getpc31888)>>32
	s_setpc_b64 s[14:15]
.LBB2_20772:
	v_mov_b32_e32 v2, 0
	v_cmp_ne_u16_sdwa s[8:9], v7, v2 src0_sel:BYTE_0 src1_sel:DWORD
	s_andn2_b64 s[4:5], s[4:5], exec
	s_and_b64 s[8:9], s[8:9], exec
	s_or_b64 s[4:5], s[4:5], s[8:9]
	s_or_b64 exec, exec, s[6:7]
	s_and_saveexec_b64 s[6:7], s[4:5]
	s_cbranch_execz .LBB2_31889
; %bb.56611:
	s_getpc_b64 s[14:15]
.Lpost_getpc31889:
	s_add_u32 s14, s14, (.LBB2_6435-.Lpost_getpc31889)&4294967295
	s_addc_u32 s15, s15, (.LBB2_6435-.Lpost_getpc31889)>>32
	s_setpc_b64 s[14:15]
.LBB2_31889:
	s_getpc_b64 s[14:15]
.Lpost_getpc19528:
	s_add_u32 s14, s14, (.LBB2_6436-.Lpost_getpc19528)&4294967295
	s_addc_u32 s15, s15, (.LBB2_6436-.Lpost_getpc19528)>>32
	s_setpc_b64 s[14:15]
.LBB2_20773:
	s_movk_i32 s4, 0x80
	v_cmp_eq_u16_sdwa s[12:13], v3, s4 src0_sel:BYTE_0 src1_sel:DWORD
	s_mov_b64 s[4:5], -1
                                        ; implicit-def: $sgpr10
	s_and_saveexec_b64 s[8:9], s[12:13]
; %bb.20774:
	s_mov_b32 s10, 0x7f800001
	s_xor_b64 s[4:5], exec, -1
; %bb.20775:
	s_or_b64 exec, exec, s[8:9]
	s_and_b64 s[4:5], s[4:5], exec
	s_or_saveexec_b64 s[6:7], s[6:7]
	v_mov_b32_e32 v6, s10
	s_xor_b64 exec, exec, s[6:7]
	s_cbranch_execnz .LBB2_20776
; %bb.56613:
	s_getpc_b64 s[14:15]
.Lpost_getpc31890:
	s_add_u32 s14, s14, (.LBB2_6438-.Lpost_getpc31890)&4294967295
	s_addc_u32 s15, s15, (.LBB2_6438-.Lpost_getpc31890)>>32
	s_setpc_b64 s[14:15]
.LBB2_20776:
	v_mov_b32_e32 v6, 0
	v_cmp_ne_u16_sdwa s[8:9], v3, v6 src0_sel:BYTE_0 src1_sel:DWORD
	s_andn2_b64 s[4:5], s[4:5], exec
	s_and_b64 s[8:9], s[8:9], exec
	s_or_b64 s[4:5], s[4:5], s[8:9]
	s_or_b64 exec, exec, s[6:7]
	s_and_saveexec_b64 s[6:7], s[4:5]
	s_cbranch_execz .LBB2_31891
; %bb.56615:
	s_getpc_b64 s[14:15]
.Lpost_getpc31891:
	s_add_u32 s14, s14, (.LBB2_6439-.Lpost_getpc31891)&4294967295
	s_addc_u32 s15, s15, (.LBB2_6439-.Lpost_getpc31891)>>32
	s_setpc_b64 s[14:15]
.LBB2_31891:
	s_getpc_b64 s[14:15]
.Lpost_getpc19529:
	s_add_u32 s14, s14, (.LBB2_6440-.Lpost_getpc19529)&4294967295
	s_addc_u32 s15, s15, (.LBB2_6440-.Lpost_getpc19529)>>32
	s_setpc_b64 s[14:15]
.LBB2_20777:
	s_movk_i32 s4, 0x80
	v_cmp_eq_u16_sdwa s[12:13], v6, s4 src0_sel:BYTE_0 src1_sel:DWORD
	s_mov_b64 s[4:5], -1
                                        ; implicit-def: $sgpr10
	s_and_saveexec_b64 s[8:9], s[12:13]
; %bb.20778:
	s_mov_b32 s10, 0x7f800001
	s_xor_b64 s[4:5], exec, -1
; %bb.20779:
	s_or_b64 exec, exec, s[8:9]
	s_and_b64 s[4:5], s[4:5], exec
	s_or_saveexec_b64 s[6:7], s[6:7]
	v_mov_b32_e32 v2, s10
	s_xor_b64 exec, exec, s[6:7]
	s_cbranch_execnz .LBB2_20780
; %bb.56617:
	s_getpc_b64 s[14:15]
.Lpost_getpc31892:
	s_add_u32 s14, s14, (.LBB2_6442-.Lpost_getpc31892)&4294967295
	s_addc_u32 s15, s15, (.LBB2_6442-.Lpost_getpc31892)>>32
	s_setpc_b64 s[14:15]
.LBB2_20780:
	v_mov_b32_e32 v2, 0
	v_cmp_ne_u16_sdwa s[8:9], v6, v2 src0_sel:BYTE_0 src1_sel:DWORD
	s_andn2_b64 s[4:5], s[4:5], exec
	s_and_b64 s[8:9], s[8:9], exec
	s_or_b64 s[4:5], s[4:5], s[8:9]
	s_or_b64 exec, exec, s[6:7]
	s_and_saveexec_b64 s[6:7], s[4:5]
	s_cbranch_execz .LBB2_31893
; %bb.56619:
	s_getpc_b64 s[14:15]
.Lpost_getpc31893:
	s_add_u32 s14, s14, (.LBB2_6443-.Lpost_getpc31893)&4294967295
	s_addc_u32 s15, s15, (.LBB2_6443-.Lpost_getpc31893)>>32
	s_setpc_b64 s[14:15]
.LBB2_31893:
	s_getpc_b64 s[14:15]
.Lpost_getpc19530:
	s_add_u32 s14, s14, (.LBB2_6444-.Lpost_getpc19530)&4294967295
	s_addc_u32 s15, s15, (.LBB2_6444-.Lpost_getpc19530)>>32
	s_setpc_b64 s[14:15]
.LBB2_20781:
	s_movk_i32 s4, 0x80
	v_cmp_eq_u16_sdwa s[12:13], v6, s4 src0_sel:BYTE_0 src1_sel:DWORD
	s_mov_b64 s[4:5], -1
                                        ; implicit-def: $sgpr10
	s_and_saveexec_b64 s[8:9], s[12:13]
; %bb.20782:
	s_mov_b32 s10, 0x7f800001
	s_xor_b64 s[4:5], exec, -1
; %bb.20783:
	s_or_b64 exec, exec, s[8:9]
	s_and_b64 s[4:5], s[4:5], exec
	s_or_saveexec_b64 s[6:7], s[6:7]
	v_mov_b32_e32 v12, s10
	s_xor_b64 exec, exec, s[6:7]
	s_cbranch_execnz .LBB2_20784
; %bb.56621:
	s_getpc_b64 s[14:15]
.Lpost_getpc31894:
	s_add_u32 s14, s14, (.LBB2_6446-.Lpost_getpc31894)&4294967295
	s_addc_u32 s15, s15, (.LBB2_6446-.Lpost_getpc31894)>>32
	s_setpc_b64 s[14:15]
.LBB2_20784:
	v_mov_b32_e32 v12, 0
	v_cmp_ne_u16_sdwa s[8:9], v6, v12 src0_sel:BYTE_0 src1_sel:DWORD
	s_andn2_b64 s[4:5], s[4:5], exec
	s_and_b64 s[8:9], s[8:9], exec
	s_or_b64 s[4:5], s[4:5], s[8:9]
	s_or_b64 exec, exec, s[6:7]
	s_and_saveexec_b64 s[6:7], s[4:5]
	s_cbranch_execz .LBB2_31895
; %bb.56623:
	s_getpc_b64 s[14:15]
.Lpost_getpc31895:
	s_add_u32 s14, s14, (.LBB2_6447-.Lpost_getpc31895)&4294967295
	s_addc_u32 s15, s15, (.LBB2_6447-.Lpost_getpc31895)>>32
	s_setpc_b64 s[14:15]
.LBB2_31895:
	s_getpc_b64 s[14:15]
.Lpost_getpc19531:
	s_add_u32 s14, s14, (.LBB2_6448-.Lpost_getpc19531)&4294967295
	s_addc_u32 s15, s15, (.LBB2_6448-.Lpost_getpc19531)>>32
	s_setpc_b64 s[14:15]
.LBB2_20785:
	s_movk_i32 s4, 0x80
	v_cmp_eq_u16_e32 vcc, s4, v6
	s_mov_b64 s[4:5], -1
                                        ; implicit-def: $sgpr10
	s_and_saveexec_b64 s[8:9], vcc
; %bb.20786:
	s_mov_b32 s10, 0x7f800001
	s_xor_b64 s[4:5], exec, -1
; %bb.20787:
	s_or_b64 exec, exec, s[8:9]
	s_and_b64 s[4:5], s[4:5], exec
                                        ; implicit-def: $vgpr6
	s_or_saveexec_b64 s[6:7], s[6:7]
	v_mov_b32_e32 v2, s10
	s_xor_b64 exec, exec, s[6:7]
	s_cbranch_execnz .LBB2_20788
; %bb.56625:
	s_getpc_b64 s[14:15]
.Lpost_getpc31896:
	s_add_u32 s14, s14, (.LBB2_6450-.Lpost_getpc31896)&4294967295
	s_addc_u32 s15, s15, (.LBB2_6450-.Lpost_getpc31896)>>32
	s_setpc_b64 s[14:15]
.LBB2_20788:
	v_cmp_ne_u16_e32 vcc, 0, v6
	s_andn2_b64 s[4:5], s[4:5], exec
	s_and_b64 s[8:9], vcc, exec
	v_mov_b32_e32 v2, 0
	s_or_b64 s[4:5], s[4:5], s[8:9]
	s_or_b64 exec, exec, s[6:7]
	s_and_saveexec_b64 s[6:7], s[4:5]
	s_cbranch_execz .LBB2_31897
; %bb.56627:
	s_getpc_b64 s[14:15]
.Lpost_getpc31897:
	s_add_u32 s14, s14, (.LBB2_6451-.Lpost_getpc31897)&4294967295
	s_addc_u32 s15, s15, (.LBB2_6451-.Lpost_getpc31897)>>32
	s_setpc_b64 s[14:15]
.LBB2_31897:
	s_getpc_b64 s[14:15]
.Lpost_getpc19532:
	s_add_u32 s14, s14, (.LBB2_6452-.Lpost_getpc19532)&4294967295
	s_addc_u32 s15, s15, (.LBB2_6452-.Lpost_getpc19532)>>32
	s_setpc_b64 s[14:15]
.LBB2_20789:
	s_movk_i32 s4, 0x80
	v_cmp_eq_u16_e32 vcc, s4, v6
	s_mov_b64 s[4:5], -1
                                        ; implicit-def: $sgpr10
	s_and_saveexec_b64 s[8:9], vcc
; %bb.20790:
	s_mov_b32 s10, 0x7f800001
	s_xor_b64 s[4:5], exec, -1
; %bb.20791:
	s_or_b64 exec, exec, s[8:9]
	s_and_b64 s[4:5], s[4:5], exec
                                        ; implicit-def: $vgpr6
	s_or_saveexec_b64 s[6:7], s[6:7]
	v_mov_b32_e32 v12, s10
	s_xor_b64 exec, exec, s[6:7]
	s_cbranch_execnz .LBB2_20792
; %bb.56629:
	s_getpc_b64 s[14:15]
.Lpost_getpc31898:
	s_add_u32 s14, s14, (.LBB2_6454-.Lpost_getpc31898)&4294967295
	s_addc_u32 s15, s15, (.LBB2_6454-.Lpost_getpc31898)>>32
	s_setpc_b64 s[14:15]
.LBB2_20792:
	v_cmp_ne_u16_e32 vcc, 0, v6
	s_andn2_b64 s[4:5], s[4:5], exec
	s_and_b64 s[8:9], vcc, exec
	v_mov_b32_e32 v12, 0
	s_or_b64 s[4:5], s[4:5], s[8:9]
	s_or_b64 exec, exec, s[6:7]
	s_and_saveexec_b64 s[6:7], s[4:5]
	s_cbranch_execz .LBB2_31899
; %bb.56631:
	s_getpc_b64 s[14:15]
.Lpost_getpc31899:
	s_add_u32 s14, s14, (.LBB2_6455-.Lpost_getpc31899)&4294967295
	s_addc_u32 s15, s15, (.LBB2_6455-.Lpost_getpc31899)>>32
	s_setpc_b64 s[14:15]
.LBB2_31899:
	s_getpc_b64 s[14:15]
.Lpost_getpc19533:
	s_add_u32 s14, s14, (.LBB2_6456-.Lpost_getpc19533)&4294967295
	s_addc_u32 s15, s15, (.LBB2_6456-.Lpost_getpc19533)>>32
	s_setpc_b64 s[14:15]
.LBB2_20793:
	s_movk_i32 s4, 0x80
	v_cmp_eq_u16_sdwa s[12:13], v7, s4 src0_sel:BYTE_3 src1_sel:DWORD
	s_mov_b64 s[4:5], -1
                                        ; implicit-def: $sgpr10
	s_and_saveexec_b64 s[8:9], s[12:13]
; %bb.20794:
	s_mov_b32 s10, 0x7f800001
	s_xor_b64 s[4:5], exec, -1
; %bb.20795:
	s_or_b64 exec, exec, s[8:9]
	s_and_b64 s[4:5], s[4:5], exec
	s_or_saveexec_b64 s[6:7], s[6:7]
	v_mov_b32_e32 v2, s10
	s_xor_b64 exec, exec, s[6:7]
	s_cbranch_execnz .LBB2_20796
; %bb.56633:
	s_getpc_b64 s[14:15]
.Lpost_getpc31900:
	s_add_u32 s14, s14, (.LBB2_6458-.Lpost_getpc31900)&4294967295
	s_addc_u32 s15, s15, (.LBB2_6458-.Lpost_getpc31900)>>32
	s_setpc_b64 s[14:15]
.LBB2_20796:
	v_mov_b32_e32 v2, 0
	v_cmp_ne_u16_sdwa s[8:9], v7, v2 src0_sel:BYTE_3 src1_sel:DWORD
	s_andn2_b64 s[4:5], s[4:5], exec
	s_and_b64 s[8:9], s[8:9], exec
	s_or_b64 s[4:5], s[4:5], s[8:9]
	s_or_b64 exec, exec, s[6:7]
	s_and_saveexec_b64 s[6:7], s[4:5]
	s_cbranch_execz .LBB2_31901
; %bb.56635:
	s_getpc_b64 s[14:15]
.Lpost_getpc31901:
	s_add_u32 s14, s14, (.LBB2_6459-.Lpost_getpc31901)&4294967295
	s_addc_u32 s15, s15, (.LBB2_6459-.Lpost_getpc31901)>>32
	s_setpc_b64 s[14:15]
.LBB2_31901:
	s_getpc_b64 s[14:15]
.Lpost_getpc19534:
	s_add_u32 s14, s14, (.LBB2_6460-.Lpost_getpc19534)&4294967295
	s_addc_u32 s15, s15, (.LBB2_6460-.Lpost_getpc19534)>>32
	s_setpc_b64 s[14:15]
.LBB2_20797:
	s_movk_i32 s4, 0x80
	v_cmp_eq_u16_sdwa s[12:13], v3, s4 src0_sel:BYTE_3 src1_sel:DWORD
	s_mov_b64 s[4:5], -1
                                        ; implicit-def: $sgpr10
	s_and_saveexec_b64 s[8:9], s[12:13]
; %bb.20798:
	s_mov_b32 s10, 0x7f800001
	s_xor_b64 s[4:5], exec, -1
; %bb.20799:
	s_or_b64 exec, exec, s[8:9]
	s_and_b64 s[4:5], s[4:5], exec
	s_or_saveexec_b64 s[6:7], s[6:7]
	v_mov_b32_e32 v6, s10
	s_xor_b64 exec, exec, s[6:7]
	s_cbranch_execnz .LBB2_20800
; %bb.56637:
	s_getpc_b64 s[14:15]
.Lpost_getpc31902:
	s_add_u32 s14, s14, (.LBB2_6462-.Lpost_getpc31902)&4294967295
	s_addc_u32 s15, s15, (.LBB2_6462-.Lpost_getpc31902)>>32
	s_setpc_b64 s[14:15]
.LBB2_20800:
	v_mov_b32_e32 v6, 0
	v_cmp_ne_u16_sdwa s[8:9], v3, v6 src0_sel:BYTE_3 src1_sel:DWORD
	s_andn2_b64 s[4:5], s[4:5], exec
	s_and_b64 s[8:9], s[8:9], exec
	s_or_b64 s[4:5], s[4:5], s[8:9]
	s_or_b64 exec, exec, s[6:7]
	s_and_saveexec_b64 s[6:7], s[4:5]
	s_cbranch_execz .LBB2_31903
; %bb.56639:
	s_getpc_b64 s[14:15]
.Lpost_getpc31903:
	s_add_u32 s14, s14, (.LBB2_6463-.Lpost_getpc31903)&4294967295
	s_addc_u32 s15, s15, (.LBB2_6463-.Lpost_getpc31903)>>32
	s_setpc_b64 s[14:15]
.LBB2_31903:
	s_getpc_b64 s[14:15]
.Lpost_getpc19535:
	s_add_u32 s14, s14, (.LBB2_6464-.Lpost_getpc19535)&4294967295
	s_addc_u32 s15, s15, (.LBB2_6464-.Lpost_getpc19535)>>32
	s_setpc_b64 s[14:15]
.LBB2_20801:
	s_movk_i32 s4, 0x80
	v_cmp_eq_u16_sdwa s[12:13], v8, s4 src0_sel:BYTE_0 src1_sel:DWORD
	s_mov_b64 s[4:5], -1
                                        ; implicit-def: $sgpr10
	s_and_saveexec_b64 s[8:9], s[12:13]
; %bb.20802:
	s_mov_b32 s10, 0x7f800001
	s_xor_b64 s[4:5], exec, -1
; %bb.20803:
	s_or_b64 exec, exec, s[8:9]
	s_and_b64 s[4:5], s[4:5], exec
	s_or_saveexec_b64 s[6:7], s[6:7]
	v_mov_b32_e32 v2, s10
	s_xor_b64 exec, exec, s[6:7]
	s_cbranch_execnz .LBB2_20804
; %bb.56641:
	s_getpc_b64 s[14:15]
.Lpost_getpc31904:
	s_add_u32 s14, s14, (.LBB2_6466-.Lpost_getpc31904)&4294967295
	s_addc_u32 s15, s15, (.LBB2_6466-.Lpost_getpc31904)>>32
	s_setpc_b64 s[14:15]
.LBB2_20804:
	v_mov_b32_e32 v2, 0
	v_cmp_ne_u16_sdwa s[8:9], v8, v2 src0_sel:BYTE_0 src1_sel:DWORD
	s_andn2_b64 s[4:5], s[4:5], exec
	s_and_b64 s[8:9], s[8:9], exec
	s_or_b64 s[4:5], s[4:5], s[8:9]
	s_or_b64 exec, exec, s[6:7]
	s_and_saveexec_b64 s[6:7], s[4:5]
	s_cbranch_execz .LBB2_31905
; %bb.56643:
	s_getpc_b64 s[14:15]
.Lpost_getpc31905:
	s_add_u32 s14, s14, (.LBB2_6467-.Lpost_getpc31905)&4294967295
	s_addc_u32 s15, s15, (.LBB2_6467-.Lpost_getpc31905)>>32
	s_setpc_b64 s[14:15]
.LBB2_31905:
	s_getpc_b64 s[14:15]
.Lpost_getpc19536:
	s_add_u32 s14, s14, (.LBB2_6468-.Lpost_getpc19536)&4294967295
	s_addc_u32 s15, s15, (.LBB2_6468-.Lpost_getpc19536)>>32
	s_setpc_b64 s[14:15]
.LBB2_20805:
	s_movk_i32 s4, 0x80
	v_cmp_eq_u16_sdwa s[12:13], v4, s4 src0_sel:BYTE_0 src1_sel:DWORD
	s_mov_b64 s[4:5], -1
                                        ; implicit-def: $sgpr10
	s_and_saveexec_b64 s[8:9], s[12:13]
; %bb.20806:
	s_mov_b32 s10, 0x7f800001
	s_xor_b64 s[4:5], exec, -1
; %bb.20807:
	s_or_b64 exec, exec, s[8:9]
	s_and_b64 s[4:5], s[4:5], exec
	s_or_saveexec_b64 s[6:7], s[6:7]
	v_mov_b32_e32 v3, s10
	s_xor_b64 exec, exec, s[6:7]
	s_cbranch_execnz .LBB2_20808
; %bb.56645:
	s_getpc_b64 s[14:15]
.Lpost_getpc31906:
	s_add_u32 s14, s14, (.LBB2_6470-.Lpost_getpc31906)&4294967295
	s_addc_u32 s15, s15, (.LBB2_6470-.Lpost_getpc31906)>>32
	s_setpc_b64 s[14:15]
.LBB2_20808:
	v_mov_b32_e32 v3, 0
	v_cmp_ne_u16_sdwa s[8:9], v4, v3 src0_sel:BYTE_0 src1_sel:DWORD
	s_andn2_b64 s[4:5], s[4:5], exec
	s_and_b64 s[8:9], s[8:9], exec
	s_or_b64 s[4:5], s[4:5], s[8:9]
	s_or_b64 exec, exec, s[6:7]
	s_and_saveexec_b64 s[6:7], s[4:5]
	s_cbranch_execz .LBB2_31907
; %bb.56647:
	s_getpc_b64 s[14:15]
.Lpost_getpc31907:
	s_add_u32 s14, s14, (.LBB2_6471-.Lpost_getpc31907)&4294967295
	s_addc_u32 s15, s15, (.LBB2_6471-.Lpost_getpc31907)>>32
	s_setpc_b64 s[14:15]
.LBB2_31907:
	s_getpc_b64 s[14:15]
.Lpost_getpc19537:
	s_add_u32 s14, s14, (.LBB2_6472-.Lpost_getpc19537)&4294967295
	s_addc_u32 s15, s15, (.LBB2_6472-.Lpost_getpc19537)>>32
	s_setpc_b64 s[14:15]
.LBB2_20809:
	s_movk_i32 s4, 0x80
	v_cmp_eq_u16_sdwa s[12:13], v3, s4 src0_sel:BYTE_0 src1_sel:DWORD
	s_mov_b64 s[4:5], -1
                                        ; implicit-def: $sgpr10
	s_and_saveexec_b64 s[8:9], s[12:13]
; %bb.20810:
	s_mov_b32 s10, 0x7f800001
	s_xor_b64 s[4:5], exec, -1
; %bb.20811:
	s_or_b64 exec, exec, s[8:9]
	s_and_b64 s[4:5], s[4:5], exec
	s_or_saveexec_b64 s[6:7], s[6:7]
	v_mov_b32_e32 v2, s10
	s_xor_b64 exec, exec, s[6:7]
	s_cbranch_execnz .LBB2_20812
; %bb.56649:
	s_getpc_b64 s[14:15]
.Lpost_getpc31908:
	s_add_u32 s14, s14, (.LBB2_6474-.Lpost_getpc31908)&4294967295
	s_addc_u32 s15, s15, (.LBB2_6474-.Lpost_getpc31908)>>32
	s_setpc_b64 s[14:15]
.LBB2_20812:
	v_mov_b32_e32 v2, 0
	v_cmp_ne_u16_sdwa s[8:9], v3, v2 src0_sel:BYTE_0 src1_sel:DWORD
	s_andn2_b64 s[4:5], s[4:5], exec
	s_and_b64 s[8:9], s[8:9], exec
	s_or_b64 s[4:5], s[4:5], s[8:9]
	s_or_b64 exec, exec, s[6:7]
	s_and_saveexec_b64 s[6:7], s[4:5]
	s_cbranch_execz .LBB2_31909
; %bb.56651:
	s_getpc_b64 s[14:15]
.Lpost_getpc31909:
	s_add_u32 s14, s14, (.LBB2_6475-.Lpost_getpc31909)&4294967295
	s_addc_u32 s15, s15, (.LBB2_6475-.Lpost_getpc31909)>>32
	s_setpc_b64 s[14:15]
.LBB2_31909:
	s_getpc_b64 s[14:15]
.Lpost_getpc19538:
	s_add_u32 s14, s14, (.LBB2_6476-.Lpost_getpc19538)&4294967295
	s_addc_u32 s15, s15, (.LBB2_6476-.Lpost_getpc19538)>>32
	s_setpc_b64 s[14:15]
.LBB2_20813:
	s_movk_i32 s4, 0x80
	v_cmp_eq_u16_sdwa s[12:13], v3, s4 src0_sel:BYTE_0 src1_sel:DWORD
	s_mov_b64 s[4:5], -1
                                        ; implicit-def: $sgpr10
	s_and_saveexec_b64 s[8:9], s[12:13]
; %bb.20814:
	s_mov_b32 s10, 0x7f800001
	s_xor_b64 s[4:5], exec, -1
; %bb.20815:
	s_or_b64 exec, exec, s[8:9]
	s_and_b64 s[4:5], s[4:5], exec
	s_or_saveexec_b64 s[6:7], s[6:7]
	v_mov_b32_e32 v6, s10
	s_xor_b64 exec, exec, s[6:7]
	s_cbranch_execnz .LBB2_20816
; %bb.56653:
	s_getpc_b64 s[14:15]
.Lpost_getpc31910:
	s_add_u32 s14, s14, (.LBB2_6478-.Lpost_getpc31910)&4294967295
	s_addc_u32 s15, s15, (.LBB2_6478-.Lpost_getpc31910)>>32
	s_setpc_b64 s[14:15]
.LBB2_20816:
	v_mov_b32_e32 v6, 0
	v_cmp_ne_u16_sdwa s[8:9], v3, v6 src0_sel:BYTE_0 src1_sel:DWORD
	s_andn2_b64 s[4:5], s[4:5], exec
	s_and_b64 s[8:9], s[8:9], exec
	s_or_b64 s[4:5], s[4:5], s[8:9]
	s_or_b64 exec, exec, s[6:7]
	s_and_saveexec_b64 s[6:7], s[4:5]
	s_cbranch_execz .LBB2_31911
; %bb.56655:
	s_getpc_b64 s[14:15]
.Lpost_getpc31911:
	s_add_u32 s14, s14, (.LBB2_6479-.Lpost_getpc31911)&4294967295
	s_addc_u32 s15, s15, (.LBB2_6479-.Lpost_getpc31911)>>32
	s_setpc_b64 s[14:15]
.LBB2_31911:
	s_getpc_b64 s[14:15]
.Lpost_getpc19539:
	s_add_u32 s14, s14, (.LBB2_6480-.Lpost_getpc19539)&4294967295
	s_addc_u32 s15, s15, (.LBB2_6480-.Lpost_getpc19539)>>32
	s_setpc_b64 s[14:15]
.LBB2_20817:
	s_movk_i32 s4, 0x80
	v_cmp_eq_u16_e32 vcc, s4, v3
	s_mov_b64 s[4:5], -1
                                        ; implicit-def: $sgpr10
	s_and_saveexec_b64 s[8:9], vcc
; %bb.20818:
	s_mov_b32 s10, 0x7f800001
	s_xor_b64 s[4:5], exec, -1
; %bb.20819:
	s_or_b64 exec, exec, s[8:9]
	s_and_b64 s[4:5], s[4:5], exec
                                        ; implicit-def: $vgpr3
	s_or_saveexec_b64 s[6:7], s[6:7]
	v_mov_b32_e32 v2, s10
	s_xor_b64 exec, exec, s[6:7]
	s_cbranch_execnz .LBB2_20820
; %bb.56657:
	s_getpc_b64 s[14:15]
.Lpost_getpc31912:
	s_add_u32 s14, s14, (.LBB2_6482-.Lpost_getpc31912)&4294967295
	s_addc_u32 s15, s15, (.LBB2_6482-.Lpost_getpc31912)>>32
	s_setpc_b64 s[14:15]
.LBB2_20820:
	v_cmp_ne_u16_e32 vcc, 0, v3
	s_andn2_b64 s[4:5], s[4:5], exec
	s_and_b64 s[8:9], vcc, exec
	v_mov_b32_e32 v2, 0
	s_or_b64 s[4:5], s[4:5], s[8:9]
	s_or_b64 exec, exec, s[6:7]
	s_and_saveexec_b64 s[6:7], s[4:5]
	s_cbranch_execz .LBB2_31913
; %bb.56659:
	s_getpc_b64 s[14:15]
.Lpost_getpc31913:
	s_add_u32 s14, s14, (.LBB2_6483-.Lpost_getpc31913)&4294967295
	s_addc_u32 s15, s15, (.LBB2_6483-.Lpost_getpc31913)>>32
	s_setpc_b64 s[14:15]
.LBB2_31913:
	s_getpc_b64 s[14:15]
.Lpost_getpc19540:
	s_add_u32 s14, s14, (.LBB2_6484-.Lpost_getpc19540)&4294967295
	s_addc_u32 s15, s15, (.LBB2_6484-.Lpost_getpc19540)>>32
	s_setpc_b64 s[14:15]
.LBB2_20821:
	s_movk_i32 s4, 0x80
	v_cmp_eq_u16_e32 vcc, s4, v3
	s_mov_b64 s[4:5], -1
                                        ; implicit-def: $sgpr10
	s_and_saveexec_b64 s[8:9], vcc
; %bb.20822:
	s_mov_b32 s10, 0x7f800001
	s_xor_b64 s[4:5], exec, -1
; %bb.20823:
	s_or_b64 exec, exec, s[8:9]
	s_and_b64 s[4:5], s[4:5], exec
                                        ; implicit-def: $vgpr3
	s_or_saveexec_b64 s[6:7], s[6:7]
	v_mov_b32_e32 v6, s10
	s_xor_b64 exec, exec, s[6:7]
	s_cbranch_execnz .LBB2_20824
; %bb.56661:
	s_getpc_b64 s[14:15]
.Lpost_getpc31914:
	s_add_u32 s14, s14, (.LBB2_6486-.Lpost_getpc31914)&4294967295
	s_addc_u32 s15, s15, (.LBB2_6486-.Lpost_getpc31914)>>32
	s_setpc_b64 s[14:15]
.LBB2_20824:
	v_cmp_ne_u16_e32 vcc, 0, v3
	s_andn2_b64 s[4:5], s[4:5], exec
	s_and_b64 s[8:9], vcc, exec
	v_mov_b32_e32 v6, 0
	s_or_b64 s[4:5], s[4:5], s[8:9]
	s_or_b64 exec, exec, s[6:7]
	s_and_saveexec_b64 s[6:7], s[4:5]
	s_cbranch_execz .LBB2_31915
; %bb.56663:
	s_getpc_b64 s[14:15]
.Lpost_getpc31915:
	s_add_u32 s14, s14, (.LBB2_6487-.Lpost_getpc31915)&4294967295
	s_addc_u32 s15, s15, (.LBB2_6487-.Lpost_getpc31915)>>32
	s_setpc_b64 s[14:15]
.LBB2_31915:
	s_getpc_b64 s[14:15]
.Lpost_getpc19541:
	s_add_u32 s14, s14, (.LBB2_6488-.Lpost_getpc19541)&4294967295
	s_addc_u32 s15, s15, (.LBB2_6488-.Lpost_getpc19541)>>32
	s_setpc_b64 s[14:15]
.LBB2_20825:
	s_movk_i32 s4, 0x80
	v_cmp_eq_u16_sdwa s[12:13], v8, s4 src0_sel:BYTE_3 src1_sel:DWORD
	s_mov_b64 s[4:5], -1
                                        ; implicit-def: $sgpr10
	s_and_saveexec_b64 s[8:9], s[12:13]
; %bb.20826:
	s_mov_b32 s10, 0x7f800001
	s_xor_b64 s[4:5], exec, -1
; %bb.20827:
	s_or_b64 exec, exec, s[8:9]
	s_and_b64 s[4:5], s[4:5], exec
	s_or_saveexec_b64 s[6:7], s[6:7]
	v_mov_b32_e32 v2, s10
	s_xor_b64 exec, exec, s[6:7]
	s_cbranch_execnz .LBB2_20828
; %bb.56665:
	s_getpc_b64 s[14:15]
.Lpost_getpc31916:
	s_add_u32 s14, s14, (.LBB2_6490-.Lpost_getpc31916)&4294967295
	s_addc_u32 s15, s15, (.LBB2_6490-.Lpost_getpc31916)>>32
	s_setpc_b64 s[14:15]
.LBB2_20828:
	v_mov_b32_e32 v2, 0
	v_cmp_ne_u16_sdwa s[8:9], v8, v2 src0_sel:BYTE_3 src1_sel:DWORD
	s_andn2_b64 s[4:5], s[4:5], exec
	s_and_b64 s[8:9], s[8:9], exec
	s_or_b64 s[4:5], s[4:5], s[8:9]
	s_or_b64 exec, exec, s[6:7]
	s_and_saveexec_b64 s[6:7], s[4:5]
	s_cbranch_execz .LBB2_31917
; %bb.56667:
	s_getpc_b64 s[14:15]
.Lpost_getpc31917:
	s_add_u32 s14, s14, (.LBB2_6491-.Lpost_getpc31917)&4294967295
	s_addc_u32 s15, s15, (.LBB2_6491-.Lpost_getpc31917)>>32
	s_setpc_b64 s[14:15]
.LBB2_31917:
	s_getpc_b64 s[14:15]
.Lpost_getpc19542:
	s_add_u32 s14, s14, (.LBB2_6492-.Lpost_getpc19542)&4294967295
	s_addc_u32 s15, s15, (.LBB2_6492-.Lpost_getpc19542)>>32
	s_setpc_b64 s[14:15]
.LBB2_20829:
	s_movk_i32 s4, 0x80
	v_cmp_eq_u16_sdwa s[12:13], v4, s4 src0_sel:BYTE_3 src1_sel:DWORD
	s_mov_b64 s[4:5], -1
                                        ; implicit-def: $sgpr10
	s_and_saveexec_b64 s[8:9], s[12:13]
; %bb.20830:
	s_mov_b32 s10, 0x7f800001
	s_xor_b64 s[4:5], exec, -1
; %bb.20831:
	s_or_b64 exec, exec, s[8:9]
	s_and_b64 s[4:5], s[4:5], exec
	s_or_saveexec_b64 s[6:7], s[6:7]
	v_mov_b32_e32 v3, s10
	s_xor_b64 exec, exec, s[6:7]
	s_cbranch_execnz .LBB2_20832
; %bb.56669:
	s_getpc_b64 s[14:15]
.Lpost_getpc31918:
	s_add_u32 s14, s14, (.LBB2_6494-.Lpost_getpc31918)&4294967295
	s_addc_u32 s15, s15, (.LBB2_6494-.Lpost_getpc31918)>>32
	s_setpc_b64 s[14:15]
.LBB2_20832:
	v_mov_b32_e32 v3, 0
	v_cmp_ne_u16_sdwa s[8:9], v4, v3 src0_sel:BYTE_3 src1_sel:DWORD
	s_andn2_b64 s[4:5], s[4:5], exec
	s_and_b64 s[8:9], s[8:9], exec
	s_or_b64 s[4:5], s[4:5], s[8:9]
	s_or_b64 exec, exec, s[6:7]
	s_and_saveexec_b64 s[6:7], s[4:5]
	s_cbranch_execz .LBB2_31919
; %bb.56671:
	s_getpc_b64 s[14:15]
.Lpost_getpc31919:
	s_add_u32 s14, s14, (.LBB2_6495-.Lpost_getpc31919)&4294967295
	s_addc_u32 s15, s15, (.LBB2_6495-.Lpost_getpc31919)>>32
	s_setpc_b64 s[14:15]
.LBB2_31919:
	s_getpc_b64 s[14:15]
.Lpost_getpc19543:
	s_add_u32 s14, s14, (.LBB2_6496-.Lpost_getpc19543)&4294967295
	s_addc_u32 s15, s15, (.LBB2_6496-.Lpost_getpc19543)>>32
	s_setpc_b64 s[14:15]
.LBB2_20833:
	s_movk_i32 s4, 0x80
	v_cmp_eq_u16_sdwa s[12:13], v9, s4 src0_sel:BYTE_0 src1_sel:DWORD
	s_mov_b64 s[4:5], -1
                                        ; implicit-def: $sgpr10
	s_and_saveexec_b64 s[8:9], s[12:13]
; %bb.20834:
	s_mov_b32 s10, 0x7f800001
	s_xor_b64 s[4:5], exec, -1
; %bb.20835:
	s_or_b64 exec, exec, s[8:9]
	s_and_b64 s[4:5], s[4:5], exec
	s_or_saveexec_b64 s[6:7], s[6:7]
	v_mov_b32_e32 v2, s10
	s_xor_b64 exec, exec, s[6:7]
	s_cbranch_execnz .LBB2_20836
; %bb.56673:
	s_getpc_b64 s[14:15]
.Lpost_getpc31920:
	s_add_u32 s14, s14, (.LBB2_6498-.Lpost_getpc31920)&4294967295
	s_addc_u32 s15, s15, (.LBB2_6498-.Lpost_getpc31920)>>32
	s_setpc_b64 s[14:15]
.LBB2_20836:
	v_mov_b32_e32 v2, 0
	v_cmp_ne_u16_sdwa s[8:9], v9, v2 src0_sel:BYTE_0 src1_sel:DWORD
	s_andn2_b64 s[4:5], s[4:5], exec
	s_and_b64 s[8:9], s[8:9], exec
	s_or_b64 s[4:5], s[4:5], s[8:9]
	s_or_b64 exec, exec, s[6:7]
	s_and_saveexec_b64 s[6:7], s[4:5]
	s_cbranch_execz .LBB2_31921
; %bb.56675:
	s_getpc_b64 s[14:15]
.Lpost_getpc31921:
	s_add_u32 s14, s14, (.LBB2_6499-.Lpost_getpc31921)&4294967295
	s_addc_u32 s15, s15, (.LBB2_6499-.Lpost_getpc31921)>>32
	s_setpc_b64 s[14:15]
.LBB2_31921:
	s_getpc_b64 s[14:15]
.Lpost_getpc19544:
	s_add_u32 s14, s14, (.LBB2_6500-.Lpost_getpc19544)&4294967295
	s_addc_u32 s15, s15, (.LBB2_6500-.Lpost_getpc19544)>>32
	s_setpc_b64 s[14:15]
.LBB2_20837:
	s_movk_i32 s4, 0x80
	v_cmp_eq_u16_sdwa s[12:13], v5, s4 src0_sel:BYTE_0 src1_sel:DWORD
	s_mov_b64 s[4:5], -1
                                        ; implicit-def: $sgpr10
	s_and_saveexec_b64 s[8:9], s[12:13]
; %bb.20838:
	s_mov_b32 s10, 0x7f800001
	s_xor_b64 s[4:5], exec, -1
; %bb.20839:
	s_or_b64 exec, exec, s[8:9]
	s_and_b64 s[4:5], s[4:5], exec
	s_or_saveexec_b64 s[6:7], s[6:7]
	v_mov_b32_e32 v3, s10
	s_xor_b64 exec, exec, s[6:7]
	s_cbranch_execnz .LBB2_20840
; %bb.56677:
	s_getpc_b64 s[14:15]
.Lpost_getpc31922:
	s_add_u32 s14, s14, (.LBB2_6502-.Lpost_getpc31922)&4294967295
	s_addc_u32 s15, s15, (.LBB2_6502-.Lpost_getpc31922)>>32
	s_setpc_b64 s[14:15]
.LBB2_20840:
	v_mov_b32_e32 v3, 0
	v_cmp_ne_u16_sdwa s[8:9], v5, v3 src0_sel:BYTE_0 src1_sel:DWORD
	s_andn2_b64 s[4:5], s[4:5], exec
	s_and_b64 s[8:9], s[8:9], exec
	s_or_b64 s[4:5], s[4:5], s[8:9]
	s_or_b64 exec, exec, s[6:7]
	s_and_saveexec_b64 s[6:7], s[4:5]
	s_cbranch_execz .LBB2_31923
; %bb.56679:
	s_getpc_b64 s[14:15]
.Lpost_getpc31923:
	s_add_u32 s14, s14, (.LBB2_6503-.Lpost_getpc31923)&4294967295
	s_addc_u32 s15, s15, (.LBB2_6503-.Lpost_getpc31923)>>32
	s_setpc_b64 s[14:15]
.LBB2_31923:
	s_getpc_b64 s[14:15]
.Lpost_getpc19545:
	s_add_u32 s14, s14, (.LBB2_6504-.Lpost_getpc19545)&4294967295
	s_addc_u32 s15, s15, (.LBB2_6504-.Lpost_getpc19545)>>32
	s_setpc_b64 s[14:15]
.LBB2_20841:
	s_movk_i32 s4, 0x80
	v_cmp_eq_u16_sdwa s[12:13], v3, s4 src0_sel:BYTE_0 src1_sel:DWORD
	s_mov_b64 s[4:5], -1
                                        ; implicit-def: $sgpr10
	s_and_saveexec_b64 s[8:9], s[12:13]
; %bb.20842:
	s_mov_b32 s10, 0x7f800001
	s_xor_b64 s[4:5], exec, -1
; %bb.20843:
	s_or_b64 exec, exec, s[8:9]
	s_and_b64 s[4:5], s[4:5], exec
	s_or_saveexec_b64 s[6:7], s[6:7]
	v_mov_b32_e32 v2, s10
	s_xor_b64 exec, exec, s[6:7]
	s_cbranch_execnz .LBB2_20844
; %bb.56681:
	s_getpc_b64 s[14:15]
.Lpost_getpc31924:
	s_add_u32 s14, s14, (.LBB2_6506-.Lpost_getpc31924)&4294967295
	s_addc_u32 s15, s15, (.LBB2_6506-.Lpost_getpc31924)>>32
	s_setpc_b64 s[14:15]
.LBB2_20844:
	v_mov_b32_e32 v2, 0
	v_cmp_ne_u16_sdwa s[8:9], v3, v2 src0_sel:BYTE_0 src1_sel:DWORD
	s_andn2_b64 s[4:5], s[4:5], exec
	s_and_b64 s[8:9], s[8:9], exec
	s_or_b64 s[4:5], s[4:5], s[8:9]
	s_or_b64 exec, exec, s[6:7]
	s_and_saveexec_b64 s[6:7], s[4:5]
	s_cbranch_execz .LBB2_31925
; %bb.56683:
	s_getpc_b64 s[14:15]
.Lpost_getpc31925:
	s_add_u32 s14, s14, (.LBB2_6507-.Lpost_getpc31925)&4294967295
	s_addc_u32 s15, s15, (.LBB2_6507-.Lpost_getpc31925)>>32
	s_setpc_b64 s[14:15]
.LBB2_31925:
	s_getpc_b64 s[14:15]
.Lpost_getpc19546:
	s_add_u32 s14, s14, (.LBB2_6508-.Lpost_getpc19546)&4294967295
	s_addc_u32 s15, s15, (.LBB2_6508-.Lpost_getpc19546)>>32
	s_setpc_b64 s[14:15]
.LBB2_20845:
	s_movk_i32 s4, 0x80
	v_cmp_eq_u16_sdwa s[12:13], v3, s4 src0_sel:BYTE_0 src1_sel:DWORD
	s_mov_b64 s[4:5], -1
                                        ; implicit-def: $sgpr10
	s_and_saveexec_b64 s[8:9], s[12:13]
; %bb.20846:
	s_mov_b32 s10, 0x7f800001
	s_xor_b64 s[4:5], exec, -1
; %bb.20847:
	s_or_b64 exec, exec, s[8:9]
	s_and_b64 s[4:5], s[4:5], exec
	s_or_saveexec_b64 s[6:7], s[6:7]
	v_mov_b32_e32 v4, s10
	s_xor_b64 exec, exec, s[6:7]
	s_cbranch_execnz .LBB2_20848
; %bb.56685:
	s_getpc_b64 s[14:15]
.Lpost_getpc31926:
	s_add_u32 s14, s14, (.LBB2_6510-.Lpost_getpc31926)&4294967295
	s_addc_u32 s15, s15, (.LBB2_6510-.Lpost_getpc31926)>>32
	s_setpc_b64 s[14:15]
.LBB2_20848:
	v_mov_b32_e32 v4, 0
	v_cmp_ne_u16_sdwa s[8:9], v3, v4 src0_sel:BYTE_0 src1_sel:DWORD
	s_andn2_b64 s[4:5], s[4:5], exec
	s_and_b64 s[8:9], s[8:9], exec
	s_or_b64 s[4:5], s[4:5], s[8:9]
	s_or_b64 exec, exec, s[6:7]
	s_and_saveexec_b64 s[6:7], s[4:5]
	s_cbranch_execz .LBB2_31927
; %bb.56687:
	s_getpc_b64 s[14:15]
.Lpost_getpc31927:
	s_add_u32 s14, s14, (.LBB2_6511-.Lpost_getpc31927)&4294967295
	s_addc_u32 s15, s15, (.LBB2_6511-.Lpost_getpc31927)>>32
	s_setpc_b64 s[14:15]
.LBB2_31927:
	s_getpc_b64 s[14:15]
.Lpost_getpc19547:
	s_add_u32 s14, s14, (.LBB2_6512-.Lpost_getpc19547)&4294967295
	s_addc_u32 s15, s15, (.LBB2_6512-.Lpost_getpc19547)>>32
	s_setpc_b64 s[14:15]
.LBB2_20849:
	s_movk_i32 s4, 0x80
	v_cmp_eq_u16_e32 vcc, s4, v3
	s_mov_b64 s[4:5], -1
                                        ; implicit-def: $sgpr10
	s_and_saveexec_b64 s[8:9], vcc
; %bb.20850:
	s_mov_b32 s10, 0x7f800001
	s_xor_b64 s[4:5], exec, -1
; %bb.20851:
	s_or_b64 exec, exec, s[8:9]
	s_and_b64 s[4:5], s[4:5], exec
                                        ; implicit-def: $vgpr3
	s_or_saveexec_b64 s[6:7], s[6:7]
	v_mov_b32_e32 v2, s10
	s_xor_b64 exec, exec, s[6:7]
	s_cbranch_execnz .LBB2_20852
; %bb.56689:
	s_getpc_b64 s[14:15]
.Lpost_getpc31928:
	s_add_u32 s14, s14, (.LBB2_6514-.Lpost_getpc31928)&4294967295
	s_addc_u32 s15, s15, (.LBB2_6514-.Lpost_getpc31928)>>32
	s_setpc_b64 s[14:15]
.LBB2_20852:
	v_cmp_ne_u16_e32 vcc, 0, v3
	s_andn2_b64 s[4:5], s[4:5], exec
	s_and_b64 s[8:9], vcc, exec
	v_mov_b32_e32 v2, 0
	s_or_b64 s[4:5], s[4:5], s[8:9]
	s_or_b64 exec, exec, s[6:7]
	s_and_saveexec_b64 s[6:7], s[4:5]
	s_cbranch_execz .LBB2_31929
; %bb.56691:
	s_getpc_b64 s[14:15]
.Lpost_getpc31929:
	s_add_u32 s14, s14, (.LBB2_6515-.Lpost_getpc31929)&4294967295
	s_addc_u32 s15, s15, (.LBB2_6515-.Lpost_getpc31929)>>32
	s_setpc_b64 s[14:15]
.LBB2_31929:
	s_getpc_b64 s[14:15]
.Lpost_getpc19548:
	s_add_u32 s14, s14, (.LBB2_6516-.Lpost_getpc19548)&4294967295
	s_addc_u32 s15, s15, (.LBB2_6516-.Lpost_getpc19548)>>32
	s_setpc_b64 s[14:15]
.LBB2_20853:
	s_movk_i32 s4, 0x80
	v_cmp_eq_u16_e32 vcc, s4, v3
	s_mov_b64 s[4:5], -1
                                        ; implicit-def: $sgpr10
	s_and_saveexec_b64 s[8:9], vcc
; %bb.20854:
	s_mov_b32 s10, 0x7f800001
	s_xor_b64 s[4:5], exec, -1
; %bb.20855:
	s_or_b64 exec, exec, s[8:9]
	s_and_b64 s[4:5], s[4:5], exec
                                        ; implicit-def: $vgpr3
	s_or_saveexec_b64 s[6:7], s[6:7]
	v_mov_b32_e32 v4, s10
	s_xor_b64 exec, exec, s[6:7]
	s_cbranch_execnz .LBB2_20856
; %bb.56693:
	s_getpc_b64 s[14:15]
.Lpost_getpc31930:
	s_add_u32 s14, s14, (.LBB2_6518-.Lpost_getpc31930)&4294967295
	s_addc_u32 s15, s15, (.LBB2_6518-.Lpost_getpc31930)>>32
	s_setpc_b64 s[14:15]
.LBB2_20856:
	v_cmp_ne_u16_e32 vcc, 0, v3
	s_andn2_b64 s[4:5], s[4:5], exec
	s_and_b64 s[8:9], vcc, exec
	v_mov_b32_e32 v4, 0
	s_or_b64 s[4:5], s[4:5], s[8:9]
	s_or_b64 exec, exec, s[6:7]
	s_and_saveexec_b64 s[6:7], s[4:5]
	s_cbranch_execz .LBB2_31931
; %bb.56695:
	s_getpc_b64 s[14:15]
.Lpost_getpc31931:
	s_add_u32 s14, s14, (.LBB2_6519-.Lpost_getpc31931)&4294967295
	s_addc_u32 s15, s15, (.LBB2_6519-.Lpost_getpc31931)>>32
	s_setpc_b64 s[14:15]
.LBB2_31931:
	s_getpc_b64 s[14:15]
.Lpost_getpc19549:
	s_add_u32 s14, s14, (.LBB2_6520-.Lpost_getpc19549)&4294967295
	s_addc_u32 s15, s15, (.LBB2_6520-.Lpost_getpc19549)>>32
	s_setpc_b64 s[14:15]
.LBB2_20857:
	s_movk_i32 s4, 0x80
	v_cmp_eq_u16_sdwa s[12:13], v9, s4 src0_sel:BYTE_3 src1_sel:DWORD
	s_mov_b64 s[4:5], -1
                                        ; implicit-def: $sgpr10
	s_and_saveexec_b64 s[8:9], s[12:13]
; %bb.20858:
	s_mov_b32 s10, 0x7f800001
	s_xor_b64 s[4:5], exec, -1
; %bb.20859:
	s_or_b64 exec, exec, s[8:9]
	s_and_b64 s[4:5], s[4:5], exec
	s_or_saveexec_b64 s[6:7], s[6:7]
	v_mov_b32_e32 v2, s10
	s_xor_b64 exec, exec, s[6:7]
	s_cbranch_execnz .LBB2_20860
; %bb.56697:
	s_getpc_b64 s[14:15]
.Lpost_getpc31932:
	s_add_u32 s14, s14, (.LBB2_6522-.Lpost_getpc31932)&4294967295
	s_addc_u32 s15, s15, (.LBB2_6522-.Lpost_getpc31932)>>32
	s_setpc_b64 s[14:15]
.LBB2_20860:
	v_mov_b32_e32 v2, 0
	v_cmp_ne_u16_sdwa s[8:9], v9, v2 src0_sel:BYTE_3 src1_sel:DWORD
	s_andn2_b64 s[4:5], s[4:5], exec
	s_and_b64 s[8:9], s[8:9], exec
	s_or_b64 s[4:5], s[4:5], s[8:9]
	s_or_b64 exec, exec, s[6:7]
	s_and_saveexec_b64 s[6:7], s[4:5]
	s_cbranch_execz .LBB2_31933
; %bb.56699:
	s_getpc_b64 s[14:15]
.Lpost_getpc31933:
	s_add_u32 s14, s14, (.LBB2_6523-.Lpost_getpc31933)&4294967295
	s_addc_u32 s15, s15, (.LBB2_6523-.Lpost_getpc31933)>>32
	s_setpc_b64 s[14:15]
.LBB2_31933:
	s_getpc_b64 s[14:15]
.Lpost_getpc19550:
	s_add_u32 s14, s14, (.LBB2_6524-.Lpost_getpc19550)&4294967295
	s_addc_u32 s15, s15, (.LBB2_6524-.Lpost_getpc19550)>>32
	s_setpc_b64 s[14:15]
.LBB2_20861:
	s_movk_i32 s4, 0x80
	v_cmp_eq_u16_sdwa s[12:13], v5, s4 src0_sel:BYTE_3 src1_sel:DWORD
	s_mov_b64 s[4:5], -1
                                        ; implicit-def: $sgpr10
	s_and_saveexec_b64 s[8:9], s[12:13]
; %bb.20862:
	s_mov_b32 s10, 0x7f800001
	s_xor_b64 s[4:5], exec, -1
; %bb.20863:
	s_or_b64 exec, exec, s[8:9]
	s_and_b64 s[4:5], s[4:5], exec
	s_or_saveexec_b64 s[6:7], s[6:7]
	v_mov_b32_e32 v3, s10
	s_xor_b64 exec, exec, s[6:7]
	s_cbranch_execnz .LBB2_20864
; %bb.56701:
	s_getpc_b64 s[14:15]
.Lpost_getpc31934:
	s_add_u32 s14, s14, (.LBB2_6526-.Lpost_getpc31934)&4294967295
	s_addc_u32 s15, s15, (.LBB2_6526-.Lpost_getpc31934)>>32
	s_setpc_b64 s[14:15]
.LBB2_20864:
	v_mov_b32_e32 v3, 0
	v_cmp_ne_u16_sdwa s[8:9], v5, v3 src0_sel:BYTE_3 src1_sel:DWORD
	s_andn2_b64 s[4:5], s[4:5], exec
	s_and_b64 s[8:9], s[8:9], exec
	s_or_b64 s[4:5], s[4:5], s[8:9]
	s_or_b64 exec, exec, s[6:7]
	s_and_saveexec_b64 s[6:7], s[4:5]
	s_cbranch_execz .LBB2_31935
; %bb.56703:
	s_getpc_b64 s[14:15]
.Lpost_getpc31935:
	s_add_u32 s14, s14, (.LBB2_6527-.Lpost_getpc31935)&4294967295
	s_addc_u32 s15, s15, (.LBB2_6527-.Lpost_getpc31935)>>32
	s_setpc_b64 s[14:15]
.LBB2_31935:
	s_getpc_b64 s[14:15]
.Lpost_getpc19551:
	s_add_u32 s14, s14, (.LBB2_6528-.Lpost_getpc19551)&4294967295
	s_addc_u32 s15, s15, (.LBB2_6528-.Lpost_getpc19551)>>32
	s_setpc_b64 s[14:15]
.LBB2_20865:
	s_movk_i32 s4, 0x80
	v_cmp_eq_u16_sdwa s[12:13], v6, s4 src0_sel:BYTE_0 src1_sel:DWORD
	s_mov_b64 s[4:5], -1
                                        ; implicit-def: $sgpr10
	s_and_saveexec_b64 s[8:9], s[12:13]
; %bb.20866:
	s_mov_b32 s10, 0x7f800001
	s_xor_b64 s[4:5], exec, -1
; %bb.20867:
	s_or_b64 exec, exec, s[8:9]
	s_and_b64 s[4:5], s[4:5], exec
	s_or_saveexec_b64 s[6:7], s[6:7]
	v_mov_b32_e32 v12, s10
	s_xor_b64 exec, exec, s[6:7]
	s_cbranch_execnz .LBB2_20868
; %bb.56705:
	s_getpc_b64 s[14:15]
.Lpost_getpc31936:
	s_add_u32 s14, s14, (.LBB2_6530-.Lpost_getpc31936)&4294967295
	s_addc_u32 s15, s15, (.LBB2_6530-.Lpost_getpc31936)>>32
	s_setpc_b64 s[14:15]
.LBB2_20868:
	v_mov_b32_e32 v12, 0
	v_cmp_ne_u16_sdwa s[8:9], v6, v12 src0_sel:BYTE_0 src1_sel:DWORD
	s_andn2_b64 s[4:5], s[4:5], exec
	s_and_b64 s[8:9], s[8:9], exec
	s_or_b64 s[4:5], s[4:5], s[8:9]
	s_or_b64 exec, exec, s[6:7]
	s_and_saveexec_b64 s[6:7], s[4:5]
	s_cbranch_execz .LBB2_31937
; %bb.56707:
	s_getpc_b64 s[14:15]
.Lpost_getpc31937:
	s_add_u32 s14, s14, (.LBB2_6531-.Lpost_getpc31937)&4294967295
	s_addc_u32 s15, s15, (.LBB2_6531-.Lpost_getpc31937)>>32
	s_setpc_b64 s[14:15]
.LBB2_31937:
	s_getpc_b64 s[14:15]
.Lpost_getpc19552:
	s_add_u32 s14, s14, (.LBB2_6532-.Lpost_getpc19552)&4294967295
	s_addc_u32 s15, s15, (.LBB2_6532-.Lpost_getpc19552)>>32
	s_setpc_b64 s[14:15]
.LBB2_20869:
	s_movk_i32 s4, 0x80
	v_cmp_eq_u16_sdwa s[12:13], v2, s4 src0_sel:BYTE_0 src1_sel:DWORD
	s_mov_b64 s[4:5], -1
                                        ; implicit-def: $sgpr10
	s_and_saveexec_b64 s[8:9], s[12:13]
; %bb.20870:
	s_mov_b32 s10, 0x7f800001
	s_xor_b64 s[4:5], exec, -1
; %bb.20871:
	s_or_b64 exec, exec, s[8:9]
	s_and_b64 s[4:5], s[4:5], exec
	s_or_saveexec_b64 s[6:7], s[6:7]
	v_mov_b32_e32 v13, s10
	s_xor_b64 exec, exec, s[6:7]
	s_cbranch_execnz .LBB2_20872
; %bb.56709:
	s_getpc_b64 s[14:15]
.Lpost_getpc31938:
	s_add_u32 s14, s14, (.LBB2_6534-.Lpost_getpc31938)&4294967295
	s_addc_u32 s15, s15, (.LBB2_6534-.Lpost_getpc31938)>>32
	s_setpc_b64 s[14:15]
.LBB2_20872:
	v_mov_b32_e32 v13, 0
	v_cmp_ne_u16_sdwa s[8:9], v2, v13 src0_sel:BYTE_0 src1_sel:DWORD
	s_andn2_b64 s[4:5], s[4:5], exec
	s_and_b64 s[8:9], s[8:9], exec
	s_or_b64 s[4:5], s[4:5], s[8:9]
	s_or_b64 exec, exec, s[6:7]
	s_and_saveexec_b64 s[6:7], s[4:5]
	s_cbranch_execz .LBB2_31939
; %bb.56711:
	s_getpc_b64 s[14:15]
.Lpost_getpc31939:
	s_add_u32 s14, s14, (.LBB2_6535-.Lpost_getpc31939)&4294967295
	s_addc_u32 s15, s15, (.LBB2_6535-.Lpost_getpc31939)>>32
	s_setpc_b64 s[14:15]
.LBB2_31939:
	s_getpc_b64 s[14:15]
.Lpost_getpc19553:
	s_add_u32 s14, s14, (.LBB2_6536-.Lpost_getpc19553)&4294967295
	s_addc_u32 s15, s15, (.LBB2_6536-.Lpost_getpc19553)>>32
	s_setpc_b64 s[14:15]
.LBB2_20873:
	s_movk_i32 s4, 0x80
	v_cmp_eq_u16_sdwa s[12:13], v13, s4 src0_sel:BYTE_0 src1_sel:DWORD
	s_mov_b64 s[4:5], -1
                                        ; implicit-def: $sgpr10
	s_and_saveexec_b64 s[8:9], s[12:13]
; %bb.20874:
	s_mov_b32 s10, 0x7f800001
	s_xor_b64 s[4:5], exec, -1
; %bb.20875:
	s_or_b64 exec, exec, s[8:9]
	s_and_b64 s[4:5], s[4:5], exec
	s_or_saveexec_b64 s[6:7], s[6:7]
	v_mov_b32_e32 v12, s10
	s_xor_b64 exec, exec, s[6:7]
	s_cbranch_execnz .LBB2_20876
; %bb.56713:
	s_getpc_b64 s[14:15]
.Lpost_getpc31940:
	s_add_u32 s14, s14, (.LBB2_6538-.Lpost_getpc31940)&4294967295
	s_addc_u32 s15, s15, (.LBB2_6538-.Lpost_getpc31940)>>32
	s_setpc_b64 s[14:15]
.LBB2_20876:
	v_mov_b32_e32 v12, 0
	v_cmp_ne_u16_sdwa s[8:9], v13, v12 src0_sel:BYTE_0 src1_sel:DWORD
	s_andn2_b64 s[4:5], s[4:5], exec
	s_and_b64 s[8:9], s[8:9], exec
	s_or_b64 s[4:5], s[4:5], s[8:9]
	s_or_b64 exec, exec, s[6:7]
	s_and_saveexec_b64 s[6:7], s[4:5]
	s_cbranch_execz .LBB2_31941
; %bb.56715:
	s_getpc_b64 s[14:15]
.Lpost_getpc31941:
	s_add_u32 s14, s14, (.LBB2_6539-.Lpost_getpc31941)&4294967295
	s_addc_u32 s15, s15, (.LBB2_6539-.Lpost_getpc31941)>>32
	s_setpc_b64 s[14:15]
.LBB2_31941:
	s_getpc_b64 s[14:15]
.Lpost_getpc19554:
	s_add_u32 s14, s14, (.LBB2_6540-.Lpost_getpc19554)&4294967295
	s_addc_u32 s15, s15, (.LBB2_6540-.Lpost_getpc19554)>>32
	s_setpc_b64 s[14:15]
.LBB2_20877:
	s_movk_i32 s4, 0x80
	v_cmp_eq_u16_sdwa s[12:13], v13, s4 src0_sel:BYTE_0 src1_sel:DWORD
	s_mov_b64 s[4:5], -1
                                        ; implicit-def: $sgpr10
	s_and_saveexec_b64 s[8:9], s[12:13]
; %bb.20878:
	s_mov_b32 s10, 0x7f800001
	s_xor_b64 s[4:5], exec, -1
; %bb.20879:
	s_or_b64 exec, exec, s[8:9]
	s_and_b64 s[4:5], s[4:5], exec
	s_or_saveexec_b64 s[6:7], s[6:7]
	v_mov_b32_e32 v14, s10
	s_xor_b64 exec, exec, s[6:7]
	s_cbranch_execnz .LBB2_20880
; %bb.56717:
	s_getpc_b64 s[14:15]
.Lpost_getpc31942:
	s_add_u32 s14, s14, (.LBB2_6542-.Lpost_getpc31942)&4294967295
	s_addc_u32 s15, s15, (.LBB2_6542-.Lpost_getpc31942)>>32
	s_setpc_b64 s[14:15]
.LBB2_20880:
	v_mov_b32_e32 v14, 0
	v_cmp_ne_u16_sdwa s[8:9], v13, v14 src0_sel:BYTE_0 src1_sel:DWORD
	s_andn2_b64 s[4:5], s[4:5], exec
	s_and_b64 s[8:9], s[8:9], exec
	s_or_b64 s[4:5], s[4:5], s[8:9]
	s_or_b64 exec, exec, s[6:7]
	s_and_saveexec_b64 s[6:7], s[4:5]
	s_cbranch_execz .LBB2_31943
; %bb.56719:
	s_getpc_b64 s[14:15]
.Lpost_getpc31943:
	s_add_u32 s14, s14, (.LBB2_6543-.Lpost_getpc31943)&4294967295
	s_addc_u32 s15, s15, (.LBB2_6543-.Lpost_getpc31943)>>32
	s_setpc_b64 s[14:15]
.LBB2_31943:
	s_getpc_b64 s[14:15]
.Lpost_getpc19555:
	s_add_u32 s14, s14, (.LBB2_6544-.Lpost_getpc19555)&4294967295
	s_addc_u32 s15, s15, (.LBB2_6544-.Lpost_getpc19555)>>32
	s_setpc_b64 s[14:15]
.LBB2_20881:
	s_movk_i32 s4, 0x80
	v_cmp_eq_u16_e32 vcc, s4, v13
	s_mov_b64 s[4:5], -1
                                        ; implicit-def: $sgpr10
	s_and_saveexec_b64 s[8:9], vcc
; %bb.20882:
	s_mov_b32 s10, 0x7f800001
	s_xor_b64 s[4:5], exec, -1
; %bb.20883:
	s_or_b64 exec, exec, s[8:9]
	s_and_b64 s[4:5], s[4:5], exec
                                        ; implicit-def: $vgpr13
	s_or_saveexec_b64 s[6:7], s[6:7]
	v_mov_b32_e32 v12, s10
	s_xor_b64 exec, exec, s[6:7]
	s_cbranch_execnz .LBB2_20884
; %bb.56721:
	s_getpc_b64 s[14:15]
.Lpost_getpc31944:
	s_add_u32 s14, s14, (.LBB2_6546-.Lpost_getpc31944)&4294967295
	s_addc_u32 s15, s15, (.LBB2_6546-.Lpost_getpc31944)>>32
	s_setpc_b64 s[14:15]
.LBB2_20884:
	v_cmp_ne_u16_e32 vcc, 0, v13
	s_andn2_b64 s[4:5], s[4:5], exec
	s_and_b64 s[8:9], vcc, exec
	v_mov_b32_e32 v12, 0
	s_or_b64 s[4:5], s[4:5], s[8:9]
	s_or_b64 exec, exec, s[6:7]
	s_and_saveexec_b64 s[6:7], s[4:5]
	s_cbranch_execz .LBB2_31945
; %bb.56723:
	s_getpc_b64 s[14:15]
.Lpost_getpc31945:
	s_add_u32 s14, s14, (.LBB2_6547-.Lpost_getpc31945)&4294967295
	s_addc_u32 s15, s15, (.LBB2_6547-.Lpost_getpc31945)>>32
	s_setpc_b64 s[14:15]
.LBB2_31945:
	s_getpc_b64 s[14:15]
.Lpost_getpc19556:
	s_add_u32 s14, s14, (.LBB2_6548-.Lpost_getpc19556)&4294967295
	s_addc_u32 s15, s15, (.LBB2_6548-.Lpost_getpc19556)>>32
	s_setpc_b64 s[14:15]
.LBB2_20885:
	s_movk_i32 s4, 0x80
	v_cmp_eq_u16_e32 vcc, s4, v13
	s_mov_b64 s[4:5], -1
                                        ; implicit-def: $sgpr10
	s_and_saveexec_b64 s[8:9], vcc
; %bb.20886:
	s_mov_b32 s10, 0x7f800001
	s_xor_b64 s[4:5], exec, -1
; %bb.20887:
	s_or_b64 exec, exec, s[8:9]
	s_and_b64 s[4:5], s[4:5], exec
                                        ; implicit-def: $vgpr13
	s_or_saveexec_b64 s[6:7], s[6:7]
	v_mov_b32_e32 v14, s10
	s_xor_b64 exec, exec, s[6:7]
	s_cbranch_execnz .LBB2_20888
; %bb.56725:
	s_getpc_b64 s[14:15]
.Lpost_getpc31946:
	s_add_u32 s14, s14, (.LBB2_6550-.Lpost_getpc31946)&4294967295
	s_addc_u32 s15, s15, (.LBB2_6550-.Lpost_getpc31946)>>32
	s_setpc_b64 s[14:15]
.LBB2_20888:
	v_cmp_ne_u16_e32 vcc, 0, v13
	s_andn2_b64 s[4:5], s[4:5], exec
	s_and_b64 s[8:9], vcc, exec
	v_mov_b32_e32 v14, 0
	s_or_b64 s[4:5], s[4:5], s[8:9]
	s_or_b64 exec, exec, s[6:7]
	s_and_saveexec_b64 s[6:7], s[4:5]
	s_cbranch_execz .LBB2_31947
; %bb.56727:
	s_getpc_b64 s[14:15]
.Lpost_getpc31947:
	s_add_u32 s14, s14, (.LBB2_6551-.Lpost_getpc31947)&4294967295
	s_addc_u32 s15, s15, (.LBB2_6551-.Lpost_getpc31947)>>32
	s_setpc_b64 s[14:15]
.LBB2_31947:
	s_getpc_b64 s[14:15]
.Lpost_getpc19557:
	s_add_u32 s14, s14, (.LBB2_6552-.Lpost_getpc19557)&4294967295
	s_addc_u32 s15, s15, (.LBB2_6552-.Lpost_getpc19557)>>32
	s_setpc_b64 s[14:15]
.LBB2_20889:
	s_movk_i32 s4, 0x80
	v_cmp_eq_u16_sdwa s[12:13], v6, s4 src0_sel:BYTE_3 src1_sel:DWORD
	s_mov_b64 s[4:5], -1
                                        ; implicit-def: $sgpr10
	s_and_saveexec_b64 s[8:9], s[12:13]
; %bb.20890:
	s_mov_b32 s10, 0x7f800001
	s_xor_b64 s[4:5], exec, -1
; %bb.20891:
	s_or_b64 exec, exec, s[8:9]
	s_and_b64 s[4:5], s[4:5], exec
	s_or_saveexec_b64 s[6:7], s[6:7]
	v_mov_b32_e32 v12, s10
	s_xor_b64 exec, exec, s[6:7]
	s_cbranch_execnz .LBB2_20892
; %bb.56729:
	s_getpc_b64 s[14:15]
.Lpost_getpc31948:
	s_add_u32 s14, s14, (.LBB2_6554-.Lpost_getpc31948)&4294967295
	s_addc_u32 s15, s15, (.LBB2_6554-.Lpost_getpc31948)>>32
	s_setpc_b64 s[14:15]
.LBB2_20892:
	v_mov_b32_e32 v12, 0
	v_cmp_ne_u16_sdwa s[8:9], v6, v12 src0_sel:BYTE_3 src1_sel:DWORD
	s_andn2_b64 s[4:5], s[4:5], exec
	s_and_b64 s[8:9], s[8:9], exec
	s_or_b64 s[4:5], s[4:5], s[8:9]
	s_or_b64 exec, exec, s[6:7]
	s_and_saveexec_b64 s[6:7], s[4:5]
	s_cbranch_execz .LBB2_31949
; %bb.56731:
	s_getpc_b64 s[14:15]
.Lpost_getpc31949:
	s_add_u32 s14, s14, (.LBB2_6555-.Lpost_getpc31949)&4294967295
	s_addc_u32 s15, s15, (.LBB2_6555-.Lpost_getpc31949)>>32
	s_setpc_b64 s[14:15]
.LBB2_31949:
	s_getpc_b64 s[14:15]
.Lpost_getpc19558:
	s_add_u32 s14, s14, (.LBB2_6556-.Lpost_getpc19558)&4294967295
	s_addc_u32 s15, s15, (.LBB2_6556-.Lpost_getpc19558)>>32
	s_setpc_b64 s[14:15]
.LBB2_20893:
	s_movk_i32 s4, 0x80
	v_cmp_eq_u16_sdwa s[12:13], v2, s4 src0_sel:BYTE_3 src1_sel:DWORD
	s_mov_b64 s[4:5], -1
                                        ; implicit-def: $sgpr10
	s_and_saveexec_b64 s[8:9], s[12:13]
; %bb.20894:
	s_mov_b32 s10, 0x7f800001
	s_xor_b64 s[4:5], exec, -1
; %bb.20895:
	s_or_b64 exec, exec, s[8:9]
	s_and_b64 s[4:5], s[4:5], exec
	s_or_saveexec_b64 s[6:7], s[6:7]
	v_mov_b32_e32 v6, s10
	s_xor_b64 exec, exec, s[6:7]
	s_cbranch_execnz .LBB2_20896
; %bb.56733:
	s_getpc_b64 s[14:15]
.Lpost_getpc31950:
	s_add_u32 s14, s14, (.LBB2_6558-.Lpost_getpc31950)&4294967295
	s_addc_u32 s15, s15, (.LBB2_6558-.Lpost_getpc31950)>>32
	s_setpc_b64 s[14:15]
.LBB2_20896:
	v_mov_b32_e32 v6, 0
	v_cmp_ne_u16_sdwa s[8:9], v2, v6 src0_sel:BYTE_3 src1_sel:DWORD
	s_andn2_b64 s[4:5], s[4:5], exec
	s_and_b64 s[8:9], s[8:9], exec
	s_or_b64 s[4:5], s[4:5], s[8:9]
	s_or_b64 exec, exec, s[6:7]
	s_and_saveexec_b64 s[6:7], s[4:5]
	s_cbranch_execz .LBB2_31951
; %bb.56735:
	s_getpc_b64 s[14:15]
.Lpost_getpc31951:
	s_add_u32 s14, s14, (.LBB2_6559-.Lpost_getpc31951)&4294967295
	s_addc_u32 s15, s15, (.LBB2_6559-.Lpost_getpc31951)>>32
	s_setpc_b64 s[14:15]
.LBB2_31951:
	s_getpc_b64 s[14:15]
.Lpost_getpc19559:
	s_add_u32 s14, s14, (.LBB2_6560-.Lpost_getpc19559)&4294967295
	s_addc_u32 s15, s15, (.LBB2_6560-.Lpost_getpc19559)>>32
	s_setpc_b64 s[14:15]
.LBB2_20897:
	s_movk_i32 s4, 0x80
	v_cmp_eq_u16_sdwa s[12:13], v7, s4 src0_sel:BYTE_0 src1_sel:DWORD
	s_mov_b64 s[4:5], -1
                                        ; implicit-def: $sgpr10
	s_and_saveexec_b64 s[8:9], s[12:13]
; %bb.20898:
	s_mov_b32 s10, 0x7f800001
	s_xor_b64 s[4:5], exec, -1
; %bb.20899:
	s_or_b64 exec, exec, s[8:9]
	s_and_b64 s[4:5], s[4:5], exec
	s_or_saveexec_b64 s[6:7], s[6:7]
	v_mov_b32_e32 v2, s10
	s_xor_b64 exec, exec, s[6:7]
	s_cbranch_execnz .LBB2_20900
; %bb.56737:
	s_getpc_b64 s[14:15]
.Lpost_getpc31952:
	s_add_u32 s14, s14, (.LBB2_6562-.Lpost_getpc31952)&4294967295
	s_addc_u32 s15, s15, (.LBB2_6562-.Lpost_getpc31952)>>32
	s_setpc_b64 s[14:15]
.LBB2_20900:
	v_mov_b32_e32 v2, 0
	v_cmp_ne_u16_sdwa s[8:9], v7, v2 src0_sel:BYTE_0 src1_sel:DWORD
	s_andn2_b64 s[4:5], s[4:5], exec
	s_and_b64 s[8:9], s[8:9], exec
	s_or_b64 s[4:5], s[4:5], s[8:9]
	s_or_b64 exec, exec, s[6:7]
	s_and_saveexec_b64 s[6:7], s[4:5]
	s_cbranch_execz .LBB2_31953
; %bb.56739:
	s_getpc_b64 s[14:15]
.Lpost_getpc31953:
	s_add_u32 s14, s14, (.LBB2_6563-.Lpost_getpc31953)&4294967295
	s_addc_u32 s15, s15, (.LBB2_6563-.Lpost_getpc31953)>>32
	s_setpc_b64 s[14:15]
.LBB2_31953:
	s_getpc_b64 s[14:15]
.Lpost_getpc19560:
	s_add_u32 s14, s14, (.LBB2_6564-.Lpost_getpc19560)&4294967295
	s_addc_u32 s15, s15, (.LBB2_6564-.Lpost_getpc19560)>>32
	s_setpc_b64 s[14:15]
.LBB2_20901:
	s_movk_i32 s4, 0x80
	v_cmp_eq_u16_sdwa s[12:13], v3, s4 src0_sel:BYTE_0 src1_sel:DWORD
	s_mov_b64 s[4:5], -1
                                        ; implicit-def: $sgpr10
	s_and_saveexec_b64 s[8:9], s[12:13]
; %bb.20902:
	s_mov_b32 s10, 0x7f800001
	s_xor_b64 s[4:5], exec, -1
; %bb.20903:
	s_or_b64 exec, exec, s[8:9]
	s_and_b64 s[4:5], s[4:5], exec
	s_or_saveexec_b64 s[6:7], s[6:7]
	v_mov_b32_e32 v6, s10
	s_xor_b64 exec, exec, s[6:7]
	s_cbranch_execnz .LBB2_20904
; %bb.56741:
	s_getpc_b64 s[14:15]
.Lpost_getpc31954:
	s_add_u32 s14, s14, (.LBB2_6566-.Lpost_getpc31954)&4294967295
	s_addc_u32 s15, s15, (.LBB2_6566-.Lpost_getpc31954)>>32
	s_setpc_b64 s[14:15]
.LBB2_20904:
	v_mov_b32_e32 v6, 0
	v_cmp_ne_u16_sdwa s[8:9], v3, v6 src0_sel:BYTE_0 src1_sel:DWORD
	s_andn2_b64 s[4:5], s[4:5], exec
	s_and_b64 s[8:9], s[8:9], exec
	s_or_b64 s[4:5], s[4:5], s[8:9]
	s_or_b64 exec, exec, s[6:7]
	s_and_saveexec_b64 s[6:7], s[4:5]
	s_cbranch_execz .LBB2_31955
; %bb.56743:
	s_getpc_b64 s[14:15]
.Lpost_getpc31955:
	s_add_u32 s14, s14, (.LBB2_6567-.Lpost_getpc31955)&4294967295
	s_addc_u32 s15, s15, (.LBB2_6567-.Lpost_getpc31955)>>32
	s_setpc_b64 s[14:15]
.LBB2_31955:
	s_getpc_b64 s[14:15]
.Lpost_getpc19561:
	s_add_u32 s14, s14, (.LBB2_6568-.Lpost_getpc19561)&4294967295
	s_addc_u32 s15, s15, (.LBB2_6568-.Lpost_getpc19561)>>32
	s_setpc_b64 s[14:15]
.LBB2_20905:
	s_movk_i32 s4, 0x80
	v_cmp_eq_u16_sdwa s[12:13], v6, s4 src0_sel:BYTE_0 src1_sel:DWORD
	s_mov_b64 s[4:5], -1
                                        ; implicit-def: $sgpr10
	s_and_saveexec_b64 s[8:9], s[12:13]
; %bb.20906:
	s_mov_b32 s10, 0x7f800001
	s_xor_b64 s[4:5], exec, -1
; %bb.20907:
	s_or_b64 exec, exec, s[8:9]
	s_and_b64 s[4:5], s[4:5], exec
	s_or_saveexec_b64 s[6:7], s[6:7]
	v_mov_b32_e32 v2, s10
	s_xor_b64 exec, exec, s[6:7]
	s_cbranch_execnz .LBB2_20908
; %bb.56745:
	s_getpc_b64 s[14:15]
.Lpost_getpc31956:
	s_add_u32 s14, s14, (.LBB2_6570-.Lpost_getpc31956)&4294967295
	s_addc_u32 s15, s15, (.LBB2_6570-.Lpost_getpc31956)>>32
	s_setpc_b64 s[14:15]
.LBB2_20908:
	v_mov_b32_e32 v2, 0
	v_cmp_ne_u16_sdwa s[8:9], v6, v2 src0_sel:BYTE_0 src1_sel:DWORD
	s_andn2_b64 s[4:5], s[4:5], exec
	s_and_b64 s[8:9], s[8:9], exec
	s_or_b64 s[4:5], s[4:5], s[8:9]
	s_or_b64 exec, exec, s[6:7]
	s_and_saveexec_b64 s[6:7], s[4:5]
	s_cbranch_execz .LBB2_31957
; %bb.56747:
	s_getpc_b64 s[14:15]
.Lpost_getpc31957:
	s_add_u32 s14, s14, (.LBB2_6571-.Lpost_getpc31957)&4294967295
	s_addc_u32 s15, s15, (.LBB2_6571-.Lpost_getpc31957)>>32
	s_setpc_b64 s[14:15]
.LBB2_31957:
	s_getpc_b64 s[14:15]
.Lpost_getpc19562:
	s_add_u32 s14, s14, (.LBB2_6572-.Lpost_getpc19562)&4294967295
	s_addc_u32 s15, s15, (.LBB2_6572-.Lpost_getpc19562)>>32
	s_setpc_b64 s[14:15]
.LBB2_20909:
	s_movk_i32 s4, 0x80
	v_cmp_eq_u16_sdwa s[12:13], v6, s4 src0_sel:BYTE_0 src1_sel:DWORD
	s_mov_b64 s[4:5], -1
                                        ; implicit-def: $sgpr10
	s_and_saveexec_b64 s[8:9], s[12:13]
; %bb.20910:
	s_mov_b32 s10, 0x7f800001
	s_xor_b64 s[4:5], exec, -1
; %bb.20911:
	s_or_b64 exec, exec, s[8:9]
	s_and_b64 s[4:5], s[4:5], exec
	s_or_saveexec_b64 s[6:7], s[6:7]
	v_mov_b32_e32 v12, s10
	s_xor_b64 exec, exec, s[6:7]
	s_cbranch_execnz .LBB2_20912
; %bb.56749:
	s_getpc_b64 s[14:15]
.Lpost_getpc31958:
	s_add_u32 s14, s14, (.LBB2_6574-.Lpost_getpc31958)&4294967295
	s_addc_u32 s15, s15, (.LBB2_6574-.Lpost_getpc31958)>>32
	s_setpc_b64 s[14:15]
.LBB2_20912:
	v_mov_b32_e32 v12, 0
	v_cmp_ne_u16_sdwa s[8:9], v6, v12 src0_sel:BYTE_0 src1_sel:DWORD
	s_andn2_b64 s[4:5], s[4:5], exec
	s_and_b64 s[8:9], s[8:9], exec
	s_or_b64 s[4:5], s[4:5], s[8:9]
	s_or_b64 exec, exec, s[6:7]
	s_and_saveexec_b64 s[6:7], s[4:5]
	s_cbranch_execz .LBB2_31959
; %bb.56751:
	s_getpc_b64 s[14:15]
.Lpost_getpc31959:
	s_add_u32 s14, s14, (.LBB2_6575-.Lpost_getpc31959)&4294967295
	s_addc_u32 s15, s15, (.LBB2_6575-.Lpost_getpc31959)>>32
	s_setpc_b64 s[14:15]
.LBB2_31959:
	s_getpc_b64 s[14:15]
.Lpost_getpc19563:
	s_add_u32 s14, s14, (.LBB2_6576-.Lpost_getpc19563)&4294967295
	s_addc_u32 s15, s15, (.LBB2_6576-.Lpost_getpc19563)>>32
	s_setpc_b64 s[14:15]
.LBB2_20913:
	s_movk_i32 s4, 0x80
	v_cmp_eq_u16_e32 vcc, s4, v6
	s_mov_b64 s[4:5], -1
                                        ; implicit-def: $sgpr10
	s_and_saveexec_b64 s[8:9], vcc
; %bb.20914:
	s_mov_b32 s10, 0x7f800001
	s_xor_b64 s[4:5], exec, -1
; %bb.20915:
	s_or_b64 exec, exec, s[8:9]
	s_and_b64 s[4:5], s[4:5], exec
                                        ; implicit-def: $vgpr6
	s_or_saveexec_b64 s[6:7], s[6:7]
	v_mov_b32_e32 v2, s10
	s_xor_b64 exec, exec, s[6:7]
	s_cbranch_execnz .LBB2_20916
; %bb.56753:
	s_getpc_b64 s[14:15]
.Lpost_getpc31960:
	s_add_u32 s14, s14, (.LBB2_6578-.Lpost_getpc31960)&4294967295
	s_addc_u32 s15, s15, (.LBB2_6578-.Lpost_getpc31960)>>32
	s_setpc_b64 s[14:15]
.LBB2_20916:
	v_cmp_ne_u16_e32 vcc, 0, v6
	s_andn2_b64 s[4:5], s[4:5], exec
	s_and_b64 s[8:9], vcc, exec
	v_mov_b32_e32 v2, 0
	s_or_b64 s[4:5], s[4:5], s[8:9]
	s_or_b64 exec, exec, s[6:7]
	s_and_saveexec_b64 s[6:7], s[4:5]
	s_cbranch_execz .LBB2_31961
; %bb.56755:
	s_getpc_b64 s[14:15]
.Lpost_getpc31961:
	s_add_u32 s14, s14, (.LBB2_6579-.Lpost_getpc31961)&4294967295
	s_addc_u32 s15, s15, (.LBB2_6579-.Lpost_getpc31961)>>32
	s_setpc_b64 s[14:15]
.LBB2_31961:
	s_getpc_b64 s[14:15]
.Lpost_getpc19564:
	s_add_u32 s14, s14, (.LBB2_6580-.Lpost_getpc19564)&4294967295
	s_addc_u32 s15, s15, (.LBB2_6580-.Lpost_getpc19564)>>32
	s_setpc_b64 s[14:15]
.LBB2_20917:
	s_movk_i32 s4, 0x80
	v_cmp_eq_u16_e32 vcc, s4, v6
	s_mov_b64 s[4:5], -1
                                        ; implicit-def: $sgpr10
	s_and_saveexec_b64 s[8:9], vcc
; %bb.20918:
	s_mov_b32 s10, 0x7f800001
	s_xor_b64 s[4:5], exec, -1
; %bb.20919:
	s_or_b64 exec, exec, s[8:9]
	s_and_b64 s[4:5], s[4:5], exec
                                        ; implicit-def: $vgpr6
	s_or_saveexec_b64 s[6:7], s[6:7]
	v_mov_b32_e32 v12, s10
	s_xor_b64 exec, exec, s[6:7]
	s_cbranch_execnz .LBB2_20920
; %bb.56757:
	s_getpc_b64 s[14:15]
.Lpost_getpc31962:
	s_add_u32 s14, s14, (.LBB2_6582-.Lpost_getpc31962)&4294967295
	s_addc_u32 s15, s15, (.LBB2_6582-.Lpost_getpc31962)>>32
	s_setpc_b64 s[14:15]
.LBB2_20920:
	v_cmp_ne_u16_e32 vcc, 0, v6
	s_andn2_b64 s[4:5], s[4:5], exec
	s_and_b64 s[8:9], vcc, exec
	v_mov_b32_e32 v12, 0
	s_or_b64 s[4:5], s[4:5], s[8:9]
	s_or_b64 exec, exec, s[6:7]
	s_and_saveexec_b64 s[6:7], s[4:5]
	s_cbranch_execz .LBB2_31963
; %bb.56759:
	s_getpc_b64 s[14:15]
.Lpost_getpc31963:
	s_add_u32 s14, s14, (.LBB2_6583-.Lpost_getpc31963)&4294967295
	s_addc_u32 s15, s15, (.LBB2_6583-.Lpost_getpc31963)>>32
	s_setpc_b64 s[14:15]
.LBB2_31963:
	s_getpc_b64 s[14:15]
.Lpost_getpc19565:
	s_add_u32 s14, s14, (.LBB2_6584-.Lpost_getpc19565)&4294967295
	s_addc_u32 s15, s15, (.LBB2_6584-.Lpost_getpc19565)>>32
	s_setpc_b64 s[14:15]
.LBB2_20921:
	s_movk_i32 s4, 0x80
	v_cmp_eq_u16_sdwa s[12:13], v7, s4 src0_sel:BYTE_3 src1_sel:DWORD
	s_mov_b64 s[4:5], -1
                                        ; implicit-def: $sgpr10
	s_and_saveexec_b64 s[8:9], s[12:13]
; %bb.20922:
	s_mov_b32 s10, 0x7f800001
	s_xor_b64 s[4:5], exec, -1
; %bb.20923:
	s_or_b64 exec, exec, s[8:9]
	s_and_b64 s[4:5], s[4:5], exec
	s_or_saveexec_b64 s[6:7], s[6:7]
	v_mov_b32_e32 v2, s10
	s_xor_b64 exec, exec, s[6:7]
	s_cbranch_execnz .LBB2_20924
; %bb.56761:
	s_getpc_b64 s[14:15]
.Lpost_getpc31964:
	s_add_u32 s14, s14, (.LBB2_6586-.Lpost_getpc31964)&4294967295
	s_addc_u32 s15, s15, (.LBB2_6586-.Lpost_getpc31964)>>32
	s_setpc_b64 s[14:15]
.LBB2_20924:
	v_mov_b32_e32 v2, 0
	v_cmp_ne_u16_sdwa s[8:9], v7, v2 src0_sel:BYTE_3 src1_sel:DWORD
	s_andn2_b64 s[4:5], s[4:5], exec
	s_and_b64 s[8:9], s[8:9], exec
	s_or_b64 s[4:5], s[4:5], s[8:9]
	s_or_b64 exec, exec, s[6:7]
	s_and_saveexec_b64 s[6:7], s[4:5]
	s_cbranch_execz .LBB2_31965
; %bb.56763:
	s_getpc_b64 s[14:15]
.Lpost_getpc31965:
	s_add_u32 s14, s14, (.LBB2_6587-.Lpost_getpc31965)&4294967295
	s_addc_u32 s15, s15, (.LBB2_6587-.Lpost_getpc31965)>>32
	s_setpc_b64 s[14:15]
.LBB2_31965:
	s_getpc_b64 s[14:15]
.Lpost_getpc19566:
	s_add_u32 s14, s14, (.LBB2_6588-.Lpost_getpc19566)&4294967295
	s_addc_u32 s15, s15, (.LBB2_6588-.Lpost_getpc19566)>>32
	s_setpc_b64 s[14:15]
.LBB2_20925:
	s_movk_i32 s4, 0x80
	v_cmp_eq_u16_sdwa s[12:13], v3, s4 src0_sel:BYTE_3 src1_sel:DWORD
	s_mov_b64 s[4:5], -1
                                        ; implicit-def: $sgpr10
	s_and_saveexec_b64 s[8:9], s[12:13]
; %bb.20926:
	s_mov_b32 s10, 0x7f800001
	s_xor_b64 s[4:5], exec, -1
; %bb.20927:
	s_or_b64 exec, exec, s[8:9]
	s_and_b64 s[4:5], s[4:5], exec
	s_or_saveexec_b64 s[6:7], s[6:7]
	v_mov_b32_e32 v6, s10
	s_xor_b64 exec, exec, s[6:7]
	s_cbranch_execnz .LBB2_20928
; %bb.56765:
	s_getpc_b64 s[14:15]
.Lpost_getpc31966:
	s_add_u32 s14, s14, (.LBB2_6590-.Lpost_getpc31966)&4294967295
	s_addc_u32 s15, s15, (.LBB2_6590-.Lpost_getpc31966)>>32
	s_setpc_b64 s[14:15]
.LBB2_20928:
	v_mov_b32_e32 v6, 0
	v_cmp_ne_u16_sdwa s[8:9], v3, v6 src0_sel:BYTE_3 src1_sel:DWORD
	s_andn2_b64 s[4:5], s[4:5], exec
	s_and_b64 s[8:9], s[8:9], exec
	s_or_b64 s[4:5], s[4:5], s[8:9]
	s_or_b64 exec, exec, s[6:7]
	s_and_saveexec_b64 s[6:7], s[4:5]
	s_cbranch_execz .LBB2_31967
; %bb.56767:
	s_getpc_b64 s[14:15]
.Lpost_getpc31967:
	s_add_u32 s14, s14, (.LBB2_6591-.Lpost_getpc31967)&4294967295
	s_addc_u32 s15, s15, (.LBB2_6591-.Lpost_getpc31967)>>32
	s_setpc_b64 s[14:15]
.LBB2_31967:
	s_getpc_b64 s[14:15]
.Lpost_getpc19567:
	s_add_u32 s14, s14, (.LBB2_6592-.Lpost_getpc19567)&4294967295
	s_addc_u32 s15, s15, (.LBB2_6592-.Lpost_getpc19567)>>32
	s_setpc_b64 s[14:15]
.LBB2_20929:
	s_movk_i32 s4, 0x80
	v_cmp_eq_u16_sdwa s[12:13], v8, s4 src0_sel:BYTE_0 src1_sel:DWORD
	s_mov_b64 s[4:5], -1
                                        ; implicit-def: $sgpr10
	s_and_saveexec_b64 s[8:9], s[12:13]
; %bb.20930:
	s_mov_b32 s10, 0x7f800001
	s_xor_b64 s[4:5], exec, -1
; %bb.20931:
	s_or_b64 exec, exec, s[8:9]
	s_and_b64 s[4:5], s[4:5], exec
	s_or_saveexec_b64 s[6:7], s[6:7]
	v_mov_b32_e32 v2, s10
	s_xor_b64 exec, exec, s[6:7]
	s_cbranch_execnz .LBB2_20932
; %bb.56769:
	s_getpc_b64 s[14:15]
.Lpost_getpc31968:
	s_add_u32 s14, s14, (.LBB2_6594-.Lpost_getpc31968)&4294967295
	s_addc_u32 s15, s15, (.LBB2_6594-.Lpost_getpc31968)>>32
	s_setpc_b64 s[14:15]
.LBB2_20932:
	v_mov_b32_e32 v2, 0
	v_cmp_ne_u16_sdwa s[8:9], v8, v2 src0_sel:BYTE_0 src1_sel:DWORD
	s_andn2_b64 s[4:5], s[4:5], exec
	s_and_b64 s[8:9], s[8:9], exec
	s_or_b64 s[4:5], s[4:5], s[8:9]
	s_or_b64 exec, exec, s[6:7]
	s_and_saveexec_b64 s[6:7], s[4:5]
	s_cbranch_execz .LBB2_31969
; %bb.56771:
	s_getpc_b64 s[14:15]
.Lpost_getpc31969:
	s_add_u32 s14, s14, (.LBB2_6595-.Lpost_getpc31969)&4294967295
	s_addc_u32 s15, s15, (.LBB2_6595-.Lpost_getpc31969)>>32
	s_setpc_b64 s[14:15]
.LBB2_31969:
	s_getpc_b64 s[14:15]
.Lpost_getpc19568:
	s_add_u32 s14, s14, (.LBB2_6596-.Lpost_getpc19568)&4294967295
	s_addc_u32 s15, s15, (.LBB2_6596-.Lpost_getpc19568)>>32
	s_setpc_b64 s[14:15]
.LBB2_20933:
	s_movk_i32 s4, 0x80
	v_cmp_eq_u16_sdwa s[12:13], v4, s4 src0_sel:BYTE_0 src1_sel:DWORD
	s_mov_b64 s[4:5], -1
                                        ; implicit-def: $sgpr10
	s_and_saveexec_b64 s[8:9], s[12:13]
; %bb.20934:
	s_mov_b32 s10, 0x7f800001
	s_xor_b64 s[4:5], exec, -1
; %bb.20935:
	s_or_b64 exec, exec, s[8:9]
	s_and_b64 s[4:5], s[4:5], exec
	s_or_saveexec_b64 s[6:7], s[6:7]
	v_mov_b32_e32 v3, s10
	s_xor_b64 exec, exec, s[6:7]
	s_cbranch_execnz .LBB2_20936
; %bb.56773:
	s_getpc_b64 s[14:15]
.Lpost_getpc31970:
	s_add_u32 s14, s14, (.LBB2_6598-.Lpost_getpc31970)&4294967295
	s_addc_u32 s15, s15, (.LBB2_6598-.Lpost_getpc31970)>>32
	s_setpc_b64 s[14:15]
.LBB2_20936:
	v_mov_b32_e32 v3, 0
	v_cmp_ne_u16_sdwa s[8:9], v4, v3 src0_sel:BYTE_0 src1_sel:DWORD
	s_andn2_b64 s[4:5], s[4:5], exec
	s_and_b64 s[8:9], s[8:9], exec
	s_or_b64 s[4:5], s[4:5], s[8:9]
	s_or_b64 exec, exec, s[6:7]
	s_and_saveexec_b64 s[6:7], s[4:5]
	s_cbranch_execz .LBB2_31971
; %bb.56775:
	s_getpc_b64 s[14:15]
.Lpost_getpc31971:
	s_add_u32 s14, s14, (.LBB2_6599-.Lpost_getpc31971)&4294967295
	s_addc_u32 s15, s15, (.LBB2_6599-.Lpost_getpc31971)>>32
	s_setpc_b64 s[14:15]
.LBB2_31971:
	s_getpc_b64 s[14:15]
.Lpost_getpc19569:
	s_add_u32 s14, s14, (.LBB2_6600-.Lpost_getpc19569)&4294967295
	s_addc_u32 s15, s15, (.LBB2_6600-.Lpost_getpc19569)>>32
	s_setpc_b64 s[14:15]
.LBB2_20937:
	s_movk_i32 s4, 0x80
	v_cmp_eq_u16_sdwa s[12:13], v3, s4 src0_sel:BYTE_0 src1_sel:DWORD
	s_mov_b64 s[4:5], -1
                                        ; implicit-def: $sgpr10
	s_and_saveexec_b64 s[8:9], s[12:13]
; %bb.20938:
	s_mov_b32 s10, 0x7f800001
	s_xor_b64 s[4:5], exec, -1
; %bb.20939:
	s_or_b64 exec, exec, s[8:9]
	s_and_b64 s[4:5], s[4:5], exec
	s_or_saveexec_b64 s[6:7], s[6:7]
	v_mov_b32_e32 v2, s10
	s_xor_b64 exec, exec, s[6:7]
	s_cbranch_execnz .LBB2_20940
; %bb.56777:
	s_getpc_b64 s[14:15]
.Lpost_getpc31972:
	s_add_u32 s14, s14, (.LBB2_6602-.Lpost_getpc31972)&4294967295
	s_addc_u32 s15, s15, (.LBB2_6602-.Lpost_getpc31972)>>32
	s_setpc_b64 s[14:15]
.LBB2_20940:
	v_mov_b32_e32 v2, 0
	v_cmp_ne_u16_sdwa s[8:9], v3, v2 src0_sel:BYTE_0 src1_sel:DWORD
	s_andn2_b64 s[4:5], s[4:5], exec
	s_and_b64 s[8:9], s[8:9], exec
	s_or_b64 s[4:5], s[4:5], s[8:9]
	s_or_b64 exec, exec, s[6:7]
	s_and_saveexec_b64 s[6:7], s[4:5]
	s_cbranch_execz .LBB2_31973
; %bb.56779:
	s_getpc_b64 s[14:15]
.Lpost_getpc31973:
	s_add_u32 s14, s14, (.LBB2_6603-.Lpost_getpc31973)&4294967295
	s_addc_u32 s15, s15, (.LBB2_6603-.Lpost_getpc31973)>>32
	s_setpc_b64 s[14:15]
.LBB2_31973:
	s_getpc_b64 s[14:15]
.Lpost_getpc19570:
	s_add_u32 s14, s14, (.LBB2_6604-.Lpost_getpc19570)&4294967295
	s_addc_u32 s15, s15, (.LBB2_6604-.Lpost_getpc19570)>>32
	s_setpc_b64 s[14:15]
.LBB2_20941:
	s_movk_i32 s4, 0x80
	v_cmp_eq_u16_sdwa s[12:13], v3, s4 src0_sel:BYTE_0 src1_sel:DWORD
	s_mov_b64 s[4:5], -1
                                        ; implicit-def: $sgpr10
	s_and_saveexec_b64 s[8:9], s[12:13]
; %bb.20942:
	s_mov_b32 s10, 0x7f800001
	s_xor_b64 s[4:5], exec, -1
; %bb.20943:
	s_or_b64 exec, exec, s[8:9]
	s_and_b64 s[4:5], s[4:5], exec
	s_or_saveexec_b64 s[6:7], s[6:7]
	v_mov_b32_e32 v6, s10
	s_xor_b64 exec, exec, s[6:7]
	s_cbranch_execnz .LBB2_20944
; %bb.56781:
	s_getpc_b64 s[14:15]
.Lpost_getpc31974:
	s_add_u32 s14, s14, (.LBB2_6606-.Lpost_getpc31974)&4294967295
	s_addc_u32 s15, s15, (.LBB2_6606-.Lpost_getpc31974)>>32
	s_setpc_b64 s[14:15]
.LBB2_20944:
	v_mov_b32_e32 v6, 0
	v_cmp_ne_u16_sdwa s[8:9], v3, v6 src0_sel:BYTE_0 src1_sel:DWORD
	s_andn2_b64 s[4:5], s[4:5], exec
	s_and_b64 s[8:9], s[8:9], exec
	s_or_b64 s[4:5], s[4:5], s[8:9]
	s_or_b64 exec, exec, s[6:7]
	s_and_saveexec_b64 s[6:7], s[4:5]
	s_cbranch_execz .LBB2_31975
; %bb.56783:
	s_getpc_b64 s[14:15]
.Lpost_getpc31975:
	s_add_u32 s14, s14, (.LBB2_6607-.Lpost_getpc31975)&4294967295
	s_addc_u32 s15, s15, (.LBB2_6607-.Lpost_getpc31975)>>32
	s_setpc_b64 s[14:15]
.LBB2_31975:
	s_getpc_b64 s[14:15]
.Lpost_getpc19571:
	s_add_u32 s14, s14, (.LBB2_6608-.Lpost_getpc19571)&4294967295
	s_addc_u32 s15, s15, (.LBB2_6608-.Lpost_getpc19571)>>32
	s_setpc_b64 s[14:15]
.LBB2_20945:
	s_movk_i32 s4, 0x80
	v_cmp_eq_u16_e32 vcc, s4, v3
	s_mov_b64 s[4:5], -1
                                        ; implicit-def: $sgpr10
	s_and_saveexec_b64 s[8:9], vcc
; %bb.20946:
	s_mov_b32 s10, 0x7f800001
	s_xor_b64 s[4:5], exec, -1
; %bb.20947:
	s_or_b64 exec, exec, s[8:9]
	s_and_b64 s[4:5], s[4:5], exec
                                        ; implicit-def: $vgpr3
	s_or_saveexec_b64 s[6:7], s[6:7]
	v_mov_b32_e32 v2, s10
	s_xor_b64 exec, exec, s[6:7]
	s_cbranch_execnz .LBB2_20948
; %bb.56785:
	s_getpc_b64 s[14:15]
.Lpost_getpc31976:
	s_add_u32 s14, s14, (.LBB2_6610-.Lpost_getpc31976)&4294967295
	s_addc_u32 s15, s15, (.LBB2_6610-.Lpost_getpc31976)>>32
	s_setpc_b64 s[14:15]
.LBB2_20948:
	v_cmp_ne_u16_e32 vcc, 0, v3
	s_andn2_b64 s[4:5], s[4:5], exec
	s_and_b64 s[8:9], vcc, exec
	v_mov_b32_e32 v2, 0
	s_or_b64 s[4:5], s[4:5], s[8:9]
	s_or_b64 exec, exec, s[6:7]
	s_and_saveexec_b64 s[6:7], s[4:5]
	s_cbranch_execz .LBB2_31977
; %bb.56787:
	s_getpc_b64 s[14:15]
.Lpost_getpc31977:
	s_add_u32 s14, s14, (.LBB2_6611-.Lpost_getpc31977)&4294967295
	s_addc_u32 s15, s15, (.LBB2_6611-.Lpost_getpc31977)>>32
	s_setpc_b64 s[14:15]
.LBB2_31977:
	s_getpc_b64 s[14:15]
.Lpost_getpc19572:
	s_add_u32 s14, s14, (.LBB2_6612-.Lpost_getpc19572)&4294967295
	s_addc_u32 s15, s15, (.LBB2_6612-.Lpost_getpc19572)>>32
	s_setpc_b64 s[14:15]
.LBB2_20949:
	s_movk_i32 s4, 0x80
	v_cmp_eq_u16_e32 vcc, s4, v3
	s_mov_b64 s[4:5], -1
                                        ; implicit-def: $sgpr10
	s_and_saveexec_b64 s[8:9], vcc
; %bb.20950:
	s_mov_b32 s10, 0x7f800001
	s_xor_b64 s[4:5], exec, -1
; %bb.20951:
	s_or_b64 exec, exec, s[8:9]
	s_and_b64 s[4:5], s[4:5], exec
                                        ; implicit-def: $vgpr3
	s_or_saveexec_b64 s[6:7], s[6:7]
	v_mov_b32_e32 v6, s10
	s_xor_b64 exec, exec, s[6:7]
	s_cbranch_execnz .LBB2_20952
; %bb.56789:
	s_getpc_b64 s[14:15]
.Lpost_getpc31978:
	s_add_u32 s14, s14, (.LBB2_6614-.Lpost_getpc31978)&4294967295
	s_addc_u32 s15, s15, (.LBB2_6614-.Lpost_getpc31978)>>32
	s_setpc_b64 s[14:15]
.LBB2_20952:
	v_cmp_ne_u16_e32 vcc, 0, v3
	s_andn2_b64 s[4:5], s[4:5], exec
	s_and_b64 s[8:9], vcc, exec
	v_mov_b32_e32 v6, 0
	s_or_b64 s[4:5], s[4:5], s[8:9]
	s_or_b64 exec, exec, s[6:7]
	s_and_saveexec_b64 s[6:7], s[4:5]
	s_cbranch_execz .LBB2_31979
; %bb.56791:
	s_getpc_b64 s[14:15]
.Lpost_getpc31979:
	s_add_u32 s14, s14, (.LBB2_6615-.Lpost_getpc31979)&4294967295
	s_addc_u32 s15, s15, (.LBB2_6615-.Lpost_getpc31979)>>32
	s_setpc_b64 s[14:15]
.LBB2_31979:
	s_getpc_b64 s[14:15]
.Lpost_getpc19573:
	s_add_u32 s14, s14, (.LBB2_6616-.Lpost_getpc19573)&4294967295
	s_addc_u32 s15, s15, (.LBB2_6616-.Lpost_getpc19573)>>32
	s_setpc_b64 s[14:15]
.LBB2_20953:
	s_movk_i32 s4, 0x80
	v_cmp_eq_u16_sdwa s[12:13], v8, s4 src0_sel:BYTE_3 src1_sel:DWORD
	s_mov_b64 s[4:5], -1
                                        ; implicit-def: $sgpr10
	s_and_saveexec_b64 s[8:9], s[12:13]
; %bb.20954:
	s_mov_b32 s10, 0x7f800001
	s_xor_b64 s[4:5], exec, -1
; %bb.20955:
	s_or_b64 exec, exec, s[8:9]
	s_and_b64 s[4:5], s[4:5], exec
	s_or_saveexec_b64 s[6:7], s[6:7]
	v_mov_b32_e32 v2, s10
	s_xor_b64 exec, exec, s[6:7]
	s_cbranch_execnz .LBB2_20956
; %bb.56793:
	s_getpc_b64 s[14:15]
.Lpost_getpc31980:
	s_add_u32 s14, s14, (.LBB2_6618-.Lpost_getpc31980)&4294967295
	s_addc_u32 s15, s15, (.LBB2_6618-.Lpost_getpc31980)>>32
	s_setpc_b64 s[14:15]
.LBB2_20956:
	v_mov_b32_e32 v2, 0
	v_cmp_ne_u16_sdwa s[8:9], v8, v2 src0_sel:BYTE_3 src1_sel:DWORD
	s_andn2_b64 s[4:5], s[4:5], exec
	s_and_b64 s[8:9], s[8:9], exec
	s_or_b64 s[4:5], s[4:5], s[8:9]
	s_or_b64 exec, exec, s[6:7]
	s_and_saveexec_b64 s[6:7], s[4:5]
	s_cbranch_execz .LBB2_31981
; %bb.56795:
	s_getpc_b64 s[14:15]
.Lpost_getpc31981:
	s_add_u32 s14, s14, (.LBB2_6619-.Lpost_getpc31981)&4294967295
	s_addc_u32 s15, s15, (.LBB2_6619-.Lpost_getpc31981)>>32
	s_setpc_b64 s[14:15]
.LBB2_31981:
	s_getpc_b64 s[14:15]
.Lpost_getpc19574:
	s_add_u32 s14, s14, (.LBB2_6620-.Lpost_getpc19574)&4294967295
	s_addc_u32 s15, s15, (.LBB2_6620-.Lpost_getpc19574)>>32
	s_setpc_b64 s[14:15]
.LBB2_20957:
	s_movk_i32 s4, 0x80
	v_cmp_eq_u16_sdwa s[12:13], v4, s4 src0_sel:BYTE_3 src1_sel:DWORD
	s_mov_b64 s[4:5], -1
                                        ; implicit-def: $sgpr10
	s_and_saveexec_b64 s[8:9], s[12:13]
; %bb.20958:
	s_mov_b32 s10, 0x7f800001
	s_xor_b64 s[4:5], exec, -1
; %bb.20959:
	s_or_b64 exec, exec, s[8:9]
	s_and_b64 s[4:5], s[4:5], exec
	s_or_saveexec_b64 s[6:7], s[6:7]
	v_mov_b32_e32 v3, s10
	s_xor_b64 exec, exec, s[6:7]
	s_cbranch_execnz .LBB2_20960
; %bb.56797:
	s_getpc_b64 s[14:15]
.Lpost_getpc31982:
	s_add_u32 s14, s14, (.LBB2_6622-.Lpost_getpc31982)&4294967295
	s_addc_u32 s15, s15, (.LBB2_6622-.Lpost_getpc31982)>>32
	s_setpc_b64 s[14:15]
.LBB2_20960:
	v_mov_b32_e32 v3, 0
	v_cmp_ne_u16_sdwa s[8:9], v4, v3 src0_sel:BYTE_3 src1_sel:DWORD
	s_andn2_b64 s[4:5], s[4:5], exec
	s_and_b64 s[8:9], s[8:9], exec
	s_or_b64 s[4:5], s[4:5], s[8:9]
	s_or_b64 exec, exec, s[6:7]
	s_and_saveexec_b64 s[6:7], s[4:5]
	s_cbranch_execz .LBB2_31983
; %bb.56799:
	s_getpc_b64 s[14:15]
.Lpost_getpc31983:
	s_add_u32 s14, s14, (.LBB2_6623-.Lpost_getpc31983)&4294967295
	s_addc_u32 s15, s15, (.LBB2_6623-.Lpost_getpc31983)>>32
	s_setpc_b64 s[14:15]
.LBB2_31983:
	s_getpc_b64 s[14:15]
.Lpost_getpc19575:
	s_add_u32 s14, s14, (.LBB2_6624-.Lpost_getpc19575)&4294967295
	s_addc_u32 s15, s15, (.LBB2_6624-.Lpost_getpc19575)>>32
	s_setpc_b64 s[14:15]
.LBB2_20961:
	s_movk_i32 s4, 0x80
	v_cmp_eq_u16_sdwa s[12:13], v9, s4 src0_sel:BYTE_0 src1_sel:DWORD
	s_mov_b64 s[4:5], -1
                                        ; implicit-def: $sgpr10
	s_and_saveexec_b64 s[8:9], s[12:13]
; %bb.20962:
	s_mov_b32 s10, 0x7f800001
	s_xor_b64 s[4:5], exec, -1
; %bb.20963:
	s_or_b64 exec, exec, s[8:9]
	s_and_b64 s[4:5], s[4:5], exec
	s_or_saveexec_b64 s[6:7], s[6:7]
	v_mov_b32_e32 v2, s10
	s_xor_b64 exec, exec, s[6:7]
	s_cbranch_execnz .LBB2_20964
; %bb.56801:
	s_getpc_b64 s[14:15]
.Lpost_getpc31984:
	s_add_u32 s14, s14, (.LBB2_6626-.Lpost_getpc31984)&4294967295
	s_addc_u32 s15, s15, (.LBB2_6626-.Lpost_getpc31984)>>32
	s_setpc_b64 s[14:15]
.LBB2_20964:
	v_mov_b32_e32 v2, 0
	v_cmp_ne_u16_sdwa s[8:9], v9, v2 src0_sel:BYTE_0 src1_sel:DWORD
	s_andn2_b64 s[4:5], s[4:5], exec
	s_and_b64 s[8:9], s[8:9], exec
	s_or_b64 s[4:5], s[4:5], s[8:9]
	s_or_b64 exec, exec, s[6:7]
	s_and_saveexec_b64 s[6:7], s[4:5]
	s_cbranch_execz .LBB2_31985
; %bb.56803:
	s_getpc_b64 s[14:15]
.Lpost_getpc31985:
	s_add_u32 s14, s14, (.LBB2_6627-.Lpost_getpc31985)&4294967295
	s_addc_u32 s15, s15, (.LBB2_6627-.Lpost_getpc31985)>>32
	s_setpc_b64 s[14:15]
.LBB2_31985:
	s_getpc_b64 s[14:15]
.Lpost_getpc19576:
	s_add_u32 s14, s14, (.LBB2_6628-.Lpost_getpc19576)&4294967295
	s_addc_u32 s15, s15, (.LBB2_6628-.Lpost_getpc19576)>>32
	s_setpc_b64 s[14:15]
.LBB2_20965:
	s_movk_i32 s4, 0x80
	v_cmp_eq_u16_sdwa s[12:13], v5, s4 src0_sel:BYTE_0 src1_sel:DWORD
	s_mov_b64 s[4:5], -1
                                        ; implicit-def: $sgpr10
	s_and_saveexec_b64 s[8:9], s[12:13]
; %bb.20966:
	s_mov_b32 s10, 0x7f800001
	s_xor_b64 s[4:5], exec, -1
; %bb.20967:
	s_or_b64 exec, exec, s[8:9]
	s_and_b64 s[4:5], s[4:5], exec
	s_or_saveexec_b64 s[6:7], s[6:7]
	v_mov_b32_e32 v3, s10
	s_xor_b64 exec, exec, s[6:7]
	s_cbranch_execnz .LBB2_20968
; %bb.56805:
	s_getpc_b64 s[14:15]
.Lpost_getpc31986:
	s_add_u32 s14, s14, (.LBB2_6630-.Lpost_getpc31986)&4294967295
	s_addc_u32 s15, s15, (.LBB2_6630-.Lpost_getpc31986)>>32
	s_setpc_b64 s[14:15]
.LBB2_20968:
	v_mov_b32_e32 v3, 0
	v_cmp_ne_u16_sdwa s[8:9], v5, v3 src0_sel:BYTE_0 src1_sel:DWORD
	s_andn2_b64 s[4:5], s[4:5], exec
	s_and_b64 s[8:9], s[8:9], exec
	s_or_b64 s[4:5], s[4:5], s[8:9]
	s_or_b64 exec, exec, s[6:7]
	s_and_saveexec_b64 s[6:7], s[4:5]
	s_cbranch_execz .LBB2_31987
; %bb.56807:
	s_getpc_b64 s[14:15]
.Lpost_getpc31987:
	s_add_u32 s14, s14, (.LBB2_6631-.Lpost_getpc31987)&4294967295
	s_addc_u32 s15, s15, (.LBB2_6631-.Lpost_getpc31987)>>32
	s_setpc_b64 s[14:15]
.LBB2_31987:
	s_getpc_b64 s[14:15]
.Lpost_getpc19577:
	s_add_u32 s14, s14, (.LBB2_6632-.Lpost_getpc19577)&4294967295
	s_addc_u32 s15, s15, (.LBB2_6632-.Lpost_getpc19577)>>32
	s_setpc_b64 s[14:15]
.LBB2_20969:
	s_movk_i32 s4, 0x80
	v_cmp_eq_u16_sdwa s[12:13], v3, s4 src0_sel:BYTE_0 src1_sel:DWORD
	s_mov_b64 s[4:5], -1
                                        ; implicit-def: $sgpr10
	s_and_saveexec_b64 s[8:9], s[12:13]
; %bb.20970:
	s_mov_b32 s10, 0x7f800001
	s_xor_b64 s[4:5], exec, -1
; %bb.20971:
	s_or_b64 exec, exec, s[8:9]
	s_and_b64 s[4:5], s[4:5], exec
	s_or_saveexec_b64 s[6:7], s[6:7]
	v_mov_b32_e32 v2, s10
	s_xor_b64 exec, exec, s[6:7]
	s_cbranch_execnz .LBB2_20972
; %bb.56809:
	s_getpc_b64 s[14:15]
.Lpost_getpc31988:
	s_add_u32 s14, s14, (.LBB2_6634-.Lpost_getpc31988)&4294967295
	s_addc_u32 s15, s15, (.LBB2_6634-.Lpost_getpc31988)>>32
	s_setpc_b64 s[14:15]
.LBB2_20972:
	v_mov_b32_e32 v2, 0
	v_cmp_ne_u16_sdwa s[8:9], v3, v2 src0_sel:BYTE_0 src1_sel:DWORD
	s_andn2_b64 s[4:5], s[4:5], exec
	s_and_b64 s[8:9], s[8:9], exec
	s_or_b64 s[4:5], s[4:5], s[8:9]
	s_or_b64 exec, exec, s[6:7]
	s_and_saveexec_b64 s[6:7], s[4:5]
	s_cbranch_execz .LBB2_31989
; %bb.56811:
	s_getpc_b64 s[14:15]
.Lpost_getpc31989:
	s_add_u32 s14, s14, (.LBB2_6635-.Lpost_getpc31989)&4294967295
	s_addc_u32 s15, s15, (.LBB2_6635-.Lpost_getpc31989)>>32
	s_setpc_b64 s[14:15]
.LBB2_31989:
	s_getpc_b64 s[14:15]
.Lpost_getpc19578:
	s_add_u32 s14, s14, (.LBB2_6636-.Lpost_getpc19578)&4294967295
	s_addc_u32 s15, s15, (.LBB2_6636-.Lpost_getpc19578)>>32
	s_setpc_b64 s[14:15]
.LBB2_20973:
	s_movk_i32 s4, 0x80
	v_cmp_eq_u16_sdwa s[12:13], v3, s4 src0_sel:BYTE_0 src1_sel:DWORD
	s_mov_b64 s[4:5], -1
                                        ; implicit-def: $sgpr10
	s_and_saveexec_b64 s[8:9], s[12:13]
; %bb.20974:
	s_mov_b32 s10, 0x7f800001
	s_xor_b64 s[4:5], exec, -1
; %bb.20975:
	s_or_b64 exec, exec, s[8:9]
	s_and_b64 s[4:5], s[4:5], exec
	s_or_saveexec_b64 s[6:7], s[6:7]
	v_mov_b32_e32 v4, s10
	s_xor_b64 exec, exec, s[6:7]
	s_cbranch_execnz .LBB2_20976
; %bb.56813:
	s_getpc_b64 s[14:15]
.Lpost_getpc31990:
	s_add_u32 s14, s14, (.LBB2_6638-.Lpost_getpc31990)&4294967295
	s_addc_u32 s15, s15, (.LBB2_6638-.Lpost_getpc31990)>>32
	s_setpc_b64 s[14:15]
.LBB2_20976:
	v_mov_b32_e32 v4, 0
	v_cmp_ne_u16_sdwa s[8:9], v3, v4 src0_sel:BYTE_0 src1_sel:DWORD
	s_andn2_b64 s[4:5], s[4:5], exec
	s_and_b64 s[8:9], s[8:9], exec
	s_or_b64 s[4:5], s[4:5], s[8:9]
	s_or_b64 exec, exec, s[6:7]
	s_and_saveexec_b64 s[6:7], s[4:5]
	s_cbranch_execz .LBB2_31991
; %bb.56815:
	s_getpc_b64 s[14:15]
.Lpost_getpc31991:
	s_add_u32 s14, s14, (.LBB2_6639-.Lpost_getpc31991)&4294967295
	s_addc_u32 s15, s15, (.LBB2_6639-.Lpost_getpc31991)>>32
	s_setpc_b64 s[14:15]
.LBB2_31991:
	s_getpc_b64 s[14:15]
.Lpost_getpc19579:
	s_add_u32 s14, s14, (.LBB2_6640-.Lpost_getpc19579)&4294967295
	s_addc_u32 s15, s15, (.LBB2_6640-.Lpost_getpc19579)>>32
	s_setpc_b64 s[14:15]
.LBB2_20977:
	s_movk_i32 s4, 0x80
	v_cmp_eq_u16_e32 vcc, s4, v3
	s_mov_b64 s[4:5], -1
                                        ; implicit-def: $sgpr10
	s_and_saveexec_b64 s[8:9], vcc
; %bb.20978:
	s_mov_b32 s10, 0x7f800001
	s_xor_b64 s[4:5], exec, -1
; %bb.20979:
	s_or_b64 exec, exec, s[8:9]
	s_and_b64 s[4:5], s[4:5], exec
                                        ; implicit-def: $vgpr3
	s_or_saveexec_b64 s[6:7], s[6:7]
	v_mov_b32_e32 v2, s10
	s_xor_b64 exec, exec, s[6:7]
	s_cbranch_execnz .LBB2_20980
; %bb.56817:
	s_getpc_b64 s[14:15]
.Lpost_getpc31992:
	s_add_u32 s14, s14, (.LBB2_6642-.Lpost_getpc31992)&4294967295
	s_addc_u32 s15, s15, (.LBB2_6642-.Lpost_getpc31992)>>32
	s_setpc_b64 s[14:15]
.LBB2_20980:
	v_cmp_ne_u16_e32 vcc, 0, v3
	s_andn2_b64 s[4:5], s[4:5], exec
	s_and_b64 s[8:9], vcc, exec
	v_mov_b32_e32 v2, 0
	s_or_b64 s[4:5], s[4:5], s[8:9]
	s_or_b64 exec, exec, s[6:7]
	s_and_saveexec_b64 s[6:7], s[4:5]
	s_cbranch_execz .LBB2_31993
; %bb.56819:
	s_getpc_b64 s[14:15]
.Lpost_getpc31993:
	s_add_u32 s14, s14, (.LBB2_6643-.Lpost_getpc31993)&4294967295
	s_addc_u32 s15, s15, (.LBB2_6643-.Lpost_getpc31993)>>32
	s_setpc_b64 s[14:15]
.LBB2_31993:
	s_getpc_b64 s[14:15]
.Lpost_getpc19580:
	s_add_u32 s14, s14, (.LBB2_6644-.Lpost_getpc19580)&4294967295
	s_addc_u32 s15, s15, (.LBB2_6644-.Lpost_getpc19580)>>32
	s_setpc_b64 s[14:15]
.LBB2_20981:
	s_movk_i32 s4, 0x80
	v_cmp_eq_u16_e32 vcc, s4, v3
	s_mov_b64 s[4:5], -1
                                        ; implicit-def: $sgpr10
	s_and_saveexec_b64 s[8:9], vcc
; %bb.20982:
	s_mov_b32 s10, 0x7f800001
	s_xor_b64 s[4:5], exec, -1
; %bb.20983:
	s_or_b64 exec, exec, s[8:9]
	s_and_b64 s[4:5], s[4:5], exec
                                        ; implicit-def: $vgpr3
	s_or_saveexec_b64 s[6:7], s[6:7]
	v_mov_b32_e32 v4, s10
	s_xor_b64 exec, exec, s[6:7]
	s_cbranch_execnz .LBB2_20984
; %bb.56821:
	s_getpc_b64 s[14:15]
.Lpost_getpc31994:
	s_add_u32 s14, s14, (.LBB2_6646-.Lpost_getpc31994)&4294967295
	s_addc_u32 s15, s15, (.LBB2_6646-.Lpost_getpc31994)>>32
	s_setpc_b64 s[14:15]
.LBB2_20984:
	v_cmp_ne_u16_e32 vcc, 0, v3
	s_andn2_b64 s[4:5], s[4:5], exec
	s_and_b64 s[8:9], vcc, exec
	v_mov_b32_e32 v4, 0
	s_or_b64 s[4:5], s[4:5], s[8:9]
	s_or_b64 exec, exec, s[6:7]
	s_and_saveexec_b64 s[6:7], s[4:5]
	s_cbranch_execz .LBB2_31995
; %bb.56823:
	s_getpc_b64 s[14:15]
.Lpost_getpc31995:
	s_add_u32 s14, s14, (.LBB2_6647-.Lpost_getpc31995)&4294967295
	s_addc_u32 s15, s15, (.LBB2_6647-.Lpost_getpc31995)>>32
	s_setpc_b64 s[14:15]
.LBB2_31995:
	s_getpc_b64 s[14:15]
.Lpost_getpc19581:
	s_add_u32 s14, s14, (.LBB2_6648-.Lpost_getpc19581)&4294967295
	s_addc_u32 s15, s15, (.LBB2_6648-.Lpost_getpc19581)>>32
	s_setpc_b64 s[14:15]
.LBB2_20985:
	s_movk_i32 s4, 0x80
	v_cmp_eq_u16_sdwa s[12:13], v9, s4 src0_sel:BYTE_3 src1_sel:DWORD
	s_mov_b64 s[4:5], -1
                                        ; implicit-def: $sgpr10
	s_and_saveexec_b64 s[8:9], s[12:13]
; %bb.20986:
	s_mov_b32 s10, 0x7f800001
	s_xor_b64 s[4:5], exec, -1
; %bb.20987:
	s_or_b64 exec, exec, s[8:9]
	s_and_b64 s[4:5], s[4:5], exec
	s_or_saveexec_b64 s[6:7], s[6:7]
	v_mov_b32_e32 v2, s10
	s_xor_b64 exec, exec, s[6:7]
	s_cbranch_execnz .LBB2_20988
; %bb.56825:
	s_getpc_b64 s[14:15]
.Lpost_getpc31996:
	s_add_u32 s14, s14, (.LBB2_6650-.Lpost_getpc31996)&4294967295
	s_addc_u32 s15, s15, (.LBB2_6650-.Lpost_getpc31996)>>32
	s_setpc_b64 s[14:15]
.LBB2_20988:
	v_mov_b32_e32 v2, 0
	v_cmp_ne_u16_sdwa s[8:9], v9, v2 src0_sel:BYTE_3 src1_sel:DWORD
	s_andn2_b64 s[4:5], s[4:5], exec
	s_and_b64 s[8:9], s[8:9], exec
	s_or_b64 s[4:5], s[4:5], s[8:9]
	s_or_b64 exec, exec, s[6:7]
	s_and_saveexec_b64 s[6:7], s[4:5]
	s_cbranch_execz .LBB2_31997
; %bb.56827:
	s_getpc_b64 s[14:15]
.Lpost_getpc31997:
	s_add_u32 s14, s14, (.LBB2_6651-.Lpost_getpc31997)&4294967295
	s_addc_u32 s15, s15, (.LBB2_6651-.Lpost_getpc31997)>>32
	s_setpc_b64 s[14:15]
.LBB2_31997:
	s_getpc_b64 s[14:15]
.Lpost_getpc19582:
	s_add_u32 s14, s14, (.LBB2_6652-.Lpost_getpc19582)&4294967295
	s_addc_u32 s15, s15, (.LBB2_6652-.Lpost_getpc19582)>>32
	s_setpc_b64 s[14:15]
.LBB2_20989:
	s_movk_i32 s4, 0x80
	v_cmp_eq_u16_sdwa s[12:13], v5, s4 src0_sel:BYTE_3 src1_sel:DWORD
	s_mov_b64 s[4:5], -1
                                        ; implicit-def: $sgpr10
	s_and_saveexec_b64 s[8:9], s[12:13]
; %bb.20990:
	s_mov_b32 s10, 0x7f800001
	s_xor_b64 s[4:5], exec, -1
; %bb.20991:
	s_or_b64 exec, exec, s[8:9]
	s_and_b64 s[4:5], s[4:5], exec
	s_or_saveexec_b64 s[6:7], s[6:7]
	v_mov_b32_e32 v3, s10
	s_xor_b64 exec, exec, s[6:7]
	s_cbranch_execnz .LBB2_20992
; %bb.56829:
	s_getpc_b64 s[14:15]
.Lpost_getpc31998:
	s_add_u32 s14, s14, (.LBB2_6654-.Lpost_getpc31998)&4294967295
	s_addc_u32 s15, s15, (.LBB2_6654-.Lpost_getpc31998)>>32
	s_setpc_b64 s[14:15]
.LBB2_20992:
	v_mov_b32_e32 v3, 0
	v_cmp_ne_u16_sdwa s[8:9], v5, v3 src0_sel:BYTE_3 src1_sel:DWORD
	s_andn2_b64 s[4:5], s[4:5], exec
	s_and_b64 s[8:9], s[8:9], exec
	s_or_b64 s[4:5], s[4:5], s[8:9]
	s_or_b64 exec, exec, s[6:7]
	s_and_saveexec_b64 s[6:7], s[4:5]
	s_cbranch_execz .LBB2_31999
; %bb.56831:
	s_getpc_b64 s[14:15]
.Lpost_getpc31999:
	s_add_u32 s14, s14, (.LBB2_6655-.Lpost_getpc31999)&4294967295
	s_addc_u32 s15, s15, (.LBB2_6655-.Lpost_getpc31999)>>32
	s_setpc_b64 s[14:15]
.LBB2_31999:
	s_getpc_b64 s[14:15]
.Lpost_getpc19583:
	s_add_u32 s14, s14, (.LBB2_6656-.Lpost_getpc19583)&4294967295
	s_addc_u32 s15, s15, (.LBB2_6656-.Lpost_getpc19583)>>32
	s_setpc_b64 s[14:15]
.LBB2_20993:
	s_movk_i32 s4, 0x80
	v_cmp_eq_u16_sdwa s[12:13], v6, s4 src0_sel:BYTE_0 src1_sel:DWORD
	s_mov_b64 s[4:5], -1
                                        ; implicit-def: $sgpr10
	s_and_saveexec_b64 s[8:9], s[12:13]
; %bb.20994:
	s_mov_b32 s10, 0x7f800001
	s_xor_b64 s[4:5], exec, -1
; %bb.20995:
	s_or_b64 exec, exec, s[8:9]
	s_and_b64 s[4:5], s[4:5], exec
	s_or_saveexec_b64 s[6:7], s[6:7]
	v_mov_b32_e32 v12, s10
	s_xor_b64 exec, exec, s[6:7]
	s_cbranch_execnz .LBB2_20996
; %bb.56833:
	s_getpc_b64 s[14:15]
.Lpost_getpc32000:
	s_add_u32 s14, s14, (.LBB2_6658-.Lpost_getpc32000)&4294967295
	s_addc_u32 s15, s15, (.LBB2_6658-.Lpost_getpc32000)>>32
	s_setpc_b64 s[14:15]
.LBB2_20996:
	v_mov_b32_e32 v12, 0
	v_cmp_ne_u16_sdwa s[8:9], v6, v12 src0_sel:BYTE_0 src1_sel:DWORD
	s_andn2_b64 s[4:5], s[4:5], exec
	s_and_b64 s[8:9], s[8:9], exec
	s_or_b64 s[4:5], s[4:5], s[8:9]
	s_or_b64 exec, exec, s[6:7]
	s_and_saveexec_b64 s[6:7], s[4:5]
	s_cbranch_execz .LBB2_32001
; %bb.56835:
	s_getpc_b64 s[14:15]
.Lpost_getpc32001:
	s_add_u32 s14, s14, (.LBB2_6659-.Lpost_getpc32001)&4294967295
	s_addc_u32 s15, s15, (.LBB2_6659-.Lpost_getpc32001)>>32
	s_setpc_b64 s[14:15]
.LBB2_32001:
	s_getpc_b64 s[14:15]
.Lpost_getpc19584:
	s_add_u32 s14, s14, (.LBB2_6660-.Lpost_getpc19584)&4294967295
	s_addc_u32 s15, s15, (.LBB2_6660-.Lpost_getpc19584)>>32
	s_setpc_b64 s[14:15]
.LBB2_20997:
	s_movk_i32 s4, 0x80
	v_cmp_eq_u16_sdwa s[12:13], v2, s4 src0_sel:BYTE_0 src1_sel:DWORD
	s_mov_b64 s[4:5], -1
                                        ; implicit-def: $sgpr10
	s_and_saveexec_b64 s[8:9], s[12:13]
; %bb.20998:
	s_mov_b32 s10, 0x7f800001
	s_xor_b64 s[4:5], exec, -1
; %bb.20999:
	s_or_b64 exec, exec, s[8:9]
	s_and_b64 s[4:5], s[4:5], exec
	s_or_saveexec_b64 s[6:7], s[6:7]
	v_mov_b32_e32 v13, s10
	s_xor_b64 exec, exec, s[6:7]
	s_cbranch_execnz .LBB2_21000
; %bb.56837:
	s_getpc_b64 s[14:15]
.Lpost_getpc32002:
	s_add_u32 s14, s14, (.LBB2_6662-.Lpost_getpc32002)&4294967295
	s_addc_u32 s15, s15, (.LBB2_6662-.Lpost_getpc32002)>>32
	s_setpc_b64 s[14:15]
.LBB2_21000:
	v_mov_b32_e32 v13, 0
	v_cmp_ne_u16_sdwa s[8:9], v2, v13 src0_sel:BYTE_0 src1_sel:DWORD
	s_andn2_b64 s[4:5], s[4:5], exec
	s_and_b64 s[8:9], s[8:9], exec
	s_or_b64 s[4:5], s[4:5], s[8:9]
	s_or_b64 exec, exec, s[6:7]
	s_and_saveexec_b64 s[6:7], s[4:5]
	s_cbranch_execz .LBB2_32003
; %bb.56839:
	s_getpc_b64 s[14:15]
.Lpost_getpc32003:
	s_add_u32 s14, s14, (.LBB2_6663-.Lpost_getpc32003)&4294967295
	s_addc_u32 s15, s15, (.LBB2_6663-.Lpost_getpc32003)>>32
	s_setpc_b64 s[14:15]
.LBB2_32003:
	s_getpc_b64 s[14:15]
.Lpost_getpc19585:
	s_add_u32 s14, s14, (.LBB2_6664-.Lpost_getpc19585)&4294967295
	s_addc_u32 s15, s15, (.LBB2_6664-.Lpost_getpc19585)>>32
	s_setpc_b64 s[14:15]
.LBB2_21001:
	s_movk_i32 s4, 0x80
	v_cmp_eq_u16_sdwa s[12:13], v13, s4 src0_sel:BYTE_0 src1_sel:DWORD
	s_mov_b64 s[4:5], -1
                                        ; implicit-def: $sgpr10
	s_and_saveexec_b64 s[8:9], s[12:13]
; %bb.21002:
	s_mov_b32 s10, 0x7f800001
	s_xor_b64 s[4:5], exec, -1
; %bb.21003:
	s_or_b64 exec, exec, s[8:9]
	s_and_b64 s[4:5], s[4:5], exec
	s_or_saveexec_b64 s[6:7], s[6:7]
	v_mov_b32_e32 v12, s10
	s_xor_b64 exec, exec, s[6:7]
	s_cbranch_execnz .LBB2_21004
; %bb.56841:
	s_getpc_b64 s[14:15]
.Lpost_getpc32004:
	s_add_u32 s14, s14, (.LBB2_6666-.Lpost_getpc32004)&4294967295
	s_addc_u32 s15, s15, (.LBB2_6666-.Lpost_getpc32004)>>32
	s_setpc_b64 s[14:15]
.LBB2_21004:
	v_mov_b32_e32 v12, 0
	v_cmp_ne_u16_sdwa s[8:9], v13, v12 src0_sel:BYTE_0 src1_sel:DWORD
	s_andn2_b64 s[4:5], s[4:5], exec
	s_and_b64 s[8:9], s[8:9], exec
	s_or_b64 s[4:5], s[4:5], s[8:9]
	s_or_b64 exec, exec, s[6:7]
	s_and_saveexec_b64 s[6:7], s[4:5]
	s_cbranch_execz .LBB2_32005
; %bb.56843:
	s_getpc_b64 s[14:15]
.Lpost_getpc32005:
	s_add_u32 s14, s14, (.LBB2_6667-.Lpost_getpc32005)&4294967295
	s_addc_u32 s15, s15, (.LBB2_6667-.Lpost_getpc32005)>>32
	s_setpc_b64 s[14:15]
.LBB2_32005:
	s_getpc_b64 s[14:15]
.Lpost_getpc19586:
	s_add_u32 s14, s14, (.LBB2_6668-.Lpost_getpc19586)&4294967295
	s_addc_u32 s15, s15, (.LBB2_6668-.Lpost_getpc19586)>>32
	s_setpc_b64 s[14:15]
.LBB2_21005:
	s_movk_i32 s4, 0x80
	v_cmp_eq_u16_sdwa s[12:13], v13, s4 src0_sel:BYTE_0 src1_sel:DWORD
	s_mov_b64 s[4:5], -1
                                        ; implicit-def: $sgpr10
	s_and_saveexec_b64 s[8:9], s[12:13]
; %bb.21006:
	s_mov_b32 s10, 0x7f800001
	s_xor_b64 s[4:5], exec, -1
; %bb.21007:
	s_or_b64 exec, exec, s[8:9]
	s_and_b64 s[4:5], s[4:5], exec
	s_or_saveexec_b64 s[6:7], s[6:7]
	v_mov_b32_e32 v14, s10
	s_xor_b64 exec, exec, s[6:7]
	s_cbranch_execnz .LBB2_21008
; %bb.56845:
	s_getpc_b64 s[14:15]
.Lpost_getpc32006:
	s_add_u32 s14, s14, (.LBB2_6670-.Lpost_getpc32006)&4294967295
	s_addc_u32 s15, s15, (.LBB2_6670-.Lpost_getpc32006)>>32
	s_setpc_b64 s[14:15]
.LBB2_21008:
	v_mov_b32_e32 v14, 0
	v_cmp_ne_u16_sdwa s[8:9], v13, v14 src0_sel:BYTE_0 src1_sel:DWORD
	s_andn2_b64 s[4:5], s[4:5], exec
	s_and_b64 s[8:9], s[8:9], exec
	s_or_b64 s[4:5], s[4:5], s[8:9]
	s_or_b64 exec, exec, s[6:7]
	s_and_saveexec_b64 s[6:7], s[4:5]
	s_cbranch_execz .LBB2_32007
; %bb.56847:
	s_getpc_b64 s[14:15]
.Lpost_getpc32007:
	s_add_u32 s14, s14, (.LBB2_6671-.Lpost_getpc32007)&4294967295
	s_addc_u32 s15, s15, (.LBB2_6671-.Lpost_getpc32007)>>32
	s_setpc_b64 s[14:15]
.LBB2_32007:
	s_getpc_b64 s[14:15]
.Lpost_getpc19587:
	s_add_u32 s14, s14, (.LBB2_6672-.Lpost_getpc19587)&4294967295
	s_addc_u32 s15, s15, (.LBB2_6672-.Lpost_getpc19587)>>32
	s_setpc_b64 s[14:15]
.LBB2_21009:
	s_movk_i32 s4, 0x80
	v_cmp_eq_u16_e32 vcc, s4, v13
	s_mov_b64 s[4:5], -1
                                        ; implicit-def: $sgpr10
	s_and_saveexec_b64 s[8:9], vcc
; %bb.21010:
	s_mov_b32 s10, 0x7f800001
	s_xor_b64 s[4:5], exec, -1
; %bb.21011:
	s_or_b64 exec, exec, s[8:9]
	s_and_b64 s[4:5], s[4:5], exec
                                        ; implicit-def: $vgpr13
	s_or_saveexec_b64 s[6:7], s[6:7]
	v_mov_b32_e32 v12, s10
	s_xor_b64 exec, exec, s[6:7]
	s_cbranch_execnz .LBB2_21012
; %bb.56849:
	s_getpc_b64 s[14:15]
.Lpost_getpc32008:
	s_add_u32 s14, s14, (.LBB2_6674-.Lpost_getpc32008)&4294967295
	s_addc_u32 s15, s15, (.LBB2_6674-.Lpost_getpc32008)>>32
	s_setpc_b64 s[14:15]
.LBB2_21012:
	v_cmp_ne_u16_e32 vcc, 0, v13
	s_andn2_b64 s[4:5], s[4:5], exec
	s_and_b64 s[8:9], vcc, exec
	v_mov_b32_e32 v12, 0
	s_or_b64 s[4:5], s[4:5], s[8:9]
	s_or_b64 exec, exec, s[6:7]
	s_and_saveexec_b64 s[6:7], s[4:5]
	s_cbranch_execz .LBB2_32009
; %bb.56851:
	s_getpc_b64 s[14:15]
.Lpost_getpc32009:
	s_add_u32 s14, s14, (.LBB2_6675-.Lpost_getpc32009)&4294967295
	s_addc_u32 s15, s15, (.LBB2_6675-.Lpost_getpc32009)>>32
	s_setpc_b64 s[14:15]
.LBB2_32009:
	s_getpc_b64 s[14:15]
.Lpost_getpc19588:
	s_add_u32 s14, s14, (.LBB2_6676-.Lpost_getpc19588)&4294967295
	s_addc_u32 s15, s15, (.LBB2_6676-.Lpost_getpc19588)>>32
	s_setpc_b64 s[14:15]
.LBB2_21013:
	s_movk_i32 s4, 0x80
	v_cmp_eq_u16_e32 vcc, s4, v13
	s_mov_b64 s[4:5], -1
                                        ; implicit-def: $sgpr10
	s_and_saveexec_b64 s[8:9], vcc
; %bb.21014:
	s_mov_b32 s10, 0x7f800001
	s_xor_b64 s[4:5], exec, -1
; %bb.21015:
	s_or_b64 exec, exec, s[8:9]
	s_and_b64 s[4:5], s[4:5], exec
                                        ; implicit-def: $vgpr13
	s_or_saveexec_b64 s[6:7], s[6:7]
	v_mov_b32_e32 v14, s10
	s_xor_b64 exec, exec, s[6:7]
	s_cbranch_execnz .LBB2_21016
; %bb.56853:
	s_getpc_b64 s[14:15]
.Lpost_getpc32010:
	s_add_u32 s14, s14, (.LBB2_6678-.Lpost_getpc32010)&4294967295
	s_addc_u32 s15, s15, (.LBB2_6678-.Lpost_getpc32010)>>32
	s_setpc_b64 s[14:15]
.LBB2_21016:
	v_cmp_ne_u16_e32 vcc, 0, v13
	s_andn2_b64 s[4:5], s[4:5], exec
	s_and_b64 s[8:9], vcc, exec
	v_mov_b32_e32 v14, 0
	s_or_b64 s[4:5], s[4:5], s[8:9]
	s_or_b64 exec, exec, s[6:7]
	s_and_saveexec_b64 s[6:7], s[4:5]
	s_cbranch_execz .LBB2_32011
; %bb.56855:
	s_getpc_b64 s[14:15]
.Lpost_getpc32011:
	s_add_u32 s14, s14, (.LBB2_6679-.Lpost_getpc32011)&4294967295
	s_addc_u32 s15, s15, (.LBB2_6679-.Lpost_getpc32011)>>32
	s_setpc_b64 s[14:15]
.LBB2_32011:
	s_getpc_b64 s[14:15]
.Lpost_getpc19589:
	s_add_u32 s14, s14, (.LBB2_6680-.Lpost_getpc19589)&4294967295
	s_addc_u32 s15, s15, (.LBB2_6680-.Lpost_getpc19589)>>32
	s_setpc_b64 s[14:15]
.LBB2_21017:
	s_movk_i32 s4, 0x80
	v_cmp_eq_u16_sdwa s[12:13], v6, s4 src0_sel:BYTE_3 src1_sel:DWORD
	s_mov_b64 s[4:5], -1
                                        ; implicit-def: $sgpr10
	s_and_saveexec_b64 s[8:9], s[12:13]
; %bb.21018:
	s_mov_b32 s10, 0x7f800001
	s_xor_b64 s[4:5], exec, -1
; %bb.21019:
	s_or_b64 exec, exec, s[8:9]
	s_and_b64 s[4:5], s[4:5], exec
	s_or_saveexec_b64 s[6:7], s[6:7]
	v_mov_b32_e32 v12, s10
	s_xor_b64 exec, exec, s[6:7]
	s_cbranch_execnz .LBB2_21020
; %bb.56857:
	s_getpc_b64 s[14:15]
.Lpost_getpc32012:
	s_add_u32 s14, s14, (.LBB2_6682-.Lpost_getpc32012)&4294967295
	s_addc_u32 s15, s15, (.LBB2_6682-.Lpost_getpc32012)>>32
	s_setpc_b64 s[14:15]
.LBB2_21020:
	v_mov_b32_e32 v12, 0
	v_cmp_ne_u16_sdwa s[8:9], v6, v12 src0_sel:BYTE_3 src1_sel:DWORD
	s_andn2_b64 s[4:5], s[4:5], exec
	s_and_b64 s[8:9], s[8:9], exec
	s_or_b64 s[4:5], s[4:5], s[8:9]
	s_or_b64 exec, exec, s[6:7]
	s_and_saveexec_b64 s[6:7], s[4:5]
	s_cbranch_execz .LBB2_32013
; %bb.56859:
	s_getpc_b64 s[14:15]
.Lpost_getpc32013:
	s_add_u32 s14, s14, (.LBB2_6683-.Lpost_getpc32013)&4294967295
	s_addc_u32 s15, s15, (.LBB2_6683-.Lpost_getpc32013)>>32
	s_setpc_b64 s[14:15]
.LBB2_32013:
	s_getpc_b64 s[14:15]
.Lpost_getpc19590:
	s_add_u32 s14, s14, (.LBB2_6684-.Lpost_getpc19590)&4294967295
	s_addc_u32 s15, s15, (.LBB2_6684-.Lpost_getpc19590)>>32
	s_setpc_b64 s[14:15]
.LBB2_21021:
	s_movk_i32 s4, 0x80
	v_cmp_eq_u16_sdwa s[12:13], v2, s4 src0_sel:BYTE_3 src1_sel:DWORD
	s_mov_b64 s[4:5], -1
                                        ; implicit-def: $sgpr10
	s_and_saveexec_b64 s[8:9], s[12:13]
; %bb.21022:
	s_mov_b32 s10, 0x7f800001
	s_xor_b64 s[4:5], exec, -1
; %bb.21023:
	s_or_b64 exec, exec, s[8:9]
	s_and_b64 s[4:5], s[4:5], exec
	s_or_saveexec_b64 s[6:7], s[6:7]
	v_mov_b32_e32 v6, s10
	s_xor_b64 exec, exec, s[6:7]
	s_cbranch_execnz .LBB2_21024
; %bb.56861:
	s_getpc_b64 s[14:15]
.Lpost_getpc32014:
	s_add_u32 s14, s14, (.LBB2_6686-.Lpost_getpc32014)&4294967295
	s_addc_u32 s15, s15, (.LBB2_6686-.Lpost_getpc32014)>>32
	s_setpc_b64 s[14:15]
.LBB2_21024:
	v_mov_b32_e32 v6, 0
	v_cmp_ne_u16_sdwa s[8:9], v2, v6 src0_sel:BYTE_3 src1_sel:DWORD
	s_andn2_b64 s[4:5], s[4:5], exec
	s_and_b64 s[8:9], s[8:9], exec
	s_or_b64 s[4:5], s[4:5], s[8:9]
	s_or_b64 exec, exec, s[6:7]
	s_and_saveexec_b64 s[6:7], s[4:5]
	s_cbranch_execz .LBB2_32015
; %bb.56863:
	s_getpc_b64 s[14:15]
.Lpost_getpc32015:
	s_add_u32 s14, s14, (.LBB2_6687-.Lpost_getpc32015)&4294967295
	s_addc_u32 s15, s15, (.LBB2_6687-.Lpost_getpc32015)>>32
	s_setpc_b64 s[14:15]
.LBB2_32015:
	s_getpc_b64 s[14:15]
.Lpost_getpc19591:
	s_add_u32 s14, s14, (.LBB2_6688-.Lpost_getpc19591)&4294967295
	s_addc_u32 s15, s15, (.LBB2_6688-.Lpost_getpc19591)>>32
	s_setpc_b64 s[14:15]
.LBB2_21025:
	s_movk_i32 s4, 0x80
	v_cmp_eq_u16_sdwa s[12:13], v7, s4 src0_sel:BYTE_0 src1_sel:DWORD
	s_mov_b64 s[4:5], -1
                                        ; implicit-def: $sgpr10
	s_and_saveexec_b64 s[8:9], s[12:13]
; %bb.21026:
	s_mov_b32 s10, 0x7f800001
	s_xor_b64 s[4:5], exec, -1
; %bb.21027:
	s_or_b64 exec, exec, s[8:9]
	s_and_b64 s[4:5], s[4:5], exec
	s_or_saveexec_b64 s[6:7], s[6:7]
	v_mov_b32_e32 v2, s10
	s_xor_b64 exec, exec, s[6:7]
	s_cbranch_execnz .LBB2_21028
; %bb.56865:
	s_getpc_b64 s[14:15]
.Lpost_getpc32016:
	s_add_u32 s14, s14, (.LBB2_6690-.Lpost_getpc32016)&4294967295
	s_addc_u32 s15, s15, (.LBB2_6690-.Lpost_getpc32016)>>32
	s_setpc_b64 s[14:15]
.LBB2_21028:
	v_mov_b32_e32 v2, 0
	v_cmp_ne_u16_sdwa s[8:9], v7, v2 src0_sel:BYTE_0 src1_sel:DWORD
	s_andn2_b64 s[4:5], s[4:5], exec
	s_and_b64 s[8:9], s[8:9], exec
	s_or_b64 s[4:5], s[4:5], s[8:9]
	s_or_b64 exec, exec, s[6:7]
	s_and_saveexec_b64 s[6:7], s[4:5]
	s_cbranch_execz .LBB2_32017
; %bb.56867:
	s_getpc_b64 s[14:15]
.Lpost_getpc32017:
	s_add_u32 s14, s14, (.LBB2_6691-.Lpost_getpc32017)&4294967295
	s_addc_u32 s15, s15, (.LBB2_6691-.Lpost_getpc32017)>>32
	s_setpc_b64 s[14:15]
.LBB2_32017:
	s_getpc_b64 s[14:15]
.Lpost_getpc19592:
	s_add_u32 s14, s14, (.LBB2_6692-.Lpost_getpc19592)&4294967295
	s_addc_u32 s15, s15, (.LBB2_6692-.Lpost_getpc19592)>>32
	s_setpc_b64 s[14:15]
.LBB2_21029:
	s_movk_i32 s4, 0x80
	v_cmp_eq_u16_sdwa s[12:13], v3, s4 src0_sel:BYTE_0 src1_sel:DWORD
	s_mov_b64 s[4:5], -1
                                        ; implicit-def: $sgpr10
	s_and_saveexec_b64 s[8:9], s[12:13]
; %bb.21030:
	s_mov_b32 s10, 0x7f800001
	s_xor_b64 s[4:5], exec, -1
; %bb.21031:
	s_or_b64 exec, exec, s[8:9]
	s_and_b64 s[4:5], s[4:5], exec
	s_or_saveexec_b64 s[6:7], s[6:7]
	v_mov_b32_e32 v6, s10
	s_xor_b64 exec, exec, s[6:7]
	s_cbranch_execnz .LBB2_21032
; %bb.56869:
	s_getpc_b64 s[14:15]
.Lpost_getpc32018:
	s_add_u32 s14, s14, (.LBB2_6694-.Lpost_getpc32018)&4294967295
	s_addc_u32 s15, s15, (.LBB2_6694-.Lpost_getpc32018)>>32
	s_setpc_b64 s[14:15]
.LBB2_21032:
	v_mov_b32_e32 v6, 0
	v_cmp_ne_u16_sdwa s[8:9], v3, v6 src0_sel:BYTE_0 src1_sel:DWORD
	s_andn2_b64 s[4:5], s[4:5], exec
	s_and_b64 s[8:9], s[8:9], exec
	s_or_b64 s[4:5], s[4:5], s[8:9]
	s_or_b64 exec, exec, s[6:7]
	s_and_saveexec_b64 s[6:7], s[4:5]
	s_cbranch_execz .LBB2_32019
; %bb.56871:
	s_getpc_b64 s[14:15]
.Lpost_getpc32019:
	s_add_u32 s14, s14, (.LBB2_6695-.Lpost_getpc32019)&4294967295
	s_addc_u32 s15, s15, (.LBB2_6695-.Lpost_getpc32019)>>32
	s_setpc_b64 s[14:15]
.LBB2_32019:
	s_getpc_b64 s[14:15]
.Lpost_getpc19593:
	s_add_u32 s14, s14, (.LBB2_6696-.Lpost_getpc19593)&4294967295
	s_addc_u32 s15, s15, (.LBB2_6696-.Lpost_getpc19593)>>32
	s_setpc_b64 s[14:15]
.LBB2_21033:
	s_movk_i32 s4, 0x80
	v_cmp_eq_u16_sdwa s[12:13], v6, s4 src0_sel:BYTE_0 src1_sel:DWORD
	s_mov_b64 s[4:5], -1
                                        ; implicit-def: $sgpr10
	s_and_saveexec_b64 s[8:9], s[12:13]
; %bb.21034:
	s_mov_b32 s10, 0x7f800001
	s_xor_b64 s[4:5], exec, -1
; %bb.21035:
	s_or_b64 exec, exec, s[8:9]
	s_and_b64 s[4:5], s[4:5], exec
	s_or_saveexec_b64 s[6:7], s[6:7]
	v_mov_b32_e32 v2, s10
	s_xor_b64 exec, exec, s[6:7]
	s_cbranch_execnz .LBB2_21036
; %bb.56873:
	s_getpc_b64 s[14:15]
.Lpost_getpc32020:
	s_add_u32 s14, s14, (.LBB2_6698-.Lpost_getpc32020)&4294967295
	s_addc_u32 s15, s15, (.LBB2_6698-.Lpost_getpc32020)>>32
	s_setpc_b64 s[14:15]
.LBB2_21036:
	v_mov_b32_e32 v2, 0
	v_cmp_ne_u16_sdwa s[8:9], v6, v2 src0_sel:BYTE_0 src1_sel:DWORD
	s_andn2_b64 s[4:5], s[4:5], exec
	s_and_b64 s[8:9], s[8:9], exec
	s_or_b64 s[4:5], s[4:5], s[8:9]
	s_or_b64 exec, exec, s[6:7]
	s_and_saveexec_b64 s[6:7], s[4:5]
	s_cbranch_execz .LBB2_32021
; %bb.56875:
	s_getpc_b64 s[14:15]
.Lpost_getpc32021:
	s_add_u32 s14, s14, (.LBB2_6699-.Lpost_getpc32021)&4294967295
	s_addc_u32 s15, s15, (.LBB2_6699-.Lpost_getpc32021)>>32
	s_setpc_b64 s[14:15]
.LBB2_32021:
	s_getpc_b64 s[14:15]
.Lpost_getpc19594:
	s_add_u32 s14, s14, (.LBB2_6700-.Lpost_getpc19594)&4294967295
	s_addc_u32 s15, s15, (.LBB2_6700-.Lpost_getpc19594)>>32
	s_setpc_b64 s[14:15]
.LBB2_21037:
	s_movk_i32 s4, 0x80
	v_cmp_eq_u16_sdwa s[12:13], v6, s4 src0_sel:BYTE_0 src1_sel:DWORD
	s_mov_b64 s[4:5], -1
                                        ; implicit-def: $sgpr10
	s_and_saveexec_b64 s[8:9], s[12:13]
; %bb.21038:
	s_mov_b32 s10, 0x7f800001
	s_xor_b64 s[4:5], exec, -1
; %bb.21039:
	s_or_b64 exec, exec, s[8:9]
	s_and_b64 s[4:5], s[4:5], exec
	s_or_saveexec_b64 s[6:7], s[6:7]
	v_mov_b32_e32 v12, s10
	s_xor_b64 exec, exec, s[6:7]
	s_cbranch_execnz .LBB2_21040
; %bb.56877:
	s_getpc_b64 s[14:15]
.Lpost_getpc32022:
	s_add_u32 s14, s14, (.LBB2_6702-.Lpost_getpc32022)&4294967295
	s_addc_u32 s15, s15, (.LBB2_6702-.Lpost_getpc32022)>>32
	s_setpc_b64 s[14:15]
.LBB2_21040:
	v_mov_b32_e32 v12, 0
	v_cmp_ne_u16_sdwa s[8:9], v6, v12 src0_sel:BYTE_0 src1_sel:DWORD
	s_andn2_b64 s[4:5], s[4:5], exec
	s_and_b64 s[8:9], s[8:9], exec
	s_or_b64 s[4:5], s[4:5], s[8:9]
	s_or_b64 exec, exec, s[6:7]
	s_and_saveexec_b64 s[6:7], s[4:5]
	s_cbranch_execz .LBB2_32023
; %bb.56879:
	s_getpc_b64 s[14:15]
.Lpost_getpc32023:
	s_add_u32 s14, s14, (.LBB2_6703-.Lpost_getpc32023)&4294967295
	s_addc_u32 s15, s15, (.LBB2_6703-.Lpost_getpc32023)>>32
	s_setpc_b64 s[14:15]
.LBB2_32023:
	s_getpc_b64 s[14:15]
.Lpost_getpc19595:
	s_add_u32 s14, s14, (.LBB2_6704-.Lpost_getpc19595)&4294967295
	s_addc_u32 s15, s15, (.LBB2_6704-.Lpost_getpc19595)>>32
	s_setpc_b64 s[14:15]
.LBB2_21041:
	s_movk_i32 s4, 0x80
	v_cmp_eq_u16_e32 vcc, s4, v6
	s_mov_b64 s[4:5], -1
                                        ; implicit-def: $sgpr10
	s_and_saveexec_b64 s[8:9], vcc
; %bb.21042:
	s_mov_b32 s10, 0x7f800001
	s_xor_b64 s[4:5], exec, -1
; %bb.21043:
	s_or_b64 exec, exec, s[8:9]
	s_and_b64 s[4:5], s[4:5], exec
                                        ; implicit-def: $vgpr6
	s_or_saveexec_b64 s[6:7], s[6:7]
	v_mov_b32_e32 v2, s10
	s_xor_b64 exec, exec, s[6:7]
	s_cbranch_execnz .LBB2_21044
; %bb.56881:
	s_getpc_b64 s[14:15]
.Lpost_getpc32024:
	s_add_u32 s14, s14, (.LBB2_6706-.Lpost_getpc32024)&4294967295
	s_addc_u32 s15, s15, (.LBB2_6706-.Lpost_getpc32024)>>32
	s_setpc_b64 s[14:15]
.LBB2_21044:
	v_cmp_ne_u16_e32 vcc, 0, v6
	s_andn2_b64 s[4:5], s[4:5], exec
	s_and_b64 s[8:9], vcc, exec
	v_mov_b32_e32 v2, 0
	s_or_b64 s[4:5], s[4:5], s[8:9]
	s_or_b64 exec, exec, s[6:7]
	s_and_saveexec_b64 s[6:7], s[4:5]
	s_cbranch_execz .LBB2_32025
; %bb.56883:
	s_getpc_b64 s[14:15]
.Lpost_getpc32025:
	s_add_u32 s14, s14, (.LBB2_6707-.Lpost_getpc32025)&4294967295
	s_addc_u32 s15, s15, (.LBB2_6707-.Lpost_getpc32025)>>32
	s_setpc_b64 s[14:15]
.LBB2_32025:
	s_getpc_b64 s[14:15]
.Lpost_getpc19596:
	s_add_u32 s14, s14, (.LBB2_6708-.Lpost_getpc19596)&4294967295
	s_addc_u32 s15, s15, (.LBB2_6708-.Lpost_getpc19596)>>32
	s_setpc_b64 s[14:15]
.LBB2_21045:
	s_movk_i32 s4, 0x80
	v_cmp_eq_u16_e32 vcc, s4, v6
	s_mov_b64 s[4:5], -1
                                        ; implicit-def: $sgpr10
	s_and_saveexec_b64 s[8:9], vcc
; %bb.21046:
	s_mov_b32 s10, 0x7f800001
	s_xor_b64 s[4:5], exec, -1
; %bb.21047:
	s_or_b64 exec, exec, s[8:9]
	s_and_b64 s[4:5], s[4:5], exec
                                        ; implicit-def: $vgpr6
	s_or_saveexec_b64 s[6:7], s[6:7]
	v_mov_b32_e32 v12, s10
	s_xor_b64 exec, exec, s[6:7]
	s_cbranch_execnz .LBB2_21048
; %bb.56885:
	s_getpc_b64 s[14:15]
.Lpost_getpc32026:
	s_add_u32 s14, s14, (.LBB2_6710-.Lpost_getpc32026)&4294967295
	s_addc_u32 s15, s15, (.LBB2_6710-.Lpost_getpc32026)>>32
	s_setpc_b64 s[14:15]
.LBB2_21048:
	v_cmp_ne_u16_e32 vcc, 0, v6
	s_andn2_b64 s[4:5], s[4:5], exec
	s_and_b64 s[8:9], vcc, exec
	v_mov_b32_e32 v12, 0
	s_or_b64 s[4:5], s[4:5], s[8:9]
	s_or_b64 exec, exec, s[6:7]
	s_and_saveexec_b64 s[6:7], s[4:5]
	s_cbranch_execz .LBB2_32027
; %bb.56887:
	s_getpc_b64 s[14:15]
.Lpost_getpc32027:
	s_add_u32 s14, s14, (.LBB2_6711-.Lpost_getpc32027)&4294967295
	s_addc_u32 s15, s15, (.LBB2_6711-.Lpost_getpc32027)>>32
	s_setpc_b64 s[14:15]
.LBB2_32027:
	s_getpc_b64 s[14:15]
.Lpost_getpc19597:
	s_add_u32 s14, s14, (.LBB2_6712-.Lpost_getpc19597)&4294967295
	s_addc_u32 s15, s15, (.LBB2_6712-.Lpost_getpc19597)>>32
	s_setpc_b64 s[14:15]
.LBB2_21049:
	s_movk_i32 s4, 0x80
	v_cmp_eq_u16_sdwa s[12:13], v7, s4 src0_sel:BYTE_3 src1_sel:DWORD
	s_mov_b64 s[4:5], -1
                                        ; implicit-def: $sgpr10
	s_and_saveexec_b64 s[8:9], s[12:13]
; %bb.21050:
	s_mov_b32 s10, 0x7f800001
	s_xor_b64 s[4:5], exec, -1
; %bb.21051:
	s_or_b64 exec, exec, s[8:9]
	s_and_b64 s[4:5], s[4:5], exec
	s_or_saveexec_b64 s[6:7], s[6:7]
	v_mov_b32_e32 v2, s10
	s_xor_b64 exec, exec, s[6:7]
	s_cbranch_execnz .LBB2_21052
; %bb.56889:
	s_getpc_b64 s[14:15]
.Lpost_getpc32028:
	s_add_u32 s14, s14, (.LBB2_6714-.Lpost_getpc32028)&4294967295
	s_addc_u32 s15, s15, (.LBB2_6714-.Lpost_getpc32028)>>32
	s_setpc_b64 s[14:15]
.LBB2_21052:
	v_mov_b32_e32 v2, 0
	v_cmp_ne_u16_sdwa s[8:9], v7, v2 src0_sel:BYTE_3 src1_sel:DWORD
	s_andn2_b64 s[4:5], s[4:5], exec
	s_and_b64 s[8:9], s[8:9], exec
	s_or_b64 s[4:5], s[4:5], s[8:9]
	s_or_b64 exec, exec, s[6:7]
	s_and_saveexec_b64 s[6:7], s[4:5]
	s_cbranch_execz .LBB2_32029
; %bb.56891:
	s_getpc_b64 s[14:15]
.Lpost_getpc32029:
	s_add_u32 s14, s14, (.LBB2_6715-.Lpost_getpc32029)&4294967295
	s_addc_u32 s15, s15, (.LBB2_6715-.Lpost_getpc32029)>>32
	s_setpc_b64 s[14:15]
.LBB2_32029:
	s_getpc_b64 s[14:15]
.Lpost_getpc19598:
	s_add_u32 s14, s14, (.LBB2_6716-.Lpost_getpc19598)&4294967295
	s_addc_u32 s15, s15, (.LBB2_6716-.Lpost_getpc19598)>>32
	s_setpc_b64 s[14:15]
.LBB2_21053:
	s_movk_i32 s4, 0x80
	v_cmp_eq_u16_sdwa s[12:13], v3, s4 src0_sel:BYTE_3 src1_sel:DWORD
	s_mov_b64 s[4:5], -1
                                        ; implicit-def: $sgpr10
	s_and_saveexec_b64 s[8:9], s[12:13]
; %bb.21054:
	s_mov_b32 s10, 0x7f800001
	s_xor_b64 s[4:5], exec, -1
; %bb.21055:
	s_or_b64 exec, exec, s[8:9]
	s_and_b64 s[4:5], s[4:5], exec
	s_or_saveexec_b64 s[6:7], s[6:7]
	v_mov_b32_e32 v6, s10
	s_xor_b64 exec, exec, s[6:7]
	s_cbranch_execnz .LBB2_21056
; %bb.56893:
	s_getpc_b64 s[14:15]
.Lpost_getpc32030:
	s_add_u32 s14, s14, (.LBB2_6718-.Lpost_getpc32030)&4294967295
	s_addc_u32 s15, s15, (.LBB2_6718-.Lpost_getpc32030)>>32
	s_setpc_b64 s[14:15]
.LBB2_21056:
	v_mov_b32_e32 v6, 0
	v_cmp_ne_u16_sdwa s[8:9], v3, v6 src0_sel:BYTE_3 src1_sel:DWORD
	s_andn2_b64 s[4:5], s[4:5], exec
	s_and_b64 s[8:9], s[8:9], exec
	s_or_b64 s[4:5], s[4:5], s[8:9]
	s_or_b64 exec, exec, s[6:7]
	s_and_saveexec_b64 s[6:7], s[4:5]
	s_cbranch_execz .LBB2_32031
; %bb.56895:
	s_getpc_b64 s[14:15]
.Lpost_getpc32031:
	s_add_u32 s14, s14, (.LBB2_6719-.Lpost_getpc32031)&4294967295
	s_addc_u32 s15, s15, (.LBB2_6719-.Lpost_getpc32031)>>32
	s_setpc_b64 s[14:15]
.LBB2_32031:
	s_getpc_b64 s[14:15]
.Lpost_getpc19599:
	s_add_u32 s14, s14, (.LBB2_6720-.Lpost_getpc19599)&4294967295
	s_addc_u32 s15, s15, (.LBB2_6720-.Lpost_getpc19599)>>32
	s_setpc_b64 s[14:15]
.LBB2_21057:
	s_movk_i32 s4, 0x80
	v_cmp_eq_u16_sdwa s[12:13], v8, s4 src0_sel:BYTE_0 src1_sel:DWORD
	s_mov_b64 s[4:5], -1
                                        ; implicit-def: $sgpr10
	s_and_saveexec_b64 s[8:9], s[12:13]
; %bb.21058:
	s_mov_b32 s10, 0x7f800001
	s_xor_b64 s[4:5], exec, -1
; %bb.21059:
	s_or_b64 exec, exec, s[8:9]
	s_and_b64 s[4:5], s[4:5], exec
	s_or_saveexec_b64 s[6:7], s[6:7]
	v_mov_b32_e32 v2, s10
	s_xor_b64 exec, exec, s[6:7]
	s_cbranch_execnz .LBB2_21060
; %bb.56897:
	s_getpc_b64 s[14:15]
.Lpost_getpc32032:
	s_add_u32 s14, s14, (.LBB2_6722-.Lpost_getpc32032)&4294967295
	s_addc_u32 s15, s15, (.LBB2_6722-.Lpost_getpc32032)>>32
	s_setpc_b64 s[14:15]
.LBB2_21060:
	v_mov_b32_e32 v2, 0
	v_cmp_ne_u16_sdwa s[8:9], v8, v2 src0_sel:BYTE_0 src1_sel:DWORD
	s_andn2_b64 s[4:5], s[4:5], exec
	s_and_b64 s[8:9], s[8:9], exec
	s_or_b64 s[4:5], s[4:5], s[8:9]
	s_or_b64 exec, exec, s[6:7]
	s_and_saveexec_b64 s[6:7], s[4:5]
	s_cbranch_execz .LBB2_32033
; %bb.56899:
	s_getpc_b64 s[14:15]
.Lpost_getpc32033:
	s_add_u32 s14, s14, (.LBB2_6723-.Lpost_getpc32033)&4294967295
	s_addc_u32 s15, s15, (.LBB2_6723-.Lpost_getpc32033)>>32
	s_setpc_b64 s[14:15]
.LBB2_32033:
	s_getpc_b64 s[14:15]
.Lpost_getpc19600:
	s_add_u32 s14, s14, (.LBB2_6724-.Lpost_getpc19600)&4294967295
	s_addc_u32 s15, s15, (.LBB2_6724-.Lpost_getpc19600)>>32
	s_setpc_b64 s[14:15]
.LBB2_21061:
	s_movk_i32 s4, 0x80
	v_cmp_eq_u16_sdwa s[12:13], v4, s4 src0_sel:BYTE_0 src1_sel:DWORD
	s_mov_b64 s[4:5], -1
                                        ; implicit-def: $sgpr10
	s_and_saveexec_b64 s[8:9], s[12:13]
; %bb.21062:
	s_mov_b32 s10, 0x7f800001
	s_xor_b64 s[4:5], exec, -1
; %bb.21063:
	s_or_b64 exec, exec, s[8:9]
	s_and_b64 s[4:5], s[4:5], exec
	s_or_saveexec_b64 s[6:7], s[6:7]
	v_mov_b32_e32 v3, s10
	s_xor_b64 exec, exec, s[6:7]
	s_cbranch_execnz .LBB2_21064
; %bb.56901:
	s_getpc_b64 s[14:15]
.Lpost_getpc32034:
	s_add_u32 s14, s14, (.LBB2_6726-.Lpost_getpc32034)&4294967295
	s_addc_u32 s15, s15, (.LBB2_6726-.Lpost_getpc32034)>>32
	s_setpc_b64 s[14:15]
.LBB2_21064:
	v_mov_b32_e32 v3, 0
	v_cmp_ne_u16_sdwa s[8:9], v4, v3 src0_sel:BYTE_0 src1_sel:DWORD
	s_andn2_b64 s[4:5], s[4:5], exec
	s_and_b64 s[8:9], s[8:9], exec
	s_or_b64 s[4:5], s[4:5], s[8:9]
	s_or_b64 exec, exec, s[6:7]
	s_and_saveexec_b64 s[6:7], s[4:5]
	s_cbranch_execz .LBB2_32035
; %bb.56903:
	s_getpc_b64 s[14:15]
.Lpost_getpc32035:
	s_add_u32 s14, s14, (.LBB2_6727-.Lpost_getpc32035)&4294967295
	s_addc_u32 s15, s15, (.LBB2_6727-.Lpost_getpc32035)>>32
	s_setpc_b64 s[14:15]
.LBB2_32035:
	s_getpc_b64 s[14:15]
.Lpost_getpc19601:
	s_add_u32 s14, s14, (.LBB2_6728-.Lpost_getpc19601)&4294967295
	s_addc_u32 s15, s15, (.LBB2_6728-.Lpost_getpc19601)>>32
	s_setpc_b64 s[14:15]
.LBB2_21065:
	s_movk_i32 s4, 0x80
	v_cmp_eq_u16_sdwa s[12:13], v3, s4 src0_sel:BYTE_0 src1_sel:DWORD
	s_mov_b64 s[4:5], -1
                                        ; implicit-def: $sgpr10
	s_and_saveexec_b64 s[8:9], s[12:13]
; %bb.21066:
	s_mov_b32 s10, 0x7f800001
	s_xor_b64 s[4:5], exec, -1
; %bb.21067:
	s_or_b64 exec, exec, s[8:9]
	s_and_b64 s[4:5], s[4:5], exec
	s_or_saveexec_b64 s[6:7], s[6:7]
	v_mov_b32_e32 v2, s10
	s_xor_b64 exec, exec, s[6:7]
	s_cbranch_execnz .LBB2_21068
; %bb.56905:
	s_getpc_b64 s[14:15]
.Lpost_getpc32036:
	s_add_u32 s14, s14, (.LBB2_6730-.Lpost_getpc32036)&4294967295
	s_addc_u32 s15, s15, (.LBB2_6730-.Lpost_getpc32036)>>32
	s_setpc_b64 s[14:15]
.LBB2_21068:
	v_mov_b32_e32 v2, 0
	v_cmp_ne_u16_sdwa s[8:9], v3, v2 src0_sel:BYTE_0 src1_sel:DWORD
	s_andn2_b64 s[4:5], s[4:5], exec
	s_and_b64 s[8:9], s[8:9], exec
	s_or_b64 s[4:5], s[4:5], s[8:9]
	s_or_b64 exec, exec, s[6:7]
	s_and_saveexec_b64 s[6:7], s[4:5]
	s_cbranch_execz .LBB2_32037
; %bb.56907:
	s_getpc_b64 s[14:15]
.Lpost_getpc32037:
	s_add_u32 s14, s14, (.LBB2_6731-.Lpost_getpc32037)&4294967295
	s_addc_u32 s15, s15, (.LBB2_6731-.Lpost_getpc32037)>>32
	s_setpc_b64 s[14:15]
.LBB2_32037:
	s_getpc_b64 s[14:15]
.Lpost_getpc19602:
	s_add_u32 s14, s14, (.LBB2_6732-.Lpost_getpc19602)&4294967295
	s_addc_u32 s15, s15, (.LBB2_6732-.Lpost_getpc19602)>>32
	s_setpc_b64 s[14:15]
.LBB2_21069:
	s_movk_i32 s4, 0x80
	v_cmp_eq_u16_sdwa s[12:13], v3, s4 src0_sel:BYTE_0 src1_sel:DWORD
	s_mov_b64 s[4:5], -1
                                        ; implicit-def: $sgpr10
	s_and_saveexec_b64 s[8:9], s[12:13]
; %bb.21070:
	s_mov_b32 s10, 0x7f800001
	s_xor_b64 s[4:5], exec, -1
; %bb.21071:
	s_or_b64 exec, exec, s[8:9]
	s_and_b64 s[4:5], s[4:5], exec
	s_or_saveexec_b64 s[6:7], s[6:7]
	v_mov_b32_e32 v6, s10
	s_xor_b64 exec, exec, s[6:7]
	s_cbranch_execnz .LBB2_21072
; %bb.56909:
	s_getpc_b64 s[14:15]
.Lpost_getpc32038:
	s_add_u32 s14, s14, (.LBB2_6734-.Lpost_getpc32038)&4294967295
	s_addc_u32 s15, s15, (.LBB2_6734-.Lpost_getpc32038)>>32
	s_setpc_b64 s[14:15]
.LBB2_21072:
	v_mov_b32_e32 v6, 0
	v_cmp_ne_u16_sdwa s[8:9], v3, v6 src0_sel:BYTE_0 src1_sel:DWORD
	s_andn2_b64 s[4:5], s[4:5], exec
	s_and_b64 s[8:9], s[8:9], exec
	s_or_b64 s[4:5], s[4:5], s[8:9]
	s_or_b64 exec, exec, s[6:7]
	s_and_saveexec_b64 s[6:7], s[4:5]
	s_cbranch_execz .LBB2_32039
; %bb.56911:
	s_getpc_b64 s[14:15]
.Lpost_getpc32039:
	s_add_u32 s14, s14, (.LBB2_6735-.Lpost_getpc32039)&4294967295
	s_addc_u32 s15, s15, (.LBB2_6735-.Lpost_getpc32039)>>32
	s_setpc_b64 s[14:15]
.LBB2_32039:
	s_getpc_b64 s[14:15]
.Lpost_getpc19603:
	s_add_u32 s14, s14, (.LBB2_6736-.Lpost_getpc19603)&4294967295
	s_addc_u32 s15, s15, (.LBB2_6736-.Lpost_getpc19603)>>32
	s_setpc_b64 s[14:15]
.LBB2_21073:
	s_movk_i32 s4, 0x80
	v_cmp_eq_u16_e32 vcc, s4, v3
	s_mov_b64 s[4:5], -1
                                        ; implicit-def: $sgpr10
	s_and_saveexec_b64 s[8:9], vcc
; %bb.21074:
	s_mov_b32 s10, 0x7f800001
	s_xor_b64 s[4:5], exec, -1
; %bb.21075:
	s_or_b64 exec, exec, s[8:9]
	s_and_b64 s[4:5], s[4:5], exec
                                        ; implicit-def: $vgpr3
	s_or_saveexec_b64 s[6:7], s[6:7]
	v_mov_b32_e32 v2, s10
	s_xor_b64 exec, exec, s[6:7]
	s_cbranch_execnz .LBB2_21076
; %bb.56913:
	s_getpc_b64 s[14:15]
.Lpost_getpc32040:
	s_add_u32 s14, s14, (.LBB2_6738-.Lpost_getpc32040)&4294967295
	s_addc_u32 s15, s15, (.LBB2_6738-.Lpost_getpc32040)>>32
	s_setpc_b64 s[14:15]
.LBB2_21076:
	v_cmp_ne_u16_e32 vcc, 0, v3
	s_andn2_b64 s[4:5], s[4:5], exec
	s_and_b64 s[8:9], vcc, exec
	v_mov_b32_e32 v2, 0
	s_or_b64 s[4:5], s[4:5], s[8:9]
	s_or_b64 exec, exec, s[6:7]
	s_and_saveexec_b64 s[6:7], s[4:5]
	s_cbranch_execz .LBB2_32041
; %bb.56915:
	s_getpc_b64 s[14:15]
.Lpost_getpc32041:
	s_add_u32 s14, s14, (.LBB2_6739-.Lpost_getpc32041)&4294967295
	s_addc_u32 s15, s15, (.LBB2_6739-.Lpost_getpc32041)>>32
	s_setpc_b64 s[14:15]
.LBB2_32041:
	s_getpc_b64 s[14:15]
.Lpost_getpc19604:
	s_add_u32 s14, s14, (.LBB2_6740-.Lpost_getpc19604)&4294967295
	s_addc_u32 s15, s15, (.LBB2_6740-.Lpost_getpc19604)>>32
	s_setpc_b64 s[14:15]
.LBB2_21077:
	s_movk_i32 s4, 0x80
	v_cmp_eq_u16_e32 vcc, s4, v3
	s_mov_b64 s[4:5], -1
                                        ; implicit-def: $sgpr10
	s_and_saveexec_b64 s[8:9], vcc
; %bb.21078:
	s_mov_b32 s10, 0x7f800001
	s_xor_b64 s[4:5], exec, -1
; %bb.21079:
	s_or_b64 exec, exec, s[8:9]
	s_and_b64 s[4:5], s[4:5], exec
                                        ; implicit-def: $vgpr3
	s_or_saveexec_b64 s[6:7], s[6:7]
	v_mov_b32_e32 v6, s10
	s_xor_b64 exec, exec, s[6:7]
	s_cbranch_execnz .LBB2_21080
; %bb.56917:
	s_getpc_b64 s[14:15]
.Lpost_getpc32042:
	s_add_u32 s14, s14, (.LBB2_6742-.Lpost_getpc32042)&4294967295
	s_addc_u32 s15, s15, (.LBB2_6742-.Lpost_getpc32042)>>32
	s_setpc_b64 s[14:15]
.LBB2_21080:
	v_cmp_ne_u16_e32 vcc, 0, v3
	s_andn2_b64 s[4:5], s[4:5], exec
	s_and_b64 s[8:9], vcc, exec
	v_mov_b32_e32 v6, 0
	s_or_b64 s[4:5], s[4:5], s[8:9]
	s_or_b64 exec, exec, s[6:7]
	s_and_saveexec_b64 s[6:7], s[4:5]
	s_cbranch_execz .LBB2_32043
; %bb.56919:
	s_getpc_b64 s[14:15]
.Lpost_getpc32043:
	s_add_u32 s14, s14, (.LBB2_6743-.Lpost_getpc32043)&4294967295
	s_addc_u32 s15, s15, (.LBB2_6743-.Lpost_getpc32043)>>32
	s_setpc_b64 s[14:15]
.LBB2_32043:
	s_getpc_b64 s[14:15]
.Lpost_getpc19605:
	s_add_u32 s14, s14, (.LBB2_6744-.Lpost_getpc19605)&4294967295
	s_addc_u32 s15, s15, (.LBB2_6744-.Lpost_getpc19605)>>32
	s_setpc_b64 s[14:15]
.LBB2_21081:
	s_movk_i32 s4, 0x80
	v_cmp_eq_u16_sdwa s[12:13], v8, s4 src0_sel:BYTE_3 src1_sel:DWORD
	s_mov_b64 s[4:5], -1
                                        ; implicit-def: $sgpr10
	s_and_saveexec_b64 s[8:9], s[12:13]
; %bb.21082:
	s_mov_b32 s10, 0x7f800001
	s_xor_b64 s[4:5], exec, -1
; %bb.21083:
	s_or_b64 exec, exec, s[8:9]
	s_and_b64 s[4:5], s[4:5], exec
	s_or_saveexec_b64 s[6:7], s[6:7]
	v_mov_b32_e32 v2, s10
	s_xor_b64 exec, exec, s[6:7]
	s_cbranch_execnz .LBB2_21084
; %bb.56921:
	s_getpc_b64 s[14:15]
.Lpost_getpc32044:
	s_add_u32 s14, s14, (.LBB2_6746-.Lpost_getpc32044)&4294967295
	s_addc_u32 s15, s15, (.LBB2_6746-.Lpost_getpc32044)>>32
	s_setpc_b64 s[14:15]
.LBB2_21084:
	v_mov_b32_e32 v2, 0
	v_cmp_ne_u16_sdwa s[8:9], v8, v2 src0_sel:BYTE_3 src1_sel:DWORD
	s_andn2_b64 s[4:5], s[4:5], exec
	s_and_b64 s[8:9], s[8:9], exec
	s_or_b64 s[4:5], s[4:5], s[8:9]
	s_or_b64 exec, exec, s[6:7]
	s_and_saveexec_b64 s[6:7], s[4:5]
	s_cbranch_execz .LBB2_32045
; %bb.56923:
	s_getpc_b64 s[14:15]
.Lpost_getpc32045:
	s_add_u32 s14, s14, (.LBB2_6747-.Lpost_getpc32045)&4294967295
	s_addc_u32 s15, s15, (.LBB2_6747-.Lpost_getpc32045)>>32
	s_setpc_b64 s[14:15]
.LBB2_32045:
	s_getpc_b64 s[14:15]
.Lpost_getpc19606:
	s_add_u32 s14, s14, (.LBB2_6748-.Lpost_getpc19606)&4294967295
	s_addc_u32 s15, s15, (.LBB2_6748-.Lpost_getpc19606)>>32
	s_setpc_b64 s[14:15]
.LBB2_21085:
	s_movk_i32 s4, 0x80
	v_cmp_eq_u16_sdwa s[12:13], v4, s4 src0_sel:BYTE_3 src1_sel:DWORD
	s_mov_b64 s[4:5], -1
                                        ; implicit-def: $sgpr10
	s_and_saveexec_b64 s[8:9], s[12:13]
; %bb.21086:
	s_mov_b32 s10, 0x7f800001
	s_xor_b64 s[4:5], exec, -1
; %bb.21087:
	s_or_b64 exec, exec, s[8:9]
	s_and_b64 s[4:5], s[4:5], exec
	s_or_saveexec_b64 s[6:7], s[6:7]
	v_mov_b32_e32 v3, s10
	s_xor_b64 exec, exec, s[6:7]
	s_cbranch_execnz .LBB2_21088
; %bb.56925:
	s_getpc_b64 s[14:15]
.Lpost_getpc32046:
	s_add_u32 s14, s14, (.LBB2_6750-.Lpost_getpc32046)&4294967295
	s_addc_u32 s15, s15, (.LBB2_6750-.Lpost_getpc32046)>>32
	s_setpc_b64 s[14:15]
.LBB2_21088:
	v_mov_b32_e32 v3, 0
	v_cmp_ne_u16_sdwa s[8:9], v4, v3 src0_sel:BYTE_3 src1_sel:DWORD
	s_andn2_b64 s[4:5], s[4:5], exec
	s_and_b64 s[8:9], s[8:9], exec
	s_or_b64 s[4:5], s[4:5], s[8:9]
	s_or_b64 exec, exec, s[6:7]
	s_and_saveexec_b64 s[6:7], s[4:5]
	s_cbranch_execz .LBB2_32047
; %bb.56927:
	s_getpc_b64 s[14:15]
.Lpost_getpc32047:
	s_add_u32 s14, s14, (.LBB2_6751-.Lpost_getpc32047)&4294967295
	s_addc_u32 s15, s15, (.LBB2_6751-.Lpost_getpc32047)>>32
	s_setpc_b64 s[14:15]
.LBB2_32047:
	s_getpc_b64 s[14:15]
.Lpost_getpc19607:
	s_add_u32 s14, s14, (.LBB2_6752-.Lpost_getpc19607)&4294967295
	s_addc_u32 s15, s15, (.LBB2_6752-.Lpost_getpc19607)>>32
	s_setpc_b64 s[14:15]
.LBB2_21089:
	s_movk_i32 s4, 0x80
	v_cmp_eq_u16_sdwa s[12:13], v9, s4 src0_sel:BYTE_0 src1_sel:DWORD
	s_mov_b64 s[4:5], -1
                                        ; implicit-def: $sgpr10
	s_and_saveexec_b64 s[8:9], s[12:13]
; %bb.21090:
	s_mov_b32 s10, 0x7f800001
	s_xor_b64 s[4:5], exec, -1
; %bb.21091:
	s_or_b64 exec, exec, s[8:9]
	s_and_b64 s[4:5], s[4:5], exec
	s_or_saveexec_b64 s[6:7], s[6:7]
	v_mov_b32_e32 v2, s10
	s_xor_b64 exec, exec, s[6:7]
	s_cbranch_execnz .LBB2_21092
; %bb.56929:
	s_getpc_b64 s[14:15]
.Lpost_getpc32048:
	s_add_u32 s14, s14, (.LBB2_6754-.Lpost_getpc32048)&4294967295
	s_addc_u32 s15, s15, (.LBB2_6754-.Lpost_getpc32048)>>32
	s_setpc_b64 s[14:15]
.LBB2_21092:
	v_mov_b32_e32 v2, 0
	v_cmp_ne_u16_sdwa s[8:9], v9, v2 src0_sel:BYTE_0 src1_sel:DWORD
	s_andn2_b64 s[4:5], s[4:5], exec
	s_and_b64 s[8:9], s[8:9], exec
	s_or_b64 s[4:5], s[4:5], s[8:9]
	s_or_b64 exec, exec, s[6:7]
	s_and_saveexec_b64 s[6:7], s[4:5]
	s_cbranch_execz .LBB2_32049
; %bb.56931:
	s_getpc_b64 s[14:15]
.Lpost_getpc32049:
	s_add_u32 s14, s14, (.LBB2_6755-.Lpost_getpc32049)&4294967295
	s_addc_u32 s15, s15, (.LBB2_6755-.Lpost_getpc32049)>>32
	s_setpc_b64 s[14:15]
.LBB2_32049:
	s_getpc_b64 s[14:15]
.Lpost_getpc19608:
	s_add_u32 s14, s14, (.LBB2_6756-.Lpost_getpc19608)&4294967295
	s_addc_u32 s15, s15, (.LBB2_6756-.Lpost_getpc19608)>>32
	s_setpc_b64 s[14:15]
.LBB2_21093:
	s_movk_i32 s4, 0x80
	v_cmp_eq_u16_sdwa s[12:13], v5, s4 src0_sel:BYTE_0 src1_sel:DWORD
	s_mov_b64 s[4:5], -1
                                        ; implicit-def: $sgpr10
	s_and_saveexec_b64 s[8:9], s[12:13]
; %bb.21094:
	s_mov_b32 s10, 0x7f800001
	s_xor_b64 s[4:5], exec, -1
; %bb.21095:
	s_or_b64 exec, exec, s[8:9]
	s_and_b64 s[4:5], s[4:5], exec
	s_or_saveexec_b64 s[6:7], s[6:7]
	v_mov_b32_e32 v3, s10
	s_xor_b64 exec, exec, s[6:7]
	s_cbranch_execnz .LBB2_21096
; %bb.56933:
	s_getpc_b64 s[14:15]
.Lpost_getpc32050:
	s_add_u32 s14, s14, (.LBB2_6758-.Lpost_getpc32050)&4294967295
	s_addc_u32 s15, s15, (.LBB2_6758-.Lpost_getpc32050)>>32
	s_setpc_b64 s[14:15]
.LBB2_21096:
	v_mov_b32_e32 v3, 0
	v_cmp_ne_u16_sdwa s[8:9], v5, v3 src0_sel:BYTE_0 src1_sel:DWORD
	s_andn2_b64 s[4:5], s[4:5], exec
	s_and_b64 s[8:9], s[8:9], exec
	s_or_b64 s[4:5], s[4:5], s[8:9]
	s_or_b64 exec, exec, s[6:7]
	s_and_saveexec_b64 s[6:7], s[4:5]
	s_cbranch_execz .LBB2_32051
; %bb.56935:
	s_getpc_b64 s[14:15]
.Lpost_getpc32051:
	s_add_u32 s14, s14, (.LBB2_6759-.Lpost_getpc32051)&4294967295
	s_addc_u32 s15, s15, (.LBB2_6759-.Lpost_getpc32051)>>32
	s_setpc_b64 s[14:15]
.LBB2_32051:
	s_getpc_b64 s[14:15]
.Lpost_getpc19609:
	s_add_u32 s14, s14, (.LBB2_6760-.Lpost_getpc19609)&4294967295
	s_addc_u32 s15, s15, (.LBB2_6760-.Lpost_getpc19609)>>32
	s_setpc_b64 s[14:15]
.LBB2_21097:
	s_movk_i32 s4, 0x80
	v_cmp_eq_u16_sdwa s[12:13], v3, s4 src0_sel:BYTE_0 src1_sel:DWORD
	s_mov_b64 s[4:5], -1
                                        ; implicit-def: $sgpr10
	s_and_saveexec_b64 s[8:9], s[12:13]
; %bb.21098:
	s_mov_b32 s10, 0x7f800001
	s_xor_b64 s[4:5], exec, -1
; %bb.21099:
	s_or_b64 exec, exec, s[8:9]
	s_and_b64 s[4:5], s[4:5], exec
	s_or_saveexec_b64 s[6:7], s[6:7]
	v_mov_b32_e32 v2, s10
	s_xor_b64 exec, exec, s[6:7]
	s_cbranch_execnz .LBB2_21100
; %bb.56937:
	s_getpc_b64 s[14:15]
.Lpost_getpc32052:
	s_add_u32 s14, s14, (.LBB2_6762-.Lpost_getpc32052)&4294967295
	s_addc_u32 s15, s15, (.LBB2_6762-.Lpost_getpc32052)>>32
	s_setpc_b64 s[14:15]
.LBB2_21100:
	v_mov_b32_e32 v2, 0
	v_cmp_ne_u16_sdwa s[8:9], v3, v2 src0_sel:BYTE_0 src1_sel:DWORD
	s_andn2_b64 s[4:5], s[4:5], exec
	s_and_b64 s[8:9], s[8:9], exec
	s_or_b64 s[4:5], s[4:5], s[8:9]
	s_or_b64 exec, exec, s[6:7]
	s_and_saveexec_b64 s[6:7], s[4:5]
	s_cbranch_execz .LBB2_32053
; %bb.56939:
	s_getpc_b64 s[14:15]
.Lpost_getpc32053:
	s_add_u32 s14, s14, (.LBB2_6763-.Lpost_getpc32053)&4294967295
	s_addc_u32 s15, s15, (.LBB2_6763-.Lpost_getpc32053)>>32
	s_setpc_b64 s[14:15]
.LBB2_32053:
	s_getpc_b64 s[14:15]
.Lpost_getpc19610:
	s_add_u32 s14, s14, (.LBB2_6764-.Lpost_getpc19610)&4294967295
	s_addc_u32 s15, s15, (.LBB2_6764-.Lpost_getpc19610)>>32
	s_setpc_b64 s[14:15]
.LBB2_21101:
	s_movk_i32 s4, 0x80
	v_cmp_eq_u16_sdwa s[12:13], v3, s4 src0_sel:BYTE_0 src1_sel:DWORD
	s_mov_b64 s[4:5], -1
                                        ; implicit-def: $sgpr10
	s_and_saveexec_b64 s[8:9], s[12:13]
; %bb.21102:
	s_mov_b32 s10, 0x7f800001
	s_xor_b64 s[4:5], exec, -1
; %bb.21103:
	s_or_b64 exec, exec, s[8:9]
	s_and_b64 s[4:5], s[4:5], exec
	s_or_saveexec_b64 s[6:7], s[6:7]
	v_mov_b32_e32 v4, s10
	s_xor_b64 exec, exec, s[6:7]
	s_cbranch_execnz .LBB2_21104
; %bb.56941:
	s_getpc_b64 s[14:15]
.Lpost_getpc32054:
	s_add_u32 s14, s14, (.LBB2_6766-.Lpost_getpc32054)&4294967295
	s_addc_u32 s15, s15, (.LBB2_6766-.Lpost_getpc32054)>>32
	s_setpc_b64 s[14:15]
.LBB2_21104:
	v_mov_b32_e32 v4, 0
	v_cmp_ne_u16_sdwa s[8:9], v3, v4 src0_sel:BYTE_0 src1_sel:DWORD
	s_andn2_b64 s[4:5], s[4:5], exec
	s_and_b64 s[8:9], s[8:9], exec
	s_or_b64 s[4:5], s[4:5], s[8:9]
	s_or_b64 exec, exec, s[6:7]
	s_and_saveexec_b64 s[6:7], s[4:5]
	s_cbranch_execz .LBB2_32055
; %bb.56943:
	s_getpc_b64 s[14:15]
.Lpost_getpc32055:
	s_add_u32 s14, s14, (.LBB2_6767-.Lpost_getpc32055)&4294967295
	s_addc_u32 s15, s15, (.LBB2_6767-.Lpost_getpc32055)>>32
	s_setpc_b64 s[14:15]
.LBB2_32055:
	s_getpc_b64 s[14:15]
.Lpost_getpc19611:
	s_add_u32 s14, s14, (.LBB2_6768-.Lpost_getpc19611)&4294967295
	s_addc_u32 s15, s15, (.LBB2_6768-.Lpost_getpc19611)>>32
	s_setpc_b64 s[14:15]
.LBB2_21105:
	s_movk_i32 s4, 0x80
	v_cmp_eq_u16_e32 vcc, s4, v3
	s_mov_b64 s[4:5], -1
                                        ; implicit-def: $sgpr10
	s_and_saveexec_b64 s[8:9], vcc
; %bb.21106:
	s_mov_b32 s10, 0x7f800001
	s_xor_b64 s[4:5], exec, -1
; %bb.21107:
	s_or_b64 exec, exec, s[8:9]
	s_and_b64 s[4:5], s[4:5], exec
                                        ; implicit-def: $vgpr3
	s_or_saveexec_b64 s[6:7], s[6:7]
	v_mov_b32_e32 v2, s10
	s_xor_b64 exec, exec, s[6:7]
	s_cbranch_execnz .LBB2_21108
; %bb.56945:
	s_getpc_b64 s[14:15]
.Lpost_getpc32056:
	s_add_u32 s14, s14, (.LBB2_6770-.Lpost_getpc32056)&4294967295
	s_addc_u32 s15, s15, (.LBB2_6770-.Lpost_getpc32056)>>32
	s_setpc_b64 s[14:15]
.LBB2_21108:
	v_cmp_ne_u16_e32 vcc, 0, v3
	s_andn2_b64 s[4:5], s[4:5], exec
	s_and_b64 s[8:9], vcc, exec
	v_mov_b32_e32 v2, 0
	s_or_b64 s[4:5], s[4:5], s[8:9]
	s_or_b64 exec, exec, s[6:7]
	s_and_saveexec_b64 s[6:7], s[4:5]
	s_cbranch_execz .LBB2_32057
; %bb.56947:
	s_getpc_b64 s[14:15]
.Lpost_getpc32057:
	s_add_u32 s14, s14, (.LBB2_6771-.Lpost_getpc32057)&4294967295
	s_addc_u32 s15, s15, (.LBB2_6771-.Lpost_getpc32057)>>32
	s_setpc_b64 s[14:15]
.LBB2_32057:
	s_getpc_b64 s[14:15]
.Lpost_getpc19612:
	s_add_u32 s14, s14, (.LBB2_6772-.Lpost_getpc19612)&4294967295
	s_addc_u32 s15, s15, (.LBB2_6772-.Lpost_getpc19612)>>32
	s_setpc_b64 s[14:15]
.LBB2_21109:
	s_movk_i32 s4, 0x80
	v_cmp_eq_u16_e32 vcc, s4, v3
	s_mov_b64 s[4:5], -1
                                        ; implicit-def: $sgpr10
	s_and_saveexec_b64 s[8:9], vcc
; %bb.21110:
	s_mov_b32 s10, 0x7f800001
	s_xor_b64 s[4:5], exec, -1
; %bb.21111:
	s_or_b64 exec, exec, s[8:9]
	s_and_b64 s[4:5], s[4:5], exec
                                        ; implicit-def: $vgpr3
	s_or_saveexec_b64 s[6:7], s[6:7]
	v_mov_b32_e32 v4, s10
	s_xor_b64 exec, exec, s[6:7]
	s_cbranch_execnz .LBB2_21112
; %bb.56949:
	s_getpc_b64 s[14:15]
.Lpost_getpc32058:
	s_add_u32 s14, s14, (.LBB2_6774-.Lpost_getpc32058)&4294967295
	s_addc_u32 s15, s15, (.LBB2_6774-.Lpost_getpc32058)>>32
	s_setpc_b64 s[14:15]
.LBB2_21112:
	v_cmp_ne_u16_e32 vcc, 0, v3
	s_andn2_b64 s[4:5], s[4:5], exec
	s_and_b64 s[8:9], vcc, exec
	v_mov_b32_e32 v4, 0
	s_or_b64 s[4:5], s[4:5], s[8:9]
	s_or_b64 exec, exec, s[6:7]
	s_and_saveexec_b64 s[6:7], s[4:5]
	s_cbranch_execz .LBB2_32059
; %bb.56951:
	s_getpc_b64 s[14:15]
.Lpost_getpc32059:
	s_add_u32 s14, s14, (.LBB2_6775-.Lpost_getpc32059)&4294967295
	s_addc_u32 s15, s15, (.LBB2_6775-.Lpost_getpc32059)>>32
	s_setpc_b64 s[14:15]
.LBB2_32059:
	s_getpc_b64 s[14:15]
.Lpost_getpc19613:
	s_add_u32 s14, s14, (.LBB2_6776-.Lpost_getpc19613)&4294967295
	s_addc_u32 s15, s15, (.LBB2_6776-.Lpost_getpc19613)>>32
	s_setpc_b64 s[14:15]
.LBB2_21113:
	s_movk_i32 s4, 0x80
	v_cmp_eq_u16_sdwa s[12:13], v9, s4 src0_sel:BYTE_3 src1_sel:DWORD
	s_mov_b64 s[4:5], -1
                                        ; implicit-def: $sgpr10
	s_and_saveexec_b64 s[8:9], s[12:13]
; %bb.21114:
	s_mov_b32 s10, 0x7f800001
	s_xor_b64 s[4:5], exec, -1
; %bb.21115:
	s_or_b64 exec, exec, s[8:9]
	s_and_b64 s[4:5], s[4:5], exec
	s_or_saveexec_b64 s[6:7], s[6:7]
	v_mov_b32_e32 v2, s10
	s_xor_b64 exec, exec, s[6:7]
	s_cbranch_execnz .LBB2_21116
; %bb.56953:
	s_getpc_b64 s[14:15]
.Lpost_getpc32060:
	s_add_u32 s14, s14, (.LBB2_6778-.Lpost_getpc32060)&4294967295
	s_addc_u32 s15, s15, (.LBB2_6778-.Lpost_getpc32060)>>32
	s_setpc_b64 s[14:15]
.LBB2_21116:
	v_mov_b32_e32 v2, 0
	v_cmp_ne_u16_sdwa s[8:9], v9, v2 src0_sel:BYTE_3 src1_sel:DWORD
	s_andn2_b64 s[4:5], s[4:5], exec
	s_and_b64 s[8:9], s[8:9], exec
	s_or_b64 s[4:5], s[4:5], s[8:9]
	s_or_b64 exec, exec, s[6:7]
	s_and_saveexec_b64 s[6:7], s[4:5]
	s_cbranch_execz .LBB2_32061
; %bb.56955:
	s_getpc_b64 s[14:15]
.Lpost_getpc32061:
	s_add_u32 s14, s14, (.LBB2_6779-.Lpost_getpc32061)&4294967295
	s_addc_u32 s15, s15, (.LBB2_6779-.Lpost_getpc32061)>>32
	s_setpc_b64 s[14:15]
.LBB2_32061:
	s_getpc_b64 s[14:15]
.Lpost_getpc19614:
	s_add_u32 s14, s14, (.LBB2_6780-.Lpost_getpc19614)&4294967295
	s_addc_u32 s15, s15, (.LBB2_6780-.Lpost_getpc19614)>>32
	s_setpc_b64 s[14:15]
.LBB2_21117:
	s_movk_i32 s4, 0x80
	v_cmp_eq_u16_sdwa s[12:13], v5, s4 src0_sel:BYTE_3 src1_sel:DWORD
	s_mov_b64 s[4:5], -1
                                        ; implicit-def: $sgpr10
	s_and_saveexec_b64 s[8:9], s[12:13]
; %bb.21118:
	s_mov_b32 s10, 0x7f800001
	s_xor_b64 s[4:5], exec, -1
; %bb.21119:
	s_or_b64 exec, exec, s[8:9]
	s_and_b64 s[4:5], s[4:5], exec
	s_or_saveexec_b64 s[6:7], s[6:7]
	v_mov_b32_e32 v3, s10
	s_xor_b64 exec, exec, s[6:7]
	s_cbranch_execnz .LBB2_21120
; %bb.56957:
	s_getpc_b64 s[14:15]
.Lpost_getpc32062:
	s_add_u32 s14, s14, (.LBB2_6782-.Lpost_getpc32062)&4294967295
	s_addc_u32 s15, s15, (.LBB2_6782-.Lpost_getpc32062)>>32
	s_setpc_b64 s[14:15]
.LBB2_21120:
	v_mov_b32_e32 v3, 0
	v_cmp_ne_u16_sdwa s[8:9], v5, v3 src0_sel:BYTE_3 src1_sel:DWORD
	s_andn2_b64 s[4:5], s[4:5], exec
	s_and_b64 s[8:9], s[8:9], exec
	s_or_b64 s[4:5], s[4:5], s[8:9]
	s_or_b64 exec, exec, s[6:7]
	s_and_saveexec_b64 s[6:7], s[4:5]
	s_cbranch_execz .LBB2_32063
; %bb.56959:
	s_getpc_b64 s[14:15]
.Lpost_getpc32063:
	s_add_u32 s14, s14, (.LBB2_6783-.Lpost_getpc32063)&4294967295
	s_addc_u32 s15, s15, (.LBB2_6783-.Lpost_getpc32063)>>32
	s_setpc_b64 s[14:15]
.LBB2_32063:
	s_getpc_b64 s[14:15]
.Lpost_getpc19615:
	s_add_u32 s14, s14, (.LBB2_6784-.Lpost_getpc19615)&4294967295
	s_addc_u32 s15, s15, (.LBB2_6784-.Lpost_getpc19615)>>32
	s_setpc_b64 s[14:15]
.LBB2_21121:
	s_movk_i32 s4, 0x80
	v_cmp_eq_u16_sdwa s[12:13], v6, s4 src0_sel:BYTE_0 src1_sel:DWORD
	s_mov_b64 s[4:5], -1
                                        ; implicit-def: $sgpr10
	s_and_saveexec_b64 s[8:9], s[12:13]
; %bb.21122:
	s_mov_b32 s10, 0x7f800001
	s_xor_b64 s[4:5], exec, -1
; %bb.21123:
	s_or_b64 exec, exec, s[8:9]
	s_and_b64 s[4:5], s[4:5], exec
	s_or_saveexec_b64 s[6:7], s[6:7]
	v_mov_b32_e32 v12, s10
	s_xor_b64 exec, exec, s[6:7]
	s_cbranch_execnz .LBB2_21124
; %bb.56961:
	s_getpc_b64 s[14:15]
.Lpost_getpc32064:
	s_add_u32 s14, s14, (.LBB2_6786-.Lpost_getpc32064)&4294967295
	s_addc_u32 s15, s15, (.LBB2_6786-.Lpost_getpc32064)>>32
	s_setpc_b64 s[14:15]
.LBB2_21124:
	v_mov_b32_e32 v12, 0
	v_cmp_ne_u16_sdwa s[8:9], v6, v12 src0_sel:BYTE_0 src1_sel:DWORD
	s_andn2_b64 s[4:5], s[4:5], exec
	s_and_b64 s[8:9], s[8:9], exec
	s_or_b64 s[4:5], s[4:5], s[8:9]
	s_or_b64 exec, exec, s[6:7]
	s_and_saveexec_b64 s[6:7], s[4:5]
	s_cbranch_execz .LBB2_32065
; %bb.56963:
	s_getpc_b64 s[14:15]
.Lpost_getpc32065:
	s_add_u32 s14, s14, (.LBB2_6787-.Lpost_getpc32065)&4294967295
	s_addc_u32 s15, s15, (.LBB2_6787-.Lpost_getpc32065)>>32
	s_setpc_b64 s[14:15]
.LBB2_32065:
	s_getpc_b64 s[14:15]
.Lpost_getpc19616:
	s_add_u32 s14, s14, (.LBB2_6788-.Lpost_getpc19616)&4294967295
	s_addc_u32 s15, s15, (.LBB2_6788-.Lpost_getpc19616)>>32
	s_setpc_b64 s[14:15]
.LBB2_21125:
	s_movk_i32 s4, 0x80
	v_cmp_eq_u16_sdwa s[12:13], v2, s4 src0_sel:BYTE_0 src1_sel:DWORD
	s_mov_b64 s[4:5], -1
                                        ; implicit-def: $sgpr10
	s_and_saveexec_b64 s[8:9], s[12:13]
; %bb.21126:
	s_mov_b32 s10, 0x7f800001
	s_xor_b64 s[4:5], exec, -1
; %bb.21127:
	s_or_b64 exec, exec, s[8:9]
	s_and_b64 s[4:5], s[4:5], exec
	s_or_saveexec_b64 s[6:7], s[6:7]
	v_mov_b32_e32 v13, s10
	s_xor_b64 exec, exec, s[6:7]
	s_cbranch_execnz .LBB2_21128
; %bb.56965:
	s_getpc_b64 s[14:15]
.Lpost_getpc32066:
	s_add_u32 s14, s14, (.LBB2_6790-.Lpost_getpc32066)&4294967295
	s_addc_u32 s15, s15, (.LBB2_6790-.Lpost_getpc32066)>>32
	s_setpc_b64 s[14:15]
.LBB2_21128:
	v_mov_b32_e32 v13, 0
	v_cmp_ne_u16_sdwa s[8:9], v2, v13 src0_sel:BYTE_0 src1_sel:DWORD
	s_andn2_b64 s[4:5], s[4:5], exec
	s_and_b64 s[8:9], s[8:9], exec
	s_or_b64 s[4:5], s[4:5], s[8:9]
	s_or_b64 exec, exec, s[6:7]
	s_and_saveexec_b64 s[6:7], s[4:5]
	s_cbranch_execz .LBB2_32067
; %bb.56967:
	s_getpc_b64 s[14:15]
.Lpost_getpc32067:
	s_add_u32 s14, s14, (.LBB2_6791-.Lpost_getpc32067)&4294967295
	s_addc_u32 s15, s15, (.LBB2_6791-.Lpost_getpc32067)>>32
	s_setpc_b64 s[14:15]
.LBB2_32067:
	s_getpc_b64 s[14:15]
.Lpost_getpc19617:
	s_add_u32 s14, s14, (.LBB2_6792-.Lpost_getpc19617)&4294967295
	s_addc_u32 s15, s15, (.LBB2_6792-.Lpost_getpc19617)>>32
	s_setpc_b64 s[14:15]
.LBB2_21129:
	s_movk_i32 s4, 0x80
	v_cmp_eq_u16_sdwa s[12:13], v13, s4 src0_sel:BYTE_0 src1_sel:DWORD
	s_mov_b64 s[4:5], -1
                                        ; implicit-def: $sgpr10
	s_and_saveexec_b64 s[8:9], s[12:13]
; %bb.21130:
	s_mov_b32 s10, 0x7f800001
	s_xor_b64 s[4:5], exec, -1
; %bb.21131:
	s_or_b64 exec, exec, s[8:9]
	s_and_b64 s[4:5], s[4:5], exec
	s_or_saveexec_b64 s[6:7], s[6:7]
	v_mov_b32_e32 v12, s10
	s_xor_b64 exec, exec, s[6:7]
	s_cbranch_execnz .LBB2_21132
; %bb.56969:
	s_getpc_b64 s[14:15]
.Lpost_getpc32068:
	s_add_u32 s14, s14, (.LBB2_6794-.Lpost_getpc32068)&4294967295
	s_addc_u32 s15, s15, (.LBB2_6794-.Lpost_getpc32068)>>32
	s_setpc_b64 s[14:15]
.LBB2_21132:
	v_mov_b32_e32 v12, 0
	v_cmp_ne_u16_sdwa s[8:9], v13, v12 src0_sel:BYTE_0 src1_sel:DWORD
	s_andn2_b64 s[4:5], s[4:5], exec
	s_and_b64 s[8:9], s[8:9], exec
	s_or_b64 s[4:5], s[4:5], s[8:9]
	s_or_b64 exec, exec, s[6:7]
	s_and_saveexec_b64 s[6:7], s[4:5]
	s_cbranch_execz .LBB2_32069
; %bb.56971:
	s_getpc_b64 s[14:15]
.Lpost_getpc32069:
	s_add_u32 s14, s14, (.LBB2_6795-.Lpost_getpc32069)&4294967295
	s_addc_u32 s15, s15, (.LBB2_6795-.Lpost_getpc32069)>>32
	s_setpc_b64 s[14:15]
.LBB2_32069:
	s_getpc_b64 s[14:15]
.Lpost_getpc19618:
	s_add_u32 s14, s14, (.LBB2_6796-.Lpost_getpc19618)&4294967295
	s_addc_u32 s15, s15, (.LBB2_6796-.Lpost_getpc19618)>>32
	s_setpc_b64 s[14:15]
.LBB2_21133:
	s_movk_i32 s4, 0x80
	v_cmp_eq_u16_sdwa s[12:13], v13, s4 src0_sel:BYTE_0 src1_sel:DWORD
	s_mov_b64 s[4:5], -1
                                        ; implicit-def: $sgpr10
	s_and_saveexec_b64 s[8:9], s[12:13]
; %bb.21134:
	s_mov_b32 s10, 0x7f800001
	s_xor_b64 s[4:5], exec, -1
; %bb.21135:
	s_or_b64 exec, exec, s[8:9]
	s_and_b64 s[4:5], s[4:5], exec
	s_or_saveexec_b64 s[6:7], s[6:7]
	v_mov_b32_e32 v14, s10
	s_xor_b64 exec, exec, s[6:7]
	s_cbranch_execnz .LBB2_21136
; %bb.56973:
	s_getpc_b64 s[14:15]
.Lpost_getpc32070:
	s_add_u32 s14, s14, (.LBB2_6798-.Lpost_getpc32070)&4294967295
	s_addc_u32 s15, s15, (.LBB2_6798-.Lpost_getpc32070)>>32
	s_setpc_b64 s[14:15]
.LBB2_21136:
	v_mov_b32_e32 v14, 0
	v_cmp_ne_u16_sdwa s[8:9], v13, v14 src0_sel:BYTE_0 src1_sel:DWORD
	s_andn2_b64 s[4:5], s[4:5], exec
	s_and_b64 s[8:9], s[8:9], exec
	s_or_b64 s[4:5], s[4:5], s[8:9]
	s_or_b64 exec, exec, s[6:7]
	s_and_saveexec_b64 s[6:7], s[4:5]
	s_cbranch_execz .LBB2_32071
; %bb.56975:
	s_getpc_b64 s[14:15]
.Lpost_getpc32071:
	s_add_u32 s14, s14, (.LBB2_6799-.Lpost_getpc32071)&4294967295
	s_addc_u32 s15, s15, (.LBB2_6799-.Lpost_getpc32071)>>32
	s_setpc_b64 s[14:15]
.LBB2_32071:
	s_getpc_b64 s[14:15]
.Lpost_getpc19619:
	s_add_u32 s14, s14, (.LBB2_6800-.Lpost_getpc19619)&4294967295
	s_addc_u32 s15, s15, (.LBB2_6800-.Lpost_getpc19619)>>32
	s_setpc_b64 s[14:15]
.LBB2_21137:
	s_movk_i32 s4, 0x80
	v_cmp_eq_u16_e32 vcc, s4, v13
	s_mov_b64 s[4:5], -1
                                        ; implicit-def: $sgpr10
	s_and_saveexec_b64 s[8:9], vcc
; %bb.21138:
	s_mov_b32 s10, 0x7f800001
	s_xor_b64 s[4:5], exec, -1
; %bb.21139:
	s_or_b64 exec, exec, s[8:9]
	s_and_b64 s[4:5], s[4:5], exec
                                        ; implicit-def: $vgpr13
	s_or_saveexec_b64 s[6:7], s[6:7]
	v_mov_b32_e32 v12, s10
	s_xor_b64 exec, exec, s[6:7]
	s_cbranch_execnz .LBB2_21140
; %bb.56977:
	s_getpc_b64 s[14:15]
.Lpost_getpc32072:
	s_add_u32 s14, s14, (.LBB2_6802-.Lpost_getpc32072)&4294967295
	s_addc_u32 s15, s15, (.LBB2_6802-.Lpost_getpc32072)>>32
	s_setpc_b64 s[14:15]
.LBB2_21140:
	v_cmp_ne_u16_e32 vcc, 0, v13
	s_andn2_b64 s[4:5], s[4:5], exec
	s_and_b64 s[8:9], vcc, exec
	v_mov_b32_e32 v12, 0
	s_or_b64 s[4:5], s[4:5], s[8:9]
	s_or_b64 exec, exec, s[6:7]
	s_and_saveexec_b64 s[6:7], s[4:5]
	s_cbranch_execz .LBB2_32073
; %bb.56979:
	s_getpc_b64 s[14:15]
.Lpost_getpc32073:
	s_add_u32 s14, s14, (.LBB2_6803-.Lpost_getpc32073)&4294967295
	s_addc_u32 s15, s15, (.LBB2_6803-.Lpost_getpc32073)>>32
	s_setpc_b64 s[14:15]
.LBB2_32073:
	s_getpc_b64 s[14:15]
.Lpost_getpc19620:
	s_add_u32 s14, s14, (.LBB2_6804-.Lpost_getpc19620)&4294967295
	s_addc_u32 s15, s15, (.LBB2_6804-.Lpost_getpc19620)>>32
	s_setpc_b64 s[14:15]
.LBB2_21141:
	s_movk_i32 s4, 0x80
	v_cmp_eq_u16_e32 vcc, s4, v13
	s_mov_b64 s[4:5], -1
                                        ; implicit-def: $sgpr10
	s_and_saveexec_b64 s[8:9], vcc
; %bb.21142:
	s_mov_b32 s10, 0x7f800001
	s_xor_b64 s[4:5], exec, -1
; %bb.21143:
	s_or_b64 exec, exec, s[8:9]
	s_and_b64 s[4:5], s[4:5], exec
                                        ; implicit-def: $vgpr13
	s_or_saveexec_b64 s[6:7], s[6:7]
	v_mov_b32_e32 v14, s10
	s_xor_b64 exec, exec, s[6:7]
	s_cbranch_execnz .LBB2_21144
; %bb.56981:
	s_getpc_b64 s[14:15]
.Lpost_getpc32074:
	s_add_u32 s14, s14, (.LBB2_6806-.Lpost_getpc32074)&4294967295
	s_addc_u32 s15, s15, (.LBB2_6806-.Lpost_getpc32074)>>32
	s_setpc_b64 s[14:15]
.LBB2_21144:
	v_cmp_ne_u16_e32 vcc, 0, v13
	s_andn2_b64 s[4:5], s[4:5], exec
	s_and_b64 s[8:9], vcc, exec
	v_mov_b32_e32 v14, 0
	s_or_b64 s[4:5], s[4:5], s[8:9]
	s_or_b64 exec, exec, s[6:7]
	s_and_saveexec_b64 s[6:7], s[4:5]
	s_cbranch_execz .LBB2_32075
; %bb.56983:
	s_getpc_b64 s[14:15]
.Lpost_getpc32075:
	s_add_u32 s14, s14, (.LBB2_6807-.Lpost_getpc32075)&4294967295
	s_addc_u32 s15, s15, (.LBB2_6807-.Lpost_getpc32075)>>32
	s_setpc_b64 s[14:15]
.LBB2_32075:
	s_getpc_b64 s[14:15]
.Lpost_getpc19621:
	s_add_u32 s14, s14, (.LBB2_6808-.Lpost_getpc19621)&4294967295
	s_addc_u32 s15, s15, (.LBB2_6808-.Lpost_getpc19621)>>32
	s_setpc_b64 s[14:15]
.LBB2_21145:
	s_movk_i32 s4, 0x80
	v_cmp_eq_u16_sdwa s[12:13], v6, s4 src0_sel:BYTE_3 src1_sel:DWORD
	s_mov_b64 s[4:5], -1
                                        ; implicit-def: $sgpr10
	s_and_saveexec_b64 s[8:9], s[12:13]
; %bb.21146:
	s_mov_b32 s10, 0x7f800001
	s_xor_b64 s[4:5], exec, -1
; %bb.21147:
	s_or_b64 exec, exec, s[8:9]
	s_and_b64 s[4:5], s[4:5], exec
	s_or_saveexec_b64 s[6:7], s[6:7]
	v_mov_b32_e32 v12, s10
	s_xor_b64 exec, exec, s[6:7]
	s_cbranch_execnz .LBB2_21148
; %bb.56985:
	s_getpc_b64 s[14:15]
.Lpost_getpc32076:
	s_add_u32 s14, s14, (.LBB2_6810-.Lpost_getpc32076)&4294967295
	s_addc_u32 s15, s15, (.LBB2_6810-.Lpost_getpc32076)>>32
	s_setpc_b64 s[14:15]
.LBB2_21148:
	v_mov_b32_e32 v12, 0
	v_cmp_ne_u16_sdwa s[8:9], v6, v12 src0_sel:BYTE_3 src1_sel:DWORD
	s_andn2_b64 s[4:5], s[4:5], exec
	s_and_b64 s[8:9], s[8:9], exec
	s_or_b64 s[4:5], s[4:5], s[8:9]
	s_or_b64 exec, exec, s[6:7]
	s_and_saveexec_b64 s[6:7], s[4:5]
	s_cbranch_execz .LBB2_32077
; %bb.56987:
	s_getpc_b64 s[14:15]
.Lpost_getpc32077:
	s_add_u32 s14, s14, (.LBB2_6811-.Lpost_getpc32077)&4294967295
	s_addc_u32 s15, s15, (.LBB2_6811-.Lpost_getpc32077)>>32
	s_setpc_b64 s[14:15]
.LBB2_32077:
	s_getpc_b64 s[14:15]
.Lpost_getpc19622:
	s_add_u32 s14, s14, (.LBB2_6812-.Lpost_getpc19622)&4294967295
	s_addc_u32 s15, s15, (.LBB2_6812-.Lpost_getpc19622)>>32
	s_setpc_b64 s[14:15]
.LBB2_21149:
	s_movk_i32 s4, 0x80
	v_cmp_eq_u16_sdwa s[12:13], v2, s4 src0_sel:BYTE_3 src1_sel:DWORD
	s_mov_b64 s[4:5], -1
                                        ; implicit-def: $sgpr10
	s_and_saveexec_b64 s[8:9], s[12:13]
; %bb.21150:
	s_mov_b32 s10, 0x7f800001
	s_xor_b64 s[4:5], exec, -1
; %bb.21151:
	s_or_b64 exec, exec, s[8:9]
	s_and_b64 s[4:5], s[4:5], exec
	s_or_saveexec_b64 s[6:7], s[6:7]
	v_mov_b32_e32 v6, s10
	s_xor_b64 exec, exec, s[6:7]
	s_cbranch_execnz .LBB2_21152
; %bb.56989:
	s_getpc_b64 s[14:15]
.Lpost_getpc32078:
	s_add_u32 s14, s14, (.LBB2_6814-.Lpost_getpc32078)&4294967295
	s_addc_u32 s15, s15, (.LBB2_6814-.Lpost_getpc32078)>>32
	s_setpc_b64 s[14:15]
.LBB2_21152:
	v_mov_b32_e32 v6, 0
	v_cmp_ne_u16_sdwa s[8:9], v2, v6 src0_sel:BYTE_3 src1_sel:DWORD
	s_andn2_b64 s[4:5], s[4:5], exec
	s_and_b64 s[8:9], s[8:9], exec
	s_or_b64 s[4:5], s[4:5], s[8:9]
	s_or_b64 exec, exec, s[6:7]
	s_and_saveexec_b64 s[6:7], s[4:5]
	s_cbranch_execz .LBB2_32079
; %bb.56991:
	s_getpc_b64 s[14:15]
.Lpost_getpc32079:
	s_add_u32 s14, s14, (.LBB2_6815-.Lpost_getpc32079)&4294967295
	s_addc_u32 s15, s15, (.LBB2_6815-.Lpost_getpc32079)>>32
	s_setpc_b64 s[14:15]
.LBB2_32079:
	s_getpc_b64 s[14:15]
.Lpost_getpc19623:
	s_add_u32 s14, s14, (.LBB2_6816-.Lpost_getpc19623)&4294967295
	s_addc_u32 s15, s15, (.LBB2_6816-.Lpost_getpc19623)>>32
	s_setpc_b64 s[14:15]
.LBB2_21153:
	s_movk_i32 s4, 0x80
	v_cmp_eq_u16_sdwa s[12:13], v7, s4 src0_sel:BYTE_0 src1_sel:DWORD
	s_mov_b64 s[4:5], -1
                                        ; implicit-def: $sgpr10
	s_and_saveexec_b64 s[8:9], s[12:13]
; %bb.21154:
	s_mov_b32 s10, 0x7f800001
	s_xor_b64 s[4:5], exec, -1
; %bb.21155:
	s_or_b64 exec, exec, s[8:9]
	s_and_b64 s[4:5], s[4:5], exec
	s_or_saveexec_b64 s[6:7], s[6:7]
	v_mov_b32_e32 v2, s10
	s_xor_b64 exec, exec, s[6:7]
	s_cbranch_execnz .LBB2_21156
; %bb.56993:
	s_getpc_b64 s[14:15]
.Lpost_getpc32080:
	s_add_u32 s14, s14, (.LBB2_6818-.Lpost_getpc32080)&4294967295
	s_addc_u32 s15, s15, (.LBB2_6818-.Lpost_getpc32080)>>32
	s_setpc_b64 s[14:15]
.LBB2_21156:
	v_mov_b32_e32 v2, 0
	v_cmp_ne_u16_sdwa s[8:9], v7, v2 src0_sel:BYTE_0 src1_sel:DWORD
	s_andn2_b64 s[4:5], s[4:5], exec
	s_and_b64 s[8:9], s[8:9], exec
	s_or_b64 s[4:5], s[4:5], s[8:9]
	s_or_b64 exec, exec, s[6:7]
	s_and_saveexec_b64 s[6:7], s[4:5]
	s_cbranch_execz .LBB2_32081
; %bb.56995:
	s_getpc_b64 s[14:15]
.Lpost_getpc32081:
	s_add_u32 s14, s14, (.LBB2_6819-.Lpost_getpc32081)&4294967295
	s_addc_u32 s15, s15, (.LBB2_6819-.Lpost_getpc32081)>>32
	s_setpc_b64 s[14:15]
.LBB2_32081:
	s_getpc_b64 s[14:15]
.Lpost_getpc19624:
	s_add_u32 s14, s14, (.LBB2_6820-.Lpost_getpc19624)&4294967295
	s_addc_u32 s15, s15, (.LBB2_6820-.Lpost_getpc19624)>>32
	s_setpc_b64 s[14:15]
.LBB2_21157:
	s_movk_i32 s4, 0x80
	v_cmp_eq_u16_sdwa s[12:13], v3, s4 src0_sel:BYTE_0 src1_sel:DWORD
	s_mov_b64 s[4:5], -1
                                        ; implicit-def: $sgpr10
	s_and_saveexec_b64 s[8:9], s[12:13]
; %bb.21158:
	s_mov_b32 s10, 0x7f800001
	s_xor_b64 s[4:5], exec, -1
; %bb.21159:
	s_or_b64 exec, exec, s[8:9]
	s_and_b64 s[4:5], s[4:5], exec
	s_or_saveexec_b64 s[6:7], s[6:7]
	v_mov_b32_e32 v6, s10
	s_xor_b64 exec, exec, s[6:7]
	s_cbranch_execnz .LBB2_21160
; %bb.56997:
	s_getpc_b64 s[14:15]
.Lpost_getpc32082:
	s_add_u32 s14, s14, (.LBB2_6822-.Lpost_getpc32082)&4294967295
	s_addc_u32 s15, s15, (.LBB2_6822-.Lpost_getpc32082)>>32
	s_setpc_b64 s[14:15]
.LBB2_21160:
	v_mov_b32_e32 v6, 0
	v_cmp_ne_u16_sdwa s[8:9], v3, v6 src0_sel:BYTE_0 src1_sel:DWORD
	s_andn2_b64 s[4:5], s[4:5], exec
	s_and_b64 s[8:9], s[8:9], exec
	s_or_b64 s[4:5], s[4:5], s[8:9]
	s_or_b64 exec, exec, s[6:7]
	s_and_saveexec_b64 s[6:7], s[4:5]
	s_cbranch_execz .LBB2_32083
; %bb.56999:
	s_getpc_b64 s[14:15]
.Lpost_getpc32083:
	s_add_u32 s14, s14, (.LBB2_6823-.Lpost_getpc32083)&4294967295
	s_addc_u32 s15, s15, (.LBB2_6823-.Lpost_getpc32083)>>32
	s_setpc_b64 s[14:15]
.LBB2_32083:
	s_getpc_b64 s[14:15]
.Lpost_getpc19625:
	s_add_u32 s14, s14, (.LBB2_6824-.Lpost_getpc19625)&4294967295
	s_addc_u32 s15, s15, (.LBB2_6824-.Lpost_getpc19625)>>32
	s_setpc_b64 s[14:15]
.LBB2_21161:
	s_movk_i32 s4, 0x80
	v_cmp_eq_u16_sdwa s[12:13], v6, s4 src0_sel:BYTE_0 src1_sel:DWORD
	s_mov_b64 s[4:5], -1
                                        ; implicit-def: $sgpr10
	s_and_saveexec_b64 s[8:9], s[12:13]
; %bb.21162:
	s_mov_b32 s10, 0x7f800001
	s_xor_b64 s[4:5], exec, -1
; %bb.21163:
	s_or_b64 exec, exec, s[8:9]
	s_and_b64 s[4:5], s[4:5], exec
	s_or_saveexec_b64 s[6:7], s[6:7]
	v_mov_b32_e32 v2, s10
	s_xor_b64 exec, exec, s[6:7]
	s_cbranch_execnz .LBB2_21164
; %bb.57001:
	s_getpc_b64 s[14:15]
.Lpost_getpc32084:
	s_add_u32 s14, s14, (.LBB2_6826-.Lpost_getpc32084)&4294967295
	s_addc_u32 s15, s15, (.LBB2_6826-.Lpost_getpc32084)>>32
	s_setpc_b64 s[14:15]
.LBB2_21164:
	v_mov_b32_e32 v2, 0
	v_cmp_ne_u16_sdwa s[8:9], v6, v2 src0_sel:BYTE_0 src1_sel:DWORD
	s_andn2_b64 s[4:5], s[4:5], exec
	s_and_b64 s[8:9], s[8:9], exec
	s_or_b64 s[4:5], s[4:5], s[8:9]
	s_or_b64 exec, exec, s[6:7]
	s_and_saveexec_b64 s[6:7], s[4:5]
	s_cbranch_execz .LBB2_32085
; %bb.57003:
	s_getpc_b64 s[14:15]
.Lpost_getpc32085:
	s_add_u32 s14, s14, (.LBB2_6827-.Lpost_getpc32085)&4294967295
	s_addc_u32 s15, s15, (.LBB2_6827-.Lpost_getpc32085)>>32
	s_setpc_b64 s[14:15]
.LBB2_32085:
	s_getpc_b64 s[14:15]
.Lpost_getpc19626:
	s_add_u32 s14, s14, (.LBB2_6828-.Lpost_getpc19626)&4294967295
	s_addc_u32 s15, s15, (.LBB2_6828-.Lpost_getpc19626)>>32
	s_setpc_b64 s[14:15]
.LBB2_21165:
	s_movk_i32 s4, 0x80
	v_cmp_eq_u16_sdwa s[12:13], v6, s4 src0_sel:BYTE_0 src1_sel:DWORD
	s_mov_b64 s[4:5], -1
                                        ; implicit-def: $sgpr10
	s_and_saveexec_b64 s[8:9], s[12:13]
; %bb.21166:
	s_mov_b32 s10, 0x7f800001
	s_xor_b64 s[4:5], exec, -1
; %bb.21167:
	s_or_b64 exec, exec, s[8:9]
	s_and_b64 s[4:5], s[4:5], exec
	s_or_saveexec_b64 s[6:7], s[6:7]
	v_mov_b32_e32 v12, s10
	s_xor_b64 exec, exec, s[6:7]
	s_cbranch_execnz .LBB2_21168
; %bb.57005:
	s_getpc_b64 s[14:15]
.Lpost_getpc32086:
	s_add_u32 s14, s14, (.LBB2_6830-.Lpost_getpc32086)&4294967295
	s_addc_u32 s15, s15, (.LBB2_6830-.Lpost_getpc32086)>>32
	s_setpc_b64 s[14:15]
.LBB2_21168:
	v_mov_b32_e32 v12, 0
	v_cmp_ne_u16_sdwa s[8:9], v6, v12 src0_sel:BYTE_0 src1_sel:DWORD
	s_andn2_b64 s[4:5], s[4:5], exec
	s_and_b64 s[8:9], s[8:9], exec
	s_or_b64 s[4:5], s[4:5], s[8:9]
	s_or_b64 exec, exec, s[6:7]
	s_and_saveexec_b64 s[6:7], s[4:5]
	s_cbranch_execz .LBB2_32087
; %bb.57007:
	s_getpc_b64 s[14:15]
.Lpost_getpc32087:
	s_add_u32 s14, s14, (.LBB2_6831-.Lpost_getpc32087)&4294967295
	s_addc_u32 s15, s15, (.LBB2_6831-.Lpost_getpc32087)>>32
	s_setpc_b64 s[14:15]
.LBB2_32087:
	s_getpc_b64 s[14:15]
.Lpost_getpc19627:
	s_add_u32 s14, s14, (.LBB2_6832-.Lpost_getpc19627)&4294967295
	s_addc_u32 s15, s15, (.LBB2_6832-.Lpost_getpc19627)>>32
	s_setpc_b64 s[14:15]
.LBB2_21169:
	s_movk_i32 s4, 0x80
	v_cmp_eq_u16_e32 vcc, s4, v6
	s_mov_b64 s[4:5], -1
                                        ; implicit-def: $sgpr10
	s_and_saveexec_b64 s[8:9], vcc
; %bb.21170:
	s_mov_b32 s10, 0x7f800001
	s_xor_b64 s[4:5], exec, -1
; %bb.21171:
	s_or_b64 exec, exec, s[8:9]
	s_and_b64 s[4:5], s[4:5], exec
                                        ; implicit-def: $vgpr6
	s_or_saveexec_b64 s[6:7], s[6:7]
	v_mov_b32_e32 v2, s10
	s_xor_b64 exec, exec, s[6:7]
	s_cbranch_execnz .LBB2_21172
; %bb.57009:
	s_getpc_b64 s[14:15]
.Lpost_getpc32088:
	s_add_u32 s14, s14, (.LBB2_6834-.Lpost_getpc32088)&4294967295
	s_addc_u32 s15, s15, (.LBB2_6834-.Lpost_getpc32088)>>32
	s_setpc_b64 s[14:15]
.LBB2_21172:
	v_cmp_ne_u16_e32 vcc, 0, v6
	s_andn2_b64 s[4:5], s[4:5], exec
	s_and_b64 s[8:9], vcc, exec
	v_mov_b32_e32 v2, 0
	s_or_b64 s[4:5], s[4:5], s[8:9]
	s_or_b64 exec, exec, s[6:7]
	s_and_saveexec_b64 s[6:7], s[4:5]
	s_cbranch_execz .LBB2_32089
; %bb.57011:
	s_getpc_b64 s[14:15]
.Lpost_getpc32089:
	s_add_u32 s14, s14, (.LBB2_6835-.Lpost_getpc32089)&4294967295
	s_addc_u32 s15, s15, (.LBB2_6835-.Lpost_getpc32089)>>32
	s_setpc_b64 s[14:15]
.LBB2_32089:
	s_getpc_b64 s[14:15]
.Lpost_getpc19628:
	s_add_u32 s14, s14, (.LBB2_6836-.Lpost_getpc19628)&4294967295
	s_addc_u32 s15, s15, (.LBB2_6836-.Lpost_getpc19628)>>32
	s_setpc_b64 s[14:15]
.LBB2_21173:
	s_movk_i32 s4, 0x80
	v_cmp_eq_u16_e32 vcc, s4, v6
	s_mov_b64 s[4:5], -1
                                        ; implicit-def: $sgpr10
	s_and_saveexec_b64 s[8:9], vcc
; %bb.21174:
	s_mov_b32 s10, 0x7f800001
	s_xor_b64 s[4:5], exec, -1
; %bb.21175:
	s_or_b64 exec, exec, s[8:9]
	s_and_b64 s[4:5], s[4:5], exec
                                        ; implicit-def: $vgpr6
	s_or_saveexec_b64 s[6:7], s[6:7]
	v_mov_b32_e32 v12, s10
	s_xor_b64 exec, exec, s[6:7]
	s_cbranch_execnz .LBB2_21176
; %bb.57013:
	s_getpc_b64 s[14:15]
.Lpost_getpc32090:
	s_add_u32 s14, s14, (.LBB2_6838-.Lpost_getpc32090)&4294967295
	s_addc_u32 s15, s15, (.LBB2_6838-.Lpost_getpc32090)>>32
	s_setpc_b64 s[14:15]
.LBB2_21176:
	v_cmp_ne_u16_e32 vcc, 0, v6
	s_andn2_b64 s[4:5], s[4:5], exec
	s_and_b64 s[8:9], vcc, exec
	v_mov_b32_e32 v12, 0
	s_or_b64 s[4:5], s[4:5], s[8:9]
	s_or_b64 exec, exec, s[6:7]
	s_and_saveexec_b64 s[6:7], s[4:5]
	s_cbranch_execz .LBB2_32091
; %bb.57015:
	s_getpc_b64 s[14:15]
.Lpost_getpc32091:
	s_add_u32 s14, s14, (.LBB2_6839-.Lpost_getpc32091)&4294967295
	s_addc_u32 s15, s15, (.LBB2_6839-.Lpost_getpc32091)>>32
	s_setpc_b64 s[14:15]
.LBB2_32091:
	s_getpc_b64 s[14:15]
.Lpost_getpc19629:
	s_add_u32 s14, s14, (.LBB2_6840-.Lpost_getpc19629)&4294967295
	s_addc_u32 s15, s15, (.LBB2_6840-.Lpost_getpc19629)>>32
	s_setpc_b64 s[14:15]
.LBB2_21177:
	s_movk_i32 s4, 0x80
	v_cmp_eq_u16_sdwa s[12:13], v7, s4 src0_sel:BYTE_3 src1_sel:DWORD
	s_mov_b64 s[4:5], -1
                                        ; implicit-def: $sgpr10
	s_and_saveexec_b64 s[8:9], s[12:13]
; %bb.21178:
	s_mov_b32 s10, 0x7f800001
	s_xor_b64 s[4:5], exec, -1
; %bb.21179:
	s_or_b64 exec, exec, s[8:9]
	s_and_b64 s[4:5], s[4:5], exec
	s_or_saveexec_b64 s[6:7], s[6:7]
	v_mov_b32_e32 v2, s10
	s_xor_b64 exec, exec, s[6:7]
	s_cbranch_execnz .LBB2_21180
; %bb.57017:
	s_getpc_b64 s[14:15]
.Lpost_getpc32092:
	s_add_u32 s14, s14, (.LBB2_6842-.Lpost_getpc32092)&4294967295
	s_addc_u32 s15, s15, (.LBB2_6842-.Lpost_getpc32092)>>32
	s_setpc_b64 s[14:15]
.LBB2_21180:
	v_mov_b32_e32 v2, 0
	v_cmp_ne_u16_sdwa s[8:9], v7, v2 src0_sel:BYTE_3 src1_sel:DWORD
	s_andn2_b64 s[4:5], s[4:5], exec
	s_and_b64 s[8:9], s[8:9], exec
	s_or_b64 s[4:5], s[4:5], s[8:9]
	s_or_b64 exec, exec, s[6:7]
	s_and_saveexec_b64 s[6:7], s[4:5]
	s_cbranch_execz .LBB2_32093
; %bb.57019:
	s_getpc_b64 s[14:15]
.Lpost_getpc32093:
	s_add_u32 s14, s14, (.LBB2_6843-.Lpost_getpc32093)&4294967295
	s_addc_u32 s15, s15, (.LBB2_6843-.Lpost_getpc32093)>>32
	s_setpc_b64 s[14:15]
.LBB2_32093:
	s_getpc_b64 s[14:15]
.Lpost_getpc19630:
	s_add_u32 s14, s14, (.LBB2_6844-.Lpost_getpc19630)&4294967295
	s_addc_u32 s15, s15, (.LBB2_6844-.Lpost_getpc19630)>>32
	s_setpc_b64 s[14:15]
.LBB2_21181:
	s_movk_i32 s4, 0x80
	v_cmp_eq_u16_sdwa s[12:13], v3, s4 src0_sel:BYTE_3 src1_sel:DWORD
	s_mov_b64 s[4:5], -1
                                        ; implicit-def: $sgpr10
	s_and_saveexec_b64 s[8:9], s[12:13]
; %bb.21182:
	s_mov_b32 s10, 0x7f800001
	s_xor_b64 s[4:5], exec, -1
; %bb.21183:
	s_or_b64 exec, exec, s[8:9]
	s_and_b64 s[4:5], s[4:5], exec
	s_or_saveexec_b64 s[6:7], s[6:7]
	v_mov_b32_e32 v6, s10
	s_xor_b64 exec, exec, s[6:7]
	s_cbranch_execnz .LBB2_21184
; %bb.57021:
	s_getpc_b64 s[14:15]
.Lpost_getpc32094:
	s_add_u32 s14, s14, (.LBB2_6846-.Lpost_getpc32094)&4294967295
	s_addc_u32 s15, s15, (.LBB2_6846-.Lpost_getpc32094)>>32
	s_setpc_b64 s[14:15]
.LBB2_21184:
	v_mov_b32_e32 v6, 0
	v_cmp_ne_u16_sdwa s[8:9], v3, v6 src0_sel:BYTE_3 src1_sel:DWORD
	s_andn2_b64 s[4:5], s[4:5], exec
	s_and_b64 s[8:9], s[8:9], exec
	s_or_b64 s[4:5], s[4:5], s[8:9]
	s_or_b64 exec, exec, s[6:7]
	s_and_saveexec_b64 s[6:7], s[4:5]
	s_cbranch_execz .LBB2_32095
; %bb.57023:
	s_getpc_b64 s[14:15]
.Lpost_getpc32095:
	s_add_u32 s14, s14, (.LBB2_6847-.Lpost_getpc32095)&4294967295
	s_addc_u32 s15, s15, (.LBB2_6847-.Lpost_getpc32095)>>32
	s_setpc_b64 s[14:15]
.LBB2_32095:
	s_getpc_b64 s[14:15]
.Lpost_getpc19631:
	s_add_u32 s14, s14, (.LBB2_6848-.Lpost_getpc19631)&4294967295
	s_addc_u32 s15, s15, (.LBB2_6848-.Lpost_getpc19631)>>32
	s_setpc_b64 s[14:15]
.LBB2_21185:
	s_movk_i32 s4, 0x80
	v_cmp_eq_u16_sdwa s[12:13], v8, s4 src0_sel:BYTE_0 src1_sel:DWORD
	s_mov_b64 s[4:5], -1
                                        ; implicit-def: $sgpr10
	s_and_saveexec_b64 s[8:9], s[12:13]
; %bb.21186:
	s_mov_b32 s10, 0x7f800001
	s_xor_b64 s[4:5], exec, -1
; %bb.21187:
	s_or_b64 exec, exec, s[8:9]
	s_and_b64 s[4:5], s[4:5], exec
	s_or_saveexec_b64 s[6:7], s[6:7]
	v_mov_b32_e32 v2, s10
	s_xor_b64 exec, exec, s[6:7]
	s_cbranch_execnz .LBB2_21188
; %bb.57025:
	s_getpc_b64 s[14:15]
.Lpost_getpc32096:
	s_add_u32 s14, s14, (.LBB2_6850-.Lpost_getpc32096)&4294967295
	s_addc_u32 s15, s15, (.LBB2_6850-.Lpost_getpc32096)>>32
	s_setpc_b64 s[14:15]
.LBB2_21188:
	v_mov_b32_e32 v2, 0
	v_cmp_ne_u16_sdwa s[8:9], v8, v2 src0_sel:BYTE_0 src1_sel:DWORD
	s_andn2_b64 s[4:5], s[4:5], exec
	s_and_b64 s[8:9], s[8:9], exec
	s_or_b64 s[4:5], s[4:5], s[8:9]
	s_or_b64 exec, exec, s[6:7]
	s_and_saveexec_b64 s[6:7], s[4:5]
	s_cbranch_execz .LBB2_32097
; %bb.57027:
	s_getpc_b64 s[14:15]
.Lpost_getpc32097:
	s_add_u32 s14, s14, (.LBB2_6851-.Lpost_getpc32097)&4294967295
	s_addc_u32 s15, s15, (.LBB2_6851-.Lpost_getpc32097)>>32
	s_setpc_b64 s[14:15]
.LBB2_32097:
	s_getpc_b64 s[14:15]
.Lpost_getpc19632:
	s_add_u32 s14, s14, (.LBB2_6852-.Lpost_getpc19632)&4294967295
	s_addc_u32 s15, s15, (.LBB2_6852-.Lpost_getpc19632)>>32
	s_setpc_b64 s[14:15]
.LBB2_21189:
	s_movk_i32 s4, 0x80
	v_cmp_eq_u16_sdwa s[12:13], v4, s4 src0_sel:BYTE_0 src1_sel:DWORD
	s_mov_b64 s[4:5], -1
                                        ; implicit-def: $sgpr10
	s_and_saveexec_b64 s[8:9], s[12:13]
; %bb.21190:
	s_mov_b32 s10, 0x7f800001
	s_xor_b64 s[4:5], exec, -1
; %bb.21191:
	s_or_b64 exec, exec, s[8:9]
	s_and_b64 s[4:5], s[4:5], exec
	s_or_saveexec_b64 s[6:7], s[6:7]
	v_mov_b32_e32 v3, s10
	s_xor_b64 exec, exec, s[6:7]
	s_cbranch_execnz .LBB2_21192
; %bb.57029:
	s_getpc_b64 s[14:15]
.Lpost_getpc32098:
	s_add_u32 s14, s14, (.LBB2_6854-.Lpost_getpc32098)&4294967295
	s_addc_u32 s15, s15, (.LBB2_6854-.Lpost_getpc32098)>>32
	s_setpc_b64 s[14:15]
.LBB2_21192:
	v_mov_b32_e32 v3, 0
	v_cmp_ne_u16_sdwa s[8:9], v4, v3 src0_sel:BYTE_0 src1_sel:DWORD
	s_andn2_b64 s[4:5], s[4:5], exec
	s_and_b64 s[8:9], s[8:9], exec
	s_or_b64 s[4:5], s[4:5], s[8:9]
	s_or_b64 exec, exec, s[6:7]
	s_and_saveexec_b64 s[6:7], s[4:5]
	s_cbranch_execz .LBB2_32099
; %bb.57031:
	s_getpc_b64 s[14:15]
.Lpost_getpc32099:
	s_add_u32 s14, s14, (.LBB2_6855-.Lpost_getpc32099)&4294967295
	s_addc_u32 s15, s15, (.LBB2_6855-.Lpost_getpc32099)>>32
	s_setpc_b64 s[14:15]
.LBB2_32099:
	s_getpc_b64 s[14:15]
.Lpost_getpc19633:
	s_add_u32 s14, s14, (.LBB2_6856-.Lpost_getpc19633)&4294967295
	s_addc_u32 s15, s15, (.LBB2_6856-.Lpost_getpc19633)>>32
	s_setpc_b64 s[14:15]
.LBB2_21193:
	s_movk_i32 s4, 0x80
	v_cmp_eq_u16_sdwa s[12:13], v3, s4 src0_sel:BYTE_0 src1_sel:DWORD
	s_mov_b64 s[4:5], -1
                                        ; implicit-def: $sgpr10
	s_and_saveexec_b64 s[8:9], s[12:13]
; %bb.21194:
	s_mov_b32 s10, 0x7f800001
	s_xor_b64 s[4:5], exec, -1
; %bb.21195:
	s_or_b64 exec, exec, s[8:9]
	s_and_b64 s[4:5], s[4:5], exec
	s_or_saveexec_b64 s[6:7], s[6:7]
	v_mov_b32_e32 v2, s10
	s_xor_b64 exec, exec, s[6:7]
	s_cbranch_execnz .LBB2_21196
; %bb.57033:
	s_getpc_b64 s[14:15]
.Lpost_getpc32100:
	s_add_u32 s14, s14, (.LBB2_6858-.Lpost_getpc32100)&4294967295
	s_addc_u32 s15, s15, (.LBB2_6858-.Lpost_getpc32100)>>32
	s_setpc_b64 s[14:15]
.LBB2_21196:
	v_mov_b32_e32 v2, 0
	v_cmp_ne_u16_sdwa s[8:9], v3, v2 src0_sel:BYTE_0 src1_sel:DWORD
	s_andn2_b64 s[4:5], s[4:5], exec
	s_and_b64 s[8:9], s[8:9], exec
	s_or_b64 s[4:5], s[4:5], s[8:9]
	s_or_b64 exec, exec, s[6:7]
	s_and_saveexec_b64 s[6:7], s[4:5]
	s_cbranch_execz .LBB2_32101
; %bb.57035:
	s_getpc_b64 s[14:15]
.Lpost_getpc32101:
	s_add_u32 s14, s14, (.LBB2_6859-.Lpost_getpc32101)&4294967295
	s_addc_u32 s15, s15, (.LBB2_6859-.Lpost_getpc32101)>>32
	s_setpc_b64 s[14:15]
.LBB2_32101:
	s_getpc_b64 s[14:15]
.Lpost_getpc19634:
	s_add_u32 s14, s14, (.LBB2_6860-.Lpost_getpc19634)&4294967295
	s_addc_u32 s15, s15, (.LBB2_6860-.Lpost_getpc19634)>>32
	s_setpc_b64 s[14:15]
.LBB2_21197:
	s_movk_i32 s4, 0x80
	v_cmp_eq_u16_sdwa s[12:13], v3, s4 src0_sel:BYTE_0 src1_sel:DWORD
	s_mov_b64 s[4:5], -1
                                        ; implicit-def: $sgpr10
	s_and_saveexec_b64 s[8:9], s[12:13]
; %bb.21198:
	s_mov_b32 s10, 0x7f800001
	s_xor_b64 s[4:5], exec, -1
; %bb.21199:
	s_or_b64 exec, exec, s[8:9]
	s_and_b64 s[4:5], s[4:5], exec
	s_or_saveexec_b64 s[6:7], s[6:7]
	v_mov_b32_e32 v6, s10
	s_xor_b64 exec, exec, s[6:7]
	s_cbranch_execnz .LBB2_21200
; %bb.57037:
	s_getpc_b64 s[14:15]
.Lpost_getpc32102:
	s_add_u32 s14, s14, (.LBB2_6862-.Lpost_getpc32102)&4294967295
	s_addc_u32 s15, s15, (.LBB2_6862-.Lpost_getpc32102)>>32
	s_setpc_b64 s[14:15]
.LBB2_21200:
	v_mov_b32_e32 v6, 0
	v_cmp_ne_u16_sdwa s[8:9], v3, v6 src0_sel:BYTE_0 src1_sel:DWORD
	s_andn2_b64 s[4:5], s[4:5], exec
	s_and_b64 s[8:9], s[8:9], exec
	s_or_b64 s[4:5], s[4:5], s[8:9]
	s_or_b64 exec, exec, s[6:7]
	s_and_saveexec_b64 s[6:7], s[4:5]
	s_cbranch_execz .LBB2_32103
; %bb.57039:
	s_getpc_b64 s[14:15]
.Lpost_getpc32103:
	s_add_u32 s14, s14, (.LBB2_6863-.Lpost_getpc32103)&4294967295
	s_addc_u32 s15, s15, (.LBB2_6863-.Lpost_getpc32103)>>32
	s_setpc_b64 s[14:15]
.LBB2_32103:
	s_getpc_b64 s[14:15]
.Lpost_getpc19635:
	s_add_u32 s14, s14, (.LBB2_6864-.Lpost_getpc19635)&4294967295
	s_addc_u32 s15, s15, (.LBB2_6864-.Lpost_getpc19635)>>32
	s_setpc_b64 s[14:15]
.LBB2_21201:
	s_movk_i32 s4, 0x80
	v_cmp_eq_u16_e32 vcc, s4, v3
	s_mov_b64 s[4:5], -1
                                        ; implicit-def: $sgpr10
	s_and_saveexec_b64 s[8:9], vcc
; %bb.21202:
	s_mov_b32 s10, 0x7f800001
	s_xor_b64 s[4:5], exec, -1
; %bb.21203:
	s_or_b64 exec, exec, s[8:9]
	s_and_b64 s[4:5], s[4:5], exec
                                        ; implicit-def: $vgpr3
	s_or_saveexec_b64 s[6:7], s[6:7]
	v_mov_b32_e32 v2, s10
	s_xor_b64 exec, exec, s[6:7]
	s_cbranch_execnz .LBB2_21204
; %bb.57041:
	s_getpc_b64 s[14:15]
.Lpost_getpc32104:
	s_add_u32 s14, s14, (.LBB2_6866-.Lpost_getpc32104)&4294967295
	s_addc_u32 s15, s15, (.LBB2_6866-.Lpost_getpc32104)>>32
	s_setpc_b64 s[14:15]
.LBB2_21204:
	v_cmp_ne_u16_e32 vcc, 0, v3
	s_andn2_b64 s[4:5], s[4:5], exec
	s_and_b64 s[8:9], vcc, exec
	v_mov_b32_e32 v2, 0
	s_or_b64 s[4:5], s[4:5], s[8:9]
	s_or_b64 exec, exec, s[6:7]
	s_and_saveexec_b64 s[6:7], s[4:5]
	s_cbranch_execz .LBB2_32105
; %bb.57043:
	s_getpc_b64 s[14:15]
.Lpost_getpc32105:
	s_add_u32 s14, s14, (.LBB2_6867-.Lpost_getpc32105)&4294967295
	s_addc_u32 s15, s15, (.LBB2_6867-.Lpost_getpc32105)>>32
	s_setpc_b64 s[14:15]
.LBB2_32105:
	s_getpc_b64 s[14:15]
.Lpost_getpc19636:
	s_add_u32 s14, s14, (.LBB2_6868-.Lpost_getpc19636)&4294967295
	s_addc_u32 s15, s15, (.LBB2_6868-.Lpost_getpc19636)>>32
	s_setpc_b64 s[14:15]
.LBB2_21205:
	s_movk_i32 s4, 0x80
	v_cmp_eq_u16_e32 vcc, s4, v3
	s_mov_b64 s[4:5], -1
                                        ; implicit-def: $sgpr10
	s_and_saveexec_b64 s[8:9], vcc
; %bb.21206:
	s_mov_b32 s10, 0x7f800001
	s_xor_b64 s[4:5], exec, -1
; %bb.21207:
	s_or_b64 exec, exec, s[8:9]
	s_and_b64 s[4:5], s[4:5], exec
                                        ; implicit-def: $vgpr3
	s_or_saveexec_b64 s[6:7], s[6:7]
	v_mov_b32_e32 v6, s10
	s_xor_b64 exec, exec, s[6:7]
	s_cbranch_execnz .LBB2_21208
; %bb.57045:
	s_getpc_b64 s[14:15]
.Lpost_getpc32106:
	s_add_u32 s14, s14, (.LBB2_6870-.Lpost_getpc32106)&4294967295
	s_addc_u32 s15, s15, (.LBB2_6870-.Lpost_getpc32106)>>32
	s_setpc_b64 s[14:15]
.LBB2_21208:
	v_cmp_ne_u16_e32 vcc, 0, v3
	s_andn2_b64 s[4:5], s[4:5], exec
	s_and_b64 s[8:9], vcc, exec
	v_mov_b32_e32 v6, 0
	s_or_b64 s[4:5], s[4:5], s[8:9]
	s_or_b64 exec, exec, s[6:7]
	s_and_saveexec_b64 s[6:7], s[4:5]
	s_cbranch_execz .LBB2_32107
; %bb.57047:
	s_getpc_b64 s[14:15]
.Lpost_getpc32107:
	s_add_u32 s14, s14, (.LBB2_6871-.Lpost_getpc32107)&4294967295
	s_addc_u32 s15, s15, (.LBB2_6871-.Lpost_getpc32107)>>32
	s_setpc_b64 s[14:15]
.LBB2_32107:
	s_getpc_b64 s[14:15]
.Lpost_getpc19637:
	s_add_u32 s14, s14, (.LBB2_6872-.Lpost_getpc19637)&4294967295
	s_addc_u32 s15, s15, (.LBB2_6872-.Lpost_getpc19637)>>32
	s_setpc_b64 s[14:15]
.LBB2_21209:
	s_movk_i32 s4, 0x80
	v_cmp_eq_u16_sdwa s[12:13], v8, s4 src0_sel:BYTE_3 src1_sel:DWORD
	s_mov_b64 s[4:5], -1
                                        ; implicit-def: $sgpr10
	s_and_saveexec_b64 s[8:9], s[12:13]
; %bb.21210:
	s_mov_b32 s10, 0x7f800001
	s_xor_b64 s[4:5], exec, -1
; %bb.21211:
	s_or_b64 exec, exec, s[8:9]
	s_and_b64 s[4:5], s[4:5], exec
	s_or_saveexec_b64 s[6:7], s[6:7]
	v_mov_b32_e32 v2, s10
	s_xor_b64 exec, exec, s[6:7]
	s_cbranch_execnz .LBB2_21212
; %bb.57049:
	s_getpc_b64 s[14:15]
.Lpost_getpc32108:
	s_add_u32 s14, s14, (.LBB2_6874-.Lpost_getpc32108)&4294967295
	s_addc_u32 s15, s15, (.LBB2_6874-.Lpost_getpc32108)>>32
	s_setpc_b64 s[14:15]
.LBB2_21212:
	v_mov_b32_e32 v2, 0
	v_cmp_ne_u16_sdwa s[8:9], v8, v2 src0_sel:BYTE_3 src1_sel:DWORD
	s_andn2_b64 s[4:5], s[4:5], exec
	s_and_b64 s[8:9], s[8:9], exec
	s_or_b64 s[4:5], s[4:5], s[8:9]
	s_or_b64 exec, exec, s[6:7]
	s_and_saveexec_b64 s[6:7], s[4:5]
	s_cbranch_execz .LBB2_32109
; %bb.57051:
	s_getpc_b64 s[14:15]
.Lpost_getpc32109:
	s_add_u32 s14, s14, (.LBB2_6875-.Lpost_getpc32109)&4294967295
	s_addc_u32 s15, s15, (.LBB2_6875-.Lpost_getpc32109)>>32
	s_setpc_b64 s[14:15]
.LBB2_32109:
	s_getpc_b64 s[14:15]
.Lpost_getpc19638:
	s_add_u32 s14, s14, (.LBB2_6876-.Lpost_getpc19638)&4294967295
	s_addc_u32 s15, s15, (.LBB2_6876-.Lpost_getpc19638)>>32
	s_setpc_b64 s[14:15]
.LBB2_21213:
	s_movk_i32 s4, 0x80
	v_cmp_eq_u16_sdwa s[12:13], v4, s4 src0_sel:BYTE_3 src1_sel:DWORD
	s_mov_b64 s[4:5], -1
                                        ; implicit-def: $sgpr10
	s_and_saveexec_b64 s[8:9], s[12:13]
; %bb.21214:
	s_mov_b32 s10, 0x7f800001
	s_xor_b64 s[4:5], exec, -1
; %bb.21215:
	s_or_b64 exec, exec, s[8:9]
	s_and_b64 s[4:5], s[4:5], exec
	s_or_saveexec_b64 s[6:7], s[6:7]
	v_mov_b32_e32 v3, s10
	s_xor_b64 exec, exec, s[6:7]
	s_cbranch_execnz .LBB2_21216
; %bb.57053:
	s_getpc_b64 s[14:15]
.Lpost_getpc32110:
	s_add_u32 s14, s14, (.LBB2_6878-.Lpost_getpc32110)&4294967295
	s_addc_u32 s15, s15, (.LBB2_6878-.Lpost_getpc32110)>>32
	s_setpc_b64 s[14:15]
.LBB2_21216:
	v_mov_b32_e32 v3, 0
	v_cmp_ne_u16_sdwa s[8:9], v4, v3 src0_sel:BYTE_3 src1_sel:DWORD
	s_andn2_b64 s[4:5], s[4:5], exec
	s_and_b64 s[8:9], s[8:9], exec
	s_or_b64 s[4:5], s[4:5], s[8:9]
	s_or_b64 exec, exec, s[6:7]
	s_and_saveexec_b64 s[6:7], s[4:5]
	s_cbranch_execz .LBB2_32111
; %bb.57055:
	s_getpc_b64 s[14:15]
.Lpost_getpc32111:
	s_add_u32 s14, s14, (.LBB2_6879-.Lpost_getpc32111)&4294967295
	s_addc_u32 s15, s15, (.LBB2_6879-.Lpost_getpc32111)>>32
	s_setpc_b64 s[14:15]
.LBB2_32111:
	s_getpc_b64 s[14:15]
.Lpost_getpc19639:
	s_add_u32 s14, s14, (.LBB2_6880-.Lpost_getpc19639)&4294967295
	s_addc_u32 s15, s15, (.LBB2_6880-.Lpost_getpc19639)>>32
	s_setpc_b64 s[14:15]
.LBB2_21217:
	s_movk_i32 s4, 0x80
	v_cmp_eq_u16_sdwa s[12:13], v9, s4 src0_sel:BYTE_0 src1_sel:DWORD
	s_mov_b64 s[4:5], -1
                                        ; implicit-def: $sgpr10
	s_and_saveexec_b64 s[8:9], s[12:13]
; %bb.21218:
	s_mov_b32 s10, 0x7f800001
	s_xor_b64 s[4:5], exec, -1
; %bb.21219:
	s_or_b64 exec, exec, s[8:9]
	s_and_b64 s[4:5], s[4:5], exec
	s_or_saveexec_b64 s[6:7], s[6:7]
	v_mov_b32_e32 v2, s10
	s_xor_b64 exec, exec, s[6:7]
	s_cbranch_execnz .LBB2_21220
; %bb.57057:
	s_getpc_b64 s[14:15]
.Lpost_getpc32112:
	s_add_u32 s14, s14, (.LBB2_6882-.Lpost_getpc32112)&4294967295
	s_addc_u32 s15, s15, (.LBB2_6882-.Lpost_getpc32112)>>32
	s_setpc_b64 s[14:15]
.LBB2_21220:
	v_mov_b32_e32 v2, 0
	v_cmp_ne_u16_sdwa s[8:9], v9, v2 src0_sel:BYTE_0 src1_sel:DWORD
	s_andn2_b64 s[4:5], s[4:5], exec
	s_and_b64 s[8:9], s[8:9], exec
	s_or_b64 s[4:5], s[4:5], s[8:9]
	s_or_b64 exec, exec, s[6:7]
	s_and_saveexec_b64 s[6:7], s[4:5]
	s_cbranch_execz .LBB2_32113
; %bb.57059:
	s_getpc_b64 s[14:15]
.Lpost_getpc32113:
	s_add_u32 s14, s14, (.LBB2_6883-.Lpost_getpc32113)&4294967295
	s_addc_u32 s15, s15, (.LBB2_6883-.Lpost_getpc32113)>>32
	s_setpc_b64 s[14:15]
.LBB2_32113:
	s_getpc_b64 s[14:15]
.Lpost_getpc19640:
	s_add_u32 s14, s14, (.LBB2_6884-.Lpost_getpc19640)&4294967295
	s_addc_u32 s15, s15, (.LBB2_6884-.Lpost_getpc19640)>>32
	s_setpc_b64 s[14:15]
.LBB2_21221:
	s_movk_i32 s4, 0x80
	v_cmp_eq_u16_sdwa s[12:13], v5, s4 src0_sel:BYTE_0 src1_sel:DWORD
	s_mov_b64 s[4:5], -1
                                        ; implicit-def: $sgpr10
	s_and_saveexec_b64 s[8:9], s[12:13]
; %bb.21222:
	s_mov_b32 s10, 0x7f800001
	s_xor_b64 s[4:5], exec, -1
; %bb.21223:
	s_or_b64 exec, exec, s[8:9]
	s_and_b64 s[4:5], s[4:5], exec
	s_or_saveexec_b64 s[6:7], s[6:7]
	v_mov_b32_e32 v3, s10
	s_xor_b64 exec, exec, s[6:7]
	s_cbranch_execnz .LBB2_21224
; %bb.57061:
	s_getpc_b64 s[14:15]
.Lpost_getpc32114:
	s_add_u32 s14, s14, (.LBB2_6886-.Lpost_getpc32114)&4294967295
	s_addc_u32 s15, s15, (.LBB2_6886-.Lpost_getpc32114)>>32
	s_setpc_b64 s[14:15]
.LBB2_21224:
	v_mov_b32_e32 v3, 0
	v_cmp_ne_u16_sdwa s[8:9], v5, v3 src0_sel:BYTE_0 src1_sel:DWORD
	s_andn2_b64 s[4:5], s[4:5], exec
	s_and_b64 s[8:9], s[8:9], exec
	s_or_b64 s[4:5], s[4:5], s[8:9]
	s_or_b64 exec, exec, s[6:7]
	s_and_saveexec_b64 s[6:7], s[4:5]
	s_cbranch_execz .LBB2_32115
; %bb.57063:
	s_getpc_b64 s[14:15]
.Lpost_getpc32115:
	s_add_u32 s14, s14, (.LBB2_6887-.Lpost_getpc32115)&4294967295
	s_addc_u32 s15, s15, (.LBB2_6887-.Lpost_getpc32115)>>32
	s_setpc_b64 s[14:15]
.LBB2_32115:
	s_getpc_b64 s[14:15]
.Lpost_getpc19641:
	s_add_u32 s14, s14, (.LBB2_6888-.Lpost_getpc19641)&4294967295
	s_addc_u32 s15, s15, (.LBB2_6888-.Lpost_getpc19641)>>32
	s_setpc_b64 s[14:15]
.LBB2_21225:
	s_movk_i32 s4, 0x80
	v_cmp_eq_u16_sdwa s[12:13], v3, s4 src0_sel:BYTE_0 src1_sel:DWORD
	s_mov_b64 s[4:5], -1
                                        ; implicit-def: $sgpr10
	s_and_saveexec_b64 s[8:9], s[12:13]
; %bb.21226:
	s_mov_b32 s10, 0x7f800001
	s_xor_b64 s[4:5], exec, -1
; %bb.21227:
	s_or_b64 exec, exec, s[8:9]
	s_and_b64 s[4:5], s[4:5], exec
	s_or_saveexec_b64 s[6:7], s[6:7]
	v_mov_b32_e32 v2, s10
	s_xor_b64 exec, exec, s[6:7]
	s_cbranch_execnz .LBB2_21228
; %bb.57065:
	s_getpc_b64 s[14:15]
.Lpost_getpc32116:
	s_add_u32 s14, s14, (.LBB2_6890-.Lpost_getpc32116)&4294967295
	s_addc_u32 s15, s15, (.LBB2_6890-.Lpost_getpc32116)>>32
	s_setpc_b64 s[14:15]
.LBB2_21228:
	v_mov_b32_e32 v2, 0
	v_cmp_ne_u16_sdwa s[8:9], v3, v2 src0_sel:BYTE_0 src1_sel:DWORD
	s_andn2_b64 s[4:5], s[4:5], exec
	s_and_b64 s[8:9], s[8:9], exec
	s_or_b64 s[4:5], s[4:5], s[8:9]
	s_or_b64 exec, exec, s[6:7]
	s_and_saveexec_b64 s[6:7], s[4:5]
	s_cbranch_execz .LBB2_32117
; %bb.57067:
	s_getpc_b64 s[14:15]
.Lpost_getpc32117:
	s_add_u32 s14, s14, (.LBB2_6891-.Lpost_getpc32117)&4294967295
	s_addc_u32 s15, s15, (.LBB2_6891-.Lpost_getpc32117)>>32
	s_setpc_b64 s[14:15]
.LBB2_32117:
	s_getpc_b64 s[14:15]
.Lpost_getpc19642:
	s_add_u32 s14, s14, (.LBB2_6892-.Lpost_getpc19642)&4294967295
	s_addc_u32 s15, s15, (.LBB2_6892-.Lpost_getpc19642)>>32
	s_setpc_b64 s[14:15]
.LBB2_21229:
	s_movk_i32 s4, 0x80
	v_cmp_eq_u16_sdwa s[12:13], v3, s4 src0_sel:BYTE_0 src1_sel:DWORD
	s_mov_b64 s[4:5], -1
                                        ; implicit-def: $sgpr10
	s_and_saveexec_b64 s[8:9], s[12:13]
; %bb.21230:
	s_mov_b32 s10, 0x7f800001
	s_xor_b64 s[4:5], exec, -1
; %bb.21231:
	s_or_b64 exec, exec, s[8:9]
	s_and_b64 s[4:5], s[4:5], exec
	s_or_saveexec_b64 s[6:7], s[6:7]
	v_mov_b32_e32 v4, s10
	s_xor_b64 exec, exec, s[6:7]
	s_cbranch_execnz .LBB2_21232
; %bb.57069:
	s_getpc_b64 s[14:15]
.Lpost_getpc32118:
	s_add_u32 s14, s14, (.LBB2_6894-.Lpost_getpc32118)&4294967295
	s_addc_u32 s15, s15, (.LBB2_6894-.Lpost_getpc32118)>>32
	s_setpc_b64 s[14:15]
.LBB2_21232:
	v_mov_b32_e32 v4, 0
	v_cmp_ne_u16_sdwa s[8:9], v3, v4 src0_sel:BYTE_0 src1_sel:DWORD
	s_andn2_b64 s[4:5], s[4:5], exec
	s_and_b64 s[8:9], s[8:9], exec
	s_or_b64 s[4:5], s[4:5], s[8:9]
	s_or_b64 exec, exec, s[6:7]
	s_and_saveexec_b64 s[6:7], s[4:5]
	s_cbranch_execz .LBB2_32119
; %bb.57071:
	s_getpc_b64 s[14:15]
.Lpost_getpc32119:
	s_add_u32 s14, s14, (.LBB2_6895-.Lpost_getpc32119)&4294967295
	s_addc_u32 s15, s15, (.LBB2_6895-.Lpost_getpc32119)>>32
	s_setpc_b64 s[14:15]
.LBB2_32119:
	s_getpc_b64 s[14:15]
.Lpost_getpc19643:
	s_add_u32 s14, s14, (.LBB2_6896-.Lpost_getpc19643)&4294967295
	s_addc_u32 s15, s15, (.LBB2_6896-.Lpost_getpc19643)>>32
	s_setpc_b64 s[14:15]
.LBB2_21233:
	s_movk_i32 s4, 0x80
	v_cmp_eq_u16_e32 vcc, s4, v3
	s_mov_b64 s[4:5], -1
                                        ; implicit-def: $sgpr10
	s_and_saveexec_b64 s[8:9], vcc
; %bb.21234:
	s_mov_b32 s10, 0x7f800001
	s_xor_b64 s[4:5], exec, -1
; %bb.21235:
	s_or_b64 exec, exec, s[8:9]
	s_and_b64 s[4:5], s[4:5], exec
                                        ; implicit-def: $vgpr3
	s_or_saveexec_b64 s[6:7], s[6:7]
	v_mov_b32_e32 v2, s10
	s_xor_b64 exec, exec, s[6:7]
	s_cbranch_execnz .LBB2_21236
; %bb.57073:
	s_getpc_b64 s[14:15]
.Lpost_getpc32120:
	s_add_u32 s14, s14, (.LBB2_6898-.Lpost_getpc32120)&4294967295
	s_addc_u32 s15, s15, (.LBB2_6898-.Lpost_getpc32120)>>32
	s_setpc_b64 s[14:15]
.LBB2_21236:
	v_cmp_ne_u16_e32 vcc, 0, v3
	s_andn2_b64 s[4:5], s[4:5], exec
	s_and_b64 s[8:9], vcc, exec
	v_mov_b32_e32 v2, 0
	s_or_b64 s[4:5], s[4:5], s[8:9]
	s_or_b64 exec, exec, s[6:7]
	s_and_saveexec_b64 s[6:7], s[4:5]
	s_cbranch_execz .LBB2_32121
; %bb.57075:
	s_getpc_b64 s[14:15]
.Lpost_getpc32121:
	s_add_u32 s14, s14, (.LBB2_6899-.Lpost_getpc32121)&4294967295
	s_addc_u32 s15, s15, (.LBB2_6899-.Lpost_getpc32121)>>32
	s_setpc_b64 s[14:15]
.LBB2_32121:
	s_getpc_b64 s[14:15]
.Lpost_getpc19644:
	s_add_u32 s14, s14, (.LBB2_6900-.Lpost_getpc19644)&4294967295
	s_addc_u32 s15, s15, (.LBB2_6900-.Lpost_getpc19644)>>32
	s_setpc_b64 s[14:15]
.LBB2_21237:
	s_movk_i32 s4, 0x80
	v_cmp_eq_u16_e32 vcc, s4, v3
	s_mov_b64 s[4:5], -1
                                        ; implicit-def: $sgpr10
	s_and_saveexec_b64 s[8:9], vcc
; %bb.21238:
	s_mov_b32 s10, 0x7f800001
	s_xor_b64 s[4:5], exec, -1
; %bb.21239:
	s_or_b64 exec, exec, s[8:9]
	s_and_b64 s[4:5], s[4:5], exec
                                        ; implicit-def: $vgpr3
	s_or_saveexec_b64 s[6:7], s[6:7]
	v_mov_b32_e32 v4, s10
	s_xor_b64 exec, exec, s[6:7]
	s_cbranch_execnz .LBB2_21240
; %bb.57077:
	s_getpc_b64 s[14:15]
.Lpost_getpc32122:
	s_add_u32 s14, s14, (.LBB2_6902-.Lpost_getpc32122)&4294967295
	s_addc_u32 s15, s15, (.LBB2_6902-.Lpost_getpc32122)>>32
	s_setpc_b64 s[14:15]
.LBB2_21240:
	v_cmp_ne_u16_e32 vcc, 0, v3
	s_andn2_b64 s[4:5], s[4:5], exec
	s_and_b64 s[8:9], vcc, exec
	v_mov_b32_e32 v4, 0
	s_or_b64 s[4:5], s[4:5], s[8:9]
	s_or_b64 exec, exec, s[6:7]
	s_and_saveexec_b64 s[6:7], s[4:5]
	s_cbranch_execz .LBB2_32123
; %bb.57079:
	s_getpc_b64 s[14:15]
.Lpost_getpc32123:
	s_add_u32 s14, s14, (.LBB2_6903-.Lpost_getpc32123)&4294967295
	s_addc_u32 s15, s15, (.LBB2_6903-.Lpost_getpc32123)>>32
	s_setpc_b64 s[14:15]
.LBB2_32123:
	s_getpc_b64 s[14:15]
.Lpost_getpc19645:
	s_add_u32 s14, s14, (.LBB2_6904-.Lpost_getpc19645)&4294967295
	s_addc_u32 s15, s15, (.LBB2_6904-.Lpost_getpc19645)>>32
	s_setpc_b64 s[14:15]
.LBB2_21241:
	s_movk_i32 s4, 0x80
	v_cmp_eq_u16_sdwa s[12:13], v9, s4 src0_sel:BYTE_3 src1_sel:DWORD
	s_mov_b64 s[4:5], -1
                                        ; implicit-def: $sgpr10
	s_and_saveexec_b64 s[8:9], s[12:13]
; %bb.21242:
	s_mov_b32 s10, 0x7f800001
	s_xor_b64 s[4:5], exec, -1
; %bb.21243:
	s_or_b64 exec, exec, s[8:9]
	s_and_b64 s[4:5], s[4:5], exec
	s_or_saveexec_b64 s[6:7], s[6:7]
	v_mov_b32_e32 v2, s10
	s_xor_b64 exec, exec, s[6:7]
	s_cbranch_execnz .LBB2_21244
; %bb.57081:
	s_getpc_b64 s[14:15]
.Lpost_getpc32124:
	s_add_u32 s14, s14, (.LBB2_6906-.Lpost_getpc32124)&4294967295
	s_addc_u32 s15, s15, (.LBB2_6906-.Lpost_getpc32124)>>32
	s_setpc_b64 s[14:15]
.LBB2_21244:
	v_mov_b32_e32 v2, 0
	v_cmp_ne_u16_sdwa s[8:9], v9, v2 src0_sel:BYTE_3 src1_sel:DWORD
	s_andn2_b64 s[4:5], s[4:5], exec
	s_and_b64 s[8:9], s[8:9], exec
	s_or_b64 s[4:5], s[4:5], s[8:9]
	s_or_b64 exec, exec, s[6:7]
	s_and_saveexec_b64 s[6:7], s[4:5]
	s_cbranch_execz .LBB2_32125
; %bb.57083:
	s_getpc_b64 s[14:15]
.Lpost_getpc32125:
	s_add_u32 s14, s14, (.LBB2_6907-.Lpost_getpc32125)&4294967295
	s_addc_u32 s15, s15, (.LBB2_6907-.Lpost_getpc32125)>>32
	s_setpc_b64 s[14:15]
.LBB2_32125:
	s_getpc_b64 s[14:15]
.Lpost_getpc19646:
	s_add_u32 s14, s14, (.LBB2_6908-.Lpost_getpc19646)&4294967295
	s_addc_u32 s15, s15, (.LBB2_6908-.Lpost_getpc19646)>>32
	s_setpc_b64 s[14:15]
.LBB2_21245:
	s_movk_i32 s4, 0x80
	v_cmp_eq_u16_sdwa s[12:13], v5, s4 src0_sel:BYTE_3 src1_sel:DWORD
	s_mov_b64 s[4:5], -1
                                        ; implicit-def: $sgpr10
	s_and_saveexec_b64 s[8:9], s[12:13]
; %bb.21246:
	s_mov_b32 s10, 0x7f800001
	s_xor_b64 s[4:5], exec, -1
; %bb.21247:
	s_or_b64 exec, exec, s[8:9]
	s_and_b64 s[4:5], s[4:5], exec
	s_or_saveexec_b64 s[6:7], s[6:7]
	v_mov_b32_e32 v3, s10
	s_xor_b64 exec, exec, s[6:7]
	s_cbranch_execnz .LBB2_21248
; %bb.57085:
	s_getpc_b64 s[14:15]
.Lpost_getpc32126:
	s_add_u32 s14, s14, (.LBB2_6910-.Lpost_getpc32126)&4294967295
	s_addc_u32 s15, s15, (.LBB2_6910-.Lpost_getpc32126)>>32
	s_setpc_b64 s[14:15]
.LBB2_21248:
	v_mov_b32_e32 v3, 0
	v_cmp_ne_u16_sdwa s[8:9], v5, v3 src0_sel:BYTE_3 src1_sel:DWORD
	s_andn2_b64 s[4:5], s[4:5], exec
	s_and_b64 s[8:9], s[8:9], exec
	s_or_b64 s[4:5], s[4:5], s[8:9]
	s_or_b64 exec, exec, s[6:7]
	s_and_saveexec_b64 s[6:7], s[4:5]
	s_cbranch_execz .LBB2_32127
; %bb.57087:
	s_getpc_b64 s[14:15]
.Lpost_getpc32127:
	s_add_u32 s14, s14, (.LBB2_6911-.Lpost_getpc32127)&4294967295
	s_addc_u32 s15, s15, (.LBB2_6911-.Lpost_getpc32127)>>32
	s_setpc_b64 s[14:15]
.LBB2_32127:
	s_getpc_b64 s[14:15]
.Lpost_getpc19647:
	s_add_u32 s14, s14, (.LBB2_6912-.Lpost_getpc19647)&4294967295
	s_addc_u32 s15, s15, (.LBB2_6912-.Lpost_getpc19647)>>32
	s_setpc_b64 s[14:15]
.LBB2_21249:
	s_movk_i32 s4, 0x80
	v_cmp_eq_u16_sdwa s[12:13], v6, s4 src0_sel:BYTE_0 src1_sel:DWORD
	s_mov_b64 s[4:5], -1
                                        ; implicit-def: $sgpr10
	s_and_saveexec_b64 s[8:9], s[12:13]
; %bb.21250:
	s_mov_b32 s10, 0x7f800001
	s_xor_b64 s[4:5], exec, -1
; %bb.21251:
	s_or_b64 exec, exec, s[8:9]
	s_and_b64 s[4:5], s[4:5], exec
	s_or_saveexec_b64 s[6:7], s[6:7]
	v_mov_b32_e32 v12, s10
	s_xor_b64 exec, exec, s[6:7]
	s_cbranch_execnz .LBB2_21252
; %bb.57089:
	s_getpc_b64 s[14:15]
.Lpost_getpc32128:
	s_add_u32 s14, s14, (.LBB2_6914-.Lpost_getpc32128)&4294967295
	s_addc_u32 s15, s15, (.LBB2_6914-.Lpost_getpc32128)>>32
	s_setpc_b64 s[14:15]
.LBB2_21252:
	v_mov_b32_e32 v12, 0
	v_cmp_ne_u16_sdwa s[8:9], v6, v12 src0_sel:BYTE_0 src1_sel:DWORD
	s_andn2_b64 s[4:5], s[4:5], exec
	s_and_b64 s[8:9], s[8:9], exec
	s_or_b64 s[4:5], s[4:5], s[8:9]
	s_or_b64 exec, exec, s[6:7]
	s_and_saveexec_b64 s[6:7], s[4:5]
	s_cbranch_execz .LBB2_32129
; %bb.57091:
	s_getpc_b64 s[14:15]
.Lpost_getpc32129:
	s_add_u32 s14, s14, (.LBB2_6915-.Lpost_getpc32129)&4294967295
	s_addc_u32 s15, s15, (.LBB2_6915-.Lpost_getpc32129)>>32
	s_setpc_b64 s[14:15]
.LBB2_32129:
	s_getpc_b64 s[14:15]
.Lpost_getpc19648:
	s_add_u32 s14, s14, (.LBB2_6916-.Lpost_getpc19648)&4294967295
	s_addc_u32 s15, s15, (.LBB2_6916-.Lpost_getpc19648)>>32
	s_setpc_b64 s[14:15]
.LBB2_21253:
	s_movk_i32 s4, 0x80
	v_cmp_eq_u16_sdwa s[12:13], v2, s4 src0_sel:BYTE_0 src1_sel:DWORD
	s_mov_b64 s[4:5], -1
                                        ; implicit-def: $sgpr10
	s_and_saveexec_b64 s[8:9], s[12:13]
; %bb.21254:
	s_mov_b32 s10, 0x7f800001
	s_xor_b64 s[4:5], exec, -1
; %bb.21255:
	s_or_b64 exec, exec, s[8:9]
	s_and_b64 s[4:5], s[4:5], exec
	s_or_saveexec_b64 s[6:7], s[6:7]
	v_mov_b32_e32 v13, s10
	s_xor_b64 exec, exec, s[6:7]
	s_cbranch_execnz .LBB2_21256
; %bb.57093:
	s_getpc_b64 s[14:15]
.Lpost_getpc32130:
	s_add_u32 s14, s14, (.LBB2_6918-.Lpost_getpc32130)&4294967295
	s_addc_u32 s15, s15, (.LBB2_6918-.Lpost_getpc32130)>>32
	s_setpc_b64 s[14:15]
.LBB2_21256:
	v_mov_b32_e32 v13, 0
	v_cmp_ne_u16_sdwa s[8:9], v2, v13 src0_sel:BYTE_0 src1_sel:DWORD
	s_andn2_b64 s[4:5], s[4:5], exec
	s_and_b64 s[8:9], s[8:9], exec
	s_or_b64 s[4:5], s[4:5], s[8:9]
	s_or_b64 exec, exec, s[6:7]
	s_and_saveexec_b64 s[6:7], s[4:5]
	s_cbranch_execz .LBB2_32131
; %bb.57095:
	s_getpc_b64 s[14:15]
.Lpost_getpc32131:
	s_add_u32 s14, s14, (.LBB2_6919-.Lpost_getpc32131)&4294967295
	s_addc_u32 s15, s15, (.LBB2_6919-.Lpost_getpc32131)>>32
	s_setpc_b64 s[14:15]
.LBB2_32131:
	s_getpc_b64 s[14:15]
.Lpost_getpc19649:
	s_add_u32 s14, s14, (.LBB2_6920-.Lpost_getpc19649)&4294967295
	s_addc_u32 s15, s15, (.LBB2_6920-.Lpost_getpc19649)>>32
	s_setpc_b64 s[14:15]
.LBB2_21257:
	s_movk_i32 s4, 0x80
	v_cmp_eq_u16_sdwa s[12:13], v13, s4 src0_sel:BYTE_0 src1_sel:DWORD
	s_mov_b64 s[4:5], -1
                                        ; implicit-def: $sgpr10
	s_and_saveexec_b64 s[8:9], s[12:13]
; %bb.21258:
	s_mov_b32 s10, 0x7f800001
	s_xor_b64 s[4:5], exec, -1
; %bb.21259:
	s_or_b64 exec, exec, s[8:9]
	s_and_b64 s[4:5], s[4:5], exec
	s_or_saveexec_b64 s[6:7], s[6:7]
	v_mov_b32_e32 v12, s10
	s_xor_b64 exec, exec, s[6:7]
	s_cbranch_execnz .LBB2_21260
; %bb.57097:
	s_getpc_b64 s[14:15]
.Lpost_getpc32132:
	s_add_u32 s14, s14, (.LBB2_6922-.Lpost_getpc32132)&4294967295
	s_addc_u32 s15, s15, (.LBB2_6922-.Lpost_getpc32132)>>32
	s_setpc_b64 s[14:15]
.LBB2_21260:
	v_mov_b32_e32 v12, 0
	v_cmp_ne_u16_sdwa s[8:9], v13, v12 src0_sel:BYTE_0 src1_sel:DWORD
	s_andn2_b64 s[4:5], s[4:5], exec
	s_and_b64 s[8:9], s[8:9], exec
	s_or_b64 s[4:5], s[4:5], s[8:9]
	s_or_b64 exec, exec, s[6:7]
	s_and_saveexec_b64 s[6:7], s[4:5]
	s_cbranch_execz .LBB2_32133
; %bb.57099:
	s_getpc_b64 s[14:15]
.Lpost_getpc32133:
	s_add_u32 s14, s14, (.LBB2_6923-.Lpost_getpc32133)&4294967295
	s_addc_u32 s15, s15, (.LBB2_6923-.Lpost_getpc32133)>>32
	s_setpc_b64 s[14:15]
.LBB2_32133:
	s_getpc_b64 s[14:15]
.Lpost_getpc19650:
	s_add_u32 s14, s14, (.LBB2_6924-.Lpost_getpc19650)&4294967295
	s_addc_u32 s15, s15, (.LBB2_6924-.Lpost_getpc19650)>>32
	s_setpc_b64 s[14:15]
.LBB2_21261:
	s_movk_i32 s4, 0x80
	v_cmp_eq_u16_sdwa s[12:13], v13, s4 src0_sel:BYTE_0 src1_sel:DWORD
	s_mov_b64 s[4:5], -1
                                        ; implicit-def: $sgpr10
	s_and_saveexec_b64 s[8:9], s[12:13]
; %bb.21262:
	s_mov_b32 s10, 0x7f800001
	s_xor_b64 s[4:5], exec, -1
; %bb.21263:
	s_or_b64 exec, exec, s[8:9]
	s_and_b64 s[4:5], s[4:5], exec
	s_or_saveexec_b64 s[6:7], s[6:7]
	v_mov_b32_e32 v14, s10
	s_xor_b64 exec, exec, s[6:7]
	s_cbranch_execnz .LBB2_21264
; %bb.57101:
	s_getpc_b64 s[14:15]
.Lpost_getpc32134:
	s_add_u32 s14, s14, (.LBB2_6926-.Lpost_getpc32134)&4294967295
	s_addc_u32 s15, s15, (.LBB2_6926-.Lpost_getpc32134)>>32
	s_setpc_b64 s[14:15]
.LBB2_21264:
	v_mov_b32_e32 v14, 0
	v_cmp_ne_u16_sdwa s[8:9], v13, v14 src0_sel:BYTE_0 src1_sel:DWORD
	s_andn2_b64 s[4:5], s[4:5], exec
	s_and_b64 s[8:9], s[8:9], exec
	s_or_b64 s[4:5], s[4:5], s[8:9]
	s_or_b64 exec, exec, s[6:7]
	s_and_saveexec_b64 s[6:7], s[4:5]
	s_cbranch_execz .LBB2_32135
; %bb.57103:
	s_getpc_b64 s[14:15]
.Lpost_getpc32135:
	s_add_u32 s14, s14, (.LBB2_6927-.Lpost_getpc32135)&4294967295
	s_addc_u32 s15, s15, (.LBB2_6927-.Lpost_getpc32135)>>32
	s_setpc_b64 s[14:15]
.LBB2_32135:
	s_getpc_b64 s[14:15]
.Lpost_getpc19651:
	s_add_u32 s14, s14, (.LBB2_6928-.Lpost_getpc19651)&4294967295
	s_addc_u32 s15, s15, (.LBB2_6928-.Lpost_getpc19651)>>32
	s_setpc_b64 s[14:15]
.LBB2_21265:
	s_movk_i32 s4, 0x80
	v_cmp_eq_u16_e32 vcc, s4, v13
	s_mov_b64 s[4:5], -1
                                        ; implicit-def: $sgpr10
	s_and_saveexec_b64 s[8:9], vcc
; %bb.21266:
	s_mov_b32 s10, 0x7f800001
	s_xor_b64 s[4:5], exec, -1
; %bb.21267:
	s_or_b64 exec, exec, s[8:9]
	s_and_b64 s[4:5], s[4:5], exec
                                        ; implicit-def: $vgpr13
	s_or_saveexec_b64 s[6:7], s[6:7]
	v_mov_b32_e32 v12, s10
	s_xor_b64 exec, exec, s[6:7]
	s_cbranch_execnz .LBB2_21268
; %bb.57105:
	s_getpc_b64 s[14:15]
.Lpost_getpc32136:
	s_add_u32 s14, s14, (.LBB2_6930-.Lpost_getpc32136)&4294967295
	s_addc_u32 s15, s15, (.LBB2_6930-.Lpost_getpc32136)>>32
	s_setpc_b64 s[14:15]
.LBB2_21268:
	v_cmp_ne_u16_e32 vcc, 0, v13
	s_andn2_b64 s[4:5], s[4:5], exec
	s_and_b64 s[8:9], vcc, exec
	v_mov_b32_e32 v12, 0
	s_or_b64 s[4:5], s[4:5], s[8:9]
	s_or_b64 exec, exec, s[6:7]
	s_and_saveexec_b64 s[6:7], s[4:5]
	s_cbranch_execz .LBB2_32137
; %bb.57107:
	s_getpc_b64 s[14:15]
.Lpost_getpc32137:
	s_add_u32 s14, s14, (.LBB2_6931-.Lpost_getpc32137)&4294967295
	s_addc_u32 s15, s15, (.LBB2_6931-.Lpost_getpc32137)>>32
	s_setpc_b64 s[14:15]
.LBB2_32137:
	s_getpc_b64 s[14:15]
.Lpost_getpc19652:
	s_add_u32 s14, s14, (.LBB2_6932-.Lpost_getpc19652)&4294967295
	s_addc_u32 s15, s15, (.LBB2_6932-.Lpost_getpc19652)>>32
	s_setpc_b64 s[14:15]
.LBB2_21269:
	s_movk_i32 s4, 0x80
	v_cmp_eq_u16_e32 vcc, s4, v13
	s_mov_b64 s[4:5], -1
                                        ; implicit-def: $sgpr10
	s_and_saveexec_b64 s[8:9], vcc
; %bb.21270:
	s_mov_b32 s10, 0x7f800001
	s_xor_b64 s[4:5], exec, -1
; %bb.21271:
	s_or_b64 exec, exec, s[8:9]
	s_and_b64 s[4:5], s[4:5], exec
                                        ; implicit-def: $vgpr13
	s_or_saveexec_b64 s[6:7], s[6:7]
	v_mov_b32_e32 v14, s10
	s_xor_b64 exec, exec, s[6:7]
	s_cbranch_execnz .LBB2_21272
; %bb.57109:
	s_getpc_b64 s[14:15]
.Lpost_getpc32138:
	s_add_u32 s14, s14, (.LBB2_6934-.Lpost_getpc32138)&4294967295
	s_addc_u32 s15, s15, (.LBB2_6934-.Lpost_getpc32138)>>32
	s_setpc_b64 s[14:15]
.LBB2_21272:
	v_cmp_ne_u16_e32 vcc, 0, v13
	s_andn2_b64 s[4:5], s[4:5], exec
	s_and_b64 s[8:9], vcc, exec
	v_mov_b32_e32 v14, 0
	s_or_b64 s[4:5], s[4:5], s[8:9]
	s_or_b64 exec, exec, s[6:7]
	s_and_saveexec_b64 s[6:7], s[4:5]
	s_cbranch_execz .LBB2_32139
; %bb.57111:
	s_getpc_b64 s[14:15]
.Lpost_getpc32139:
	s_add_u32 s14, s14, (.LBB2_6935-.Lpost_getpc32139)&4294967295
	s_addc_u32 s15, s15, (.LBB2_6935-.Lpost_getpc32139)>>32
	s_setpc_b64 s[14:15]
.LBB2_32139:
	s_getpc_b64 s[14:15]
.Lpost_getpc19653:
	s_add_u32 s14, s14, (.LBB2_6936-.Lpost_getpc19653)&4294967295
	s_addc_u32 s15, s15, (.LBB2_6936-.Lpost_getpc19653)>>32
	s_setpc_b64 s[14:15]
.LBB2_21273:
	s_movk_i32 s4, 0x80
	v_cmp_eq_u16_sdwa s[12:13], v6, s4 src0_sel:BYTE_3 src1_sel:DWORD
	s_mov_b64 s[4:5], -1
                                        ; implicit-def: $sgpr10
	s_and_saveexec_b64 s[8:9], s[12:13]
; %bb.21274:
	s_mov_b32 s10, 0x7f800001
	s_xor_b64 s[4:5], exec, -1
; %bb.21275:
	s_or_b64 exec, exec, s[8:9]
	s_and_b64 s[4:5], s[4:5], exec
	s_or_saveexec_b64 s[6:7], s[6:7]
	v_mov_b32_e32 v12, s10
	s_xor_b64 exec, exec, s[6:7]
	s_cbranch_execnz .LBB2_21276
; %bb.57113:
	s_getpc_b64 s[14:15]
.Lpost_getpc32140:
	s_add_u32 s14, s14, (.LBB2_6938-.Lpost_getpc32140)&4294967295
	s_addc_u32 s15, s15, (.LBB2_6938-.Lpost_getpc32140)>>32
	s_setpc_b64 s[14:15]
.LBB2_21276:
	v_mov_b32_e32 v12, 0
	v_cmp_ne_u16_sdwa s[8:9], v6, v12 src0_sel:BYTE_3 src1_sel:DWORD
	s_andn2_b64 s[4:5], s[4:5], exec
	s_and_b64 s[8:9], s[8:9], exec
	s_or_b64 s[4:5], s[4:5], s[8:9]
	s_or_b64 exec, exec, s[6:7]
	s_and_saveexec_b64 s[6:7], s[4:5]
	s_cbranch_execz .LBB2_32141
; %bb.57115:
	s_getpc_b64 s[14:15]
.Lpost_getpc32141:
	s_add_u32 s14, s14, (.LBB2_6939-.Lpost_getpc32141)&4294967295
	s_addc_u32 s15, s15, (.LBB2_6939-.Lpost_getpc32141)>>32
	s_setpc_b64 s[14:15]
.LBB2_32141:
	s_getpc_b64 s[14:15]
.Lpost_getpc19654:
	s_add_u32 s14, s14, (.LBB2_6940-.Lpost_getpc19654)&4294967295
	s_addc_u32 s15, s15, (.LBB2_6940-.Lpost_getpc19654)>>32
	s_setpc_b64 s[14:15]
.LBB2_21277:
	s_movk_i32 s4, 0x80
	v_cmp_eq_u16_sdwa s[12:13], v2, s4 src0_sel:BYTE_3 src1_sel:DWORD
	s_mov_b64 s[4:5], -1
                                        ; implicit-def: $sgpr10
	s_and_saveexec_b64 s[8:9], s[12:13]
; %bb.21278:
	s_mov_b32 s10, 0x7f800001
	s_xor_b64 s[4:5], exec, -1
; %bb.21279:
	s_or_b64 exec, exec, s[8:9]
	s_and_b64 s[4:5], s[4:5], exec
	s_or_saveexec_b64 s[6:7], s[6:7]
	v_mov_b32_e32 v6, s10
	s_xor_b64 exec, exec, s[6:7]
	s_cbranch_execnz .LBB2_21280
; %bb.57117:
	s_getpc_b64 s[14:15]
.Lpost_getpc32142:
	s_add_u32 s14, s14, (.LBB2_6942-.Lpost_getpc32142)&4294967295
	s_addc_u32 s15, s15, (.LBB2_6942-.Lpost_getpc32142)>>32
	s_setpc_b64 s[14:15]
.LBB2_21280:
	v_mov_b32_e32 v6, 0
	v_cmp_ne_u16_sdwa s[8:9], v2, v6 src0_sel:BYTE_3 src1_sel:DWORD
	s_andn2_b64 s[4:5], s[4:5], exec
	s_and_b64 s[8:9], s[8:9], exec
	s_or_b64 s[4:5], s[4:5], s[8:9]
	s_or_b64 exec, exec, s[6:7]
	s_and_saveexec_b64 s[6:7], s[4:5]
	s_cbranch_execz .LBB2_32143
; %bb.57119:
	s_getpc_b64 s[14:15]
.Lpost_getpc32143:
	s_add_u32 s14, s14, (.LBB2_6943-.Lpost_getpc32143)&4294967295
	s_addc_u32 s15, s15, (.LBB2_6943-.Lpost_getpc32143)>>32
	s_setpc_b64 s[14:15]
.LBB2_32143:
	s_getpc_b64 s[14:15]
.Lpost_getpc19655:
	s_add_u32 s14, s14, (.LBB2_6944-.Lpost_getpc19655)&4294967295
	s_addc_u32 s15, s15, (.LBB2_6944-.Lpost_getpc19655)>>32
	s_setpc_b64 s[14:15]
.LBB2_21281:
	s_movk_i32 s4, 0x80
	v_cmp_eq_u16_sdwa s[12:13], v7, s4 src0_sel:BYTE_0 src1_sel:DWORD
	s_mov_b64 s[4:5], -1
                                        ; implicit-def: $sgpr10
	s_and_saveexec_b64 s[8:9], s[12:13]
; %bb.21282:
	s_mov_b32 s10, 0x7f800001
	s_xor_b64 s[4:5], exec, -1
; %bb.21283:
	s_or_b64 exec, exec, s[8:9]
	s_and_b64 s[4:5], s[4:5], exec
	s_or_saveexec_b64 s[6:7], s[6:7]
	v_mov_b32_e32 v2, s10
	s_xor_b64 exec, exec, s[6:7]
	s_cbranch_execnz .LBB2_21284
; %bb.57121:
	s_getpc_b64 s[14:15]
.Lpost_getpc32144:
	s_add_u32 s14, s14, (.LBB2_6946-.Lpost_getpc32144)&4294967295
	s_addc_u32 s15, s15, (.LBB2_6946-.Lpost_getpc32144)>>32
	s_setpc_b64 s[14:15]
.LBB2_21284:
	v_mov_b32_e32 v2, 0
	v_cmp_ne_u16_sdwa s[8:9], v7, v2 src0_sel:BYTE_0 src1_sel:DWORD
	s_andn2_b64 s[4:5], s[4:5], exec
	s_and_b64 s[8:9], s[8:9], exec
	s_or_b64 s[4:5], s[4:5], s[8:9]
	s_or_b64 exec, exec, s[6:7]
	s_and_saveexec_b64 s[6:7], s[4:5]
	s_cbranch_execz .LBB2_32145
; %bb.57123:
	s_getpc_b64 s[14:15]
.Lpost_getpc32145:
	s_add_u32 s14, s14, (.LBB2_6947-.Lpost_getpc32145)&4294967295
	s_addc_u32 s15, s15, (.LBB2_6947-.Lpost_getpc32145)>>32
	s_setpc_b64 s[14:15]
.LBB2_32145:
	s_getpc_b64 s[14:15]
.Lpost_getpc19656:
	s_add_u32 s14, s14, (.LBB2_6948-.Lpost_getpc19656)&4294967295
	s_addc_u32 s15, s15, (.LBB2_6948-.Lpost_getpc19656)>>32
	s_setpc_b64 s[14:15]
.LBB2_21285:
	s_movk_i32 s4, 0x80
	v_cmp_eq_u16_sdwa s[12:13], v3, s4 src0_sel:BYTE_0 src1_sel:DWORD
	s_mov_b64 s[4:5], -1
                                        ; implicit-def: $sgpr10
	s_and_saveexec_b64 s[8:9], s[12:13]
; %bb.21286:
	s_mov_b32 s10, 0x7f800001
	s_xor_b64 s[4:5], exec, -1
; %bb.21287:
	s_or_b64 exec, exec, s[8:9]
	s_and_b64 s[4:5], s[4:5], exec
	s_or_saveexec_b64 s[6:7], s[6:7]
	v_mov_b32_e32 v6, s10
	s_xor_b64 exec, exec, s[6:7]
	s_cbranch_execnz .LBB2_21288
; %bb.57125:
	s_getpc_b64 s[14:15]
.Lpost_getpc32146:
	s_add_u32 s14, s14, (.LBB2_6950-.Lpost_getpc32146)&4294967295
	s_addc_u32 s15, s15, (.LBB2_6950-.Lpost_getpc32146)>>32
	s_setpc_b64 s[14:15]
.LBB2_21288:
	v_mov_b32_e32 v6, 0
	v_cmp_ne_u16_sdwa s[8:9], v3, v6 src0_sel:BYTE_0 src1_sel:DWORD
	s_andn2_b64 s[4:5], s[4:5], exec
	s_and_b64 s[8:9], s[8:9], exec
	s_or_b64 s[4:5], s[4:5], s[8:9]
	s_or_b64 exec, exec, s[6:7]
	s_and_saveexec_b64 s[6:7], s[4:5]
	s_cbranch_execz .LBB2_32147
; %bb.57127:
	s_getpc_b64 s[14:15]
.Lpost_getpc32147:
	s_add_u32 s14, s14, (.LBB2_6951-.Lpost_getpc32147)&4294967295
	s_addc_u32 s15, s15, (.LBB2_6951-.Lpost_getpc32147)>>32
	s_setpc_b64 s[14:15]
.LBB2_32147:
	s_getpc_b64 s[14:15]
.Lpost_getpc19657:
	s_add_u32 s14, s14, (.LBB2_6952-.Lpost_getpc19657)&4294967295
	s_addc_u32 s15, s15, (.LBB2_6952-.Lpost_getpc19657)>>32
	s_setpc_b64 s[14:15]
.LBB2_21289:
	s_movk_i32 s4, 0x80
	v_cmp_eq_u16_sdwa s[12:13], v6, s4 src0_sel:BYTE_0 src1_sel:DWORD
	s_mov_b64 s[4:5], -1
                                        ; implicit-def: $sgpr10
	s_and_saveexec_b64 s[8:9], s[12:13]
; %bb.21290:
	s_mov_b32 s10, 0x7f800001
	s_xor_b64 s[4:5], exec, -1
; %bb.21291:
	s_or_b64 exec, exec, s[8:9]
	s_and_b64 s[4:5], s[4:5], exec
	s_or_saveexec_b64 s[6:7], s[6:7]
	v_mov_b32_e32 v2, s10
	s_xor_b64 exec, exec, s[6:7]
	s_cbranch_execnz .LBB2_21292
; %bb.57129:
	s_getpc_b64 s[14:15]
.Lpost_getpc32148:
	s_add_u32 s14, s14, (.LBB2_6954-.Lpost_getpc32148)&4294967295
	s_addc_u32 s15, s15, (.LBB2_6954-.Lpost_getpc32148)>>32
	s_setpc_b64 s[14:15]
.LBB2_21292:
	v_mov_b32_e32 v2, 0
	v_cmp_ne_u16_sdwa s[8:9], v6, v2 src0_sel:BYTE_0 src1_sel:DWORD
	s_andn2_b64 s[4:5], s[4:5], exec
	s_and_b64 s[8:9], s[8:9], exec
	s_or_b64 s[4:5], s[4:5], s[8:9]
	s_or_b64 exec, exec, s[6:7]
	s_and_saveexec_b64 s[6:7], s[4:5]
	s_cbranch_execz .LBB2_32149
; %bb.57131:
	s_getpc_b64 s[14:15]
.Lpost_getpc32149:
	s_add_u32 s14, s14, (.LBB2_6955-.Lpost_getpc32149)&4294967295
	s_addc_u32 s15, s15, (.LBB2_6955-.Lpost_getpc32149)>>32
	s_setpc_b64 s[14:15]
.LBB2_32149:
	s_getpc_b64 s[14:15]
.Lpost_getpc19658:
	s_add_u32 s14, s14, (.LBB2_6956-.Lpost_getpc19658)&4294967295
	s_addc_u32 s15, s15, (.LBB2_6956-.Lpost_getpc19658)>>32
	s_setpc_b64 s[14:15]
.LBB2_21293:
	s_movk_i32 s4, 0x80
	v_cmp_eq_u16_sdwa s[12:13], v6, s4 src0_sel:BYTE_0 src1_sel:DWORD
	s_mov_b64 s[4:5], -1
                                        ; implicit-def: $sgpr10
	s_and_saveexec_b64 s[8:9], s[12:13]
; %bb.21294:
	s_mov_b32 s10, 0x7f800001
	s_xor_b64 s[4:5], exec, -1
; %bb.21295:
	s_or_b64 exec, exec, s[8:9]
	s_and_b64 s[4:5], s[4:5], exec
	s_or_saveexec_b64 s[6:7], s[6:7]
	v_mov_b32_e32 v12, s10
	s_xor_b64 exec, exec, s[6:7]
	s_cbranch_execnz .LBB2_21296
; %bb.57133:
	s_getpc_b64 s[14:15]
.Lpost_getpc32150:
	s_add_u32 s14, s14, (.LBB2_6958-.Lpost_getpc32150)&4294967295
	s_addc_u32 s15, s15, (.LBB2_6958-.Lpost_getpc32150)>>32
	s_setpc_b64 s[14:15]
.LBB2_21296:
	v_mov_b32_e32 v12, 0
	v_cmp_ne_u16_sdwa s[8:9], v6, v12 src0_sel:BYTE_0 src1_sel:DWORD
	s_andn2_b64 s[4:5], s[4:5], exec
	s_and_b64 s[8:9], s[8:9], exec
	s_or_b64 s[4:5], s[4:5], s[8:9]
	s_or_b64 exec, exec, s[6:7]
	s_and_saveexec_b64 s[6:7], s[4:5]
	s_cbranch_execz .LBB2_32151
; %bb.57135:
	s_getpc_b64 s[14:15]
.Lpost_getpc32151:
	s_add_u32 s14, s14, (.LBB2_6959-.Lpost_getpc32151)&4294967295
	s_addc_u32 s15, s15, (.LBB2_6959-.Lpost_getpc32151)>>32
	s_setpc_b64 s[14:15]
.LBB2_32151:
	s_getpc_b64 s[14:15]
.Lpost_getpc19659:
	s_add_u32 s14, s14, (.LBB2_6960-.Lpost_getpc19659)&4294967295
	s_addc_u32 s15, s15, (.LBB2_6960-.Lpost_getpc19659)>>32
	s_setpc_b64 s[14:15]
.LBB2_21297:
	s_movk_i32 s4, 0x80
	v_cmp_eq_u16_e32 vcc, s4, v6
	s_mov_b64 s[4:5], -1
                                        ; implicit-def: $sgpr10
	s_and_saveexec_b64 s[8:9], vcc
; %bb.21298:
	s_mov_b32 s10, 0x7f800001
	s_xor_b64 s[4:5], exec, -1
; %bb.21299:
	s_or_b64 exec, exec, s[8:9]
	s_and_b64 s[4:5], s[4:5], exec
                                        ; implicit-def: $vgpr6
	s_or_saveexec_b64 s[6:7], s[6:7]
	v_mov_b32_e32 v2, s10
	s_xor_b64 exec, exec, s[6:7]
	s_cbranch_execnz .LBB2_21300
; %bb.57137:
	s_getpc_b64 s[14:15]
.Lpost_getpc32152:
	s_add_u32 s14, s14, (.LBB2_6962-.Lpost_getpc32152)&4294967295
	s_addc_u32 s15, s15, (.LBB2_6962-.Lpost_getpc32152)>>32
	s_setpc_b64 s[14:15]
.LBB2_21300:
	v_cmp_ne_u16_e32 vcc, 0, v6
	s_andn2_b64 s[4:5], s[4:5], exec
	s_and_b64 s[8:9], vcc, exec
	v_mov_b32_e32 v2, 0
	s_or_b64 s[4:5], s[4:5], s[8:9]
	s_or_b64 exec, exec, s[6:7]
	s_and_saveexec_b64 s[6:7], s[4:5]
	s_cbranch_execz .LBB2_32153
; %bb.57139:
	s_getpc_b64 s[14:15]
.Lpost_getpc32153:
	s_add_u32 s14, s14, (.LBB2_6963-.Lpost_getpc32153)&4294967295
	s_addc_u32 s15, s15, (.LBB2_6963-.Lpost_getpc32153)>>32
	s_setpc_b64 s[14:15]
.LBB2_32153:
	s_getpc_b64 s[14:15]
.Lpost_getpc19660:
	s_add_u32 s14, s14, (.LBB2_6964-.Lpost_getpc19660)&4294967295
	s_addc_u32 s15, s15, (.LBB2_6964-.Lpost_getpc19660)>>32
	s_setpc_b64 s[14:15]
.LBB2_21301:
	s_movk_i32 s4, 0x80
	v_cmp_eq_u16_e32 vcc, s4, v6
	s_mov_b64 s[4:5], -1
                                        ; implicit-def: $sgpr10
	s_and_saveexec_b64 s[8:9], vcc
; %bb.21302:
	s_mov_b32 s10, 0x7f800001
	s_xor_b64 s[4:5], exec, -1
; %bb.21303:
	s_or_b64 exec, exec, s[8:9]
	s_and_b64 s[4:5], s[4:5], exec
                                        ; implicit-def: $vgpr6
	s_or_saveexec_b64 s[6:7], s[6:7]
	v_mov_b32_e32 v12, s10
	s_xor_b64 exec, exec, s[6:7]
	s_cbranch_execnz .LBB2_21304
; %bb.57141:
	s_getpc_b64 s[14:15]
.Lpost_getpc32154:
	s_add_u32 s14, s14, (.LBB2_6966-.Lpost_getpc32154)&4294967295
	s_addc_u32 s15, s15, (.LBB2_6966-.Lpost_getpc32154)>>32
	s_setpc_b64 s[14:15]
.LBB2_21304:
	v_cmp_ne_u16_e32 vcc, 0, v6
	s_andn2_b64 s[4:5], s[4:5], exec
	s_and_b64 s[8:9], vcc, exec
	v_mov_b32_e32 v12, 0
	s_or_b64 s[4:5], s[4:5], s[8:9]
	s_or_b64 exec, exec, s[6:7]
	s_and_saveexec_b64 s[6:7], s[4:5]
	s_cbranch_execz .LBB2_32155
; %bb.57143:
	s_getpc_b64 s[14:15]
.Lpost_getpc32155:
	s_add_u32 s14, s14, (.LBB2_6967-.Lpost_getpc32155)&4294967295
	s_addc_u32 s15, s15, (.LBB2_6967-.Lpost_getpc32155)>>32
	s_setpc_b64 s[14:15]
.LBB2_32155:
	s_getpc_b64 s[14:15]
.Lpost_getpc19661:
	s_add_u32 s14, s14, (.LBB2_6968-.Lpost_getpc19661)&4294967295
	s_addc_u32 s15, s15, (.LBB2_6968-.Lpost_getpc19661)>>32
	s_setpc_b64 s[14:15]
.LBB2_21305:
	s_movk_i32 s4, 0x80
	v_cmp_eq_u16_sdwa s[12:13], v7, s4 src0_sel:BYTE_3 src1_sel:DWORD
	s_mov_b64 s[4:5], -1
                                        ; implicit-def: $sgpr10
	s_and_saveexec_b64 s[8:9], s[12:13]
; %bb.21306:
	s_mov_b32 s10, 0x7f800001
	s_xor_b64 s[4:5], exec, -1
; %bb.21307:
	s_or_b64 exec, exec, s[8:9]
	s_and_b64 s[4:5], s[4:5], exec
	s_or_saveexec_b64 s[6:7], s[6:7]
	v_mov_b32_e32 v2, s10
	s_xor_b64 exec, exec, s[6:7]
	s_cbranch_execnz .LBB2_21308
; %bb.57145:
	s_getpc_b64 s[14:15]
.Lpost_getpc32156:
	s_add_u32 s14, s14, (.LBB2_6970-.Lpost_getpc32156)&4294967295
	s_addc_u32 s15, s15, (.LBB2_6970-.Lpost_getpc32156)>>32
	s_setpc_b64 s[14:15]
.LBB2_21308:
	v_mov_b32_e32 v2, 0
	v_cmp_ne_u16_sdwa s[8:9], v7, v2 src0_sel:BYTE_3 src1_sel:DWORD
	s_andn2_b64 s[4:5], s[4:5], exec
	s_and_b64 s[8:9], s[8:9], exec
	s_or_b64 s[4:5], s[4:5], s[8:9]
	s_or_b64 exec, exec, s[6:7]
	s_and_saveexec_b64 s[6:7], s[4:5]
	s_cbranch_execz .LBB2_32157
; %bb.57147:
	s_getpc_b64 s[14:15]
.Lpost_getpc32157:
	s_add_u32 s14, s14, (.LBB2_6971-.Lpost_getpc32157)&4294967295
	s_addc_u32 s15, s15, (.LBB2_6971-.Lpost_getpc32157)>>32
	s_setpc_b64 s[14:15]
.LBB2_32157:
	s_getpc_b64 s[14:15]
.Lpost_getpc19662:
	s_add_u32 s14, s14, (.LBB2_6972-.Lpost_getpc19662)&4294967295
	s_addc_u32 s15, s15, (.LBB2_6972-.Lpost_getpc19662)>>32
	s_setpc_b64 s[14:15]
.LBB2_21309:
	s_movk_i32 s4, 0x80
	v_cmp_eq_u16_sdwa s[12:13], v3, s4 src0_sel:BYTE_3 src1_sel:DWORD
	s_mov_b64 s[4:5], -1
                                        ; implicit-def: $sgpr10
	s_and_saveexec_b64 s[8:9], s[12:13]
; %bb.21310:
	s_mov_b32 s10, 0x7f800001
	s_xor_b64 s[4:5], exec, -1
; %bb.21311:
	s_or_b64 exec, exec, s[8:9]
	s_and_b64 s[4:5], s[4:5], exec
	s_or_saveexec_b64 s[6:7], s[6:7]
	v_mov_b32_e32 v6, s10
	s_xor_b64 exec, exec, s[6:7]
	s_cbranch_execnz .LBB2_21312
; %bb.57149:
	s_getpc_b64 s[14:15]
.Lpost_getpc32158:
	s_add_u32 s14, s14, (.LBB2_6974-.Lpost_getpc32158)&4294967295
	s_addc_u32 s15, s15, (.LBB2_6974-.Lpost_getpc32158)>>32
	s_setpc_b64 s[14:15]
.LBB2_21312:
	v_mov_b32_e32 v6, 0
	v_cmp_ne_u16_sdwa s[8:9], v3, v6 src0_sel:BYTE_3 src1_sel:DWORD
	s_andn2_b64 s[4:5], s[4:5], exec
	s_and_b64 s[8:9], s[8:9], exec
	s_or_b64 s[4:5], s[4:5], s[8:9]
	s_or_b64 exec, exec, s[6:7]
	s_and_saveexec_b64 s[6:7], s[4:5]
	s_cbranch_execz .LBB2_32159
; %bb.57151:
	s_getpc_b64 s[14:15]
.Lpost_getpc32159:
	s_add_u32 s14, s14, (.LBB2_6975-.Lpost_getpc32159)&4294967295
	s_addc_u32 s15, s15, (.LBB2_6975-.Lpost_getpc32159)>>32
	s_setpc_b64 s[14:15]
.LBB2_32159:
	s_getpc_b64 s[14:15]
.Lpost_getpc19663:
	s_add_u32 s14, s14, (.LBB2_6976-.Lpost_getpc19663)&4294967295
	s_addc_u32 s15, s15, (.LBB2_6976-.Lpost_getpc19663)>>32
	s_setpc_b64 s[14:15]
.LBB2_21313:
	s_movk_i32 s4, 0x80
	v_cmp_eq_u16_sdwa s[12:13], v8, s4 src0_sel:BYTE_0 src1_sel:DWORD
	s_mov_b64 s[4:5], -1
                                        ; implicit-def: $sgpr10
	s_and_saveexec_b64 s[8:9], s[12:13]
; %bb.21314:
	s_mov_b32 s10, 0x7f800001
	s_xor_b64 s[4:5], exec, -1
; %bb.21315:
	s_or_b64 exec, exec, s[8:9]
	s_and_b64 s[4:5], s[4:5], exec
	s_or_saveexec_b64 s[6:7], s[6:7]
	v_mov_b32_e32 v2, s10
	s_xor_b64 exec, exec, s[6:7]
	s_cbranch_execnz .LBB2_21316
; %bb.57153:
	s_getpc_b64 s[14:15]
.Lpost_getpc32160:
	s_add_u32 s14, s14, (.LBB2_6978-.Lpost_getpc32160)&4294967295
	s_addc_u32 s15, s15, (.LBB2_6978-.Lpost_getpc32160)>>32
	s_setpc_b64 s[14:15]
.LBB2_21316:
	v_mov_b32_e32 v2, 0
	v_cmp_ne_u16_sdwa s[8:9], v8, v2 src0_sel:BYTE_0 src1_sel:DWORD
	s_andn2_b64 s[4:5], s[4:5], exec
	s_and_b64 s[8:9], s[8:9], exec
	s_or_b64 s[4:5], s[4:5], s[8:9]
	s_or_b64 exec, exec, s[6:7]
	s_and_saveexec_b64 s[6:7], s[4:5]
	s_cbranch_execz .LBB2_32161
; %bb.57155:
	s_getpc_b64 s[14:15]
.Lpost_getpc32161:
	s_add_u32 s14, s14, (.LBB2_6979-.Lpost_getpc32161)&4294967295
	s_addc_u32 s15, s15, (.LBB2_6979-.Lpost_getpc32161)>>32
	s_setpc_b64 s[14:15]
.LBB2_32161:
	s_getpc_b64 s[14:15]
.Lpost_getpc19664:
	s_add_u32 s14, s14, (.LBB2_6980-.Lpost_getpc19664)&4294967295
	s_addc_u32 s15, s15, (.LBB2_6980-.Lpost_getpc19664)>>32
	s_setpc_b64 s[14:15]
.LBB2_21317:
	s_movk_i32 s4, 0x80
	v_cmp_eq_u16_sdwa s[12:13], v4, s4 src0_sel:BYTE_0 src1_sel:DWORD
	s_mov_b64 s[4:5], -1
                                        ; implicit-def: $sgpr10
	s_and_saveexec_b64 s[8:9], s[12:13]
; %bb.21318:
	s_mov_b32 s10, 0x7f800001
	s_xor_b64 s[4:5], exec, -1
; %bb.21319:
	s_or_b64 exec, exec, s[8:9]
	s_and_b64 s[4:5], s[4:5], exec
	s_or_saveexec_b64 s[6:7], s[6:7]
	v_mov_b32_e32 v3, s10
	s_xor_b64 exec, exec, s[6:7]
	s_cbranch_execnz .LBB2_21320
; %bb.57157:
	s_getpc_b64 s[14:15]
.Lpost_getpc32162:
	s_add_u32 s14, s14, (.LBB2_6982-.Lpost_getpc32162)&4294967295
	s_addc_u32 s15, s15, (.LBB2_6982-.Lpost_getpc32162)>>32
	s_setpc_b64 s[14:15]
.LBB2_21320:
	v_mov_b32_e32 v3, 0
	v_cmp_ne_u16_sdwa s[8:9], v4, v3 src0_sel:BYTE_0 src1_sel:DWORD
	s_andn2_b64 s[4:5], s[4:5], exec
	s_and_b64 s[8:9], s[8:9], exec
	s_or_b64 s[4:5], s[4:5], s[8:9]
	s_or_b64 exec, exec, s[6:7]
	s_and_saveexec_b64 s[6:7], s[4:5]
	s_cbranch_execz .LBB2_32163
; %bb.57159:
	s_getpc_b64 s[14:15]
.Lpost_getpc32163:
	s_add_u32 s14, s14, (.LBB2_6983-.Lpost_getpc32163)&4294967295
	s_addc_u32 s15, s15, (.LBB2_6983-.Lpost_getpc32163)>>32
	s_setpc_b64 s[14:15]
.LBB2_32163:
	s_getpc_b64 s[14:15]
.Lpost_getpc19665:
	s_add_u32 s14, s14, (.LBB2_6984-.Lpost_getpc19665)&4294967295
	s_addc_u32 s15, s15, (.LBB2_6984-.Lpost_getpc19665)>>32
	s_setpc_b64 s[14:15]
.LBB2_21321:
	s_movk_i32 s4, 0x80
	v_cmp_eq_u16_sdwa s[12:13], v3, s4 src0_sel:BYTE_0 src1_sel:DWORD
	s_mov_b64 s[4:5], -1
                                        ; implicit-def: $sgpr10
	s_and_saveexec_b64 s[8:9], s[12:13]
; %bb.21322:
	s_mov_b32 s10, 0x7f800001
	s_xor_b64 s[4:5], exec, -1
; %bb.21323:
	s_or_b64 exec, exec, s[8:9]
	s_and_b64 s[4:5], s[4:5], exec
	s_or_saveexec_b64 s[6:7], s[6:7]
	v_mov_b32_e32 v2, s10
	s_xor_b64 exec, exec, s[6:7]
	s_cbranch_execnz .LBB2_21324
; %bb.57161:
	s_getpc_b64 s[14:15]
.Lpost_getpc32164:
	s_add_u32 s14, s14, (.LBB2_6986-.Lpost_getpc32164)&4294967295
	s_addc_u32 s15, s15, (.LBB2_6986-.Lpost_getpc32164)>>32
	s_setpc_b64 s[14:15]
.LBB2_21324:
	v_mov_b32_e32 v2, 0
	v_cmp_ne_u16_sdwa s[8:9], v3, v2 src0_sel:BYTE_0 src1_sel:DWORD
	s_andn2_b64 s[4:5], s[4:5], exec
	s_and_b64 s[8:9], s[8:9], exec
	s_or_b64 s[4:5], s[4:5], s[8:9]
	s_or_b64 exec, exec, s[6:7]
	s_and_saveexec_b64 s[6:7], s[4:5]
	s_cbranch_execz .LBB2_32165
; %bb.57163:
	s_getpc_b64 s[14:15]
.Lpost_getpc32165:
	s_add_u32 s14, s14, (.LBB2_6987-.Lpost_getpc32165)&4294967295
	s_addc_u32 s15, s15, (.LBB2_6987-.Lpost_getpc32165)>>32
	s_setpc_b64 s[14:15]
.LBB2_32165:
	s_getpc_b64 s[14:15]
.Lpost_getpc19666:
	s_add_u32 s14, s14, (.LBB2_6988-.Lpost_getpc19666)&4294967295
	s_addc_u32 s15, s15, (.LBB2_6988-.Lpost_getpc19666)>>32
	s_setpc_b64 s[14:15]
.LBB2_21325:
	s_movk_i32 s4, 0x80
	v_cmp_eq_u16_sdwa s[12:13], v3, s4 src0_sel:BYTE_0 src1_sel:DWORD
	s_mov_b64 s[4:5], -1
                                        ; implicit-def: $sgpr10
	s_and_saveexec_b64 s[8:9], s[12:13]
; %bb.21326:
	s_mov_b32 s10, 0x7f800001
	s_xor_b64 s[4:5], exec, -1
; %bb.21327:
	s_or_b64 exec, exec, s[8:9]
	s_and_b64 s[4:5], s[4:5], exec
	s_or_saveexec_b64 s[6:7], s[6:7]
	v_mov_b32_e32 v6, s10
	s_xor_b64 exec, exec, s[6:7]
	s_cbranch_execnz .LBB2_21328
; %bb.57165:
	s_getpc_b64 s[14:15]
.Lpost_getpc32166:
	s_add_u32 s14, s14, (.LBB2_6990-.Lpost_getpc32166)&4294967295
	s_addc_u32 s15, s15, (.LBB2_6990-.Lpost_getpc32166)>>32
	s_setpc_b64 s[14:15]
.LBB2_21328:
	v_mov_b32_e32 v6, 0
	v_cmp_ne_u16_sdwa s[8:9], v3, v6 src0_sel:BYTE_0 src1_sel:DWORD
	s_andn2_b64 s[4:5], s[4:5], exec
	s_and_b64 s[8:9], s[8:9], exec
	s_or_b64 s[4:5], s[4:5], s[8:9]
	s_or_b64 exec, exec, s[6:7]
	s_and_saveexec_b64 s[6:7], s[4:5]
	s_cbranch_execz .LBB2_32167
; %bb.57167:
	s_getpc_b64 s[14:15]
.Lpost_getpc32167:
	s_add_u32 s14, s14, (.LBB2_6991-.Lpost_getpc32167)&4294967295
	s_addc_u32 s15, s15, (.LBB2_6991-.Lpost_getpc32167)>>32
	s_setpc_b64 s[14:15]
.LBB2_32167:
	s_getpc_b64 s[14:15]
.Lpost_getpc19667:
	s_add_u32 s14, s14, (.LBB2_6992-.Lpost_getpc19667)&4294967295
	s_addc_u32 s15, s15, (.LBB2_6992-.Lpost_getpc19667)>>32
	s_setpc_b64 s[14:15]
.LBB2_21329:
	s_movk_i32 s4, 0x80
	v_cmp_eq_u16_e32 vcc, s4, v3
	s_mov_b64 s[4:5], -1
                                        ; implicit-def: $sgpr10
	s_and_saveexec_b64 s[8:9], vcc
; %bb.21330:
	s_mov_b32 s10, 0x7f800001
	s_xor_b64 s[4:5], exec, -1
; %bb.21331:
	s_or_b64 exec, exec, s[8:9]
	s_and_b64 s[4:5], s[4:5], exec
                                        ; implicit-def: $vgpr3
	s_or_saveexec_b64 s[6:7], s[6:7]
	v_mov_b32_e32 v2, s10
	s_xor_b64 exec, exec, s[6:7]
	s_cbranch_execnz .LBB2_21332
; %bb.57169:
	s_getpc_b64 s[14:15]
.Lpost_getpc32168:
	s_add_u32 s14, s14, (.LBB2_6994-.Lpost_getpc32168)&4294967295
	s_addc_u32 s15, s15, (.LBB2_6994-.Lpost_getpc32168)>>32
	s_setpc_b64 s[14:15]
.LBB2_21332:
	v_cmp_ne_u16_e32 vcc, 0, v3
	s_andn2_b64 s[4:5], s[4:5], exec
	s_and_b64 s[8:9], vcc, exec
	v_mov_b32_e32 v2, 0
	s_or_b64 s[4:5], s[4:5], s[8:9]
	s_or_b64 exec, exec, s[6:7]
	s_and_saveexec_b64 s[6:7], s[4:5]
	s_cbranch_execz .LBB2_32169
; %bb.57171:
	s_getpc_b64 s[14:15]
.Lpost_getpc32169:
	s_add_u32 s14, s14, (.LBB2_6995-.Lpost_getpc32169)&4294967295
	s_addc_u32 s15, s15, (.LBB2_6995-.Lpost_getpc32169)>>32
	s_setpc_b64 s[14:15]
.LBB2_32169:
	s_getpc_b64 s[14:15]
.Lpost_getpc19668:
	s_add_u32 s14, s14, (.LBB2_6996-.Lpost_getpc19668)&4294967295
	s_addc_u32 s15, s15, (.LBB2_6996-.Lpost_getpc19668)>>32
	s_setpc_b64 s[14:15]
.LBB2_21333:
	s_movk_i32 s4, 0x80
	v_cmp_eq_u16_e32 vcc, s4, v3
	s_mov_b64 s[4:5], -1
                                        ; implicit-def: $sgpr10
	s_and_saveexec_b64 s[8:9], vcc
; %bb.21334:
	s_mov_b32 s10, 0x7f800001
	s_xor_b64 s[4:5], exec, -1
; %bb.21335:
	s_or_b64 exec, exec, s[8:9]
	s_and_b64 s[4:5], s[4:5], exec
                                        ; implicit-def: $vgpr3
	s_or_saveexec_b64 s[6:7], s[6:7]
	v_mov_b32_e32 v6, s10
	s_xor_b64 exec, exec, s[6:7]
	s_cbranch_execnz .LBB2_21336
; %bb.57173:
	s_getpc_b64 s[14:15]
.Lpost_getpc32170:
	s_add_u32 s14, s14, (.LBB2_6998-.Lpost_getpc32170)&4294967295
	s_addc_u32 s15, s15, (.LBB2_6998-.Lpost_getpc32170)>>32
	s_setpc_b64 s[14:15]
.LBB2_21336:
	v_cmp_ne_u16_e32 vcc, 0, v3
	s_andn2_b64 s[4:5], s[4:5], exec
	s_and_b64 s[8:9], vcc, exec
	v_mov_b32_e32 v6, 0
	s_or_b64 s[4:5], s[4:5], s[8:9]
	s_or_b64 exec, exec, s[6:7]
	s_and_saveexec_b64 s[6:7], s[4:5]
	s_cbranch_execz .LBB2_32171
; %bb.57175:
	s_getpc_b64 s[14:15]
.Lpost_getpc32171:
	s_add_u32 s14, s14, (.LBB2_6999-.Lpost_getpc32171)&4294967295
	s_addc_u32 s15, s15, (.LBB2_6999-.Lpost_getpc32171)>>32
	s_setpc_b64 s[14:15]
.LBB2_32171:
	s_getpc_b64 s[14:15]
.Lpost_getpc19669:
	s_add_u32 s14, s14, (.LBB2_7000-.Lpost_getpc19669)&4294967295
	s_addc_u32 s15, s15, (.LBB2_7000-.Lpost_getpc19669)>>32
	s_setpc_b64 s[14:15]
.LBB2_21337:
	s_movk_i32 s4, 0x80
	v_cmp_eq_u16_sdwa s[12:13], v8, s4 src0_sel:BYTE_3 src1_sel:DWORD
	s_mov_b64 s[4:5], -1
                                        ; implicit-def: $sgpr10
	s_and_saveexec_b64 s[8:9], s[12:13]
; %bb.21338:
	s_mov_b32 s10, 0x7f800001
	s_xor_b64 s[4:5], exec, -1
; %bb.21339:
	s_or_b64 exec, exec, s[8:9]
	s_and_b64 s[4:5], s[4:5], exec
	s_or_saveexec_b64 s[6:7], s[6:7]
	v_mov_b32_e32 v2, s10
	s_xor_b64 exec, exec, s[6:7]
	s_cbranch_execnz .LBB2_21340
; %bb.57177:
	s_getpc_b64 s[14:15]
.Lpost_getpc32172:
	s_add_u32 s14, s14, (.LBB2_7002-.Lpost_getpc32172)&4294967295
	s_addc_u32 s15, s15, (.LBB2_7002-.Lpost_getpc32172)>>32
	s_setpc_b64 s[14:15]
.LBB2_21340:
	v_mov_b32_e32 v2, 0
	v_cmp_ne_u16_sdwa s[8:9], v8, v2 src0_sel:BYTE_3 src1_sel:DWORD
	s_andn2_b64 s[4:5], s[4:5], exec
	s_and_b64 s[8:9], s[8:9], exec
	s_or_b64 s[4:5], s[4:5], s[8:9]
	s_or_b64 exec, exec, s[6:7]
	s_and_saveexec_b64 s[6:7], s[4:5]
	s_cbranch_execz .LBB2_32173
; %bb.57179:
	s_getpc_b64 s[14:15]
.Lpost_getpc32173:
	s_add_u32 s14, s14, (.LBB2_7003-.Lpost_getpc32173)&4294967295
	s_addc_u32 s15, s15, (.LBB2_7003-.Lpost_getpc32173)>>32
	s_setpc_b64 s[14:15]
.LBB2_32173:
	s_getpc_b64 s[14:15]
.Lpost_getpc19670:
	s_add_u32 s14, s14, (.LBB2_7004-.Lpost_getpc19670)&4294967295
	s_addc_u32 s15, s15, (.LBB2_7004-.Lpost_getpc19670)>>32
	s_setpc_b64 s[14:15]
.LBB2_21341:
	s_movk_i32 s4, 0x80
	v_cmp_eq_u16_sdwa s[12:13], v4, s4 src0_sel:BYTE_3 src1_sel:DWORD
	s_mov_b64 s[4:5], -1
                                        ; implicit-def: $sgpr10
	s_and_saveexec_b64 s[8:9], s[12:13]
; %bb.21342:
	s_mov_b32 s10, 0x7f800001
	s_xor_b64 s[4:5], exec, -1
; %bb.21343:
	s_or_b64 exec, exec, s[8:9]
	s_and_b64 s[4:5], s[4:5], exec
	s_or_saveexec_b64 s[6:7], s[6:7]
	v_mov_b32_e32 v3, s10
	s_xor_b64 exec, exec, s[6:7]
	s_cbranch_execnz .LBB2_21344
; %bb.57181:
	s_getpc_b64 s[14:15]
.Lpost_getpc32174:
	s_add_u32 s14, s14, (.LBB2_7006-.Lpost_getpc32174)&4294967295
	s_addc_u32 s15, s15, (.LBB2_7006-.Lpost_getpc32174)>>32
	s_setpc_b64 s[14:15]
.LBB2_21344:
	v_mov_b32_e32 v3, 0
	v_cmp_ne_u16_sdwa s[8:9], v4, v3 src0_sel:BYTE_3 src1_sel:DWORD
	s_andn2_b64 s[4:5], s[4:5], exec
	s_and_b64 s[8:9], s[8:9], exec
	s_or_b64 s[4:5], s[4:5], s[8:9]
	s_or_b64 exec, exec, s[6:7]
	s_and_saveexec_b64 s[6:7], s[4:5]
	s_cbranch_execz .LBB2_32175
; %bb.57183:
	s_getpc_b64 s[14:15]
.Lpost_getpc32175:
	s_add_u32 s14, s14, (.LBB2_7007-.Lpost_getpc32175)&4294967295
	s_addc_u32 s15, s15, (.LBB2_7007-.Lpost_getpc32175)>>32
	s_setpc_b64 s[14:15]
.LBB2_32175:
	s_getpc_b64 s[14:15]
.Lpost_getpc19671:
	s_add_u32 s14, s14, (.LBB2_7008-.Lpost_getpc19671)&4294967295
	s_addc_u32 s15, s15, (.LBB2_7008-.Lpost_getpc19671)>>32
	s_setpc_b64 s[14:15]
.LBB2_21345:
	s_movk_i32 s4, 0x80
	v_cmp_eq_u16_sdwa s[12:13], v9, s4 src0_sel:BYTE_0 src1_sel:DWORD
	s_mov_b64 s[4:5], -1
                                        ; implicit-def: $sgpr10
	s_and_saveexec_b64 s[8:9], s[12:13]
; %bb.21346:
	s_mov_b32 s10, 0x7f800001
	s_xor_b64 s[4:5], exec, -1
; %bb.21347:
	s_or_b64 exec, exec, s[8:9]
	s_and_b64 s[4:5], s[4:5], exec
	s_or_saveexec_b64 s[6:7], s[6:7]
	v_mov_b32_e32 v2, s10
	s_xor_b64 exec, exec, s[6:7]
	s_cbranch_execnz .LBB2_21348
; %bb.57185:
	s_getpc_b64 s[14:15]
.Lpost_getpc32176:
	s_add_u32 s14, s14, (.LBB2_7010-.Lpost_getpc32176)&4294967295
	s_addc_u32 s15, s15, (.LBB2_7010-.Lpost_getpc32176)>>32
	s_setpc_b64 s[14:15]
.LBB2_21348:
	v_mov_b32_e32 v2, 0
	v_cmp_ne_u16_sdwa s[8:9], v9, v2 src0_sel:BYTE_0 src1_sel:DWORD
	s_andn2_b64 s[4:5], s[4:5], exec
	s_and_b64 s[8:9], s[8:9], exec
	s_or_b64 s[4:5], s[4:5], s[8:9]
	s_or_b64 exec, exec, s[6:7]
	s_and_saveexec_b64 s[6:7], s[4:5]
	s_cbranch_execz .LBB2_32177
; %bb.57187:
	s_getpc_b64 s[14:15]
.Lpost_getpc32177:
	s_add_u32 s14, s14, (.LBB2_7011-.Lpost_getpc32177)&4294967295
	s_addc_u32 s15, s15, (.LBB2_7011-.Lpost_getpc32177)>>32
	s_setpc_b64 s[14:15]
.LBB2_32177:
	s_getpc_b64 s[14:15]
.Lpost_getpc19672:
	s_add_u32 s14, s14, (.LBB2_7012-.Lpost_getpc19672)&4294967295
	s_addc_u32 s15, s15, (.LBB2_7012-.Lpost_getpc19672)>>32
	s_setpc_b64 s[14:15]
.LBB2_21349:
	s_movk_i32 s4, 0x80
	v_cmp_eq_u16_sdwa s[12:13], v5, s4 src0_sel:BYTE_0 src1_sel:DWORD
	s_mov_b64 s[4:5], -1
                                        ; implicit-def: $sgpr10
	s_and_saveexec_b64 s[8:9], s[12:13]
; %bb.21350:
	s_mov_b32 s10, 0x7f800001
	s_xor_b64 s[4:5], exec, -1
; %bb.21351:
	s_or_b64 exec, exec, s[8:9]
	s_and_b64 s[4:5], s[4:5], exec
	s_or_saveexec_b64 s[6:7], s[6:7]
	v_mov_b32_e32 v3, s10
	s_xor_b64 exec, exec, s[6:7]
	s_cbranch_execnz .LBB2_21352
; %bb.57189:
	s_getpc_b64 s[14:15]
.Lpost_getpc32178:
	s_add_u32 s14, s14, (.LBB2_7014-.Lpost_getpc32178)&4294967295
	s_addc_u32 s15, s15, (.LBB2_7014-.Lpost_getpc32178)>>32
	s_setpc_b64 s[14:15]
.LBB2_21352:
	v_mov_b32_e32 v3, 0
	v_cmp_ne_u16_sdwa s[8:9], v5, v3 src0_sel:BYTE_0 src1_sel:DWORD
	s_andn2_b64 s[4:5], s[4:5], exec
	s_and_b64 s[8:9], s[8:9], exec
	s_or_b64 s[4:5], s[4:5], s[8:9]
	s_or_b64 exec, exec, s[6:7]
	s_and_saveexec_b64 s[6:7], s[4:5]
	s_cbranch_execz .LBB2_32179
; %bb.57191:
	s_getpc_b64 s[14:15]
.Lpost_getpc32179:
	s_add_u32 s14, s14, (.LBB2_7015-.Lpost_getpc32179)&4294967295
	s_addc_u32 s15, s15, (.LBB2_7015-.Lpost_getpc32179)>>32
	s_setpc_b64 s[14:15]
.LBB2_32179:
	s_getpc_b64 s[14:15]
.Lpost_getpc19673:
	s_add_u32 s14, s14, (.LBB2_7016-.Lpost_getpc19673)&4294967295
	s_addc_u32 s15, s15, (.LBB2_7016-.Lpost_getpc19673)>>32
	s_setpc_b64 s[14:15]
.LBB2_21353:
	s_movk_i32 s4, 0x80
	v_cmp_eq_u16_sdwa s[12:13], v3, s4 src0_sel:BYTE_0 src1_sel:DWORD
	s_mov_b64 s[4:5], -1
                                        ; implicit-def: $sgpr10
	s_and_saveexec_b64 s[8:9], s[12:13]
; %bb.21354:
	s_mov_b32 s10, 0x7f800001
	s_xor_b64 s[4:5], exec, -1
; %bb.21355:
	s_or_b64 exec, exec, s[8:9]
	s_and_b64 s[4:5], s[4:5], exec
	s_or_saveexec_b64 s[6:7], s[6:7]
	v_mov_b32_e32 v2, s10
	s_xor_b64 exec, exec, s[6:7]
	s_cbranch_execnz .LBB2_21356
; %bb.57193:
	s_getpc_b64 s[14:15]
.Lpost_getpc32180:
	s_add_u32 s14, s14, (.LBB2_7018-.Lpost_getpc32180)&4294967295
	s_addc_u32 s15, s15, (.LBB2_7018-.Lpost_getpc32180)>>32
	s_setpc_b64 s[14:15]
.LBB2_21356:
	v_mov_b32_e32 v2, 0
	v_cmp_ne_u16_sdwa s[8:9], v3, v2 src0_sel:BYTE_0 src1_sel:DWORD
	s_andn2_b64 s[4:5], s[4:5], exec
	s_and_b64 s[8:9], s[8:9], exec
	s_or_b64 s[4:5], s[4:5], s[8:9]
	s_or_b64 exec, exec, s[6:7]
	s_and_saveexec_b64 s[6:7], s[4:5]
	s_cbranch_execz .LBB2_32181
; %bb.57195:
	s_getpc_b64 s[14:15]
.Lpost_getpc32181:
	s_add_u32 s14, s14, (.LBB2_7019-.Lpost_getpc32181)&4294967295
	s_addc_u32 s15, s15, (.LBB2_7019-.Lpost_getpc32181)>>32
	s_setpc_b64 s[14:15]
.LBB2_32181:
	s_getpc_b64 s[14:15]
.Lpost_getpc19674:
	s_add_u32 s14, s14, (.LBB2_7020-.Lpost_getpc19674)&4294967295
	s_addc_u32 s15, s15, (.LBB2_7020-.Lpost_getpc19674)>>32
	s_setpc_b64 s[14:15]
.LBB2_21357:
	s_movk_i32 s4, 0x80
	v_cmp_eq_u16_sdwa s[12:13], v3, s4 src0_sel:BYTE_0 src1_sel:DWORD
	s_mov_b64 s[4:5], -1
                                        ; implicit-def: $sgpr10
	s_and_saveexec_b64 s[8:9], s[12:13]
; %bb.21358:
	s_mov_b32 s10, 0x7f800001
	s_xor_b64 s[4:5], exec, -1
; %bb.21359:
	s_or_b64 exec, exec, s[8:9]
	s_and_b64 s[4:5], s[4:5], exec
	s_or_saveexec_b64 s[6:7], s[6:7]
	v_mov_b32_e32 v4, s10
	s_xor_b64 exec, exec, s[6:7]
	s_cbranch_execnz .LBB2_21360
; %bb.57197:
	s_getpc_b64 s[14:15]
.Lpost_getpc32182:
	s_add_u32 s14, s14, (.LBB2_7022-.Lpost_getpc32182)&4294967295
	s_addc_u32 s15, s15, (.LBB2_7022-.Lpost_getpc32182)>>32
	s_setpc_b64 s[14:15]
.LBB2_21360:
	v_mov_b32_e32 v4, 0
	v_cmp_ne_u16_sdwa s[8:9], v3, v4 src0_sel:BYTE_0 src1_sel:DWORD
	s_andn2_b64 s[4:5], s[4:5], exec
	s_and_b64 s[8:9], s[8:9], exec
	s_or_b64 s[4:5], s[4:5], s[8:9]
	s_or_b64 exec, exec, s[6:7]
	s_and_saveexec_b64 s[6:7], s[4:5]
	s_cbranch_execz .LBB2_32183
; %bb.57199:
	s_getpc_b64 s[14:15]
.Lpost_getpc32183:
	s_add_u32 s14, s14, (.LBB2_7023-.Lpost_getpc32183)&4294967295
	s_addc_u32 s15, s15, (.LBB2_7023-.Lpost_getpc32183)>>32
	s_setpc_b64 s[14:15]
.LBB2_32183:
	s_getpc_b64 s[14:15]
.Lpost_getpc19675:
	s_add_u32 s14, s14, (.LBB2_7024-.Lpost_getpc19675)&4294967295
	s_addc_u32 s15, s15, (.LBB2_7024-.Lpost_getpc19675)>>32
	s_setpc_b64 s[14:15]
.LBB2_21361:
	s_movk_i32 s4, 0x80
	v_cmp_eq_u16_e32 vcc, s4, v3
	s_mov_b64 s[4:5], -1
                                        ; implicit-def: $sgpr10
	s_and_saveexec_b64 s[8:9], vcc
; %bb.21362:
	s_mov_b32 s10, 0x7f800001
	s_xor_b64 s[4:5], exec, -1
; %bb.21363:
	s_or_b64 exec, exec, s[8:9]
	s_and_b64 s[4:5], s[4:5], exec
                                        ; implicit-def: $vgpr3
	s_or_saveexec_b64 s[6:7], s[6:7]
	v_mov_b32_e32 v2, s10
	s_xor_b64 exec, exec, s[6:7]
	s_cbranch_execnz .LBB2_21364
; %bb.57201:
	s_getpc_b64 s[14:15]
.Lpost_getpc32184:
	s_add_u32 s14, s14, (.LBB2_7026-.Lpost_getpc32184)&4294967295
	s_addc_u32 s15, s15, (.LBB2_7026-.Lpost_getpc32184)>>32
	s_setpc_b64 s[14:15]
.LBB2_21364:
	v_cmp_ne_u16_e32 vcc, 0, v3
	s_andn2_b64 s[4:5], s[4:5], exec
	s_and_b64 s[8:9], vcc, exec
	v_mov_b32_e32 v2, 0
	s_or_b64 s[4:5], s[4:5], s[8:9]
	s_or_b64 exec, exec, s[6:7]
	s_and_saveexec_b64 s[6:7], s[4:5]
	s_cbranch_execz .LBB2_32185
; %bb.57203:
	s_getpc_b64 s[14:15]
.Lpost_getpc32185:
	s_add_u32 s14, s14, (.LBB2_7027-.Lpost_getpc32185)&4294967295
	s_addc_u32 s15, s15, (.LBB2_7027-.Lpost_getpc32185)>>32
	s_setpc_b64 s[14:15]
.LBB2_32185:
	s_getpc_b64 s[14:15]
.Lpost_getpc19676:
	s_add_u32 s14, s14, (.LBB2_7028-.Lpost_getpc19676)&4294967295
	s_addc_u32 s15, s15, (.LBB2_7028-.Lpost_getpc19676)>>32
	s_setpc_b64 s[14:15]
.LBB2_21365:
	s_movk_i32 s4, 0x80
	v_cmp_eq_u16_e32 vcc, s4, v3
	s_mov_b64 s[4:5], -1
                                        ; implicit-def: $sgpr10
	s_and_saveexec_b64 s[8:9], vcc
; %bb.21366:
	s_mov_b32 s10, 0x7f800001
	s_xor_b64 s[4:5], exec, -1
; %bb.21367:
	s_or_b64 exec, exec, s[8:9]
	s_and_b64 s[4:5], s[4:5], exec
                                        ; implicit-def: $vgpr3
	s_or_saveexec_b64 s[6:7], s[6:7]
	v_mov_b32_e32 v4, s10
	s_xor_b64 exec, exec, s[6:7]
	s_cbranch_execnz .LBB2_21368
; %bb.57205:
	s_getpc_b64 s[14:15]
.Lpost_getpc32186:
	s_add_u32 s14, s14, (.LBB2_7030-.Lpost_getpc32186)&4294967295
	s_addc_u32 s15, s15, (.LBB2_7030-.Lpost_getpc32186)>>32
	s_setpc_b64 s[14:15]
.LBB2_21368:
	v_cmp_ne_u16_e32 vcc, 0, v3
	s_andn2_b64 s[4:5], s[4:5], exec
	s_and_b64 s[8:9], vcc, exec
	v_mov_b32_e32 v4, 0
	s_or_b64 s[4:5], s[4:5], s[8:9]
	s_or_b64 exec, exec, s[6:7]
	s_and_saveexec_b64 s[6:7], s[4:5]
	s_cbranch_execz .LBB2_32187
; %bb.57207:
	s_getpc_b64 s[14:15]
.Lpost_getpc32187:
	s_add_u32 s14, s14, (.LBB2_7031-.Lpost_getpc32187)&4294967295
	s_addc_u32 s15, s15, (.LBB2_7031-.Lpost_getpc32187)>>32
	s_setpc_b64 s[14:15]
.LBB2_32187:
	s_getpc_b64 s[14:15]
.Lpost_getpc19677:
	s_add_u32 s14, s14, (.LBB2_7032-.Lpost_getpc19677)&4294967295
	s_addc_u32 s15, s15, (.LBB2_7032-.Lpost_getpc19677)>>32
	s_setpc_b64 s[14:15]
.LBB2_21369:
	s_movk_i32 s4, 0x80
	v_cmp_eq_u16_sdwa s[12:13], v9, s4 src0_sel:BYTE_3 src1_sel:DWORD
	s_mov_b64 s[4:5], -1
                                        ; implicit-def: $sgpr10
	s_and_saveexec_b64 s[8:9], s[12:13]
; %bb.21370:
	s_mov_b32 s10, 0x7f800001
	s_xor_b64 s[4:5], exec, -1
; %bb.21371:
	s_or_b64 exec, exec, s[8:9]
	s_and_b64 s[4:5], s[4:5], exec
	s_or_saveexec_b64 s[6:7], s[6:7]
	v_mov_b32_e32 v2, s10
	s_xor_b64 exec, exec, s[6:7]
	s_cbranch_execnz .LBB2_21372
; %bb.57209:
	s_getpc_b64 s[14:15]
.Lpost_getpc32188:
	s_add_u32 s14, s14, (.LBB2_7034-.Lpost_getpc32188)&4294967295
	s_addc_u32 s15, s15, (.LBB2_7034-.Lpost_getpc32188)>>32
	s_setpc_b64 s[14:15]
.LBB2_21372:
	v_mov_b32_e32 v2, 0
	v_cmp_ne_u16_sdwa s[8:9], v9, v2 src0_sel:BYTE_3 src1_sel:DWORD
	s_andn2_b64 s[4:5], s[4:5], exec
	s_and_b64 s[8:9], s[8:9], exec
	s_or_b64 s[4:5], s[4:5], s[8:9]
	s_or_b64 exec, exec, s[6:7]
	s_and_saveexec_b64 s[6:7], s[4:5]
	s_cbranch_execz .LBB2_32189
; %bb.57211:
	s_getpc_b64 s[14:15]
.Lpost_getpc32189:
	s_add_u32 s14, s14, (.LBB2_7035-.Lpost_getpc32189)&4294967295
	s_addc_u32 s15, s15, (.LBB2_7035-.Lpost_getpc32189)>>32
	s_setpc_b64 s[14:15]
.LBB2_32189:
	s_getpc_b64 s[14:15]
.Lpost_getpc19678:
	s_add_u32 s14, s14, (.LBB2_7036-.Lpost_getpc19678)&4294967295
	s_addc_u32 s15, s15, (.LBB2_7036-.Lpost_getpc19678)>>32
	s_setpc_b64 s[14:15]
.LBB2_21373:
	s_movk_i32 s4, 0x80
	v_cmp_eq_u16_sdwa s[12:13], v5, s4 src0_sel:BYTE_3 src1_sel:DWORD
	s_mov_b64 s[4:5], -1
                                        ; implicit-def: $sgpr10
	s_and_saveexec_b64 s[8:9], s[12:13]
; %bb.21374:
	s_mov_b32 s10, 0x7f800001
	s_xor_b64 s[4:5], exec, -1
; %bb.21375:
	s_or_b64 exec, exec, s[8:9]
	s_and_b64 s[4:5], s[4:5], exec
	s_or_saveexec_b64 s[6:7], s[6:7]
	v_mov_b32_e32 v3, s10
	s_xor_b64 exec, exec, s[6:7]
	s_cbranch_execnz .LBB2_21376
; %bb.57213:
	s_getpc_b64 s[14:15]
.Lpost_getpc32190:
	s_add_u32 s14, s14, (.LBB2_7038-.Lpost_getpc32190)&4294967295
	s_addc_u32 s15, s15, (.LBB2_7038-.Lpost_getpc32190)>>32
	s_setpc_b64 s[14:15]
.LBB2_21376:
	v_mov_b32_e32 v3, 0
	v_cmp_ne_u16_sdwa s[8:9], v5, v3 src0_sel:BYTE_3 src1_sel:DWORD
	s_andn2_b64 s[4:5], s[4:5], exec
	s_and_b64 s[8:9], s[8:9], exec
	s_or_b64 s[4:5], s[4:5], s[8:9]
	s_or_b64 exec, exec, s[6:7]
	s_and_saveexec_b64 s[6:7], s[4:5]
	s_cbranch_execz .LBB2_32191
; %bb.57215:
	s_getpc_b64 s[14:15]
.Lpost_getpc32191:
	s_add_u32 s14, s14, (.LBB2_7039-.Lpost_getpc32191)&4294967295
	s_addc_u32 s15, s15, (.LBB2_7039-.Lpost_getpc32191)>>32
	s_setpc_b64 s[14:15]
.LBB2_32191:
	s_getpc_b64 s[14:15]
.Lpost_getpc19679:
	s_add_u32 s14, s14, (.LBB2_7040-.Lpost_getpc19679)&4294967295
	s_addc_u32 s15, s15, (.LBB2_7040-.Lpost_getpc19679)>>32
	s_setpc_b64 s[14:15]
.LBB2_21377:
	s_movk_i32 s4, 0x80
	v_cmp_eq_u16_sdwa s[12:13], v6, s4 src0_sel:BYTE_0 src1_sel:DWORD
	s_mov_b64 s[4:5], -1
                                        ; implicit-def: $sgpr10
	s_and_saveexec_b64 s[8:9], s[12:13]
; %bb.21378:
	s_mov_b32 s10, 0x7f800001
	s_xor_b64 s[4:5], exec, -1
; %bb.21379:
	s_or_b64 exec, exec, s[8:9]
	s_and_b64 s[4:5], s[4:5], exec
	s_or_saveexec_b64 s[6:7], s[6:7]
	v_mov_b32_e32 v12, s10
	s_xor_b64 exec, exec, s[6:7]
	s_cbranch_execnz .LBB2_21380
; %bb.57217:
	s_getpc_b64 s[14:15]
.Lpost_getpc32192:
	s_add_u32 s14, s14, (.LBB2_7042-.Lpost_getpc32192)&4294967295
	s_addc_u32 s15, s15, (.LBB2_7042-.Lpost_getpc32192)>>32
	s_setpc_b64 s[14:15]
.LBB2_21380:
	v_mov_b32_e32 v12, 0
	v_cmp_ne_u16_sdwa s[8:9], v6, v12 src0_sel:BYTE_0 src1_sel:DWORD
	s_andn2_b64 s[4:5], s[4:5], exec
	s_and_b64 s[8:9], s[8:9], exec
	s_or_b64 s[4:5], s[4:5], s[8:9]
	s_or_b64 exec, exec, s[6:7]
	s_and_saveexec_b64 s[6:7], s[4:5]
	s_cbranch_execz .LBB2_32193
; %bb.57219:
	s_getpc_b64 s[14:15]
.Lpost_getpc32193:
	s_add_u32 s14, s14, (.LBB2_7043-.Lpost_getpc32193)&4294967295
	s_addc_u32 s15, s15, (.LBB2_7043-.Lpost_getpc32193)>>32
	s_setpc_b64 s[14:15]
.LBB2_32193:
	s_getpc_b64 s[14:15]
.Lpost_getpc19680:
	s_add_u32 s14, s14, (.LBB2_7044-.Lpost_getpc19680)&4294967295
	s_addc_u32 s15, s15, (.LBB2_7044-.Lpost_getpc19680)>>32
	s_setpc_b64 s[14:15]
.LBB2_21381:
	s_movk_i32 s4, 0x80
	v_cmp_eq_u16_sdwa s[12:13], v2, s4 src0_sel:BYTE_0 src1_sel:DWORD
	s_mov_b64 s[4:5], -1
                                        ; implicit-def: $sgpr10
	s_and_saveexec_b64 s[8:9], s[12:13]
; %bb.21382:
	s_mov_b32 s10, 0x7f800001
	s_xor_b64 s[4:5], exec, -1
; %bb.21383:
	s_or_b64 exec, exec, s[8:9]
	s_and_b64 s[4:5], s[4:5], exec
	s_or_saveexec_b64 s[6:7], s[6:7]
	v_mov_b32_e32 v13, s10
	s_xor_b64 exec, exec, s[6:7]
	s_cbranch_execnz .LBB2_21384
; %bb.57221:
	s_getpc_b64 s[14:15]
.Lpost_getpc32194:
	s_add_u32 s14, s14, (.LBB2_7046-.Lpost_getpc32194)&4294967295
	s_addc_u32 s15, s15, (.LBB2_7046-.Lpost_getpc32194)>>32
	s_setpc_b64 s[14:15]
.LBB2_21384:
	v_mov_b32_e32 v13, 0
	v_cmp_ne_u16_sdwa s[8:9], v2, v13 src0_sel:BYTE_0 src1_sel:DWORD
	s_andn2_b64 s[4:5], s[4:5], exec
	s_and_b64 s[8:9], s[8:9], exec
	s_or_b64 s[4:5], s[4:5], s[8:9]
	s_or_b64 exec, exec, s[6:7]
	s_and_saveexec_b64 s[6:7], s[4:5]
	s_cbranch_execz .LBB2_32195
; %bb.57223:
	s_getpc_b64 s[14:15]
.Lpost_getpc32195:
	s_add_u32 s14, s14, (.LBB2_7047-.Lpost_getpc32195)&4294967295
	s_addc_u32 s15, s15, (.LBB2_7047-.Lpost_getpc32195)>>32
	s_setpc_b64 s[14:15]
.LBB2_32195:
	s_getpc_b64 s[14:15]
.Lpost_getpc19681:
	s_add_u32 s14, s14, (.LBB2_7048-.Lpost_getpc19681)&4294967295
	s_addc_u32 s15, s15, (.LBB2_7048-.Lpost_getpc19681)>>32
	s_setpc_b64 s[14:15]
.LBB2_21385:
	s_movk_i32 s4, 0x80
	v_cmp_eq_u16_sdwa s[12:13], v13, s4 src0_sel:BYTE_0 src1_sel:DWORD
	s_mov_b64 s[4:5], -1
                                        ; implicit-def: $sgpr10
	s_and_saveexec_b64 s[8:9], s[12:13]
; %bb.21386:
	s_mov_b32 s10, 0x7f800001
	s_xor_b64 s[4:5], exec, -1
; %bb.21387:
	s_or_b64 exec, exec, s[8:9]
	s_and_b64 s[4:5], s[4:5], exec
	s_or_saveexec_b64 s[6:7], s[6:7]
	v_mov_b32_e32 v12, s10
	s_xor_b64 exec, exec, s[6:7]
	s_cbranch_execnz .LBB2_21388
; %bb.57225:
	s_getpc_b64 s[14:15]
.Lpost_getpc32196:
	s_add_u32 s14, s14, (.LBB2_7050-.Lpost_getpc32196)&4294967295
	s_addc_u32 s15, s15, (.LBB2_7050-.Lpost_getpc32196)>>32
	s_setpc_b64 s[14:15]
.LBB2_21388:
	v_mov_b32_e32 v12, 0
	v_cmp_ne_u16_sdwa s[8:9], v13, v12 src0_sel:BYTE_0 src1_sel:DWORD
	s_andn2_b64 s[4:5], s[4:5], exec
	s_and_b64 s[8:9], s[8:9], exec
	s_or_b64 s[4:5], s[4:5], s[8:9]
	s_or_b64 exec, exec, s[6:7]
	s_and_saveexec_b64 s[6:7], s[4:5]
	s_cbranch_execz .LBB2_32197
; %bb.57227:
	s_getpc_b64 s[14:15]
.Lpost_getpc32197:
	s_add_u32 s14, s14, (.LBB2_7051-.Lpost_getpc32197)&4294967295
	s_addc_u32 s15, s15, (.LBB2_7051-.Lpost_getpc32197)>>32
	s_setpc_b64 s[14:15]
.LBB2_32197:
	s_getpc_b64 s[14:15]
.Lpost_getpc19682:
	s_add_u32 s14, s14, (.LBB2_7052-.Lpost_getpc19682)&4294967295
	s_addc_u32 s15, s15, (.LBB2_7052-.Lpost_getpc19682)>>32
	s_setpc_b64 s[14:15]
.LBB2_21389:
	s_movk_i32 s4, 0x80
	v_cmp_eq_u16_sdwa s[12:13], v13, s4 src0_sel:BYTE_0 src1_sel:DWORD
	s_mov_b64 s[4:5], -1
                                        ; implicit-def: $sgpr10
	s_and_saveexec_b64 s[8:9], s[12:13]
; %bb.21390:
	s_mov_b32 s10, 0x7f800001
	s_xor_b64 s[4:5], exec, -1
; %bb.21391:
	s_or_b64 exec, exec, s[8:9]
	s_and_b64 s[4:5], s[4:5], exec
	s_or_saveexec_b64 s[6:7], s[6:7]
	v_mov_b32_e32 v14, s10
	s_xor_b64 exec, exec, s[6:7]
	s_cbranch_execnz .LBB2_21392
; %bb.57229:
	s_getpc_b64 s[14:15]
.Lpost_getpc32198:
	s_add_u32 s14, s14, (.LBB2_7054-.Lpost_getpc32198)&4294967295
	s_addc_u32 s15, s15, (.LBB2_7054-.Lpost_getpc32198)>>32
	s_setpc_b64 s[14:15]
.LBB2_21392:
	v_mov_b32_e32 v14, 0
	v_cmp_ne_u16_sdwa s[8:9], v13, v14 src0_sel:BYTE_0 src1_sel:DWORD
	s_andn2_b64 s[4:5], s[4:5], exec
	s_and_b64 s[8:9], s[8:9], exec
	s_or_b64 s[4:5], s[4:5], s[8:9]
	s_or_b64 exec, exec, s[6:7]
	s_and_saveexec_b64 s[6:7], s[4:5]
	s_cbranch_execz .LBB2_32199
; %bb.57231:
	s_getpc_b64 s[14:15]
.Lpost_getpc32199:
	s_add_u32 s14, s14, (.LBB2_7055-.Lpost_getpc32199)&4294967295
	s_addc_u32 s15, s15, (.LBB2_7055-.Lpost_getpc32199)>>32
	s_setpc_b64 s[14:15]
.LBB2_32199:
	s_getpc_b64 s[14:15]
.Lpost_getpc19683:
	s_add_u32 s14, s14, (.LBB2_7056-.Lpost_getpc19683)&4294967295
	s_addc_u32 s15, s15, (.LBB2_7056-.Lpost_getpc19683)>>32
	s_setpc_b64 s[14:15]
.LBB2_21393:
	s_movk_i32 s4, 0x80
	v_cmp_eq_u16_e32 vcc, s4, v13
	s_mov_b64 s[4:5], -1
                                        ; implicit-def: $sgpr10
	s_and_saveexec_b64 s[8:9], vcc
; %bb.21394:
	s_mov_b32 s10, 0x7f800001
	s_xor_b64 s[4:5], exec, -1
; %bb.21395:
	s_or_b64 exec, exec, s[8:9]
	s_and_b64 s[4:5], s[4:5], exec
                                        ; implicit-def: $vgpr13
	s_or_saveexec_b64 s[6:7], s[6:7]
	v_mov_b32_e32 v12, s10
	s_xor_b64 exec, exec, s[6:7]
	s_cbranch_execnz .LBB2_21396
; %bb.57233:
	s_getpc_b64 s[14:15]
.Lpost_getpc32200:
	s_add_u32 s14, s14, (.LBB2_7058-.Lpost_getpc32200)&4294967295
	s_addc_u32 s15, s15, (.LBB2_7058-.Lpost_getpc32200)>>32
	s_setpc_b64 s[14:15]
.LBB2_21396:
	v_cmp_ne_u16_e32 vcc, 0, v13
	s_andn2_b64 s[4:5], s[4:5], exec
	s_and_b64 s[8:9], vcc, exec
	v_mov_b32_e32 v12, 0
	s_or_b64 s[4:5], s[4:5], s[8:9]
	s_or_b64 exec, exec, s[6:7]
	s_and_saveexec_b64 s[6:7], s[4:5]
	s_cbranch_execz .LBB2_32201
; %bb.57235:
	s_getpc_b64 s[14:15]
.Lpost_getpc32201:
	s_add_u32 s14, s14, (.LBB2_7059-.Lpost_getpc32201)&4294967295
	s_addc_u32 s15, s15, (.LBB2_7059-.Lpost_getpc32201)>>32
	s_setpc_b64 s[14:15]
.LBB2_32201:
	s_getpc_b64 s[14:15]
.Lpost_getpc19684:
	s_add_u32 s14, s14, (.LBB2_7060-.Lpost_getpc19684)&4294967295
	s_addc_u32 s15, s15, (.LBB2_7060-.Lpost_getpc19684)>>32
	s_setpc_b64 s[14:15]
.LBB2_21397:
	s_movk_i32 s4, 0x80
	v_cmp_eq_u16_e32 vcc, s4, v13
	s_mov_b64 s[4:5], -1
                                        ; implicit-def: $sgpr10
	s_and_saveexec_b64 s[8:9], vcc
; %bb.21398:
	s_mov_b32 s10, 0x7f800001
	s_xor_b64 s[4:5], exec, -1
; %bb.21399:
	s_or_b64 exec, exec, s[8:9]
	s_and_b64 s[4:5], s[4:5], exec
                                        ; implicit-def: $vgpr13
	s_or_saveexec_b64 s[6:7], s[6:7]
	v_mov_b32_e32 v14, s10
	s_xor_b64 exec, exec, s[6:7]
	s_cbranch_execnz .LBB2_21400
; %bb.57237:
	s_getpc_b64 s[14:15]
.Lpost_getpc32202:
	s_add_u32 s14, s14, (.LBB2_7062-.Lpost_getpc32202)&4294967295
	s_addc_u32 s15, s15, (.LBB2_7062-.Lpost_getpc32202)>>32
	s_setpc_b64 s[14:15]
.LBB2_21400:
	v_cmp_ne_u16_e32 vcc, 0, v13
	s_andn2_b64 s[4:5], s[4:5], exec
	s_and_b64 s[8:9], vcc, exec
	v_mov_b32_e32 v14, 0
	s_or_b64 s[4:5], s[4:5], s[8:9]
	s_or_b64 exec, exec, s[6:7]
	s_and_saveexec_b64 s[6:7], s[4:5]
	s_cbranch_execz .LBB2_32203
; %bb.57239:
	s_getpc_b64 s[14:15]
.Lpost_getpc32203:
	s_add_u32 s14, s14, (.LBB2_7063-.Lpost_getpc32203)&4294967295
	s_addc_u32 s15, s15, (.LBB2_7063-.Lpost_getpc32203)>>32
	s_setpc_b64 s[14:15]
.LBB2_32203:
	s_getpc_b64 s[14:15]
.Lpost_getpc19685:
	s_add_u32 s14, s14, (.LBB2_7064-.Lpost_getpc19685)&4294967295
	s_addc_u32 s15, s15, (.LBB2_7064-.Lpost_getpc19685)>>32
	s_setpc_b64 s[14:15]
.LBB2_21401:
	s_movk_i32 s4, 0x80
	v_cmp_eq_u16_sdwa s[12:13], v6, s4 src0_sel:BYTE_3 src1_sel:DWORD
	s_mov_b64 s[4:5], -1
                                        ; implicit-def: $sgpr10
	s_and_saveexec_b64 s[8:9], s[12:13]
; %bb.21402:
	s_mov_b32 s10, 0x7f800001
	s_xor_b64 s[4:5], exec, -1
; %bb.21403:
	s_or_b64 exec, exec, s[8:9]
	s_and_b64 s[4:5], s[4:5], exec
	s_or_saveexec_b64 s[6:7], s[6:7]
	v_mov_b32_e32 v12, s10
	s_xor_b64 exec, exec, s[6:7]
	s_cbranch_execnz .LBB2_21404
; %bb.57241:
	s_getpc_b64 s[14:15]
.Lpost_getpc32204:
	s_add_u32 s14, s14, (.LBB2_7066-.Lpost_getpc32204)&4294967295
	s_addc_u32 s15, s15, (.LBB2_7066-.Lpost_getpc32204)>>32
	s_setpc_b64 s[14:15]
.LBB2_21404:
	v_mov_b32_e32 v12, 0
	v_cmp_ne_u16_sdwa s[8:9], v6, v12 src0_sel:BYTE_3 src1_sel:DWORD
	s_andn2_b64 s[4:5], s[4:5], exec
	s_and_b64 s[8:9], s[8:9], exec
	s_or_b64 s[4:5], s[4:5], s[8:9]
	s_or_b64 exec, exec, s[6:7]
	s_and_saveexec_b64 s[6:7], s[4:5]
	s_cbranch_execz .LBB2_32205
; %bb.57243:
	s_getpc_b64 s[14:15]
.Lpost_getpc32205:
	s_add_u32 s14, s14, (.LBB2_7067-.Lpost_getpc32205)&4294967295
	s_addc_u32 s15, s15, (.LBB2_7067-.Lpost_getpc32205)>>32
	s_setpc_b64 s[14:15]
.LBB2_32205:
	s_getpc_b64 s[14:15]
.Lpost_getpc19686:
	s_add_u32 s14, s14, (.LBB2_7068-.Lpost_getpc19686)&4294967295
	s_addc_u32 s15, s15, (.LBB2_7068-.Lpost_getpc19686)>>32
	s_setpc_b64 s[14:15]
.LBB2_21405:
	s_movk_i32 s4, 0x80
	v_cmp_eq_u16_sdwa s[12:13], v2, s4 src0_sel:BYTE_3 src1_sel:DWORD
	s_mov_b64 s[4:5], -1
                                        ; implicit-def: $sgpr10
	s_and_saveexec_b64 s[8:9], s[12:13]
; %bb.21406:
	s_mov_b32 s10, 0x7f800001
	s_xor_b64 s[4:5], exec, -1
; %bb.21407:
	s_or_b64 exec, exec, s[8:9]
	s_and_b64 s[4:5], s[4:5], exec
	s_or_saveexec_b64 s[6:7], s[6:7]
	v_mov_b32_e32 v6, s10
	s_xor_b64 exec, exec, s[6:7]
	s_cbranch_execnz .LBB2_21408
; %bb.57245:
	s_getpc_b64 s[14:15]
.Lpost_getpc32206:
	s_add_u32 s14, s14, (.LBB2_7070-.Lpost_getpc32206)&4294967295
	s_addc_u32 s15, s15, (.LBB2_7070-.Lpost_getpc32206)>>32
	s_setpc_b64 s[14:15]
.LBB2_21408:
	v_mov_b32_e32 v6, 0
	v_cmp_ne_u16_sdwa s[8:9], v2, v6 src0_sel:BYTE_3 src1_sel:DWORD
	s_andn2_b64 s[4:5], s[4:5], exec
	s_and_b64 s[8:9], s[8:9], exec
	s_or_b64 s[4:5], s[4:5], s[8:9]
	s_or_b64 exec, exec, s[6:7]
	s_and_saveexec_b64 s[6:7], s[4:5]
	s_cbranch_execz .LBB2_32207
; %bb.57247:
	s_getpc_b64 s[14:15]
.Lpost_getpc32207:
	s_add_u32 s14, s14, (.LBB2_7071-.Lpost_getpc32207)&4294967295
	s_addc_u32 s15, s15, (.LBB2_7071-.Lpost_getpc32207)>>32
	s_setpc_b64 s[14:15]
.LBB2_32207:
	s_getpc_b64 s[14:15]
.Lpost_getpc19687:
	s_add_u32 s14, s14, (.LBB2_7072-.Lpost_getpc19687)&4294967295
	s_addc_u32 s15, s15, (.LBB2_7072-.Lpost_getpc19687)>>32
	s_setpc_b64 s[14:15]
.LBB2_21409:
	s_movk_i32 s4, 0x80
	v_cmp_eq_u16_sdwa s[12:13], v7, s4 src0_sel:BYTE_0 src1_sel:DWORD
	s_mov_b64 s[4:5], -1
                                        ; implicit-def: $sgpr10
	s_and_saveexec_b64 s[8:9], s[12:13]
; %bb.21410:
	s_mov_b32 s10, 0x7f800001
	s_xor_b64 s[4:5], exec, -1
; %bb.21411:
	s_or_b64 exec, exec, s[8:9]
	s_and_b64 s[4:5], s[4:5], exec
	s_or_saveexec_b64 s[6:7], s[6:7]
	v_mov_b32_e32 v2, s10
	s_xor_b64 exec, exec, s[6:7]
	s_cbranch_execnz .LBB2_21412
; %bb.57249:
	s_getpc_b64 s[14:15]
.Lpost_getpc32208:
	s_add_u32 s14, s14, (.LBB2_7074-.Lpost_getpc32208)&4294967295
	s_addc_u32 s15, s15, (.LBB2_7074-.Lpost_getpc32208)>>32
	s_setpc_b64 s[14:15]
.LBB2_21412:
	v_mov_b32_e32 v2, 0
	v_cmp_ne_u16_sdwa s[8:9], v7, v2 src0_sel:BYTE_0 src1_sel:DWORD
	s_andn2_b64 s[4:5], s[4:5], exec
	s_and_b64 s[8:9], s[8:9], exec
	s_or_b64 s[4:5], s[4:5], s[8:9]
	s_or_b64 exec, exec, s[6:7]
	s_and_saveexec_b64 s[6:7], s[4:5]
	s_cbranch_execz .LBB2_32209
; %bb.57251:
	s_getpc_b64 s[14:15]
.Lpost_getpc32209:
	s_add_u32 s14, s14, (.LBB2_7075-.Lpost_getpc32209)&4294967295
	s_addc_u32 s15, s15, (.LBB2_7075-.Lpost_getpc32209)>>32
	s_setpc_b64 s[14:15]
.LBB2_32209:
	s_getpc_b64 s[14:15]
.Lpost_getpc19688:
	s_add_u32 s14, s14, (.LBB2_7076-.Lpost_getpc19688)&4294967295
	s_addc_u32 s15, s15, (.LBB2_7076-.Lpost_getpc19688)>>32
	s_setpc_b64 s[14:15]
.LBB2_21413:
	s_movk_i32 s4, 0x80
	v_cmp_eq_u16_sdwa s[12:13], v3, s4 src0_sel:BYTE_0 src1_sel:DWORD
	s_mov_b64 s[4:5], -1
                                        ; implicit-def: $sgpr10
	s_and_saveexec_b64 s[8:9], s[12:13]
; %bb.21414:
	s_mov_b32 s10, 0x7f800001
	s_xor_b64 s[4:5], exec, -1
; %bb.21415:
	s_or_b64 exec, exec, s[8:9]
	s_and_b64 s[4:5], s[4:5], exec
	s_or_saveexec_b64 s[6:7], s[6:7]
	v_mov_b32_e32 v6, s10
	s_xor_b64 exec, exec, s[6:7]
	s_cbranch_execnz .LBB2_21416
; %bb.57253:
	s_getpc_b64 s[14:15]
.Lpost_getpc32210:
	s_add_u32 s14, s14, (.LBB2_7078-.Lpost_getpc32210)&4294967295
	s_addc_u32 s15, s15, (.LBB2_7078-.Lpost_getpc32210)>>32
	s_setpc_b64 s[14:15]
.LBB2_21416:
	v_mov_b32_e32 v6, 0
	v_cmp_ne_u16_sdwa s[8:9], v3, v6 src0_sel:BYTE_0 src1_sel:DWORD
	s_andn2_b64 s[4:5], s[4:5], exec
	s_and_b64 s[8:9], s[8:9], exec
	s_or_b64 s[4:5], s[4:5], s[8:9]
	s_or_b64 exec, exec, s[6:7]
	s_and_saveexec_b64 s[6:7], s[4:5]
	s_cbranch_execz .LBB2_32211
; %bb.57255:
	s_getpc_b64 s[14:15]
.Lpost_getpc32211:
	s_add_u32 s14, s14, (.LBB2_7079-.Lpost_getpc32211)&4294967295
	s_addc_u32 s15, s15, (.LBB2_7079-.Lpost_getpc32211)>>32
	s_setpc_b64 s[14:15]
.LBB2_32211:
	s_getpc_b64 s[14:15]
.Lpost_getpc19689:
	s_add_u32 s14, s14, (.LBB2_7080-.Lpost_getpc19689)&4294967295
	s_addc_u32 s15, s15, (.LBB2_7080-.Lpost_getpc19689)>>32
	s_setpc_b64 s[14:15]
.LBB2_21417:
	s_movk_i32 s4, 0x80
	v_cmp_eq_u16_sdwa s[12:13], v6, s4 src0_sel:BYTE_0 src1_sel:DWORD
	s_mov_b64 s[4:5], -1
                                        ; implicit-def: $sgpr10
	s_and_saveexec_b64 s[8:9], s[12:13]
; %bb.21418:
	s_mov_b32 s10, 0x7f800001
	s_xor_b64 s[4:5], exec, -1
; %bb.21419:
	s_or_b64 exec, exec, s[8:9]
	s_and_b64 s[4:5], s[4:5], exec
	s_or_saveexec_b64 s[6:7], s[6:7]
	v_mov_b32_e32 v2, s10
	s_xor_b64 exec, exec, s[6:7]
	s_cbranch_execnz .LBB2_21420
; %bb.57257:
	s_getpc_b64 s[14:15]
.Lpost_getpc32212:
	s_add_u32 s14, s14, (.LBB2_7082-.Lpost_getpc32212)&4294967295
	s_addc_u32 s15, s15, (.LBB2_7082-.Lpost_getpc32212)>>32
	s_setpc_b64 s[14:15]
.LBB2_21420:
	v_mov_b32_e32 v2, 0
	v_cmp_ne_u16_sdwa s[8:9], v6, v2 src0_sel:BYTE_0 src1_sel:DWORD
	s_andn2_b64 s[4:5], s[4:5], exec
	s_and_b64 s[8:9], s[8:9], exec
	s_or_b64 s[4:5], s[4:5], s[8:9]
	s_or_b64 exec, exec, s[6:7]
	s_and_saveexec_b64 s[6:7], s[4:5]
	s_cbranch_execz .LBB2_32213
; %bb.57259:
	s_getpc_b64 s[14:15]
.Lpost_getpc32213:
	s_add_u32 s14, s14, (.LBB2_7083-.Lpost_getpc32213)&4294967295
	s_addc_u32 s15, s15, (.LBB2_7083-.Lpost_getpc32213)>>32
	s_setpc_b64 s[14:15]
.LBB2_32213:
	s_getpc_b64 s[14:15]
.Lpost_getpc19690:
	s_add_u32 s14, s14, (.LBB2_7084-.Lpost_getpc19690)&4294967295
	s_addc_u32 s15, s15, (.LBB2_7084-.Lpost_getpc19690)>>32
	s_setpc_b64 s[14:15]
.LBB2_21421:
	s_movk_i32 s4, 0x80
	v_cmp_eq_u16_sdwa s[12:13], v6, s4 src0_sel:BYTE_0 src1_sel:DWORD
	s_mov_b64 s[4:5], -1
                                        ; implicit-def: $sgpr10
	s_and_saveexec_b64 s[8:9], s[12:13]
; %bb.21422:
	s_mov_b32 s10, 0x7f800001
	s_xor_b64 s[4:5], exec, -1
; %bb.21423:
	s_or_b64 exec, exec, s[8:9]
	s_and_b64 s[4:5], s[4:5], exec
	s_or_saveexec_b64 s[6:7], s[6:7]
	v_mov_b32_e32 v12, s10
	s_xor_b64 exec, exec, s[6:7]
	s_cbranch_execnz .LBB2_21424
; %bb.57261:
	s_getpc_b64 s[14:15]
.Lpost_getpc32214:
	s_add_u32 s14, s14, (.LBB2_7086-.Lpost_getpc32214)&4294967295
	s_addc_u32 s15, s15, (.LBB2_7086-.Lpost_getpc32214)>>32
	s_setpc_b64 s[14:15]
.LBB2_21424:
	v_mov_b32_e32 v12, 0
	v_cmp_ne_u16_sdwa s[8:9], v6, v12 src0_sel:BYTE_0 src1_sel:DWORD
	s_andn2_b64 s[4:5], s[4:5], exec
	s_and_b64 s[8:9], s[8:9], exec
	s_or_b64 s[4:5], s[4:5], s[8:9]
	s_or_b64 exec, exec, s[6:7]
	s_and_saveexec_b64 s[6:7], s[4:5]
	s_cbranch_execz .LBB2_32215
; %bb.57263:
	s_getpc_b64 s[14:15]
.Lpost_getpc32215:
	s_add_u32 s14, s14, (.LBB2_7087-.Lpost_getpc32215)&4294967295
	s_addc_u32 s15, s15, (.LBB2_7087-.Lpost_getpc32215)>>32
	s_setpc_b64 s[14:15]
.LBB2_32215:
	s_getpc_b64 s[14:15]
.Lpost_getpc19691:
	s_add_u32 s14, s14, (.LBB2_7088-.Lpost_getpc19691)&4294967295
	s_addc_u32 s15, s15, (.LBB2_7088-.Lpost_getpc19691)>>32
	s_setpc_b64 s[14:15]
.LBB2_21425:
	s_movk_i32 s4, 0x80
	v_cmp_eq_u16_e32 vcc, s4, v6
	s_mov_b64 s[4:5], -1
                                        ; implicit-def: $sgpr10
	s_and_saveexec_b64 s[8:9], vcc
; %bb.21426:
	s_mov_b32 s10, 0x7f800001
	s_xor_b64 s[4:5], exec, -1
; %bb.21427:
	s_or_b64 exec, exec, s[8:9]
	s_and_b64 s[4:5], s[4:5], exec
                                        ; implicit-def: $vgpr6
	s_or_saveexec_b64 s[6:7], s[6:7]
	v_mov_b32_e32 v2, s10
	s_xor_b64 exec, exec, s[6:7]
	s_cbranch_execnz .LBB2_21428
; %bb.57265:
	s_getpc_b64 s[14:15]
.Lpost_getpc32216:
	s_add_u32 s14, s14, (.LBB2_7090-.Lpost_getpc32216)&4294967295
	s_addc_u32 s15, s15, (.LBB2_7090-.Lpost_getpc32216)>>32
	s_setpc_b64 s[14:15]
.LBB2_21428:
	v_cmp_ne_u16_e32 vcc, 0, v6
	s_andn2_b64 s[4:5], s[4:5], exec
	s_and_b64 s[8:9], vcc, exec
	v_mov_b32_e32 v2, 0
	s_or_b64 s[4:5], s[4:5], s[8:9]
	s_or_b64 exec, exec, s[6:7]
	s_and_saveexec_b64 s[6:7], s[4:5]
	s_cbranch_execz .LBB2_32217
; %bb.57267:
	s_getpc_b64 s[14:15]
.Lpost_getpc32217:
	s_add_u32 s14, s14, (.LBB2_7091-.Lpost_getpc32217)&4294967295
	s_addc_u32 s15, s15, (.LBB2_7091-.Lpost_getpc32217)>>32
	s_setpc_b64 s[14:15]
.LBB2_32217:
	s_getpc_b64 s[14:15]
.Lpost_getpc19692:
	s_add_u32 s14, s14, (.LBB2_7092-.Lpost_getpc19692)&4294967295
	s_addc_u32 s15, s15, (.LBB2_7092-.Lpost_getpc19692)>>32
	s_setpc_b64 s[14:15]
.LBB2_21429:
	s_movk_i32 s4, 0x80
	v_cmp_eq_u16_e32 vcc, s4, v6
	s_mov_b64 s[4:5], -1
                                        ; implicit-def: $sgpr10
	s_and_saveexec_b64 s[8:9], vcc
; %bb.21430:
	s_mov_b32 s10, 0x7f800001
	s_xor_b64 s[4:5], exec, -1
; %bb.21431:
	s_or_b64 exec, exec, s[8:9]
	s_and_b64 s[4:5], s[4:5], exec
                                        ; implicit-def: $vgpr6
	s_or_saveexec_b64 s[6:7], s[6:7]
	v_mov_b32_e32 v12, s10
	s_xor_b64 exec, exec, s[6:7]
	s_cbranch_execnz .LBB2_21432
; %bb.57269:
	s_getpc_b64 s[14:15]
.Lpost_getpc32218:
	s_add_u32 s14, s14, (.LBB2_7094-.Lpost_getpc32218)&4294967295
	s_addc_u32 s15, s15, (.LBB2_7094-.Lpost_getpc32218)>>32
	s_setpc_b64 s[14:15]
.LBB2_21432:
	v_cmp_ne_u16_e32 vcc, 0, v6
	s_andn2_b64 s[4:5], s[4:5], exec
	s_and_b64 s[8:9], vcc, exec
	v_mov_b32_e32 v12, 0
	s_or_b64 s[4:5], s[4:5], s[8:9]
	s_or_b64 exec, exec, s[6:7]
	s_and_saveexec_b64 s[6:7], s[4:5]
	s_cbranch_execz .LBB2_32219
; %bb.57271:
	s_getpc_b64 s[14:15]
.Lpost_getpc32219:
	s_add_u32 s14, s14, (.LBB2_7095-.Lpost_getpc32219)&4294967295
	s_addc_u32 s15, s15, (.LBB2_7095-.Lpost_getpc32219)>>32
	s_setpc_b64 s[14:15]
.LBB2_32219:
	s_getpc_b64 s[14:15]
.Lpost_getpc19693:
	s_add_u32 s14, s14, (.LBB2_7096-.Lpost_getpc19693)&4294967295
	s_addc_u32 s15, s15, (.LBB2_7096-.Lpost_getpc19693)>>32
	s_setpc_b64 s[14:15]
.LBB2_21433:
	s_movk_i32 s4, 0x80
	v_cmp_eq_u16_sdwa s[12:13], v7, s4 src0_sel:BYTE_3 src1_sel:DWORD
	s_mov_b64 s[4:5], -1
                                        ; implicit-def: $sgpr10
	s_and_saveexec_b64 s[8:9], s[12:13]
; %bb.21434:
	s_mov_b32 s10, 0x7f800001
	s_xor_b64 s[4:5], exec, -1
; %bb.21435:
	s_or_b64 exec, exec, s[8:9]
	s_and_b64 s[4:5], s[4:5], exec
	s_or_saveexec_b64 s[6:7], s[6:7]
	v_mov_b32_e32 v2, s10
	s_xor_b64 exec, exec, s[6:7]
	s_cbranch_execnz .LBB2_21436
; %bb.57273:
	s_getpc_b64 s[14:15]
.Lpost_getpc32220:
	s_add_u32 s14, s14, (.LBB2_7098-.Lpost_getpc32220)&4294967295
	s_addc_u32 s15, s15, (.LBB2_7098-.Lpost_getpc32220)>>32
	s_setpc_b64 s[14:15]
.LBB2_21436:
	v_mov_b32_e32 v2, 0
	v_cmp_ne_u16_sdwa s[8:9], v7, v2 src0_sel:BYTE_3 src1_sel:DWORD
	s_andn2_b64 s[4:5], s[4:5], exec
	s_and_b64 s[8:9], s[8:9], exec
	s_or_b64 s[4:5], s[4:5], s[8:9]
	s_or_b64 exec, exec, s[6:7]
	s_and_saveexec_b64 s[6:7], s[4:5]
	s_cbranch_execz .LBB2_32221
; %bb.57275:
	s_getpc_b64 s[14:15]
.Lpost_getpc32221:
	s_add_u32 s14, s14, (.LBB2_7099-.Lpost_getpc32221)&4294967295
	s_addc_u32 s15, s15, (.LBB2_7099-.Lpost_getpc32221)>>32
	s_setpc_b64 s[14:15]
.LBB2_32221:
	s_getpc_b64 s[14:15]
.Lpost_getpc19694:
	s_add_u32 s14, s14, (.LBB2_7100-.Lpost_getpc19694)&4294967295
	s_addc_u32 s15, s15, (.LBB2_7100-.Lpost_getpc19694)>>32
	s_setpc_b64 s[14:15]
.LBB2_21437:
	s_movk_i32 s4, 0x80
	v_cmp_eq_u16_sdwa s[12:13], v3, s4 src0_sel:BYTE_3 src1_sel:DWORD
	s_mov_b64 s[4:5], -1
                                        ; implicit-def: $sgpr10
	s_and_saveexec_b64 s[8:9], s[12:13]
; %bb.21438:
	s_mov_b32 s10, 0x7f800001
	s_xor_b64 s[4:5], exec, -1
; %bb.21439:
	s_or_b64 exec, exec, s[8:9]
	s_and_b64 s[4:5], s[4:5], exec
	s_or_saveexec_b64 s[6:7], s[6:7]
	v_mov_b32_e32 v6, s10
	s_xor_b64 exec, exec, s[6:7]
	s_cbranch_execnz .LBB2_21440
; %bb.57277:
	s_getpc_b64 s[14:15]
.Lpost_getpc32222:
	s_add_u32 s14, s14, (.LBB2_7102-.Lpost_getpc32222)&4294967295
	s_addc_u32 s15, s15, (.LBB2_7102-.Lpost_getpc32222)>>32
	s_setpc_b64 s[14:15]
.LBB2_21440:
	v_mov_b32_e32 v6, 0
	v_cmp_ne_u16_sdwa s[8:9], v3, v6 src0_sel:BYTE_3 src1_sel:DWORD
	s_andn2_b64 s[4:5], s[4:5], exec
	s_and_b64 s[8:9], s[8:9], exec
	s_or_b64 s[4:5], s[4:5], s[8:9]
	s_or_b64 exec, exec, s[6:7]
	s_and_saveexec_b64 s[6:7], s[4:5]
	s_cbranch_execz .LBB2_32223
; %bb.57279:
	s_getpc_b64 s[14:15]
.Lpost_getpc32223:
	s_add_u32 s14, s14, (.LBB2_7103-.Lpost_getpc32223)&4294967295
	s_addc_u32 s15, s15, (.LBB2_7103-.Lpost_getpc32223)>>32
	s_setpc_b64 s[14:15]
.LBB2_32223:
	s_getpc_b64 s[14:15]
.Lpost_getpc19695:
	s_add_u32 s14, s14, (.LBB2_7104-.Lpost_getpc19695)&4294967295
	s_addc_u32 s15, s15, (.LBB2_7104-.Lpost_getpc19695)>>32
	s_setpc_b64 s[14:15]
.LBB2_21441:
	s_movk_i32 s4, 0x80
	v_cmp_eq_u16_sdwa s[12:13], v8, s4 src0_sel:BYTE_0 src1_sel:DWORD
	s_mov_b64 s[4:5], -1
                                        ; implicit-def: $sgpr10
	s_and_saveexec_b64 s[8:9], s[12:13]
; %bb.21442:
	s_mov_b32 s10, 0x7f800001
	s_xor_b64 s[4:5], exec, -1
; %bb.21443:
	s_or_b64 exec, exec, s[8:9]
	s_and_b64 s[4:5], s[4:5], exec
	s_or_saveexec_b64 s[6:7], s[6:7]
	v_mov_b32_e32 v2, s10
	s_xor_b64 exec, exec, s[6:7]
	s_cbranch_execnz .LBB2_21444
; %bb.57281:
	s_getpc_b64 s[14:15]
.Lpost_getpc32224:
	s_add_u32 s14, s14, (.LBB2_7106-.Lpost_getpc32224)&4294967295
	s_addc_u32 s15, s15, (.LBB2_7106-.Lpost_getpc32224)>>32
	s_setpc_b64 s[14:15]
.LBB2_21444:
	v_mov_b32_e32 v2, 0
	v_cmp_ne_u16_sdwa s[8:9], v8, v2 src0_sel:BYTE_0 src1_sel:DWORD
	s_andn2_b64 s[4:5], s[4:5], exec
	s_and_b64 s[8:9], s[8:9], exec
	s_or_b64 s[4:5], s[4:5], s[8:9]
	s_or_b64 exec, exec, s[6:7]
	s_and_saveexec_b64 s[6:7], s[4:5]
	s_cbranch_execz .LBB2_32225
; %bb.57283:
	s_getpc_b64 s[14:15]
.Lpost_getpc32225:
	s_add_u32 s14, s14, (.LBB2_7107-.Lpost_getpc32225)&4294967295
	s_addc_u32 s15, s15, (.LBB2_7107-.Lpost_getpc32225)>>32
	s_setpc_b64 s[14:15]
.LBB2_32225:
	s_getpc_b64 s[14:15]
.Lpost_getpc19696:
	s_add_u32 s14, s14, (.LBB2_7108-.Lpost_getpc19696)&4294967295
	s_addc_u32 s15, s15, (.LBB2_7108-.Lpost_getpc19696)>>32
	s_setpc_b64 s[14:15]
.LBB2_21445:
	s_movk_i32 s4, 0x80
	v_cmp_eq_u16_sdwa s[12:13], v4, s4 src0_sel:BYTE_0 src1_sel:DWORD
	s_mov_b64 s[4:5], -1
                                        ; implicit-def: $sgpr10
	s_and_saveexec_b64 s[8:9], s[12:13]
; %bb.21446:
	s_mov_b32 s10, 0x7f800001
	s_xor_b64 s[4:5], exec, -1
; %bb.21447:
	s_or_b64 exec, exec, s[8:9]
	s_and_b64 s[4:5], s[4:5], exec
	s_or_saveexec_b64 s[6:7], s[6:7]
	v_mov_b32_e32 v3, s10
	s_xor_b64 exec, exec, s[6:7]
	s_cbranch_execnz .LBB2_21448
; %bb.57285:
	s_getpc_b64 s[14:15]
.Lpost_getpc32226:
	s_add_u32 s14, s14, (.LBB2_7110-.Lpost_getpc32226)&4294967295
	s_addc_u32 s15, s15, (.LBB2_7110-.Lpost_getpc32226)>>32
	s_setpc_b64 s[14:15]
.LBB2_21448:
	v_mov_b32_e32 v3, 0
	v_cmp_ne_u16_sdwa s[8:9], v4, v3 src0_sel:BYTE_0 src1_sel:DWORD
	s_andn2_b64 s[4:5], s[4:5], exec
	s_and_b64 s[8:9], s[8:9], exec
	s_or_b64 s[4:5], s[4:5], s[8:9]
	s_or_b64 exec, exec, s[6:7]
	s_and_saveexec_b64 s[6:7], s[4:5]
	s_cbranch_execz .LBB2_32227
; %bb.57287:
	s_getpc_b64 s[14:15]
.Lpost_getpc32227:
	s_add_u32 s14, s14, (.LBB2_7111-.Lpost_getpc32227)&4294967295
	s_addc_u32 s15, s15, (.LBB2_7111-.Lpost_getpc32227)>>32
	s_setpc_b64 s[14:15]
.LBB2_32227:
	s_getpc_b64 s[14:15]
.Lpost_getpc19697:
	s_add_u32 s14, s14, (.LBB2_7112-.Lpost_getpc19697)&4294967295
	s_addc_u32 s15, s15, (.LBB2_7112-.Lpost_getpc19697)>>32
	s_setpc_b64 s[14:15]
.LBB2_21449:
	s_movk_i32 s4, 0x80
	v_cmp_eq_u16_sdwa s[12:13], v3, s4 src0_sel:BYTE_0 src1_sel:DWORD
	s_mov_b64 s[4:5], -1
                                        ; implicit-def: $sgpr10
	s_and_saveexec_b64 s[8:9], s[12:13]
; %bb.21450:
	s_mov_b32 s10, 0x7f800001
	s_xor_b64 s[4:5], exec, -1
; %bb.21451:
	s_or_b64 exec, exec, s[8:9]
	s_and_b64 s[4:5], s[4:5], exec
	s_or_saveexec_b64 s[6:7], s[6:7]
	v_mov_b32_e32 v2, s10
	s_xor_b64 exec, exec, s[6:7]
	s_cbranch_execnz .LBB2_21452
; %bb.57289:
	s_getpc_b64 s[14:15]
.Lpost_getpc32228:
	s_add_u32 s14, s14, (.LBB2_7114-.Lpost_getpc32228)&4294967295
	s_addc_u32 s15, s15, (.LBB2_7114-.Lpost_getpc32228)>>32
	s_setpc_b64 s[14:15]
.LBB2_21452:
	v_mov_b32_e32 v2, 0
	v_cmp_ne_u16_sdwa s[8:9], v3, v2 src0_sel:BYTE_0 src1_sel:DWORD
	s_andn2_b64 s[4:5], s[4:5], exec
	s_and_b64 s[8:9], s[8:9], exec
	s_or_b64 s[4:5], s[4:5], s[8:9]
	s_or_b64 exec, exec, s[6:7]
	s_and_saveexec_b64 s[6:7], s[4:5]
	s_cbranch_execz .LBB2_32229
; %bb.57291:
	s_getpc_b64 s[14:15]
.Lpost_getpc32229:
	s_add_u32 s14, s14, (.LBB2_7115-.Lpost_getpc32229)&4294967295
	s_addc_u32 s15, s15, (.LBB2_7115-.Lpost_getpc32229)>>32
	s_setpc_b64 s[14:15]
.LBB2_32229:
	s_getpc_b64 s[14:15]
.Lpost_getpc19698:
	s_add_u32 s14, s14, (.LBB2_7116-.Lpost_getpc19698)&4294967295
	s_addc_u32 s15, s15, (.LBB2_7116-.Lpost_getpc19698)>>32
	s_setpc_b64 s[14:15]
.LBB2_21453:
	s_movk_i32 s4, 0x80
	v_cmp_eq_u16_sdwa s[12:13], v3, s4 src0_sel:BYTE_0 src1_sel:DWORD
	s_mov_b64 s[4:5], -1
                                        ; implicit-def: $sgpr10
	s_and_saveexec_b64 s[8:9], s[12:13]
; %bb.21454:
	s_mov_b32 s10, 0x7f800001
	s_xor_b64 s[4:5], exec, -1
; %bb.21455:
	s_or_b64 exec, exec, s[8:9]
	s_and_b64 s[4:5], s[4:5], exec
	s_or_saveexec_b64 s[6:7], s[6:7]
	v_mov_b32_e32 v6, s10
	s_xor_b64 exec, exec, s[6:7]
	s_cbranch_execnz .LBB2_21456
; %bb.57293:
	s_getpc_b64 s[14:15]
.Lpost_getpc32230:
	s_add_u32 s14, s14, (.LBB2_7118-.Lpost_getpc32230)&4294967295
	s_addc_u32 s15, s15, (.LBB2_7118-.Lpost_getpc32230)>>32
	s_setpc_b64 s[14:15]
.LBB2_21456:
	v_mov_b32_e32 v6, 0
	v_cmp_ne_u16_sdwa s[8:9], v3, v6 src0_sel:BYTE_0 src1_sel:DWORD
	s_andn2_b64 s[4:5], s[4:5], exec
	s_and_b64 s[8:9], s[8:9], exec
	s_or_b64 s[4:5], s[4:5], s[8:9]
	s_or_b64 exec, exec, s[6:7]
	s_and_saveexec_b64 s[6:7], s[4:5]
	s_cbranch_execz .LBB2_32231
; %bb.57295:
	s_getpc_b64 s[14:15]
.Lpost_getpc32231:
	s_add_u32 s14, s14, (.LBB2_7119-.Lpost_getpc32231)&4294967295
	s_addc_u32 s15, s15, (.LBB2_7119-.Lpost_getpc32231)>>32
	s_setpc_b64 s[14:15]
.LBB2_32231:
	s_getpc_b64 s[14:15]
.Lpost_getpc19699:
	s_add_u32 s14, s14, (.LBB2_7120-.Lpost_getpc19699)&4294967295
	s_addc_u32 s15, s15, (.LBB2_7120-.Lpost_getpc19699)>>32
	s_setpc_b64 s[14:15]
.LBB2_21457:
	s_movk_i32 s4, 0x80
	v_cmp_eq_u16_e32 vcc, s4, v3
	s_mov_b64 s[4:5], -1
                                        ; implicit-def: $sgpr10
	s_and_saveexec_b64 s[8:9], vcc
; %bb.21458:
	s_mov_b32 s10, 0x7f800001
	s_xor_b64 s[4:5], exec, -1
; %bb.21459:
	s_or_b64 exec, exec, s[8:9]
	s_and_b64 s[4:5], s[4:5], exec
                                        ; implicit-def: $vgpr3
	s_or_saveexec_b64 s[6:7], s[6:7]
	v_mov_b32_e32 v2, s10
	s_xor_b64 exec, exec, s[6:7]
	s_cbranch_execnz .LBB2_21460
; %bb.57297:
	s_getpc_b64 s[14:15]
.Lpost_getpc32232:
	s_add_u32 s14, s14, (.LBB2_7122-.Lpost_getpc32232)&4294967295
	s_addc_u32 s15, s15, (.LBB2_7122-.Lpost_getpc32232)>>32
	s_setpc_b64 s[14:15]
.LBB2_21460:
	v_cmp_ne_u16_e32 vcc, 0, v3
	s_andn2_b64 s[4:5], s[4:5], exec
	s_and_b64 s[8:9], vcc, exec
	v_mov_b32_e32 v2, 0
	s_or_b64 s[4:5], s[4:5], s[8:9]
	s_or_b64 exec, exec, s[6:7]
	s_and_saveexec_b64 s[6:7], s[4:5]
	s_cbranch_execz .LBB2_32233
; %bb.57299:
	s_getpc_b64 s[14:15]
.Lpost_getpc32233:
	s_add_u32 s14, s14, (.LBB2_7123-.Lpost_getpc32233)&4294967295
	s_addc_u32 s15, s15, (.LBB2_7123-.Lpost_getpc32233)>>32
	s_setpc_b64 s[14:15]
.LBB2_32233:
	s_getpc_b64 s[14:15]
.Lpost_getpc19700:
	s_add_u32 s14, s14, (.LBB2_7124-.Lpost_getpc19700)&4294967295
	s_addc_u32 s15, s15, (.LBB2_7124-.Lpost_getpc19700)>>32
	s_setpc_b64 s[14:15]
.LBB2_21461:
	s_movk_i32 s4, 0x80
	v_cmp_eq_u16_e32 vcc, s4, v3
	s_mov_b64 s[4:5], -1
                                        ; implicit-def: $sgpr10
	s_and_saveexec_b64 s[8:9], vcc
; %bb.21462:
	s_mov_b32 s10, 0x7f800001
	s_xor_b64 s[4:5], exec, -1
; %bb.21463:
	s_or_b64 exec, exec, s[8:9]
	s_and_b64 s[4:5], s[4:5], exec
                                        ; implicit-def: $vgpr3
	s_or_saveexec_b64 s[6:7], s[6:7]
	v_mov_b32_e32 v6, s10
	s_xor_b64 exec, exec, s[6:7]
	s_cbranch_execnz .LBB2_21464
; %bb.57301:
	s_getpc_b64 s[14:15]
.Lpost_getpc32234:
	s_add_u32 s14, s14, (.LBB2_7126-.Lpost_getpc32234)&4294967295
	s_addc_u32 s15, s15, (.LBB2_7126-.Lpost_getpc32234)>>32
	s_setpc_b64 s[14:15]
.LBB2_21464:
	v_cmp_ne_u16_e32 vcc, 0, v3
	s_andn2_b64 s[4:5], s[4:5], exec
	s_and_b64 s[8:9], vcc, exec
	v_mov_b32_e32 v6, 0
	s_or_b64 s[4:5], s[4:5], s[8:9]
	s_or_b64 exec, exec, s[6:7]
	s_and_saveexec_b64 s[6:7], s[4:5]
	s_cbranch_execz .LBB2_32235
; %bb.57303:
	s_getpc_b64 s[14:15]
.Lpost_getpc32235:
	s_add_u32 s14, s14, (.LBB2_7127-.Lpost_getpc32235)&4294967295
	s_addc_u32 s15, s15, (.LBB2_7127-.Lpost_getpc32235)>>32
	s_setpc_b64 s[14:15]
.LBB2_32235:
	s_getpc_b64 s[14:15]
.Lpost_getpc19701:
	s_add_u32 s14, s14, (.LBB2_7128-.Lpost_getpc19701)&4294967295
	s_addc_u32 s15, s15, (.LBB2_7128-.Lpost_getpc19701)>>32
	s_setpc_b64 s[14:15]
.LBB2_21465:
	s_movk_i32 s4, 0x80
	v_cmp_eq_u16_sdwa s[12:13], v8, s4 src0_sel:BYTE_3 src1_sel:DWORD
	s_mov_b64 s[4:5], -1
                                        ; implicit-def: $sgpr10
	s_and_saveexec_b64 s[8:9], s[12:13]
; %bb.21466:
	s_mov_b32 s10, 0x7f800001
	s_xor_b64 s[4:5], exec, -1
; %bb.21467:
	s_or_b64 exec, exec, s[8:9]
	s_and_b64 s[4:5], s[4:5], exec
	s_or_saveexec_b64 s[6:7], s[6:7]
	v_mov_b32_e32 v2, s10
	s_xor_b64 exec, exec, s[6:7]
	s_cbranch_execnz .LBB2_21468
; %bb.57305:
	s_getpc_b64 s[14:15]
.Lpost_getpc32236:
	s_add_u32 s14, s14, (.LBB2_7130-.Lpost_getpc32236)&4294967295
	s_addc_u32 s15, s15, (.LBB2_7130-.Lpost_getpc32236)>>32
	s_setpc_b64 s[14:15]
.LBB2_21468:
	v_mov_b32_e32 v2, 0
	v_cmp_ne_u16_sdwa s[8:9], v8, v2 src0_sel:BYTE_3 src1_sel:DWORD
	s_andn2_b64 s[4:5], s[4:5], exec
	s_and_b64 s[8:9], s[8:9], exec
	s_or_b64 s[4:5], s[4:5], s[8:9]
	s_or_b64 exec, exec, s[6:7]
	s_and_saveexec_b64 s[6:7], s[4:5]
	s_cbranch_execz .LBB2_32237
; %bb.57307:
	s_getpc_b64 s[14:15]
.Lpost_getpc32237:
	s_add_u32 s14, s14, (.LBB2_7131-.Lpost_getpc32237)&4294967295
	s_addc_u32 s15, s15, (.LBB2_7131-.Lpost_getpc32237)>>32
	s_setpc_b64 s[14:15]
.LBB2_32237:
	s_getpc_b64 s[14:15]
.Lpost_getpc19702:
	s_add_u32 s14, s14, (.LBB2_7132-.Lpost_getpc19702)&4294967295
	s_addc_u32 s15, s15, (.LBB2_7132-.Lpost_getpc19702)>>32
	s_setpc_b64 s[14:15]
.LBB2_21469:
	s_movk_i32 s4, 0x80
	v_cmp_eq_u16_sdwa s[12:13], v4, s4 src0_sel:BYTE_3 src1_sel:DWORD
	s_mov_b64 s[4:5], -1
                                        ; implicit-def: $sgpr10
	s_and_saveexec_b64 s[8:9], s[12:13]
; %bb.21470:
	s_mov_b32 s10, 0x7f800001
	s_xor_b64 s[4:5], exec, -1
; %bb.21471:
	s_or_b64 exec, exec, s[8:9]
	s_and_b64 s[4:5], s[4:5], exec
	s_or_saveexec_b64 s[6:7], s[6:7]
	v_mov_b32_e32 v3, s10
	s_xor_b64 exec, exec, s[6:7]
	s_cbranch_execnz .LBB2_21472
; %bb.57309:
	s_getpc_b64 s[14:15]
.Lpost_getpc32238:
	s_add_u32 s14, s14, (.LBB2_7134-.Lpost_getpc32238)&4294967295
	s_addc_u32 s15, s15, (.LBB2_7134-.Lpost_getpc32238)>>32
	s_setpc_b64 s[14:15]
.LBB2_21472:
	v_mov_b32_e32 v3, 0
	v_cmp_ne_u16_sdwa s[8:9], v4, v3 src0_sel:BYTE_3 src1_sel:DWORD
	s_andn2_b64 s[4:5], s[4:5], exec
	s_and_b64 s[8:9], s[8:9], exec
	s_or_b64 s[4:5], s[4:5], s[8:9]
	s_or_b64 exec, exec, s[6:7]
	s_and_saveexec_b64 s[6:7], s[4:5]
	s_cbranch_execz .LBB2_32239
; %bb.57311:
	s_getpc_b64 s[14:15]
.Lpost_getpc32239:
	s_add_u32 s14, s14, (.LBB2_7135-.Lpost_getpc32239)&4294967295
	s_addc_u32 s15, s15, (.LBB2_7135-.Lpost_getpc32239)>>32
	s_setpc_b64 s[14:15]
.LBB2_32239:
	s_getpc_b64 s[14:15]
.Lpost_getpc19703:
	s_add_u32 s14, s14, (.LBB2_7136-.Lpost_getpc19703)&4294967295
	s_addc_u32 s15, s15, (.LBB2_7136-.Lpost_getpc19703)>>32
	s_setpc_b64 s[14:15]
.LBB2_21473:
	s_movk_i32 s4, 0x80
	v_cmp_eq_u16_sdwa s[12:13], v9, s4 src0_sel:BYTE_0 src1_sel:DWORD
	s_mov_b64 s[4:5], -1
                                        ; implicit-def: $sgpr10
	s_and_saveexec_b64 s[8:9], s[12:13]
; %bb.21474:
	s_mov_b32 s10, 0x7f800001
	s_xor_b64 s[4:5], exec, -1
; %bb.21475:
	s_or_b64 exec, exec, s[8:9]
	s_and_b64 s[4:5], s[4:5], exec
	s_or_saveexec_b64 s[6:7], s[6:7]
	v_mov_b32_e32 v2, s10
	s_xor_b64 exec, exec, s[6:7]
	s_cbranch_execnz .LBB2_21476
; %bb.57313:
	s_getpc_b64 s[14:15]
.Lpost_getpc32240:
	s_add_u32 s14, s14, (.LBB2_7138-.Lpost_getpc32240)&4294967295
	s_addc_u32 s15, s15, (.LBB2_7138-.Lpost_getpc32240)>>32
	s_setpc_b64 s[14:15]
.LBB2_21476:
	v_mov_b32_e32 v2, 0
	v_cmp_ne_u16_sdwa s[8:9], v9, v2 src0_sel:BYTE_0 src1_sel:DWORD
	s_andn2_b64 s[4:5], s[4:5], exec
	s_and_b64 s[8:9], s[8:9], exec
	s_or_b64 s[4:5], s[4:5], s[8:9]
	s_or_b64 exec, exec, s[6:7]
	s_and_saveexec_b64 s[6:7], s[4:5]
	s_cbranch_execz .LBB2_32241
; %bb.57315:
	s_getpc_b64 s[14:15]
.Lpost_getpc32241:
	s_add_u32 s14, s14, (.LBB2_7139-.Lpost_getpc32241)&4294967295
	s_addc_u32 s15, s15, (.LBB2_7139-.Lpost_getpc32241)>>32
	s_setpc_b64 s[14:15]
.LBB2_32241:
	s_getpc_b64 s[14:15]
.Lpost_getpc19704:
	s_add_u32 s14, s14, (.LBB2_7140-.Lpost_getpc19704)&4294967295
	s_addc_u32 s15, s15, (.LBB2_7140-.Lpost_getpc19704)>>32
	s_setpc_b64 s[14:15]
.LBB2_21477:
	s_movk_i32 s4, 0x80
	v_cmp_eq_u16_sdwa s[12:13], v5, s4 src0_sel:BYTE_0 src1_sel:DWORD
	s_mov_b64 s[4:5], -1
                                        ; implicit-def: $sgpr10
	s_and_saveexec_b64 s[8:9], s[12:13]
; %bb.21478:
	s_mov_b32 s10, 0x7f800001
	s_xor_b64 s[4:5], exec, -1
; %bb.21479:
	s_or_b64 exec, exec, s[8:9]
	s_and_b64 s[4:5], s[4:5], exec
	s_or_saveexec_b64 s[6:7], s[6:7]
	v_mov_b32_e32 v3, s10
	s_xor_b64 exec, exec, s[6:7]
	s_cbranch_execnz .LBB2_21480
; %bb.57317:
	s_getpc_b64 s[14:15]
.Lpost_getpc32242:
	s_add_u32 s14, s14, (.LBB2_7142-.Lpost_getpc32242)&4294967295
	s_addc_u32 s15, s15, (.LBB2_7142-.Lpost_getpc32242)>>32
	s_setpc_b64 s[14:15]
.LBB2_21480:
	v_mov_b32_e32 v3, 0
	v_cmp_ne_u16_sdwa s[8:9], v5, v3 src0_sel:BYTE_0 src1_sel:DWORD
	s_andn2_b64 s[4:5], s[4:5], exec
	s_and_b64 s[8:9], s[8:9], exec
	s_or_b64 s[4:5], s[4:5], s[8:9]
	s_or_b64 exec, exec, s[6:7]
	s_and_saveexec_b64 s[6:7], s[4:5]
	s_cbranch_execz .LBB2_32243
; %bb.57319:
	s_getpc_b64 s[14:15]
.Lpost_getpc32243:
	s_add_u32 s14, s14, (.LBB2_7143-.Lpost_getpc32243)&4294967295
	s_addc_u32 s15, s15, (.LBB2_7143-.Lpost_getpc32243)>>32
	s_setpc_b64 s[14:15]
.LBB2_32243:
	s_getpc_b64 s[14:15]
.Lpost_getpc19705:
	s_add_u32 s14, s14, (.LBB2_7144-.Lpost_getpc19705)&4294967295
	s_addc_u32 s15, s15, (.LBB2_7144-.Lpost_getpc19705)>>32
	s_setpc_b64 s[14:15]
.LBB2_21481:
	s_movk_i32 s4, 0x80
	v_cmp_eq_u16_sdwa s[12:13], v3, s4 src0_sel:BYTE_0 src1_sel:DWORD
	s_mov_b64 s[4:5], -1
                                        ; implicit-def: $sgpr10
	s_and_saveexec_b64 s[8:9], s[12:13]
; %bb.21482:
	s_mov_b32 s10, 0x7f800001
	s_xor_b64 s[4:5], exec, -1
; %bb.21483:
	s_or_b64 exec, exec, s[8:9]
	s_and_b64 s[4:5], s[4:5], exec
	s_or_saveexec_b64 s[6:7], s[6:7]
	v_mov_b32_e32 v2, s10
	s_xor_b64 exec, exec, s[6:7]
	s_cbranch_execnz .LBB2_21484
; %bb.57321:
	s_getpc_b64 s[14:15]
.Lpost_getpc32244:
	s_add_u32 s14, s14, (.LBB2_7146-.Lpost_getpc32244)&4294967295
	s_addc_u32 s15, s15, (.LBB2_7146-.Lpost_getpc32244)>>32
	s_setpc_b64 s[14:15]
.LBB2_21484:
	v_mov_b32_e32 v2, 0
	v_cmp_ne_u16_sdwa s[8:9], v3, v2 src0_sel:BYTE_0 src1_sel:DWORD
	s_andn2_b64 s[4:5], s[4:5], exec
	s_and_b64 s[8:9], s[8:9], exec
	s_or_b64 s[4:5], s[4:5], s[8:9]
	s_or_b64 exec, exec, s[6:7]
	s_and_saveexec_b64 s[6:7], s[4:5]
	s_cbranch_execz .LBB2_32245
; %bb.57323:
	s_getpc_b64 s[14:15]
.Lpost_getpc32245:
	s_add_u32 s14, s14, (.LBB2_7147-.Lpost_getpc32245)&4294967295
	s_addc_u32 s15, s15, (.LBB2_7147-.Lpost_getpc32245)>>32
	s_setpc_b64 s[14:15]
.LBB2_32245:
	s_getpc_b64 s[14:15]
.Lpost_getpc19706:
	s_add_u32 s14, s14, (.LBB2_7148-.Lpost_getpc19706)&4294967295
	s_addc_u32 s15, s15, (.LBB2_7148-.Lpost_getpc19706)>>32
	s_setpc_b64 s[14:15]
.LBB2_21485:
	s_movk_i32 s4, 0x80
	v_cmp_eq_u16_sdwa s[12:13], v3, s4 src0_sel:BYTE_0 src1_sel:DWORD
	s_mov_b64 s[4:5], -1
                                        ; implicit-def: $sgpr10
	s_and_saveexec_b64 s[8:9], s[12:13]
; %bb.21486:
	s_mov_b32 s10, 0x7f800001
	s_xor_b64 s[4:5], exec, -1
; %bb.21487:
	s_or_b64 exec, exec, s[8:9]
	s_and_b64 s[4:5], s[4:5], exec
	s_or_saveexec_b64 s[6:7], s[6:7]
	v_mov_b32_e32 v4, s10
	s_xor_b64 exec, exec, s[6:7]
	s_cbranch_execnz .LBB2_21488
; %bb.57325:
	s_getpc_b64 s[14:15]
.Lpost_getpc32246:
	s_add_u32 s14, s14, (.LBB2_7150-.Lpost_getpc32246)&4294967295
	s_addc_u32 s15, s15, (.LBB2_7150-.Lpost_getpc32246)>>32
	s_setpc_b64 s[14:15]
.LBB2_21488:
	v_mov_b32_e32 v4, 0
	v_cmp_ne_u16_sdwa s[8:9], v3, v4 src0_sel:BYTE_0 src1_sel:DWORD
	s_andn2_b64 s[4:5], s[4:5], exec
	s_and_b64 s[8:9], s[8:9], exec
	s_or_b64 s[4:5], s[4:5], s[8:9]
	s_or_b64 exec, exec, s[6:7]
	s_and_saveexec_b64 s[6:7], s[4:5]
	s_cbranch_execz .LBB2_32247
; %bb.57327:
	s_getpc_b64 s[14:15]
.Lpost_getpc32247:
	s_add_u32 s14, s14, (.LBB2_7151-.Lpost_getpc32247)&4294967295
	s_addc_u32 s15, s15, (.LBB2_7151-.Lpost_getpc32247)>>32
	s_setpc_b64 s[14:15]
.LBB2_32247:
	s_getpc_b64 s[14:15]
.Lpost_getpc19707:
	s_add_u32 s14, s14, (.LBB2_7152-.Lpost_getpc19707)&4294967295
	s_addc_u32 s15, s15, (.LBB2_7152-.Lpost_getpc19707)>>32
	s_setpc_b64 s[14:15]
.LBB2_21489:
	s_movk_i32 s4, 0x80
	v_cmp_eq_u16_e32 vcc, s4, v3
	s_mov_b64 s[4:5], -1
                                        ; implicit-def: $sgpr10
	s_and_saveexec_b64 s[8:9], vcc
; %bb.21490:
	s_mov_b32 s10, 0x7f800001
	s_xor_b64 s[4:5], exec, -1
; %bb.21491:
	s_or_b64 exec, exec, s[8:9]
	s_and_b64 s[4:5], s[4:5], exec
                                        ; implicit-def: $vgpr3
	s_or_saveexec_b64 s[6:7], s[6:7]
	v_mov_b32_e32 v2, s10
	s_xor_b64 exec, exec, s[6:7]
	s_cbranch_execnz .LBB2_21492
; %bb.57329:
	s_getpc_b64 s[14:15]
.Lpost_getpc32248:
	s_add_u32 s14, s14, (.LBB2_7154-.Lpost_getpc32248)&4294967295
	s_addc_u32 s15, s15, (.LBB2_7154-.Lpost_getpc32248)>>32
	s_setpc_b64 s[14:15]
.LBB2_21492:
	v_cmp_ne_u16_e32 vcc, 0, v3
	s_andn2_b64 s[4:5], s[4:5], exec
	s_and_b64 s[8:9], vcc, exec
	v_mov_b32_e32 v2, 0
	s_or_b64 s[4:5], s[4:5], s[8:9]
	s_or_b64 exec, exec, s[6:7]
	s_and_saveexec_b64 s[6:7], s[4:5]
	s_cbranch_execz .LBB2_32249
; %bb.57331:
	s_getpc_b64 s[14:15]
.Lpost_getpc32249:
	s_add_u32 s14, s14, (.LBB2_7155-.Lpost_getpc32249)&4294967295
	s_addc_u32 s15, s15, (.LBB2_7155-.Lpost_getpc32249)>>32
	s_setpc_b64 s[14:15]
.LBB2_32249:
	s_getpc_b64 s[14:15]
.Lpost_getpc19708:
	s_add_u32 s14, s14, (.LBB2_7156-.Lpost_getpc19708)&4294967295
	s_addc_u32 s15, s15, (.LBB2_7156-.Lpost_getpc19708)>>32
	s_setpc_b64 s[14:15]
.LBB2_21493:
	s_movk_i32 s4, 0x80
	v_cmp_eq_u16_e32 vcc, s4, v3
	s_mov_b64 s[4:5], -1
                                        ; implicit-def: $sgpr10
	s_and_saveexec_b64 s[8:9], vcc
; %bb.21494:
	s_mov_b32 s10, 0x7f800001
	s_xor_b64 s[4:5], exec, -1
; %bb.21495:
	s_or_b64 exec, exec, s[8:9]
	s_and_b64 s[4:5], s[4:5], exec
                                        ; implicit-def: $vgpr3
	s_or_saveexec_b64 s[6:7], s[6:7]
	v_mov_b32_e32 v4, s10
	s_xor_b64 exec, exec, s[6:7]
	s_cbranch_execnz .LBB2_21496
; %bb.57333:
	s_getpc_b64 s[14:15]
.Lpost_getpc32250:
	s_add_u32 s14, s14, (.LBB2_7158-.Lpost_getpc32250)&4294967295
	s_addc_u32 s15, s15, (.LBB2_7158-.Lpost_getpc32250)>>32
	s_setpc_b64 s[14:15]
.LBB2_21496:
	v_cmp_ne_u16_e32 vcc, 0, v3
	s_andn2_b64 s[4:5], s[4:5], exec
	s_and_b64 s[8:9], vcc, exec
	v_mov_b32_e32 v4, 0
	s_or_b64 s[4:5], s[4:5], s[8:9]
	s_or_b64 exec, exec, s[6:7]
	s_and_saveexec_b64 s[6:7], s[4:5]
	s_cbranch_execz .LBB2_32251
; %bb.57335:
	s_getpc_b64 s[14:15]
.Lpost_getpc32251:
	s_add_u32 s14, s14, (.LBB2_7159-.Lpost_getpc32251)&4294967295
	s_addc_u32 s15, s15, (.LBB2_7159-.Lpost_getpc32251)>>32
	s_setpc_b64 s[14:15]
.LBB2_32251:
	s_getpc_b64 s[14:15]
.Lpost_getpc19709:
	s_add_u32 s14, s14, (.LBB2_7160-.Lpost_getpc19709)&4294967295
	s_addc_u32 s15, s15, (.LBB2_7160-.Lpost_getpc19709)>>32
	s_setpc_b64 s[14:15]
.LBB2_21497:
	s_movk_i32 s4, 0x80
	v_cmp_eq_u16_sdwa s[12:13], v9, s4 src0_sel:BYTE_3 src1_sel:DWORD
	s_mov_b64 s[4:5], -1
                                        ; implicit-def: $sgpr10
	s_and_saveexec_b64 s[8:9], s[12:13]
; %bb.21498:
	s_mov_b32 s10, 0x7f800001
	s_xor_b64 s[4:5], exec, -1
; %bb.21499:
	s_or_b64 exec, exec, s[8:9]
	s_and_b64 s[4:5], s[4:5], exec
	s_or_saveexec_b64 s[6:7], s[6:7]
	v_mov_b32_e32 v2, s10
	s_xor_b64 exec, exec, s[6:7]
	s_cbranch_execnz .LBB2_21500
; %bb.57337:
	s_getpc_b64 s[14:15]
.Lpost_getpc32252:
	s_add_u32 s14, s14, (.LBB2_7162-.Lpost_getpc32252)&4294967295
	s_addc_u32 s15, s15, (.LBB2_7162-.Lpost_getpc32252)>>32
	s_setpc_b64 s[14:15]
.LBB2_21500:
	v_mov_b32_e32 v2, 0
	v_cmp_ne_u16_sdwa s[8:9], v9, v2 src0_sel:BYTE_3 src1_sel:DWORD
	s_andn2_b64 s[4:5], s[4:5], exec
	s_and_b64 s[8:9], s[8:9], exec
	s_or_b64 s[4:5], s[4:5], s[8:9]
	s_or_b64 exec, exec, s[6:7]
	s_and_saveexec_b64 s[6:7], s[4:5]
	s_cbranch_execz .LBB2_32253
; %bb.57339:
	s_getpc_b64 s[14:15]
.Lpost_getpc32253:
	s_add_u32 s14, s14, (.LBB2_7163-.Lpost_getpc32253)&4294967295
	s_addc_u32 s15, s15, (.LBB2_7163-.Lpost_getpc32253)>>32
	s_setpc_b64 s[14:15]
.LBB2_32253:
	s_getpc_b64 s[14:15]
.Lpost_getpc19710:
	s_add_u32 s14, s14, (.LBB2_7164-.Lpost_getpc19710)&4294967295
	s_addc_u32 s15, s15, (.LBB2_7164-.Lpost_getpc19710)>>32
	s_setpc_b64 s[14:15]
.LBB2_21501:
	s_movk_i32 s4, 0x80
	v_cmp_eq_u16_sdwa s[12:13], v5, s4 src0_sel:BYTE_3 src1_sel:DWORD
	s_mov_b64 s[4:5], -1
                                        ; implicit-def: $sgpr10
	s_and_saveexec_b64 s[8:9], s[12:13]
; %bb.21502:
	s_mov_b32 s10, 0x7f800001
	s_xor_b64 s[4:5], exec, -1
; %bb.21503:
	s_or_b64 exec, exec, s[8:9]
	s_and_b64 s[4:5], s[4:5], exec
	s_or_saveexec_b64 s[6:7], s[6:7]
	v_mov_b32_e32 v3, s10
	s_xor_b64 exec, exec, s[6:7]
	s_cbranch_execnz .LBB2_21504
; %bb.57341:
	s_getpc_b64 s[14:15]
.Lpost_getpc32254:
	s_add_u32 s14, s14, (.LBB2_7166-.Lpost_getpc32254)&4294967295
	s_addc_u32 s15, s15, (.LBB2_7166-.Lpost_getpc32254)>>32
	s_setpc_b64 s[14:15]
.LBB2_21504:
	v_mov_b32_e32 v3, 0
	v_cmp_ne_u16_sdwa s[8:9], v5, v3 src0_sel:BYTE_3 src1_sel:DWORD
	s_andn2_b64 s[4:5], s[4:5], exec
	s_and_b64 s[8:9], s[8:9], exec
	s_or_b64 s[4:5], s[4:5], s[8:9]
	s_or_b64 exec, exec, s[6:7]
	s_and_saveexec_b64 s[6:7], s[4:5]
	s_cbranch_execz .LBB2_32255
; %bb.57343:
	s_getpc_b64 s[14:15]
.Lpost_getpc32255:
	s_add_u32 s14, s14, (.LBB2_7167-.Lpost_getpc32255)&4294967295
	s_addc_u32 s15, s15, (.LBB2_7167-.Lpost_getpc32255)>>32
	s_setpc_b64 s[14:15]
.LBB2_32255:
	s_getpc_b64 s[14:15]
.Lpost_getpc19711:
	s_add_u32 s14, s14, (.LBB2_7168-.Lpost_getpc19711)&4294967295
	s_addc_u32 s15, s15, (.LBB2_7168-.Lpost_getpc19711)>>32
	s_setpc_b64 s[14:15]
.LBB2_21505:
	s_movk_i32 s4, 0x80
	v_cmp_eq_u16_sdwa s[12:13], v6, s4 src0_sel:BYTE_0 src1_sel:DWORD
	s_mov_b64 s[4:5], -1
                                        ; implicit-def: $sgpr10
	s_and_saveexec_b64 s[8:9], s[12:13]
; %bb.21506:
	s_mov_b32 s10, 0x7f800001
	s_xor_b64 s[4:5], exec, -1
; %bb.21507:
	s_or_b64 exec, exec, s[8:9]
	s_and_b64 s[4:5], s[4:5], exec
	s_or_saveexec_b64 s[6:7], s[6:7]
	v_mov_b32_e32 v12, s10
	s_xor_b64 exec, exec, s[6:7]
	s_cbranch_execnz .LBB2_21508
; %bb.57345:
	s_getpc_b64 s[14:15]
.Lpost_getpc32256:
	s_add_u32 s14, s14, (.LBB2_7170-.Lpost_getpc32256)&4294967295
	s_addc_u32 s15, s15, (.LBB2_7170-.Lpost_getpc32256)>>32
	s_setpc_b64 s[14:15]
.LBB2_21508:
	v_mov_b32_e32 v12, 0
	v_cmp_ne_u16_sdwa s[8:9], v6, v12 src0_sel:BYTE_0 src1_sel:DWORD
	s_andn2_b64 s[4:5], s[4:5], exec
	s_and_b64 s[8:9], s[8:9], exec
	s_or_b64 s[4:5], s[4:5], s[8:9]
	s_or_b64 exec, exec, s[6:7]
	s_and_saveexec_b64 s[6:7], s[4:5]
	s_cbranch_execz .LBB2_32257
; %bb.57347:
	s_getpc_b64 s[14:15]
.Lpost_getpc32257:
	s_add_u32 s14, s14, (.LBB2_7171-.Lpost_getpc32257)&4294967295
	s_addc_u32 s15, s15, (.LBB2_7171-.Lpost_getpc32257)>>32
	s_setpc_b64 s[14:15]
.LBB2_32257:
	s_getpc_b64 s[14:15]
.Lpost_getpc19712:
	s_add_u32 s14, s14, (.LBB2_7172-.Lpost_getpc19712)&4294967295
	s_addc_u32 s15, s15, (.LBB2_7172-.Lpost_getpc19712)>>32
	s_setpc_b64 s[14:15]
.LBB2_21509:
	s_movk_i32 s4, 0x80
	v_cmp_eq_u16_sdwa s[12:13], v2, s4 src0_sel:BYTE_0 src1_sel:DWORD
	s_mov_b64 s[4:5], -1
                                        ; implicit-def: $sgpr10
	s_and_saveexec_b64 s[8:9], s[12:13]
; %bb.21510:
	s_mov_b32 s10, 0x7f800001
	s_xor_b64 s[4:5], exec, -1
; %bb.21511:
	s_or_b64 exec, exec, s[8:9]
	s_and_b64 s[4:5], s[4:5], exec
	s_or_saveexec_b64 s[6:7], s[6:7]
	v_mov_b32_e32 v13, s10
	s_xor_b64 exec, exec, s[6:7]
	s_cbranch_execnz .LBB2_21512
; %bb.57349:
	s_getpc_b64 s[14:15]
.Lpost_getpc32258:
	s_add_u32 s14, s14, (.LBB2_7174-.Lpost_getpc32258)&4294967295
	s_addc_u32 s15, s15, (.LBB2_7174-.Lpost_getpc32258)>>32
	s_setpc_b64 s[14:15]
.LBB2_21512:
	v_mov_b32_e32 v13, 0
	v_cmp_ne_u16_sdwa s[8:9], v2, v13 src0_sel:BYTE_0 src1_sel:DWORD
	s_andn2_b64 s[4:5], s[4:5], exec
	s_and_b64 s[8:9], s[8:9], exec
	s_or_b64 s[4:5], s[4:5], s[8:9]
	s_or_b64 exec, exec, s[6:7]
	s_and_saveexec_b64 s[6:7], s[4:5]
	s_cbranch_execz .LBB2_32259
; %bb.57351:
	s_getpc_b64 s[14:15]
.Lpost_getpc32259:
	s_add_u32 s14, s14, (.LBB2_7175-.Lpost_getpc32259)&4294967295
	s_addc_u32 s15, s15, (.LBB2_7175-.Lpost_getpc32259)>>32
	s_setpc_b64 s[14:15]
.LBB2_32259:
	s_getpc_b64 s[14:15]
.Lpost_getpc19713:
	s_add_u32 s14, s14, (.LBB2_7176-.Lpost_getpc19713)&4294967295
	s_addc_u32 s15, s15, (.LBB2_7176-.Lpost_getpc19713)>>32
	s_setpc_b64 s[14:15]
.LBB2_21513:
	s_movk_i32 s4, 0x80
	v_cmp_eq_u16_sdwa s[12:13], v13, s4 src0_sel:BYTE_0 src1_sel:DWORD
	s_mov_b64 s[4:5], -1
                                        ; implicit-def: $sgpr10
	s_and_saveexec_b64 s[8:9], s[12:13]
; %bb.21514:
	s_mov_b32 s10, 0x7f800001
	s_xor_b64 s[4:5], exec, -1
; %bb.21515:
	s_or_b64 exec, exec, s[8:9]
	s_and_b64 s[4:5], s[4:5], exec
	s_or_saveexec_b64 s[6:7], s[6:7]
	v_mov_b32_e32 v12, s10
	s_xor_b64 exec, exec, s[6:7]
	s_cbranch_execnz .LBB2_21516
; %bb.57353:
	s_getpc_b64 s[14:15]
.Lpost_getpc32260:
	s_add_u32 s14, s14, (.LBB2_7178-.Lpost_getpc32260)&4294967295
	s_addc_u32 s15, s15, (.LBB2_7178-.Lpost_getpc32260)>>32
	s_setpc_b64 s[14:15]
.LBB2_21516:
	v_mov_b32_e32 v12, 0
	v_cmp_ne_u16_sdwa s[8:9], v13, v12 src0_sel:BYTE_0 src1_sel:DWORD
	s_andn2_b64 s[4:5], s[4:5], exec
	s_and_b64 s[8:9], s[8:9], exec
	s_or_b64 s[4:5], s[4:5], s[8:9]
	s_or_b64 exec, exec, s[6:7]
	s_and_saveexec_b64 s[6:7], s[4:5]
	s_cbranch_execz .LBB2_32261
; %bb.57355:
	s_getpc_b64 s[14:15]
.Lpost_getpc32261:
	s_add_u32 s14, s14, (.LBB2_7179-.Lpost_getpc32261)&4294967295
	s_addc_u32 s15, s15, (.LBB2_7179-.Lpost_getpc32261)>>32
	s_setpc_b64 s[14:15]
.LBB2_32261:
	s_getpc_b64 s[14:15]
.Lpost_getpc19714:
	s_add_u32 s14, s14, (.LBB2_7180-.Lpost_getpc19714)&4294967295
	s_addc_u32 s15, s15, (.LBB2_7180-.Lpost_getpc19714)>>32
	s_setpc_b64 s[14:15]
.LBB2_21517:
	s_movk_i32 s4, 0x80
	v_cmp_eq_u16_sdwa s[12:13], v13, s4 src0_sel:BYTE_0 src1_sel:DWORD
	s_mov_b64 s[4:5], -1
                                        ; implicit-def: $sgpr10
	s_and_saveexec_b64 s[8:9], s[12:13]
; %bb.21518:
	s_mov_b32 s10, 0x7f800001
	s_xor_b64 s[4:5], exec, -1
; %bb.21519:
	s_or_b64 exec, exec, s[8:9]
	s_and_b64 s[4:5], s[4:5], exec
	s_or_saveexec_b64 s[6:7], s[6:7]
	v_mov_b32_e32 v14, s10
	s_xor_b64 exec, exec, s[6:7]
	s_cbranch_execnz .LBB2_21520
; %bb.57357:
	s_getpc_b64 s[14:15]
.Lpost_getpc32262:
	s_add_u32 s14, s14, (.LBB2_7182-.Lpost_getpc32262)&4294967295
	s_addc_u32 s15, s15, (.LBB2_7182-.Lpost_getpc32262)>>32
	s_setpc_b64 s[14:15]
.LBB2_21520:
	v_mov_b32_e32 v14, 0
	v_cmp_ne_u16_sdwa s[8:9], v13, v14 src0_sel:BYTE_0 src1_sel:DWORD
	s_andn2_b64 s[4:5], s[4:5], exec
	s_and_b64 s[8:9], s[8:9], exec
	s_or_b64 s[4:5], s[4:5], s[8:9]
	s_or_b64 exec, exec, s[6:7]
	s_and_saveexec_b64 s[6:7], s[4:5]
	s_cbranch_execz .LBB2_32263
; %bb.57359:
	s_getpc_b64 s[14:15]
.Lpost_getpc32263:
	s_add_u32 s14, s14, (.LBB2_7183-.Lpost_getpc32263)&4294967295
	s_addc_u32 s15, s15, (.LBB2_7183-.Lpost_getpc32263)>>32
	s_setpc_b64 s[14:15]
.LBB2_32263:
	s_getpc_b64 s[14:15]
.Lpost_getpc19715:
	s_add_u32 s14, s14, (.LBB2_7184-.Lpost_getpc19715)&4294967295
	s_addc_u32 s15, s15, (.LBB2_7184-.Lpost_getpc19715)>>32
	s_setpc_b64 s[14:15]
.LBB2_21521:
	s_movk_i32 s4, 0x80
	v_cmp_eq_u16_e32 vcc, s4, v13
	s_mov_b64 s[4:5], -1
                                        ; implicit-def: $sgpr10
	s_and_saveexec_b64 s[8:9], vcc
; %bb.21522:
	s_mov_b32 s10, 0x7f800001
	s_xor_b64 s[4:5], exec, -1
; %bb.21523:
	s_or_b64 exec, exec, s[8:9]
	s_and_b64 s[4:5], s[4:5], exec
                                        ; implicit-def: $vgpr13
	s_or_saveexec_b64 s[6:7], s[6:7]
	v_mov_b32_e32 v12, s10
	s_xor_b64 exec, exec, s[6:7]
	s_cbranch_execnz .LBB2_21524
; %bb.57361:
	s_getpc_b64 s[14:15]
.Lpost_getpc32264:
	s_add_u32 s14, s14, (.LBB2_7186-.Lpost_getpc32264)&4294967295
	s_addc_u32 s15, s15, (.LBB2_7186-.Lpost_getpc32264)>>32
	s_setpc_b64 s[14:15]
.LBB2_21524:
	v_cmp_ne_u16_e32 vcc, 0, v13
	s_andn2_b64 s[4:5], s[4:5], exec
	s_and_b64 s[8:9], vcc, exec
	v_mov_b32_e32 v12, 0
	s_or_b64 s[4:5], s[4:5], s[8:9]
	s_or_b64 exec, exec, s[6:7]
	s_and_saveexec_b64 s[6:7], s[4:5]
	s_cbranch_execz .LBB2_32265
; %bb.57363:
	s_getpc_b64 s[14:15]
.Lpost_getpc32265:
	s_add_u32 s14, s14, (.LBB2_7187-.Lpost_getpc32265)&4294967295
	s_addc_u32 s15, s15, (.LBB2_7187-.Lpost_getpc32265)>>32
	s_setpc_b64 s[14:15]
.LBB2_32265:
	s_getpc_b64 s[14:15]
.Lpost_getpc19716:
	s_add_u32 s14, s14, (.LBB2_7188-.Lpost_getpc19716)&4294967295
	s_addc_u32 s15, s15, (.LBB2_7188-.Lpost_getpc19716)>>32
	s_setpc_b64 s[14:15]
.LBB2_21525:
	s_movk_i32 s4, 0x80
	v_cmp_eq_u16_e32 vcc, s4, v13
	s_mov_b64 s[4:5], -1
                                        ; implicit-def: $sgpr10
	s_and_saveexec_b64 s[8:9], vcc
; %bb.21526:
	s_mov_b32 s10, 0x7f800001
	s_xor_b64 s[4:5], exec, -1
; %bb.21527:
	s_or_b64 exec, exec, s[8:9]
	s_and_b64 s[4:5], s[4:5], exec
                                        ; implicit-def: $vgpr13
	s_or_saveexec_b64 s[6:7], s[6:7]
	v_mov_b32_e32 v14, s10
	s_xor_b64 exec, exec, s[6:7]
	s_cbranch_execnz .LBB2_21528
; %bb.57365:
	s_getpc_b64 s[14:15]
.Lpost_getpc32266:
	s_add_u32 s14, s14, (.LBB2_7190-.Lpost_getpc32266)&4294967295
	s_addc_u32 s15, s15, (.LBB2_7190-.Lpost_getpc32266)>>32
	s_setpc_b64 s[14:15]
.LBB2_21528:
	v_cmp_ne_u16_e32 vcc, 0, v13
	s_andn2_b64 s[4:5], s[4:5], exec
	s_and_b64 s[8:9], vcc, exec
	v_mov_b32_e32 v14, 0
	s_or_b64 s[4:5], s[4:5], s[8:9]
	s_or_b64 exec, exec, s[6:7]
	s_and_saveexec_b64 s[6:7], s[4:5]
	s_cbranch_execz .LBB2_32267
; %bb.57367:
	s_getpc_b64 s[14:15]
.Lpost_getpc32267:
	s_add_u32 s14, s14, (.LBB2_7191-.Lpost_getpc32267)&4294967295
	s_addc_u32 s15, s15, (.LBB2_7191-.Lpost_getpc32267)>>32
	s_setpc_b64 s[14:15]
.LBB2_32267:
	s_getpc_b64 s[14:15]
.Lpost_getpc19717:
	s_add_u32 s14, s14, (.LBB2_7192-.Lpost_getpc19717)&4294967295
	s_addc_u32 s15, s15, (.LBB2_7192-.Lpost_getpc19717)>>32
	s_setpc_b64 s[14:15]
.LBB2_21529:
	s_movk_i32 s4, 0x80
	v_cmp_eq_u16_sdwa s[12:13], v6, s4 src0_sel:BYTE_3 src1_sel:DWORD
	s_mov_b64 s[4:5], -1
                                        ; implicit-def: $sgpr10
	s_and_saveexec_b64 s[8:9], s[12:13]
; %bb.21530:
	s_mov_b32 s10, 0x7f800001
	s_xor_b64 s[4:5], exec, -1
; %bb.21531:
	s_or_b64 exec, exec, s[8:9]
	s_and_b64 s[4:5], s[4:5], exec
	s_or_saveexec_b64 s[6:7], s[6:7]
	v_mov_b32_e32 v12, s10
	s_xor_b64 exec, exec, s[6:7]
	s_cbranch_execnz .LBB2_21532
; %bb.57369:
	s_getpc_b64 s[14:15]
.Lpost_getpc32268:
	s_add_u32 s14, s14, (.LBB2_7194-.Lpost_getpc32268)&4294967295
	s_addc_u32 s15, s15, (.LBB2_7194-.Lpost_getpc32268)>>32
	s_setpc_b64 s[14:15]
.LBB2_21532:
	v_mov_b32_e32 v12, 0
	v_cmp_ne_u16_sdwa s[8:9], v6, v12 src0_sel:BYTE_3 src1_sel:DWORD
	s_andn2_b64 s[4:5], s[4:5], exec
	s_and_b64 s[8:9], s[8:9], exec
	s_or_b64 s[4:5], s[4:5], s[8:9]
	s_or_b64 exec, exec, s[6:7]
	s_and_saveexec_b64 s[6:7], s[4:5]
	s_cbranch_execz .LBB2_32269
; %bb.57371:
	s_getpc_b64 s[14:15]
.Lpost_getpc32269:
	s_add_u32 s14, s14, (.LBB2_7195-.Lpost_getpc32269)&4294967295
	s_addc_u32 s15, s15, (.LBB2_7195-.Lpost_getpc32269)>>32
	s_setpc_b64 s[14:15]
.LBB2_32269:
	s_getpc_b64 s[14:15]
.Lpost_getpc19718:
	s_add_u32 s14, s14, (.LBB2_7196-.Lpost_getpc19718)&4294967295
	s_addc_u32 s15, s15, (.LBB2_7196-.Lpost_getpc19718)>>32
	s_setpc_b64 s[14:15]
.LBB2_21533:
	s_movk_i32 s4, 0x80
	v_cmp_eq_u16_sdwa s[12:13], v2, s4 src0_sel:BYTE_3 src1_sel:DWORD
	s_mov_b64 s[4:5], -1
                                        ; implicit-def: $sgpr10
	s_and_saveexec_b64 s[8:9], s[12:13]
; %bb.21534:
	s_mov_b32 s10, 0x7f800001
	s_xor_b64 s[4:5], exec, -1
; %bb.21535:
	s_or_b64 exec, exec, s[8:9]
	s_and_b64 s[4:5], s[4:5], exec
	s_or_saveexec_b64 s[6:7], s[6:7]
	v_mov_b32_e32 v6, s10
	s_xor_b64 exec, exec, s[6:7]
	s_cbranch_execnz .LBB2_21536
; %bb.57373:
	s_getpc_b64 s[14:15]
.Lpost_getpc32270:
	s_add_u32 s14, s14, (.LBB2_7198-.Lpost_getpc32270)&4294967295
	s_addc_u32 s15, s15, (.LBB2_7198-.Lpost_getpc32270)>>32
	s_setpc_b64 s[14:15]
.LBB2_21536:
	v_mov_b32_e32 v6, 0
	v_cmp_ne_u16_sdwa s[8:9], v2, v6 src0_sel:BYTE_3 src1_sel:DWORD
	s_andn2_b64 s[4:5], s[4:5], exec
	s_and_b64 s[8:9], s[8:9], exec
	s_or_b64 s[4:5], s[4:5], s[8:9]
	s_or_b64 exec, exec, s[6:7]
	s_and_saveexec_b64 s[6:7], s[4:5]
	s_cbranch_execz .LBB2_32271
; %bb.57375:
	s_getpc_b64 s[14:15]
.Lpost_getpc32271:
	s_add_u32 s14, s14, (.LBB2_7199-.Lpost_getpc32271)&4294967295
	s_addc_u32 s15, s15, (.LBB2_7199-.Lpost_getpc32271)>>32
	s_setpc_b64 s[14:15]
.LBB2_32271:
	s_getpc_b64 s[14:15]
.Lpost_getpc19719:
	s_add_u32 s14, s14, (.LBB2_7200-.Lpost_getpc19719)&4294967295
	s_addc_u32 s15, s15, (.LBB2_7200-.Lpost_getpc19719)>>32
	s_setpc_b64 s[14:15]
.LBB2_21537:
	s_movk_i32 s4, 0x80
	v_cmp_eq_u16_sdwa s[12:13], v7, s4 src0_sel:BYTE_0 src1_sel:DWORD
	s_mov_b64 s[4:5], -1
                                        ; implicit-def: $sgpr10
	s_and_saveexec_b64 s[8:9], s[12:13]
; %bb.21538:
	s_mov_b32 s10, 0x7f800001
	s_xor_b64 s[4:5], exec, -1
; %bb.21539:
	s_or_b64 exec, exec, s[8:9]
	s_and_b64 s[4:5], s[4:5], exec
	s_or_saveexec_b64 s[6:7], s[6:7]
	v_mov_b32_e32 v2, s10
	s_xor_b64 exec, exec, s[6:7]
	s_cbranch_execnz .LBB2_21540
; %bb.57377:
	s_getpc_b64 s[14:15]
.Lpost_getpc32272:
	s_add_u32 s14, s14, (.LBB2_7202-.Lpost_getpc32272)&4294967295
	s_addc_u32 s15, s15, (.LBB2_7202-.Lpost_getpc32272)>>32
	s_setpc_b64 s[14:15]
.LBB2_21540:
	v_mov_b32_e32 v2, 0
	v_cmp_ne_u16_sdwa s[8:9], v7, v2 src0_sel:BYTE_0 src1_sel:DWORD
	s_andn2_b64 s[4:5], s[4:5], exec
	s_and_b64 s[8:9], s[8:9], exec
	s_or_b64 s[4:5], s[4:5], s[8:9]
	s_or_b64 exec, exec, s[6:7]
	s_and_saveexec_b64 s[6:7], s[4:5]
	s_cbranch_execz .LBB2_32273
; %bb.57379:
	s_getpc_b64 s[14:15]
.Lpost_getpc32273:
	s_add_u32 s14, s14, (.LBB2_7203-.Lpost_getpc32273)&4294967295
	s_addc_u32 s15, s15, (.LBB2_7203-.Lpost_getpc32273)>>32
	s_setpc_b64 s[14:15]
.LBB2_32273:
	s_getpc_b64 s[14:15]
.Lpost_getpc19720:
	s_add_u32 s14, s14, (.LBB2_7204-.Lpost_getpc19720)&4294967295
	s_addc_u32 s15, s15, (.LBB2_7204-.Lpost_getpc19720)>>32
	s_setpc_b64 s[14:15]
.LBB2_21541:
	s_movk_i32 s4, 0x80
	v_cmp_eq_u16_sdwa s[12:13], v3, s4 src0_sel:BYTE_0 src1_sel:DWORD
	s_mov_b64 s[4:5], -1
                                        ; implicit-def: $sgpr10
	s_and_saveexec_b64 s[8:9], s[12:13]
; %bb.21542:
	s_mov_b32 s10, 0x7f800001
	s_xor_b64 s[4:5], exec, -1
; %bb.21543:
	s_or_b64 exec, exec, s[8:9]
	s_and_b64 s[4:5], s[4:5], exec
	s_or_saveexec_b64 s[6:7], s[6:7]
	v_mov_b32_e32 v6, s10
	s_xor_b64 exec, exec, s[6:7]
	s_cbranch_execnz .LBB2_21544
; %bb.57381:
	s_getpc_b64 s[14:15]
.Lpost_getpc32274:
	s_add_u32 s14, s14, (.LBB2_7206-.Lpost_getpc32274)&4294967295
	s_addc_u32 s15, s15, (.LBB2_7206-.Lpost_getpc32274)>>32
	s_setpc_b64 s[14:15]
.LBB2_21544:
	v_mov_b32_e32 v6, 0
	v_cmp_ne_u16_sdwa s[8:9], v3, v6 src0_sel:BYTE_0 src1_sel:DWORD
	s_andn2_b64 s[4:5], s[4:5], exec
	s_and_b64 s[8:9], s[8:9], exec
	s_or_b64 s[4:5], s[4:5], s[8:9]
	s_or_b64 exec, exec, s[6:7]
	s_and_saveexec_b64 s[6:7], s[4:5]
	s_cbranch_execz .LBB2_32275
; %bb.57383:
	s_getpc_b64 s[14:15]
.Lpost_getpc32275:
	s_add_u32 s14, s14, (.LBB2_7207-.Lpost_getpc32275)&4294967295
	s_addc_u32 s15, s15, (.LBB2_7207-.Lpost_getpc32275)>>32
	s_setpc_b64 s[14:15]
.LBB2_32275:
	s_getpc_b64 s[14:15]
.Lpost_getpc19721:
	s_add_u32 s14, s14, (.LBB2_7208-.Lpost_getpc19721)&4294967295
	s_addc_u32 s15, s15, (.LBB2_7208-.Lpost_getpc19721)>>32
	s_setpc_b64 s[14:15]
.LBB2_21545:
	s_movk_i32 s4, 0x80
	v_cmp_eq_u16_sdwa s[12:13], v6, s4 src0_sel:BYTE_0 src1_sel:DWORD
	s_mov_b64 s[4:5], -1
                                        ; implicit-def: $sgpr10
	s_and_saveexec_b64 s[8:9], s[12:13]
; %bb.21546:
	s_mov_b32 s10, 0x7f800001
	s_xor_b64 s[4:5], exec, -1
; %bb.21547:
	s_or_b64 exec, exec, s[8:9]
	s_and_b64 s[4:5], s[4:5], exec
	s_or_saveexec_b64 s[6:7], s[6:7]
	v_mov_b32_e32 v2, s10
	s_xor_b64 exec, exec, s[6:7]
	s_cbranch_execnz .LBB2_21548
; %bb.57385:
	s_getpc_b64 s[14:15]
.Lpost_getpc32276:
	s_add_u32 s14, s14, (.LBB2_7210-.Lpost_getpc32276)&4294967295
	s_addc_u32 s15, s15, (.LBB2_7210-.Lpost_getpc32276)>>32
	s_setpc_b64 s[14:15]
.LBB2_21548:
	v_mov_b32_e32 v2, 0
	v_cmp_ne_u16_sdwa s[8:9], v6, v2 src0_sel:BYTE_0 src1_sel:DWORD
	s_andn2_b64 s[4:5], s[4:5], exec
	s_and_b64 s[8:9], s[8:9], exec
	s_or_b64 s[4:5], s[4:5], s[8:9]
	s_or_b64 exec, exec, s[6:7]
	s_and_saveexec_b64 s[6:7], s[4:5]
	s_cbranch_execz .LBB2_32277
; %bb.57387:
	s_getpc_b64 s[14:15]
.Lpost_getpc32277:
	s_add_u32 s14, s14, (.LBB2_7211-.Lpost_getpc32277)&4294967295
	s_addc_u32 s15, s15, (.LBB2_7211-.Lpost_getpc32277)>>32
	s_setpc_b64 s[14:15]
.LBB2_32277:
	s_getpc_b64 s[14:15]
.Lpost_getpc19722:
	s_add_u32 s14, s14, (.LBB2_7212-.Lpost_getpc19722)&4294967295
	s_addc_u32 s15, s15, (.LBB2_7212-.Lpost_getpc19722)>>32
	s_setpc_b64 s[14:15]
.LBB2_21549:
	s_movk_i32 s4, 0x80
	v_cmp_eq_u16_sdwa s[12:13], v6, s4 src0_sel:BYTE_0 src1_sel:DWORD
	s_mov_b64 s[4:5], -1
                                        ; implicit-def: $sgpr10
	s_and_saveexec_b64 s[8:9], s[12:13]
; %bb.21550:
	s_mov_b32 s10, 0x7f800001
	s_xor_b64 s[4:5], exec, -1
; %bb.21551:
	s_or_b64 exec, exec, s[8:9]
	s_and_b64 s[4:5], s[4:5], exec
	s_or_saveexec_b64 s[6:7], s[6:7]
	v_mov_b32_e32 v12, s10
	s_xor_b64 exec, exec, s[6:7]
	s_cbranch_execnz .LBB2_21552
; %bb.57389:
	s_getpc_b64 s[14:15]
.Lpost_getpc32278:
	s_add_u32 s14, s14, (.LBB2_7214-.Lpost_getpc32278)&4294967295
	s_addc_u32 s15, s15, (.LBB2_7214-.Lpost_getpc32278)>>32
	s_setpc_b64 s[14:15]
.LBB2_21552:
	v_mov_b32_e32 v12, 0
	v_cmp_ne_u16_sdwa s[8:9], v6, v12 src0_sel:BYTE_0 src1_sel:DWORD
	s_andn2_b64 s[4:5], s[4:5], exec
	s_and_b64 s[8:9], s[8:9], exec
	s_or_b64 s[4:5], s[4:5], s[8:9]
	s_or_b64 exec, exec, s[6:7]
	s_and_saveexec_b64 s[6:7], s[4:5]
	s_cbranch_execz .LBB2_32279
; %bb.57391:
	s_getpc_b64 s[14:15]
.Lpost_getpc32279:
	s_add_u32 s14, s14, (.LBB2_7215-.Lpost_getpc32279)&4294967295
	s_addc_u32 s15, s15, (.LBB2_7215-.Lpost_getpc32279)>>32
	s_setpc_b64 s[14:15]
.LBB2_32279:
	s_getpc_b64 s[14:15]
.Lpost_getpc19723:
	s_add_u32 s14, s14, (.LBB2_7216-.Lpost_getpc19723)&4294967295
	s_addc_u32 s15, s15, (.LBB2_7216-.Lpost_getpc19723)>>32
	s_setpc_b64 s[14:15]
.LBB2_21553:
	s_movk_i32 s4, 0x80
	v_cmp_eq_u16_e32 vcc, s4, v6
	s_mov_b64 s[4:5], -1
                                        ; implicit-def: $sgpr10
	s_and_saveexec_b64 s[8:9], vcc
; %bb.21554:
	s_mov_b32 s10, 0x7f800001
	s_xor_b64 s[4:5], exec, -1
; %bb.21555:
	s_or_b64 exec, exec, s[8:9]
	s_and_b64 s[4:5], s[4:5], exec
                                        ; implicit-def: $vgpr6
	s_or_saveexec_b64 s[6:7], s[6:7]
	v_mov_b32_e32 v2, s10
	s_xor_b64 exec, exec, s[6:7]
	s_cbranch_execnz .LBB2_21556
; %bb.57393:
	s_getpc_b64 s[14:15]
.Lpost_getpc32280:
	s_add_u32 s14, s14, (.LBB2_7218-.Lpost_getpc32280)&4294967295
	s_addc_u32 s15, s15, (.LBB2_7218-.Lpost_getpc32280)>>32
	s_setpc_b64 s[14:15]
.LBB2_21556:
	v_cmp_ne_u16_e32 vcc, 0, v6
	s_andn2_b64 s[4:5], s[4:5], exec
	s_and_b64 s[8:9], vcc, exec
	v_mov_b32_e32 v2, 0
	s_or_b64 s[4:5], s[4:5], s[8:9]
	s_or_b64 exec, exec, s[6:7]
	s_and_saveexec_b64 s[6:7], s[4:5]
	s_cbranch_execz .LBB2_32281
; %bb.57395:
	s_getpc_b64 s[14:15]
.Lpost_getpc32281:
	s_add_u32 s14, s14, (.LBB2_7219-.Lpost_getpc32281)&4294967295
	s_addc_u32 s15, s15, (.LBB2_7219-.Lpost_getpc32281)>>32
	s_setpc_b64 s[14:15]
.LBB2_32281:
	s_getpc_b64 s[14:15]
.Lpost_getpc19724:
	s_add_u32 s14, s14, (.LBB2_7220-.Lpost_getpc19724)&4294967295
	s_addc_u32 s15, s15, (.LBB2_7220-.Lpost_getpc19724)>>32
	s_setpc_b64 s[14:15]
.LBB2_21557:
	s_movk_i32 s4, 0x80
	v_cmp_eq_u16_e32 vcc, s4, v6
	s_mov_b64 s[4:5], -1
                                        ; implicit-def: $sgpr10
	s_and_saveexec_b64 s[8:9], vcc
; %bb.21558:
	s_mov_b32 s10, 0x7f800001
	s_xor_b64 s[4:5], exec, -1
; %bb.21559:
	s_or_b64 exec, exec, s[8:9]
	s_and_b64 s[4:5], s[4:5], exec
                                        ; implicit-def: $vgpr6
	s_or_saveexec_b64 s[6:7], s[6:7]
	v_mov_b32_e32 v12, s10
	s_xor_b64 exec, exec, s[6:7]
	s_cbranch_execnz .LBB2_21560
; %bb.57397:
	s_getpc_b64 s[14:15]
.Lpost_getpc32282:
	s_add_u32 s14, s14, (.LBB2_7222-.Lpost_getpc32282)&4294967295
	s_addc_u32 s15, s15, (.LBB2_7222-.Lpost_getpc32282)>>32
	s_setpc_b64 s[14:15]
.LBB2_21560:
	v_cmp_ne_u16_e32 vcc, 0, v6
	s_andn2_b64 s[4:5], s[4:5], exec
	s_and_b64 s[8:9], vcc, exec
	v_mov_b32_e32 v12, 0
	s_or_b64 s[4:5], s[4:5], s[8:9]
	s_or_b64 exec, exec, s[6:7]
	s_and_saveexec_b64 s[6:7], s[4:5]
	s_cbranch_execz .LBB2_32283
; %bb.57399:
	s_getpc_b64 s[14:15]
.Lpost_getpc32283:
	s_add_u32 s14, s14, (.LBB2_7223-.Lpost_getpc32283)&4294967295
	s_addc_u32 s15, s15, (.LBB2_7223-.Lpost_getpc32283)>>32
	s_setpc_b64 s[14:15]
.LBB2_32283:
	s_getpc_b64 s[14:15]
.Lpost_getpc19725:
	s_add_u32 s14, s14, (.LBB2_7224-.Lpost_getpc19725)&4294967295
	s_addc_u32 s15, s15, (.LBB2_7224-.Lpost_getpc19725)>>32
	s_setpc_b64 s[14:15]
.LBB2_21561:
	s_movk_i32 s4, 0x80
	v_cmp_eq_u16_sdwa s[12:13], v7, s4 src0_sel:BYTE_3 src1_sel:DWORD
	s_mov_b64 s[4:5], -1
                                        ; implicit-def: $sgpr10
	s_and_saveexec_b64 s[8:9], s[12:13]
; %bb.21562:
	s_mov_b32 s10, 0x7f800001
	s_xor_b64 s[4:5], exec, -1
; %bb.21563:
	s_or_b64 exec, exec, s[8:9]
	s_and_b64 s[4:5], s[4:5], exec
	s_or_saveexec_b64 s[6:7], s[6:7]
	v_mov_b32_e32 v2, s10
	s_xor_b64 exec, exec, s[6:7]
	s_cbranch_execnz .LBB2_21564
; %bb.57401:
	s_getpc_b64 s[14:15]
.Lpost_getpc32284:
	s_add_u32 s14, s14, (.LBB2_7226-.Lpost_getpc32284)&4294967295
	s_addc_u32 s15, s15, (.LBB2_7226-.Lpost_getpc32284)>>32
	s_setpc_b64 s[14:15]
.LBB2_21564:
	v_mov_b32_e32 v2, 0
	v_cmp_ne_u16_sdwa s[8:9], v7, v2 src0_sel:BYTE_3 src1_sel:DWORD
	s_andn2_b64 s[4:5], s[4:5], exec
	s_and_b64 s[8:9], s[8:9], exec
	s_or_b64 s[4:5], s[4:5], s[8:9]
	s_or_b64 exec, exec, s[6:7]
	s_and_saveexec_b64 s[6:7], s[4:5]
	s_cbranch_execz .LBB2_32285
; %bb.57403:
	s_getpc_b64 s[14:15]
.Lpost_getpc32285:
	s_add_u32 s14, s14, (.LBB2_7227-.Lpost_getpc32285)&4294967295
	s_addc_u32 s15, s15, (.LBB2_7227-.Lpost_getpc32285)>>32
	s_setpc_b64 s[14:15]
.LBB2_32285:
	s_getpc_b64 s[14:15]
.Lpost_getpc19726:
	s_add_u32 s14, s14, (.LBB2_7228-.Lpost_getpc19726)&4294967295
	s_addc_u32 s15, s15, (.LBB2_7228-.Lpost_getpc19726)>>32
	s_setpc_b64 s[14:15]
.LBB2_21565:
	s_movk_i32 s4, 0x80
	v_cmp_eq_u16_sdwa s[12:13], v3, s4 src0_sel:BYTE_3 src1_sel:DWORD
	s_mov_b64 s[4:5], -1
                                        ; implicit-def: $sgpr10
	s_and_saveexec_b64 s[8:9], s[12:13]
; %bb.21566:
	s_mov_b32 s10, 0x7f800001
	s_xor_b64 s[4:5], exec, -1
; %bb.21567:
	s_or_b64 exec, exec, s[8:9]
	s_and_b64 s[4:5], s[4:5], exec
	s_or_saveexec_b64 s[6:7], s[6:7]
	v_mov_b32_e32 v6, s10
	s_xor_b64 exec, exec, s[6:7]
	s_cbranch_execnz .LBB2_21568
; %bb.57405:
	s_getpc_b64 s[14:15]
.Lpost_getpc32286:
	s_add_u32 s14, s14, (.LBB2_7230-.Lpost_getpc32286)&4294967295
	s_addc_u32 s15, s15, (.LBB2_7230-.Lpost_getpc32286)>>32
	s_setpc_b64 s[14:15]
.LBB2_21568:
	v_mov_b32_e32 v6, 0
	v_cmp_ne_u16_sdwa s[8:9], v3, v6 src0_sel:BYTE_3 src1_sel:DWORD
	s_andn2_b64 s[4:5], s[4:5], exec
	s_and_b64 s[8:9], s[8:9], exec
	s_or_b64 s[4:5], s[4:5], s[8:9]
	s_or_b64 exec, exec, s[6:7]
	s_and_saveexec_b64 s[6:7], s[4:5]
	s_cbranch_execz .LBB2_32287
; %bb.57407:
	s_getpc_b64 s[14:15]
.Lpost_getpc32287:
	s_add_u32 s14, s14, (.LBB2_7231-.Lpost_getpc32287)&4294967295
	s_addc_u32 s15, s15, (.LBB2_7231-.Lpost_getpc32287)>>32
	s_setpc_b64 s[14:15]
.LBB2_32287:
	s_getpc_b64 s[14:15]
.Lpost_getpc19727:
	s_add_u32 s14, s14, (.LBB2_7232-.Lpost_getpc19727)&4294967295
	s_addc_u32 s15, s15, (.LBB2_7232-.Lpost_getpc19727)>>32
	s_setpc_b64 s[14:15]
.LBB2_21569:
	s_movk_i32 s4, 0x80
	v_cmp_eq_u16_sdwa s[12:13], v8, s4 src0_sel:BYTE_0 src1_sel:DWORD
	s_mov_b64 s[4:5], -1
                                        ; implicit-def: $sgpr10
	s_and_saveexec_b64 s[8:9], s[12:13]
; %bb.21570:
	s_mov_b32 s10, 0x7f800001
	s_xor_b64 s[4:5], exec, -1
; %bb.21571:
	s_or_b64 exec, exec, s[8:9]
	s_and_b64 s[4:5], s[4:5], exec
	s_or_saveexec_b64 s[6:7], s[6:7]
	v_mov_b32_e32 v2, s10
	s_xor_b64 exec, exec, s[6:7]
	s_cbranch_execnz .LBB2_21572
; %bb.57409:
	s_getpc_b64 s[14:15]
.Lpost_getpc32288:
	s_add_u32 s14, s14, (.LBB2_7234-.Lpost_getpc32288)&4294967295
	s_addc_u32 s15, s15, (.LBB2_7234-.Lpost_getpc32288)>>32
	s_setpc_b64 s[14:15]
.LBB2_21572:
	v_mov_b32_e32 v2, 0
	v_cmp_ne_u16_sdwa s[8:9], v8, v2 src0_sel:BYTE_0 src1_sel:DWORD
	s_andn2_b64 s[4:5], s[4:5], exec
	s_and_b64 s[8:9], s[8:9], exec
	s_or_b64 s[4:5], s[4:5], s[8:9]
	s_or_b64 exec, exec, s[6:7]
	s_and_saveexec_b64 s[6:7], s[4:5]
	s_cbranch_execz .LBB2_32289
; %bb.57411:
	s_getpc_b64 s[14:15]
.Lpost_getpc32289:
	s_add_u32 s14, s14, (.LBB2_7235-.Lpost_getpc32289)&4294967295
	s_addc_u32 s15, s15, (.LBB2_7235-.Lpost_getpc32289)>>32
	s_setpc_b64 s[14:15]
.LBB2_32289:
	s_getpc_b64 s[14:15]
.Lpost_getpc19728:
	s_add_u32 s14, s14, (.LBB2_7236-.Lpost_getpc19728)&4294967295
	s_addc_u32 s15, s15, (.LBB2_7236-.Lpost_getpc19728)>>32
	s_setpc_b64 s[14:15]
.LBB2_21573:
	s_movk_i32 s4, 0x80
	v_cmp_eq_u16_sdwa s[12:13], v4, s4 src0_sel:BYTE_0 src1_sel:DWORD
	s_mov_b64 s[4:5], -1
                                        ; implicit-def: $sgpr10
	s_and_saveexec_b64 s[8:9], s[12:13]
; %bb.21574:
	s_mov_b32 s10, 0x7f800001
	s_xor_b64 s[4:5], exec, -1
; %bb.21575:
	s_or_b64 exec, exec, s[8:9]
	s_and_b64 s[4:5], s[4:5], exec
	s_or_saveexec_b64 s[6:7], s[6:7]
	v_mov_b32_e32 v3, s10
	s_xor_b64 exec, exec, s[6:7]
	s_cbranch_execnz .LBB2_21576
; %bb.57413:
	s_getpc_b64 s[14:15]
.Lpost_getpc32290:
	s_add_u32 s14, s14, (.LBB2_7238-.Lpost_getpc32290)&4294967295
	s_addc_u32 s15, s15, (.LBB2_7238-.Lpost_getpc32290)>>32
	s_setpc_b64 s[14:15]
.LBB2_21576:
	v_mov_b32_e32 v3, 0
	v_cmp_ne_u16_sdwa s[8:9], v4, v3 src0_sel:BYTE_0 src1_sel:DWORD
	s_andn2_b64 s[4:5], s[4:5], exec
	s_and_b64 s[8:9], s[8:9], exec
	s_or_b64 s[4:5], s[4:5], s[8:9]
	s_or_b64 exec, exec, s[6:7]
	s_and_saveexec_b64 s[6:7], s[4:5]
	s_cbranch_execz .LBB2_32291
; %bb.57415:
	s_getpc_b64 s[14:15]
.Lpost_getpc32291:
	s_add_u32 s14, s14, (.LBB2_7239-.Lpost_getpc32291)&4294967295
	s_addc_u32 s15, s15, (.LBB2_7239-.Lpost_getpc32291)>>32
	s_setpc_b64 s[14:15]
.LBB2_32291:
	s_getpc_b64 s[14:15]
.Lpost_getpc19729:
	s_add_u32 s14, s14, (.LBB2_7240-.Lpost_getpc19729)&4294967295
	s_addc_u32 s15, s15, (.LBB2_7240-.Lpost_getpc19729)>>32
	s_setpc_b64 s[14:15]
.LBB2_21577:
	s_movk_i32 s4, 0x80
	v_cmp_eq_u16_sdwa s[12:13], v3, s4 src0_sel:BYTE_0 src1_sel:DWORD
	s_mov_b64 s[4:5], -1
                                        ; implicit-def: $sgpr10
	s_and_saveexec_b64 s[8:9], s[12:13]
; %bb.21578:
	s_mov_b32 s10, 0x7f800001
	s_xor_b64 s[4:5], exec, -1
; %bb.21579:
	s_or_b64 exec, exec, s[8:9]
	s_and_b64 s[4:5], s[4:5], exec
	s_or_saveexec_b64 s[6:7], s[6:7]
	v_mov_b32_e32 v2, s10
	s_xor_b64 exec, exec, s[6:7]
	s_cbranch_execnz .LBB2_21580
; %bb.57417:
	s_getpc_b64 s[14:15]
.Lpost_getpc32292:
	s_add_u32 s14, s14, (.LBB2_7242-.Lpost_getpc32292)&4294967295
	s_addc_u32 s15, s15, (.LBB2_7242-.Lpost_getpc32292)>>32
	s_setpc_b64 s[14:15]
.LBB2_21580:
	v_mov_b32_e32 v2, 0
	v_cmp_ne_u16_sdwa s[8:9], v3, v2 src0_sel:BYTE_0 src1_sel:DWORD
	s_andn2_b64 s[4:5], s[4:5], exec
	s_and_b64 s[8:9], s[8:9], exec
	s_or_b64 s[4:5], s[4:5], s[8:9]
	s_or_b64 exec, exec, s[6:7]
	s_and_saveexec_b64 s[6:7], s[4:5]
	s_cbranch_execz .LBB2_32293
; %bb.57419:
	s_getpc_b64 s[14:15]
.Lpost_getpc32293:
	s_add_u32 s14, s14, (.LBB2_7243-.Lpost_getpc32293)&4294967295
	s_addc_u32 s15, s15, (.LBB2_7243-.Lpost_getpc32293)>>32
	s_setpc_b64 s[14:15]
.LBB2_32293:
	s_getpc_b64 s[14:15]
.Lpost_getpc19730:
	s_add_u32 s14, s14, (.LBB2_7244-.Lpost_getpc19730)&4294967295
	s_addc_u32 s15, s15, (.LBB2_7244-.Lpost_getpc19730)>>32
	s_setpc_b64 s[14:15]
.LBB2_21581:
	s_movk_i32 s4, 0x80
	v_cmp_eq_u16_sdwa s[12:13], v3, s4 src0_sel:BYTE_0 src1_sel:DWORD
	s_mov_b64 s[4:5], -1
                                        ; implicit-def: $sgpr10
	s_and_saveexec_b64 s[8:9], s[12:13]
; %bb.21582:
	s_mov_b32 s10, 0x7f800001
	s_xor_b64 s[4:5], exec, -1
; %bb.21583:
	s_or_b64 exec, exec, s[8:9]
	s_and_b64 s[4:5], s[4:5], exec
	s_or_saveexec_b64 s[6:7], s[6:7]
	v_mov_b32_e32 v6, s10
	s_xor_b64 exec, exec, s[6:7]
	s_cbranch_execnz .LBB2_21584
; %bb.57421:
	s_getpc_b64 s[14:15]
.Lpost_getpc32294:
	s_add_u32 s14, s14, (.LBB2_7246-.Lpost_getpc32294)&4294967295
	s_addc_u32 s15, s15, (.LBB2_7246-.Lpost_getpc32294)>>32
	s_setpc_b64 s[14:15]
.LBB2_21584:
	v_mov_b32_e32 v6, 0
	v_cmp_ne_u16_sdwa s[8:9], v3, v6 src0_sel:BYTE_0 src1_sel:DWORD
	s_andn2_b64 s[4:5], s[4:5], exec
	s_and_b64 s[8:9], s[8:9], exec
	s_or_b64 s[4:5], s[4:5], s[8:9]
	s_or_b64 exec, exec, s[6:7]
	s_and_saveexec_b64 s[6:7], s[4:5]
	s_cbranch_execz .LBB2_32295
; %bb.57423:
	s_getpc_b64 s[14:15]
.Lpost_getpc32295:
	s_add_u32 s14, s14, (.LBB2_7247-.Lpost_getpc32295)&4294967295
	s_addc_u32 s15, s15, (.LBB2_7247-.Lpost_getpc32295)>>32
	s_setpc_b64 s[14:15]
.LBB2_32295:
	s_getpc_b64 s[14:15]
.Lpost_getpc19731:
	s_add_u32 s14, s14, (.LBB2_7248-.Lpost_getpc19731)&4294967295
	s_addc_u32 s15, s15, (.LBB2_7248-.Lpost_getpc19731)>>32
	s_setpc_b64 s[14:15]
.LBB2_21585:
	s_movk_i32 s4, 0x80
	v_cmp_eq_u16_e32 vcc, s4, v3
	s_mov_b64 s[4:5], -1
                                        ; implicit-def: $sgpr10
	s_and_saveexec_b64 s[8:9], vcc
; %bb.21586:
	s_mov_b32 s10, 0x7f800001
	s_xor_b64 s[4:5], exec, -1
; %bb.21587:
	s_or_b64 exec, exec, s[8:9]
	s_and_b64 s[4:5], s[4:5], exec
                                        ; implicit-def: $vgpr3
	s_or_saveexec_b64 s[6:7], s[6:7]
	v_mov_b32_e32 v2, s10
	s_xor_b64 exec, exec, s[6:7]
	s_cbranch_execnz .LBB2_21588
; %bb.57425:
	s_getpc_b64 s[14:15]
.Lpost_getpc32296:
	s_add_u32 s14, s14, (.LBB2_7250-.Lpost_getpc32296)&4294967295
	s_addc_u32 s15, s15, (.LBB2_7250-.Lpost_getpc32296)>>32
	s_setpc_b64 s[14:15]
.LBB2_21588:
	v_cmp_ne_u16_e32 vcc, 0, v3
	s_andn2_b64 s[4:5], s[4:5], exec
	s_and_b64 s[8:9], vcc, exec
	v_mov_b32_e32 v2, 0
	s_or_b64 s[4:5], s[4:5], s[8:9]
	s_or_b64 exec, exec, s[6:7]
	s_and_saveexec_b64 s[6:7], s[4:5]
	s_cbranch_execz .LBB2_32297
; %bb.57427:
	s_getpc_b64 s[14:15]
.Lpost_getpc32297:
	s_add_u32 s14, s14, (.LBB2_7251-.Lpost_getpc32297)&4294967295
	s_addc_u32 s15, s15, (.LBB2_7251-.Lpost_getpc32297)>>32
	s_setpc_b64 s[14:15]
.LBB2_32297:
	s_getpc_b64 s[14:15]
.Lpost_getpc19732:
	s_add_u32 s14, s14, (.LBB2_7252-.Lpost_getpc19732)&4294967295
	s_addc_u32 s15, s15, (.LBB2_7252-.Lpost_getpc19732)>>32
	s_setpc_b64 s[14:15]
.LBB2_21589:
	s_movk_i32 s4, 0x80
	v_cmp_eq_u16_e32 vcc, s4, v3
	s_mov_b64 s[4:5], -1
                                        ; implicit-def: $sgpr10
	s_and_saveexec_b64 s[8:9], vcc
; %bb.21590:
	s_mov_b32 s10, 0x7f800001
	s_xor_b64 s[4:5], exec, -1
; %bb.21591:
	s_or_b64 exec, exec, s[8:9]
	s_and_b64 s[4:5], s[4:5], exec
                                        ; implicit-def: $vgpr3
	s_or_saveexec_b64 s[6:7], s[6:7]
	v_mov_b32_e32 v6, s10
	s_xor_b64 exec, exec, s[6:7]
	s_cbranch_execnz .LBB2_21592
; %bb.57429:
	s_getpc_b64 s[14:15]
.Lpost_getpc32298:
	s_add_u32 s14, s14, (.LBB2_7254-.Lpost_getpc32298)&4294967295
	s_addc_u32 s15, s15, (.LBB2_7254-.Lpost_getpc32298)>>32
	s_setpc_b64 s[14:15]
.LBB2_21592:
	v_cmp_ne_u16_e32 vcc, 0, v3
	s_andn2_b64 s[4:5], s[4:5], exec
	s_and_b64 s[8:9], vcc, exec
	v_mov_b32_e32 v6, 0
	s_or_b64 s[4:5], s[4:5], s[8:9]
	s_or_b64 exec, exec, s[6:7]
	s_and_saveexec_b64 s[6:7], s[4:5]
	s_cbranch_execz .LBB2_32299
; %bb.57431:
	s_getpc_b64 s[14:15]
.Lpost_getpc32299:
	s_add_u32 s14, s14, (.LBB2_7255-.Lpost_getpc32299)&4294967295
	s_addc_u32 s15, s15, (.LBB2_7255-.Lpost_getpc32299)>>32
	s_setpc_b64 s[14:15]
.LBB2_32299:
	s_getpc_b64 s[14:15]
.Lpost_getpc19733:
	s_add_u32 s14, s14, (.LBB2_7256-.Lpost_getpc19733)&4294967295
	s_addc_u32 s15, s15, (.LBB2_7256-.Lpost_getpc19733)>>32
	s_setpc_b64 s[14:15]
.LBB2_21593:
	s_movk_i32 s4, 0x80
	v_cmp_eq_u16_sdwa s[12:13], v8, s4 src0_sel:BYTE_3 src1_sel:DWORD
	s_mov_b64 s[4:5], -1
                                        ; implicit-def: $sgpr10
	s_and_saveexec_b64 s[8:9], s[12:13]
; %bb.21594:
	s_mov_b32 s10, 0x7f800001
	s_xor_b64 s[4:5], exec, -1
; %bb.21595:
	s_or_b64 exec, exec, s[8:9]
	s_and_b64 s[4:5], s[4:5], exec
	s_or_saveexec_b64 s[6:7], s[6:7]
	v_mov_b32_e32 v2, s10
	s_xor_b64 exec, exec, s[6:7]
	s_cbranch_execnz .LBB2_21596
; %bb.57433:
	s_getpc_b64 s[14:15]
.Lpost_getpc32300:
	s_add_u32 s14, s14, (.LBB2_7258-.Lpost_getpc32300)&4294967295
	s_addc_u32 s15, s15, (.LBB2_7258-.Lpost_getpc32300)>>32
	s_setpc_b64 s[14:15]
.LBB2_21596:
	v_mov_b32_e32 v2, 0
	v_cmp_ne_u16_sdwa s[8:9], v8, v2 src0_sel:BYTE_3 src1_sel:DWORD
	s_andn2_b64 s[4:5], s[4:5], exec
	s_and_b64 s[8:9], s[8:9], exec
	s_or_b64 s[4:5], s[4:5], s[8:9]
	s_or_b64 exec, exec, s[6:7]
	s_and_saveexec_b64 s[6:7], s[4:5]
	s_cbranch_execz .LBB2_32301
; %bb.57435:
	s_getpc_b64 s[14:15]
.Lpost_getpc32301:
	s_add_u32 s14, s14, (.LBB2_7259-.Lpost_getpc32301)&4294967295
	s_addc_u32 s15, s15, (.LBB2_7259-.Lpost_getpc32301)>>32
	s_setpc_b64 s[14:15]
.LBB2_32301:
	s_getpc_b64 s[14:15]
.Lpost_getpc19734:
	s_add_u32 s14, s14, (.LBB2_7260-.Lpost_getpc19734)&4294967295
	s_addc_u32 s15, s15, (.LBB2_7260-.Lpost_getpc19734)>>32
	s_setpc_b64 s[14:15]
.LBB2_21597:
	s_movk_i32 s4, 0x80
	v_cmp_eq_u16_sdwa s[12:13], v4, s4 src0_sel:BYTE_3 src1_sel:DWORD
	s_mov_b64 s[4:5], -1
                                        ; implicit-def: $sgpr10
	s_and_saveexec_b64 s[8:9], s[12:13]
; %bb.21598:
	s_mov_b32 s10, 0x7f800001
	s_xor_b64 s[4:5], exec, -1
; %bb.21599:
	s_or_b64 exec, exec, s[8:9]
	s_and_b64 s[4:5], s[4:5], exec
	s_or_saveexec_b64 s[6:7], s[6:7]
	v_mov_b32_e32 v3, s10
	s_xor_b64 exec, exec, s[6:7]
	s_cbranch_execnz .LBB2_21600
; %bb.57437:
	s_getpc_b64 s[14:15]
.Lpost_getpc32302:
	s_add_u32 s14, s14, (.LBB2_7262-.Lpost_getpc32302)&4294967295
	s_addc_u32 s15, s15, (.LBB2_7262-.Lpost_getpc32302)>>32
	s_setpc_b64 s[14:15]
.LBB2_21600:
	v_mov_b32_e32 v3, 0
	v_cmp_ne_u16_sdwa s[8:9], v4, v3 src0_sel:BYTE_3 src1_sel:DWORD
	s_andn2_b64 s[4:5], s[4:5], exec
	s_and_b64 s[8:9], s[8:9], exec
	s_or_b64 s[4:5], s[4:5], s[8:9]
	s_or_b64 exec, exec, s[6:7]
	s_and_saveexec_b64 s[6:7], s[4:5]
	s_cbranch_execz .LBB2_32303
; %bb.57439:
	s_getpc_b64 s[14:15]
.Lpost_getpc32303:
	s_add_u32 s14, s14, (.LBB2_7263-.Lpost_getpc32303)&4294967295
	s_addc_u32 s15, s15, (.LBB2_7263-.Lpost_getpc32303)>>32
	s_setpc_b64 s[14:15]
.LBB2_32303:
	s_getpc_b64 s[14:15]
.Lpost_getpc19735:
	s_add_u32 s14, s14, (.LBB2_7264-.Lpost_getpc19735)&4294967295
	s_addc_u32 s15, s15, (.LBB2_7264-.Lpost_getpc19735)>>32
	s_setpc_b64 s[14:15]
.LBB2_21601:
	s_movk_i32 s4, 0x80
	v_cmp_eq_u16_sdwa s[12:13], v9, s4 src0_sel:BYTE_0 src1_sel:DWORD
	s_mov_b64 s[4:5], -1
                                        ; implicit-def: $sgpr10
	s_and_saveexec_b64 s[8:9], s[12:13]
; %bb.21602:
	s_mov_b32 s10, 0x7f800001
	s_xor_b64 s[4:5], exec, -1
; %bb.21603:
	s_or_b64 exec, exec, s[8:9]
	s_and_b64 s[4:5], s[4:5], exec
	s_or_saveexec_b64 s[6:7], s[6:7]
	v_mov_b32_e32 v2, s10
	s_xor_b64 exec, exec, s[6:7]
	s_cbranch_execnz .LBB2_21604
; %bb.57441:
	s_getpc_b64 s[14:15]
.Lpost_getpc32304:
	s_add_u32 s14, s14, (.LBB2_7266-.Lpost_getpc32304)&4294967295
	s_addc_u32 s15, s15, (.LBB2_7266-.Lpost_getpc32304)>>32
	s_setpc_b64 s[14:15]
.LBB2_21604:
	v_mov_b32_e32 v2, 0
	v_cmp_ne_u16_sdwa s[8:9], v9, v2 src0_sel:BYTE_0 src1_sel:DWORD
	s_andn2_b64 s[4:5], s[4:5], exec
	s_and_b64 s[8:9], s[8:9], exec
	s_or_b64 s[4:5], s[4:5], s[8:9]
	s_or_b64 exec, exec, s[6:7]
	s_and_saveexec_b64 s[6:7], s[4:5]
	s_cbranch_execz .LBB2_32305
; %bb.57443:
	s_getpc_b64 s[14:15]
.Lpost_getpc32305:
	s_add_u32 s14, s14, (.LBB2_7267-.Lpost_getpc32305)&4294967295
	s_addc_u32 s15, s15, (.LBB2_7267-.Lpost_getpc32305)>>32
	s_setpc_b64 s[14:15]
.LBB2_32305:
	s_getpc_b64 s[14:15]
.Lpost_getpc19736:
	s_add_u32 s14, s14, (.LBB2_7268-.Lpost_getpc19736)&4294967295
	s_addc_u32 s15, s15, (.LBB2_7268-.Lpost_getpc19736)>>32
	s_setpc_b64 s[14:15]
.LBB2_21605:
	s_movk_i32 s4, 0x80
	v_cmp_eq_u16_sdwa s[12:13], v5, s4 src0_sel:BYTE_0 src1_sel:DWORD
	s_mov_b64 s[4:5], -1
                                        ; implicit-def: $sgpr10
	s_and_saveexec_b64 s[8:9], s[12:13]
; %bb.21606:
	s_mov_b32 s10, 0x7f800001
	s_xor_b64 s[4:5], exec, -1
; %bb.21607:
	s_or_b64 exec, exec, s[8:9]
	s_and_b64 s[4:5], s[4:5], exec
	s_or_saveexec_b64 s[6:7], s[6:7]
	v_mov_b32_e32 v3, s10
	s_xor_b64 exec, exec, s[6:7]
	s_cbranch_execnz .LBB2_21608
; %bb.57445:
	s_getpc_b64 s[14:15]
.Lpost_getpc32306:
	s_add_u32 s14, s14, (.LBB2_7270-.Lpost_getpc32306)&4294967295
	s_addc_u32 s15, s15, (.LBB2_7270-.Lpost_getpc32306)>>32
	s_setpc_b64 s[14:15]
.LBB2_21608:
	v_mov_b32_e32 v3, 0
	v_cmp_ne_u16_sdwa s[8:9], v5, v3 src0_sel:BYTE_0 src1_sel:DWORD
	s_andn2_b64 s[4:5], s[4:5], exec
	s_and_b64 s[8:9], s[8:9], exec
	s_or_b64 s[4:5], s[4:5], s[8:9]
	s_or_b64 exec, exec, s[6:7]
	s_and_saveexec_b64 s[6:7], s[4:5]
	s_cbranch_execz .LBB2_32307
; %bb.57447:
	s_getpc_b64 s[14:15]
.Lpost_getpc32307:
	s_add_u32 s14, s14, (.LBB2_7271-.Lpost_getpc32307)&4294967295
	s_addc_u32 s15, s15, (.LBB2_7271-.Lpost_getpc32307)>>32
	s_setpc_b64 s[14:15]
.LBB2_32307:
	s_getpc_b64 s[14:15]
.Lpost_getpc19737:
	s_add_u32 s14, s14, (.LBB2_7272-.Lpost_getpc19737)&4294967295
	s_addc_u32 s15, s15, (.LBB2_7272-.Lpost_getpc19737)>>32
	s_setpc_b64 s[14:15]
.LBB2_21609:
	s_movk_i32 s4, 0x80
	v_cmp_eq_u16_sdwa s[12:13], v3, s4 src0_sel:BYTE_0 src1_sel:DWORD
	s_mov_b64 s[4:5], -1
                                        ; implicit-def: $sgpr10
	s_and_saveexec_b64 s[8:9], s[12:13]
; %bb.21610:
	s_mov_b32 s10, 0x7f800001
	s_xor_b64 s[4:5], exec, -1
; %bb.21611:
	s_or_b64 exec, exec, s[8:9]
	s_and_b64 s[4:5], s[4:5], exec
	s_or_saveexec_b64 s[6:7], s[6:7]
	v_mov_b32_e32 v2, s10
	s_xor_b64 exec, exec, s[6:7]
	s_cbranch_execnz .LBB2_21612
; %bb.57449:
	s_getpc_b64 s[14:15]
.Lpost_getpc32308:
	s_add_u32 s14, s14, (.LBB2_7274-.Lpost_getpc32308)&4294967295
	s_addc_u32 s15, s15, (.LBB2_7274-.Lpost_getpc32308)>>32
	s_setpc_b64 s[14:15]
.LBB2_21612:
	v_mov_b32_e32 v2, 0
	v_cmp_ne_u16_sdwa s[8:9], v3, v2 src0_sel:BYTE_0 src1_sel:DWORD
	s_andn2_b64 s[4:5], s[4:5], exec
	s_and_b64 s[8:9], s[8:9], exec
	s_or_b64 s[4:5], s[4:5], s[8:9]
	s_or_b64 exec, exec, s[6:7]
	s_and_saveexec_b64 s[6:7], s[4:5]
	s_cbranch_execz .LBB2_32309
; %bb.57451:
	s_getpc_b64 s[14:15]
.Lpost_getpc32309:
	s_add_u32 s14, s14, (.LBB2_7275-.Lpost_getpc32309)&4294967295
	s_addc_u32 s15, s15, (.LBB2_7275-.Lpost_getpc32309)>>32
	s_setpc_b64 s[14:15]
.LBB2_32309:
	s_getpc_b64 s[14:15]
.Lpost_getpc19738:
	s_add_u32 s14, s14, (.LBB2_7276-.Lpost_getpc19738)&4294967295
	s_addc_u32 s15, s15, (.LBB2_7276-.Lpost_getpc19738)>>32
	s_setpc_b64 s[14:15]
.LBB2_21613:
	s_movk_i32 s4, 0x80
	v_cmp_eq_u16_sdwa s[12:13], v3, s4 src0_sel:BYTE_0 src1_sel:DWORD
	s_mov_b64 s[4:5], -1
                                        ; implicit-def: $sgpr10
	s_and_saveexec_b64 s[8:9], s[12:13]
; %bb.21614:
	s_mov_b32 s10, 0x7f800001
	s_xor_b64 s[4:5], exec, -1
; %bb.21615:
	s_or_b64 exec, exec, s[8:9]
	s_and_b64 s[4:5], s[4:5], exec
	s_or_saveexec_b64 s[6:7], s[6:7]
	v_mov_b32_e32 v4, s10
	s_xor_b64 exec, exec, s[6:7]
	s_cbranch_execnz .LBB2_21616
; %bb.57453:
	s_getpc_b64 s[14:15]
.Lpost_getpc32310:
	s_add_u32 s14, s14, (.LBB2_7278-.Lpost_getpc32310)&4294967295
	s_addc_u32 s15, s15, (.LBB2_7278-.Lpost_getpc32310)>>32
	s_setpc_b64 s[14:15]
.LBB2_21616:
	v_mov_b32_e32 v4, 0
	v_cmp_ne_u16_sdwa s[8:9], v3, v4 src0_sel:BYTE_0 src1_sel:DWORD
	s_andn2_b64 s[4:5], s[4:5], exec
	s_and_b64 s[8:9], s[8:9], exec
	s_or_b64 s[4:5], s[4:5], s[8:9]
	s_or_b64 exec, exec, s[6:7]
	s_and_saveexec_b64 s[6:7], s[4:5]
	s_cbranch_execz .LBB2_32311
; %bb.57455:
	s_getpc_b64 s[14:15]
.Lpost_getpc32311:
	s_add_u32 s14, s14, (.LBB2_7279-.Lpost_getpc32311)&4294967295
	s_addc_u32 s15, s15, (.LBB2_7279-.Lpost_getpc32311)>>32
	s_setpc_b64 s[14:15]
.LBB2_32311:
	s_getpc_b64 s[14:15]
.Lpost_getpc19739:
	s_add_u32 s14, s14, (.LBB2_7280-.Lpost_getpc19739)&4294967295
	s_addc_u32 s15, s15, (.LBB2_7280-.Lpost_getpc19739)>>32
	s_setpc_b64 s[14:15]
.LBB2_21617:
	s_movk_i32 s4, 0x80
	v_cmp_eq_u16_e32 vcc, s4, v3
	s_mov_b64 s[4:5], -1
                                        ; implicit-def: $sgpr10
	s_and_saveexec_b64 s[8:9], vcc
; %bb.21618:
	s_mov_b32 s10, 0x7f800001
	s_xor_b64 s[4:5], exec, -1
; %bb.21619:
	s_or_b64 exec, exec, s[8:9]
	s_and_b64 s[4:5], s[4:5], exec
                                        ; implicit-def: $vgpr3
	s_or_saveexec_b64 s[6:7], s[6:7]
	v_mov_b32_e32 v2, s10
	s_xor_b64 exec, exec, s[6:7]
	s_cbranch_execnz .LBB2_21620
; %bb.57457:
	s_getpc_b64 s[14:15]
.Lpost_getpc32312:
	s_add_u32 s14, s14, (.LBB2_7282-.Lpost_getpc32312)&4294967295
	s_addc_u32 s15, s15, (.LBB2_7282-.Lpost_getpc32312)>>32
	s_setpc_b64 s[14:15]
.LBB2_21620:
	v_cmp_ne_u16_e32 vcc, 0, v3
	s_andn2_b64 s[4:5], s[4:5], exec
	s_and_b64 s[8:9], vcc, exec
	v_mov_b32_e32 v2, 0
	s_or_b64 s[4:5], s[4:5], s[8:9]
	s_or_b64 exec, exec, s[6:7]
	s_and_saveexec_b64 s[6:7], s[4:5]
	s_cbranch_execz .LBB2_32313
; %bb.57459:
	s_getpc_b64 s[14:15]
.Lpost_getpc32313:
	s_add_u32 s14, s14, (.LBB2_7283-.Lpost_getpc32313)&4294967295
	s_addc_u32 s15, s15, (.LBB2_7283-.Lpost_getpc32313)>>32
	s_setpc_b64 s[14:15]
.LBB2_32313:
	s_getpc_b64 s[14:15]
.Lpost_getpc19740:
	s_add_u32 s14, s14, (.LBB2_7284-.Lpost_getpc19740)&4294967295
	s_addc_u32 s15, s15, (.LBB2_7284-.Lpost_getpc19740)>>32
	s_setpc_b64 s[14:15]
.LBB2_21621:
	s_movk_i32 s4, 0x80
	v_cmp_eq_u16_e32 vcc, s4, v3
	s_mov_b64 s[4:5], -1
                                        ; implicit-def: $sgpr10
	s_and_saveexec_b64 s[8:9], vcc
; %bb.21622:
	s_mov_b32 s10, 0x7f800001
	s_xor_b64 s[4:5], exec, -1
; %bb.21623:
	s_or_b64 exec, exec, s[8:9]
	s_and_b64 s[4:5], s[4:5], exec
                                        ; implicit-def: $vgpr3
	s_or_saveexec_b64 s[6:7], s[6:7]
	v_mov_b32_e32 v4, s10
	s_xor_b64 exec, exec, s[6:7]
	s_cbranch_execnz .LBB2_21624
; %bb.57461:
	s_getpc_b64 s[14:15]
.Lpost_getpc32314:
	s_add_u32 s14, s14, (.LBB2_7286-.Lpost_getpc32314)&4294967295
	s_addc_u32 s15, s15, (.LBB2_7286-.Lpost_getpc32314)>>32
	s_setpc_b64 s[14:15]
.LBB2_21624:
	v_cmp_ne_u16_e32 vcc, 0, v3
	s_andn2_b64 s[4:5], s[4:5], exec
	s_and_b64 s[8:9], vcc, exec
	v_mov_b32_e32 v4, 0
	s_or_b64 s[4:5], s[4:5], s[8:9]
	s_or_b64 exec, exec, s[6:7]
	s_and_saveexec_b64 s[6:7], s[4:5]
	s_cbranch_execz .LBB2_32315
; %bb.57463:
	s_getpc_b64 s[14:15]
.Lpost_getpc32315:
	s_add_u32 s14, s14, (.LBB2_7287-.Lpost_getpc32315)&4294967295
	s_addc_u32 s15, s15, (.LBB2_7287-.Lpost_getpc32315)>>32
	s_setpc_b64 s[14:15]
.LBB2_32315:
	s_getpc_b64 s[14:15]
.Lpost_getpc19741:
	s_add_u32 s14, s14, (.LBB2_7288-.Lpost_getpc19741)&4294967295
	s_addc_u32 s15, s15, (.LBB2_7288-.Lpost_getpc19741)>>32
	s_setpc_b64 s[14:15]
.LBB2_21625:
	s_movk_i32 s4, 0x80
	v_cmp_eq_u16_sdwa s[12:13], v9, s4 src0_sel:BYTE_3 src1_sel:DWORD
	s_mov_b64 s[4:5], -1
                                        ; implicit-def: $sgpr10
	s_and_saveexec_b64 s[8:9], s[12:13]
; %bb.21626:
	s_mov_b32 s10, 0x7f800001
	s_xor_b64 s[4:5], exec, -1
; %bb.21627:
	s_or_b64 exec, exec, s[8:9]
	s_and_b64 s[4:5], s[4:5], exec
	s_or_saveexec_b64 s[6:7], s[6:7]
	v_mov_b32_e32 v2, s10
	s_xor_b64 exec, exec, s[6:7]
	s_cbranch_execnz .LBB2_21628
; %bb.57465:
	s_getpc_b64 s[14:15]
.Lpost_getpc32316:
	s_add_u32 s14, s14, (.LBB2_7290-.Lpost_getpc32316)&4294967295
	s_addc_u32 s15, s15, (.LBB2_7290-.Lpost_getpc32316)>>32
	s_setpc_b64 s[14:15]
.LBB2_21628:
	v_mov_b32_e32 v2, 0
	v_cmp_ne_u16_sdwa s[8:9], v9, v2 src0_sel:BYTE_3 src1_sel:DWORD
	s_andn2_b64 s[4:5], s[4:5], exec
	s_and_b64 s[8:9], s[8:9], exec
	s_or_b64 s[4:5], s[4:5], s[8:9]
	s_or_b64 exec, exec, s[6:7]
	s_and_saveexec_b64 s[6:7], s[4:5]
	s_cbranch_execz .LBB2_32317
; %bb.57467:
	s_getpc_b64 s[14:15]
.Lpost_getpc32317:
	s_add_u32 s14, s14, (.LBB2_7291-.Lpost_getpc32317)&4294967295
	s_addc_u32 s15, s15, (.LBB2_7291-.Lpost_getpc32317)>>32
	s_setpc_b64 s[14:15]
.LBB2_32317:
	s_getpc_b64 s[14:15]
.Lpost_getpc19742:
	s_add_u32 s14, s14, (.LBB2_7292-.Lpost_getpc19742)&4294967295
	s_addc_u32 s15, s15, (.LBB2_7292-.Lpost_getpc19742)>>32
	s_setpc_b64 s[14:15]
.LBB2_21629:
	s_movk_i32 s4, 0x80
	v_cmp_eq_u16_sdwa s[12:13], v5, s4 src0_sel:BYTE_3 src1_sel:DWORD
	s_mov_b64 s[4:5], -1
                                        ; implicit-def: $sgpr10
	s_and_saveexec_b64 s[8:9], s[12:13]
; %bb.21630:
	s_mov_b32 s10, 0x7f800001
	s_xor_b64 s[4:5], exec, -1
; %bb.21631:
	s_or_b64 exec, exec, s[8:9]
	s_and_b64 s[4:5], s[4:5], exec
	s_or_saveexec_b64 s[6:7], s[6:7]
	v_mov_b32_e32 v3, s10
	s_xor_b64 exec, exec, s[6:7]
	s_cbranch_execnz .LBB2_21632
; %bb.57469:
	s_getpc_b64 s[14:15]
.Lpost_getpc32318:
	s_add_u32 s14, s14, (.LBB2_7294-.Lpost_getpc32318)&4294967295
	s_addc_u32 s15, s15, (.LBB2_7294-.Lpost_getpc32318)>>32
	s_setpc_b64 s[14:15]
.LBB2_21632:
	v_mov_b32_e32 v3, 0
	v_cmp_ne_u16_sdwa s[8:9], v5, v3 src0_sel:BYTE_3 src1_sel:DWORD
	s_andn2_b64 s[4:5], s[4:5], exec
	s_and_b64 s[8:9], s[8:9], exec
	s_or_b64 s[4:5], s[4:5], s[8:9]
	s_or_b64 exec, exec, s[6:7]
	s_and_saveexec_b64 s[6:7], s[4:5]
	s_cbranch_execz .LBB2_32319
; %bb.57471:
	s_getpc_b64 s[14:15]
.Lpost_getpc32319:
	s_add_u32 s14, s14, (.LBB2_7295-.Lpost_getpc32319)&4294967295
	s_addc_u32 s15, s15, (.LBB2_7295-.Lpost_getpc32319)>>32
	s_setpc_b64 s[14:15]
.LBB2_32319:
	s_getpc_b64 s[14:15]
.Lpost_getpc19743:
	s_add_u32 s14, s14, (.LBB2_7296-.Lpost_getpc19743)&4294967295
	s_addc_u32 s15, s15, (.LBB2_7296-.Lpost_getpc19743)>>32
	s_setpc_b64 s[14:15]
.LBB2_21633:
	s_movk_i32 s4, 0x80
	v_cmp_eq_u16_sdwa s[12:13], v6, s4 src0_sel:BYTE_0 src1_sel:DWORD
	s_mov_b64 s[4:5], -1
                                        ; implicit-def: $sgpr10
	s_and_saveexec_b64 s[8:9], s[12:13]
; %bb.21634:
	s_mov_b32 s10, 0x7f800001
	s_xor_b64 s[4:5], exec, -1
; %bb.21635:
	s_or_b64 exec, exec, s[8:9]
	s_and_b64 s[4:5], s[4:5], exec
	s_or_saveexec_b64 s[6:7], s[6:7]
	v_mov_b32_e32 v12, s10
	s_xor_b64 exec, exec, s[6:7]
	s_cbranch_execnz .LBB2_21636
; %bb.57473:
	s_getpc_b64 s[14:15]
.Lpost_getpc32320:
	s_add_u32 s14, s14, (.LBB2_7298-.Lpost_getpc32320)&4294967295
	s_addc_u32 s15, s15, (.LBB2_7298-.Lpost_getpc32320)>>32
	s_setpc_b64 s[14:15]
.LBB2_21636:
	v_mov_b32_e32 v12, 0
	v_cmp_ne_u16_sdwa s[8:9], v6, v12 src0_sel:BYTE_0 src1_sel:DWORD
	s_andn2_b64 s[4:5], s[4:5], exec
	s_and_b64 s[8:9], s[8:9], exec
	s_or_b64 s[4:5], s[4:5], s[8:9]
	s_or_b64 exec, exec, s[6:7]
	s_and_saveexec_b64 s[6:7], s[4:5]
	s_cbranch_execz .LBB2_32321
; %bb.57475:
	s_getpc_b64 s[14:15]
.Lpost_getpc32321:
	s_add_u32 s14, s14, (.LBB2_7299-.Lpost_getpc32321)&4294967295
	s_addc_u32 s15, s15, (.LBB2_7299-.Lpost_getpc32321)>>32
	s_setpc_b64 s[14:15]
.LBB2_32321:
	s_getpc_b64 s[14:15]
.Lpost_getpc19744:
	s_add_u32 s14, s14, (.LBB2_7300-.Lpost_getpc19744)&4294967295
	s_addc_u32 s15, s15, (.LBB2_7300-.Lpost_getpc19744)>>32
	s_setpc_b64 s[14:15]
.LBB2_21637:
	s_movk_i32 s4, 0x80
	v_cmp_eq_u16_sdwa s[12:13], v2, s4 src0_sel:BYTE_0 src1_sel:DWORD
	s_mov_b64 s[4:5], -1
                                        ; implicit-def: $sgpr10
	s_and_saveexec_b64 s[8:9], s[12:13]
; %bb.21638:
	s_mov_b32 s10, 0x7f800001
	s_xor_b64 s[4:5], exec, -1
; %bb.21639:
	s_or_b64 exec, exec, s[8:9]
	s_and_b64 s[4:5], s[4:5], exec
	s_or_saveexec_b64 s[6:7], s[6:7]
	v_mov_b32_e32 v13, s10
	s_xor_b64 exec, exec, s[6:7]
	s_cbranch_execnz .LBB2_21640
; %bb.57477:
	s_getpc_b64 s[14:15]
.Lpost_getpc32322:
	s_add_u32 s14, s14, (.LBB2_7302-.Lpost_getpc32322)&4294967295
	s_addc_u32 s15, s15, (.LBB2_7302-.Lpost_getpc32322)>>32
	s_setpc_b64 s[14:15]
.LBB2_21640:
	v_mov_b32_e32 v13, 0
	v_cmp_ne_u16_sdwa s[8:9], v2, v13 src0_sel:BYTE_0 src1_sel:DWORD
	s_andn2_b64 s[4:5], s[4:5], exec
	s_and_b64 s[8:9], s[8:9], exec
	s_or_b64 s[4:5], s[4:5], s[8:9]
	s_or_b64 exec, exec, s[6:7]
	s_and_saveexec_b64 s[6:7], s[4:5]
	s_cbranch_execz .LBB2_32323
; %bb.57479:
	s_getpc_b64 s[14:15]
.Lpost_getpc32323:
	s_add_u32 s14, s14, (.LBB2_7303-.Lpost_getpc32323)&4294967295
	s_addc_u32 s15, s15, (.LBB2_7303-.Lpost_getpc32323)>>32
	s_setpc_b64 s[14:15]
.LBB2_32323:
	s_getpc_b64 s[14:15]
.Lpost_getpc19745:
	s_add_u32 s14, s14, (.LBB2_7304-.Lpost_getpc19745)&4294967295
	s_addc_u32 s15, s15, (.LBB2_7304-.Lpost_getpc19745)>>32
	s_setpc_b64 s[14:15]
.LBB2_21641:
	s_movk_i32 s4, 0x80
	v_cmp_eq_u16_sdwa s[12:13], v13, s4 src0_sel:BYTE_0 src1_sel:DWORD
	s_mov_b64 s[4:5], -1
                                        ; implicit-def: $sgpr10
	s_and_saveexec_b64 s[8:9], s[12:13]
; %bb.21642:
	s_mov_b32 s10, 0x7f800001
	s_xor_b64 s[4:5], exec, -1
; %bb.21643:
	s_or_b64 exec, exec, s[8:9]
	s_and_b64 s[4:5], s[4:5], exec
	s_or_saveexec_b64 s[6:7], s[6:7]
	v_mov_b32_e32 v12, s10
	s_xor_b64 exec, exec, s[6:7]
	s_cbranch_execnz .LBB2_21644
; %bb.57481:
	s_getpc_b64 s[14:15]
.Lpost_getpc32324:
	s_add_u32 s14, s14, (.LBB2_7306-.Lpost_getpc32324)&4294967295
	s_addc_u32 s15, s15, (.LBB2_7306-.Lpost_getpc32324)>>32
	s_setpc_b64 s[14:15]
.LBB2_21644:
	v_mov_b32_e32 v12, 0
	v_cmp_ne_u16_sdwa s[8:9], v13, v12 src0_sel:BYTE_0 src1_sel:DWORD
	s_andn2_b64 s[4:5], s[4:5], exec
	s_and_b64 s[8:9], s[8:9], exec
	s_or_b64 s[4:5], s[4:5], s[8:9]
	s_or_b64 exec, exec, s[6:7]
	s_and_saveexec_b64 s[6:7], s[4:5]
	s_cbranch_execz .LBB2_32325
; %bb.57483:
	s_getpc_b64 s[14:15]
.Lpost_getpc32325:
	s_add_u32 s14, s14, (.LBB2_7307-.Lpost_getpc32325)&4294967295
	s_addc_u32 s15, s15, (.LBB2_7307-.Lpost_getpc32325)>>32
	s_setpc_b64 s[14:15]
.LBB2_32325:
	s_getpc_b64 s[14:15]
.Lpost_getpc19746:
	s_add_u32 s14, s14, (.LBB2_7308-.Lpost_getpc19746)&4294967295
	s_addc_u32 s15, s15, (.LBB2_7308-.Lpost_getpc19746)>>32
	s_setpc_b64 s[14:15]
.LBB2_21645:
	s_movk_i32 s4, 0x80
	v_cmp_eq_u16_sdwa s[12:13], v13, s4 src0_sel:BYTE_0 src1_sel:DWORD
	s_mov_b64 s[4:5], -1
                                        ; implicit-def: $sgpr10
	s_and_saveexec_b64 s[8:9], s[12:13]
; %bb.21646:
	s_mov_b32 s10, 0x7f800001
	s_xor_b64 s[4:5], exec, -1
; %bb.21647:
	s_or_b64 exec, exec, s[8:9]
	s_and_b64 s[4:5], s[4:5], exec
	s_or_saveexec_b64 s[6:7], s[6:7]
	v_mov_b32_e32 v14, s10
	s_xor_b64 exec, exec, s[6:7]
	s_cbranch_execnz .LBB2_21648
; %bb.57485:
	s_getpc_b64 s[14:15]
.Lpost_getpc32326:
	s_add_u32 s14, s14, (.LBB2_7310-.Lpost_getpc32326)&4294967295
	s_addc_u32 s15, s15, (.LBB2_7310-.Lpost_getpc32326)>>32
	s_setpc_b64 s[14:15]
.LBB2_21648:
	v_mov_b32_e32 v14, 0
	v_cmp_ne_u16_sdwa s[8:9], v13, v14 src0_sel:BYTE_0 src1_sel:DWORD
	s_andn2_b64 s[4:5], s[4:5], exec
	s_and_b64 s[8:9], s[8:9], exec
	s_or_b64 s[4:5], s[4:5], s[8:9]
	s_or_b64 exec, exec, s[6:7]
	s_and_saveexec_b64 s[6:7], s[4:5]
	s_cbranch_execz .LBB2_32327
; %bb.57487:
	s_getpc_b64 s[14:15]
.Lpost_getpc32327:
	s_add_u32 s14, s14, (.LBB2_7311-.Lpost_getpc32327)&4294967295
	s_addc_u32 s15, s15, (.LBB2_7311-.Lpost_getpc32327)>>32
	s_setpc_b64 s[14:15]
.LBB2_32327:
	s_getpc_b64 s[14:15]
.Lpost_getpc19747:
	s_add_u32 s14, s14, (.LBB2_7312-.Lpost_getpc19747)&4294967295
	s_addc_u32 s15, s15, (.LBB2_7312-.Lpost_getpc19747)>>32
	s_setpc_b64 s[14:15]
.LBB2_21649:
	s_movk_i32 s4, 0x80
	v_cmp_eq_u16_e32 vcc, s4, v13
	s_mov_b64 s[4:5], -1
                                        ; implicit-def: $sgpr10
	s_and_saveexec_b64 s[8:9], vcc
; %bb.21650:
	s_mov_b32 s10, 0x7f800001
	s_xor_b64 s[4:5], exec, -1
; %bb.21651:
	s_or_b64 exec, exec, s[8:9]
	s_and_b64 s[4:5], s[4:5], exec
                                        ; implicit-def: $vgpr13
	s_or_saveexec_b64 s[6:7], s[6:7]
	v_mov_b32_e32 v12, s10
	s_xor_b64 exec, exec, s[6:7]
	s_cbranch_execnz .LBB2_21652
; %bb.57489:
	s_getpc_b64 s[14:15]
.Lpost_getpc32328:
	s_add_u32 s14, s14, (.LBB2_7314-.Lpost_getpc32328)&4294967295
	s_addc_u32 s15, s15, (.LBB2_7314-.Lpost_getpc32328)>>32
	s_setpc_b64 s[14:15]
.LBB2_21652:
	v_cmp_ne_u16_e32 vcc, 0, v13
	s_andn2_b64 s[4:5], s[4:5], exec
	s_and_b64 s[8:9], vcc, exec
	v_mov_b32_e32 v12, 0
	s_or_b64 s[4:5], s[4:5], s[8:9]
	s_or_b64 exec, exec, s[6:7]
	s_and_saveexec_b64 s[6:7], s[4:5]
	s_cbranch_execz .LBB2_32329
; %bb.57491:
	s_getpc_b64 s[14:15]
.Lpost_getpc32329:
	s_add_u32 s14, s14, (.LBB2_7315-.Lpost_getpc32329)&4294967295
	s_addc_u32 s15, s15, (.LBB2_7315-.Lpost_getpc32329)>>32
	s_setpc_b64 s[14:15]
.LBB2_32329:
	s_getpc_b64 s[14:15]
.Lpost_getpc19748:
	s_add_u32 s14, s14, (.LBB2_7316-.Lpost_getpc19748)&4294967295
	s_addc_u32 s15, s15, (.LBB2_7316-.Lpost_getpc19748)>>32
	s_setpc_b64 s[14:15]
.LBB2_21653:
	s_movk_i32 s4, 0x80
	v_cmp_eq_u16_e32 vcc, s4, v13
	s_mov_b64 s[4:5], -1
                                        ; implicit-def: $sgpr10
	s_and_saveexec_b64 s[8:9], vcc
; %bb.21654:
	s_mov_b32 s10, 0x7f800001
	s_xor_b64 s[4:5], exec, -1
; %bb.21655:
	s_or_b64 exec, exec, s[8:9]
	s_and_b64 s[4:5], s[4:5], exec
                                        ; implicit-def: $vgpr13
	s_or_saveexec_b64 s[6:7], s[6:7]
	v_mov_b32_e32 v14, s10
	s_xor_b64 exec, exec, s[6:7]
	s_cbranch_execnz .LBB2_21656
; %bb.57493:
	s_getpc_b64 s[14:15]
.Lpost_getpc32330:
	s_add_u32 s14, s14, (.LBB2_7318-.Lpost_getpc32330)&4294967295
	s_addc_u32 s15, s15, (.LBB2_7318-.Lpost_getpc32330)>>32
	s_setpc_b64 s[14:15]
.LBB2_21656:
	v_cmp_ne_u16_e32 vcc, 0, v13
	s_andn2_b64 s[4:5], s[4:5], exec
	s_and_b64 s[8:9], vcc, exec
	v_mov_b32_e32 v14, 0
	s_or_b64 s[4:5], s[4:5], s[8:9]
	s_or_b64 exec, exec, s[6:7]
	s_and_saveexec_b64 s[6:7], s[4:5]
	s_cbranch_execz .LBB2_32331
; %bb.57495:
	s_getpc_b64 s[14:15]
.Lpost_getpc32331:
	s_add_u32 s14, s14, (.LBB2_7319-.Lpost_getpc32331)&4294967295
	s_addc_u32 s15, s15, (.LBB2_7319-.Lpost_getpc32331)>>32
	s_setpc_b64 s[14:15]
.LBB2_32331:
	s_getpc_b64 s[14:15]
.Lpost_getpc19749:
	s_add_u32 s14, s14, (.LBB2_7320-.Lpost_getpc19749)&4294967295
	s_addc_u32 s15, s15, (.LBB2_7320-.Lpost_getpc19749)>>32
	s_setpc_b64 s[14:15]
.LBB2_21657:
	s_movk_i32 s4, 0x80
	v_cmp_eq_u16_sdwa s[12:13], v6, s4 src0_sel:BYTE_3 src1_sel:DWORD
	s_mov_b64 s[4:5], -1
                                        ; implicit-def: $sgpr10
	s_and_saveexec_b64 s[8:9], s[12:13]
; %bb.21658:
	s_mov_b32 s10, 0x7f800001
	s_xor_b64 s[4:5], exec, -1
; %bb.21659:
	s_or_b64 exec, exec, s[8:9]
	s_and_b64 s[4:5], s[4:5], exec
	s_or_saveexec_b64 s[6:7], s[6:7]
	v_mov_b32_e32 v12, s10
	s_xor_b64 exec, exec, s[6:7]
	s_cbranch_execnz .LBB2_21660
; %bb.57497:
	s_getpc_b64 s[14:15]
.Lpost_getpc32332:
	s_add_u32 s14, s14, (.LBB2_7322-.Lpost_getpc32332)&4294967295
	s_addc_u32 s15, s15, (.LBB2_7322-.Lpost_getpc32332)>>32
	s_setpc_b64 s[14:15]
.LBB2_21660:
	v_mov_b32_e32 v12, 0
	v_cmp_ne_u16_sdwa s[8:9], v6, v12 src0_sel:BYTE_3 src1_sel:DWORD
	s_andn2_b64 s[4:5], s[4:5], exec
	s_and_b64 s[8:9], s[8:9], exec
	s_or_b64 s[4:5], s[4:5], s[8:9]
	s_or_b64 exec, exec, s[6:7]
	s_and_saveexec_b64 s[6:7], s[4:5]
	s_cbranch_execz .LBB2_32333
; %bb.57499:
	s_getpc_b64 s[14:15]
.Lpost_getpc32333:
	s_add_u32 s14, s14, (.LBB2_7323-.Lpost_getpc32333)&4294967295
	s_addc_u32 s15, s15, (.LBB2_7323-.Lpost_getpc32333)>>32
	s_setpc_b64 s[14:15]
.LBB2_32333:
	s_getpc_b64 s[14:15]
.Lpost_getpc19750:
	s_add_u32 s14, s14, (.LBB2_7324-.Lpost_getpc19750)&4294967295
	s_addc_u32 s15, s15, (.LBB2_7324-.Lpost_getpc19750)>>32
	s_setpc_b64 s[14:15]
.LBB2_21661:
	s_movk_i32 s4, 0x80
	v_cmp_eq_u16_sdwa s[12:13], v2, s4 src0_sel:BYTE_3 src1_sel:DWORD
	s_mov_b64 s[4:5], -1
                                        ; implicit-def: $sgpr10
	s_and_saveexec_b64 s[8:9], s[12:13]
; %bb.21662:
	s_mov_b32 s10, 0x7f800001
	s_xor_b64 s[4:5], exec, -1
; %bb.21663:
	s_or_b64 exec, exec, s[8:9]
	s_and_b64 s[4:5], s[4:5], exec
	s_or_saveexec_b64 s[6:7], s[6:7]
	v_mov_b32_e32 v6, s10
	s_xor_b64 exec, exec, s[6:7]
	s_cbranch_execnz .LBB2_21664
; %bb.57501:
	s_getpc_b64 s[14:15]
.Lpost_getpc32334:
	s_add_u32 s14, s14, (.LBB2_7326-.Lpost_getpc32334)&4294967295
	s_addc_u32 s15, s15, (.LBB2_7326-.Lpost_getpc32334)>>32
	s_setpc_b64 s[14:15]
.LBB2_21664:
	v_mov_b32_e32 v6, 0
	v_cmp_ne_u16_sdwa s[8:9], v2, v6 src0_sel:BYTE_3 src1_sel:DWORD
	s_andn2_b64 s[4:5], s[4:5], exec
	s_and_b64 s[8:9], s[8:9], exec
	s_or_b64 s[4:5], s[4:5], s[8:9]
	s_or_b64 exec, exec, s[6:7]
	s_and_saveexec_b64 s[6:7], s[4:5]
	s_cbranch_execz .LBB2_32335
; %bb.57503:
	s_getpc_b64 s[14:15]
.Lpost_getpc32335:
	s_add_u32 s14, s14, (.LBB2_7327-.Lpost_getpc32335)&4294967295
	s_addc_u32 s15, s15, (.LBB2_7327-.Lpost_getpc32335)>>32
	s_setpc_b64 s[14:15]
.LBB2_32335:
	s_getpc_b64 s[14:15]
.Lpost_getpc19751:
	s_add_u32 s14, s14, (.LBB2_7328-.Lpost_getpc19751)&4294967295
	s_addc_u32 s15, s15, (.LBB2_7328-.Lpost_getpc19751)>>32
	s_setpc_b64 s[14:15]
.LBB2_21665:
	s_movk_i32 s4, 0x80
	v_cmp_eq_u16_sdwa s[12:13], v7, s4 src0_sel:BYTE_0 src1_sel:DWORD
	s_mov_b64 s[4:5], -1
                                        ; implicit-def: $sgpr10
	s_and_saveexec_b64 s[8:9], s[12:13]
; %bb.21666:
	s_mov_b32 s10, 0x7f800001
	s_xor_b64 s[4:5], exec, -1
; %bb.21667:
	s_or_b64 exec, exec, s[8:9]
	s_and_b64 s[4:5], s[4:5], exec
	s_or_saveexec_b64 s[6:7], s[6:7]
	v_mov_b32_e32 v2, s10
	s_xor_b64 exec, exec, s[6:7]
	s_cbranch_execnz .LBB2_21668
; %bb.57505:
	s_getpc_b64 s[14:15]
.Lpost_getpc32336:
	s_add_u32 s14, s14, (.LBB2_7330-.Lpost_getpc32336)&4294967295
	s_addc_u32 s15, s15, (.LBB2_7330-.Lpost_getpc32336)>>32
	s_setpc_b64 s[14:15]
.LBB2_21668:
	v_mov_b32_e32 v2, 0
	v_cmp_ne_u16_sdwa s[8:9], v7, v2 src0_sel:BYTE_0 src1_sel:DWORD
	s_andn2_b64 s[4:5], s[4:5], exec
	s_and_b64 s[8:9], s[8:9], exec
	s_or_b64 s[4:5], s[4:5], s[8:9]
	s_or_b64 exec, exec, s[6:7]
	s_and_saveexec_b64 s[6:7], s[4:5]
	s_cbranch_execz .LBB2_32337
; %bb.57507:
	s_getpc_b64 s[14:15]
.Lpost_getpc32337:
	s_add_u32 s14, s14, (.LBB2_7331-.Lpost_getpc32337)&4294967295
	s_addc_u32 s15, s15, (.LBB2_7331-.Lpost_getpc32337)>>32
	s_setpc_b64 s[14:15]
.LBB2_32337:
	s_getpc_b64 s[14:15]
.Lpost_getpc19752:
	s_add_u32 s14, s14, (.LBB2_7332-.Lpost_getpc19752)&4294967295
	s_addc_u32 s15, s15, (.LBB2_7332-.Lpost_getpc19752)>>32
	s_setpc_b64 s[14:15]
.LBB2_21669:
	s_movk_i32 s4, 0x80
	v_cmp_eq_u16_sdwa s[12:13], v3, s4 src0_sel:BYTE_0 src1_sel:DWORD
	s_mov_b64 s[4:5], -1
                                        ; implicit-def: $sgpr10
	s_and_saveexec_b64 s[8:9], s[12:13]
; %bb.21670:
	s_mov_b32 s10, 0x7f800001
	s_xor_b64 s[4:5], exec, -1
; %bb.21671:
	s_or_b64 exec, exec, s[8:9]
	s_and_b64 s[4:5], s[4:5], exec
	s_or_saveexec_b64 s[6:7], s[6:7]
	v_mov_b32_e32 v6, s10
	s_xor_b64 exec, exec, s[6:7]
	s_cbranch_execnz .LBB2_21672
; %bb.57509:
	s_getpc_b64 s[14:15]
.Lpost_getpc32338:
	s_add_u32 s14, s14, (.LBB2_7334-.Lpost_getpc32338)&4294967295
	s_addc_u32 s15, s15, (.LBB2_7334-.Lpost_getpc32338)>>32
	s_setpc_b64 s[14:15]
.LBB2_21672:
	v_mov_b32_e32 v6, 0
	v_cmp_ne_u16_sdwa s[8:9], v3, v6 src0_sel:BYTE_0 src1_sel:DWORD
	s_andn2_b64 s[4:5], s[4:5], exec
	s_and_b64 s[8:9], s[8:9], exec
	s_or_b64 s[4:5], s[4:5], s[8:9]
	s_or_b64 exec, exec, s[6:7]
	s_and_saveexec_b64 s[6:7], s[4:5]
	s_cbranch_execz .LBB2_32339
; %bb.57511:
	s_getpc_b64 s[14:15]
.Lpost_getpc32339:
	s_add_u32 s14, s14, (.LBB2_7335-.Lpost_getpc32339)&4294967295
	s_addc_u32 s15, s15, (.LBB2_7335-.Lpost_getpc32339)>>32
	s_setpc_b64 s[14:15]
.LBB2_32339:
	s_getpc_b64 s[14:15]
.Lpost_getpc19753:
	s_add_u32 s14, s14, (.LBB2_7336-.Lpost_getpc19753)&4294967295
	s_addc_u32 s15, s15, (.LBB2_7336-.Lpost_getpc19753)>>32
	s_setpc_b64 s[14:15]
.LBB2_21673:
	s_movk_i32 s4, 0x80
	v_cmp_eq_u16_sdwa s[12:13], v6, s4 src0_sel:BYTE_0 src1_sel:DWORD
	s_mov_b64 s[4:5], -1
                                        ; implicit-def: $sgpr10
	s_and_saveexec_b64 s[8:9], s[12:13]
; %bb.21674:
	s_mov_b32 s10, 0x7f800001
	s_xor_b64 s[4:5], exec, -1
; %bb.21675:
	s_or_b64 exec, exec, s[8:9]
	s_and_b64 s[4:5], s[4:5], exec
	s_or_saveexec_b64 s[6:7], s[6:7]
	v_mov_b32_e32 v2, s10
	s_xor_b64 exec, exec, s[6:7]
	s_cbranch_execnz .LBB2_21676
; %bb.57513:
	s_getpc_b64 s[14:15]
.Lpost_getpc32340:
	s_add_u32 s14, s14, (.LBB2_7338-.Lpost_getpc32340)&4294967295
	s_addc_u32 s15, s15, (.LBB2_7338-.Lpost_getpc32340)>>32
	s_setpc_b64 s[14:15]
.LBB2_21676:
	v_mov_b32_e32 v2, 0
	v_cmp_ne_u16_sdwa s[8:9], v6, v2 src0_sel:BYTE_0 src1_sel:DWORD
	s_andn2_b64 s[4:5], s[4:5], exec
	s_and_b64 s[8:9], s[8:9], exec
	s_or_b64 s[4:5], s[4:5], s[8:9]
	s_or_b64 exec, exec, s[6:7]
	s_and_saveexec_b64 s[6:7], s[4:5]
	s_cbranch_execz .LBB2_32341
; %bb.57515:
	s_getpc_b64 s[14:15]
.Lpost_getpc32341:
	s_add_u32 s14, s14, (.LBB2_7339-.Lpost_getpc32341)&4294967295
	s_addc_u32 s15, s15, (.LBB2_7339-.Lpost_getpc32341)>>32
	s_setpc_b64 s[14:15]
.LBB2_32341:
	s_getpc_b64 s[14:15]
.Lpost_getpc19754:
	s_add_u32 s14, s14, (.LBB2_7340-.Lpost_getpc19754)&4294967295
	s_addc_u32 s15, s15, (.LBB2_7340-.Lpost_getpc19754)>>32
	s_setpc_b64 s[14:15]
.LBB2_21677:
	s_movk_i32 s4, 0x80
	v_cmp_eq_u16_sdwa s[12:13], v6, s4 src0_sel:BYTE_0 src1_sel:DWORD
	s_mov_b64 s[4:5], -1
                                        ; implicit-def: $sgpr10
	s_and_saveexec_b64 s[8:9], s[12:13]
; %bb.21678:
	s_mov_b32 s10, 0x7f800001
	s_xor_b64 s[4:5], exec, -1
; %bb.21679:
	s_or_b64 exec, exec, s[8:9]
	s_and_b64 s[4:5], s[4:5], exec
	s_or_saveexec_b64 s[6:7], s[6:7]
	v_mov_b32_e32 v12, s10
	s_xor_b64 exec, exec, s[6:7]
	s_cbranch_execnz .LBB2_21680
; %bb.57517:
	s_getpc_b64 s[14:15]
.Lpost_getpc32342:
	s_add_u32 s14, s14, (.LBB2_7342-.Lpost_getpc32342)&4294967295
	s_addc_u32 s15, s15, (.LBB2_7342-.Lpost_getpc32342)>>32
	s_setpc_b64 s[14:15]
.LBB2_21680:
	v_mov_b32_e32 v12, 0
	v_cmp_ne_u16_sdwa s[8:9], v6, v12 src0_sel:BYTE_0 src1_sel:DWORD
	s_andn2_b64 s[4:5], s[4:5], exec
	s_and_b64 s[8:9], s[8:9], exec
	s_or_b64 s[4:5], s[4:5], s[8:9]
	s_or_b64 exec, exec, s[6:7]
	s_and_saveexec_b64 s[6:7], s[4:5]
	s_cbranch_execz .LBB2_32343
; %bb.57519:
	s_getpc_b64 s[14:15]
.Lpost_getpc32343:
	s_add_u32 s14, s14, (.LBB2_7343-.Lpost_getpc32343)&4294967295
	s_addc_u32 s15, s15, (.LBB2_7343-.Lpost_getpc32343)>>32
	s_setpc_b64 s[14:15]
.LBB2_32343:
	s_getpc_b64 s[14:15]
.Lpost_getpc19755:
	s_add_u32 s14, s14, (.LBB2_7344-.Lpost_getpc19755)&4294967295
	s_addc_u32 s15, s15, (.LBB2_7344-.Lpost_getpc19755)>>32
	s_setpc_b64 s[14:15]
.LBB2_21681:
	s_movk_i32 s4, 0x80
	v_cmp_eq_u16_e32 vcc, s4, v6
	s_mov_b64 s[4:5], -1
                                        ; implicit-def: $sgpr10
	s_and_saveexec_b64 s[8:9], vcc
; %bb.21682:
	s_mov_b32 s10, 0x7f800001
	s_xor_b64 s[4:5], exec, -1
; %bb.21683:
	s_or_b64 exec, exec, s[8:9]
	s_and_b64 s[4:5], s[4:5], exec
                                        ; implicit-def: $vgpr6
	s_or_saveexec_b64 s[6:7], s[6:7]
	v_mov_b32_e32 v2, s10
	s_xor_b64 exec, exec, s[6:7]
	s_cbranch_execnz .LBB2_21684
; %bb.57521:
	s_getpc_b64 s[14:15]
.Lpost_getpc32344:
	s_add_u32 s14, s14, (.LBB2_7346-.Lpost_getpc32344)&4294967295
	s_addc_u32 s15, s15, (.LBB2_7346-.Lpost_getpc32344)>>32
	s_setpc_b64 s[14:15]
.LBB2_21684:
	v_cmp_ne_u16_e32 vcc, 0, v6
	s_andn2_b64 s[4:5], s[4:5], exec
	s_and_b64 s[8:9], vcc, exec
	v_mov_b32_e32 v2, 0
	s_or_b64 s[4:5], s[4:5], s[8:9]
	s_or_b64 exec, exec, s[6:7]
	s_and_saveexec_b64 s[6:7], s[4:5]
	s_cbranch_execz .LBB2_32345
; %bb.57523:
	s_getpc_b64 s[14:15]
.Lpost_getpc32345:
	s_add_u32 s14, s14, (.LBB2_7347-.Lpost_getpc32345)&4294967295
	s_addc_u32 s15, s15, (.LBB2_7347-.Lpost_getpc32345)>>32
	s_setpc_b64 s[14:15]
.LBB2_32345:
	s_getpc_b64 s[14:15]
.Lpost_getpc19756:
	s_add_u32 s14, s14, (.LBB2_7348-.Lpost_getpc19756)&4294967295
	s_addc_u32 s15, s15, (.LBB2_7348-.Lpost_getpc19756)>>32
	s_setpc_b64 s[14:15]
.LBB2_21685:
	s_movk_i32 s4, 0x80
	v_cmp_eq_u16_e32 vcc, s4, v6
	s_mov_b64 s[4:5], -1
                                        ; implicit-def: $sgpr10
	s_and_saveexec_b64 s[8:9], vcc
; %bb.21686:
	s_mov_b32 s10, 0x7f800001
	s_xor_b64 s[4:5], exec, -1
; %bb.21687:
	s_or_b64 exec, exec, s[8:9]
	s_and_b64 s[4:5], s[4:5], exec
                                        ; implicit-def: $vgpr6
	s_or_saveexec_b64 s[6:7], s[6:7]
	v_mov_b32_e32 v12, s10
	s_xor_b64 exec, exec, s[6:7]
	s_cbranch_execnz .LBB2_21688
; %bb.57525:
	s_getpc_b64 s[14:15]
.Lpost_getpc32346:
	s_add_u32 s14, s14, (.LBB2_7350-.Lpost_getpc32346)&4294967295
	s_addc_u32 s15, s15, (.LBB2_7350-.Lpost_getpc32346)>>32
	s_setpc_b64 s[14:15]
.LBB2_21688:
	v_cmp_ne_u16_e32 vcc, 0, v6
	s_andn2_b64 s[4:5], s[4:5], exec
	s_and_b64 s[8:9], vcc, exec
	v_mov_b32_e32 v12, 0
	s_or_b64 s[4:5], s[4:5], s[8:9]
	s_or_b64 exec, exec, s[6:7]
	s_and_saveexec_b64 s[6:7], s[4:5]
	s_cbranch_execz .LBB2_32347
; %bb.57527:
	s_getpc_b64 s[14:15]
.Lpost_getpc32347:
	s_add_u32 s14, s14, (.LBB2_7351-.Lpost_getpc32347)&4294967295
	s_addc_u32 s15, s15, (.LBB2_7351-.Lpost_getpc32347)>>32
	s_setpc_b64 s[14:15]
.LBB2_32347:
	s_getpc_b64 s[14:15]
.Lpost_getpc19757:
	s_add_u32 s14, s14, (.LBB2_7352-.Lpost_getpc19757)&4294967295
	s_addc_u32 s15, s15, (.LBB2_7352-.Lpost_getpc19757)>>32
	s_setpc_b64 s[14:15]
.LBB2_21689:
	s_movk_i32 s4, 0x80
	v_cmp_eq_u16_sdwa s[12:13], v7, s4 src0_sel:BYTE_3 src1_sel:DWORD
	s_mov_b64 s[4:5], -1
                                        ; implicit-def: $sgpr10
	s_and_saveexec_b64 s[8:9], s[12:13]
; %bb.21690:
	s_mov_b32 s10, 0x7f800001
	s_xor_b64 s[4:5], exec, -1
; %bb.21691:
	s_or_b64 exec, exec, s[8:9]
	s_and_b64 s[4:5], s[4:5], exec
	s_or_saveexec_b64 s[6:7], s[6:7]
	v_mov_b32_e32 v2, s10
	s_xor_b64 exec, exec, s[6:7]
	s_cbranch_execnz .LBB2_21692
; %bb.57529:
	s_getpc_b64 s[14:15]
.Lpost_getpc32348:
	s_add_u32 s14, s14, (.LBB2_7354-.Lpost_getpc32348)&4294967295
	s_addc_u32 s15, s15, (.LBB2_7354-.Lpost_getpc32348)>>32
	s_setpc_b64 s[14:15]
.LBB2_21692:
	v_mov_b32_e32 v2, 0
	v_cmp_ne_u16_sdwa s[8:9], v7, v2 src0_sel:BYTE_3 src1_sel:DWORD
	s_andn2_b64 s[4:5], s[4:5], exec
	s_and_b64 s[8:9], s[8:9], exec
	s_or_b64 s[4:5], s[4:5], s[8:9]
	s_or_b64 exec, exec, s[6:7]
	s_and_saveexec_b64 s[6:7], s[4:5]
	s_cbranch_execz .LBB2_32349
; %bb.57531:
	s_getpc_b64 s[14:15]
.Lpost_getpc32349:
	s_add_u32 s14, s14, (.LBB2_7355-.Lpost_getpc32349)&4294967295
	s_addc_u32 s15, s15, (.LBB2_7355-.Lpost_getpc32349)>>32
	s_setpc_b64 s[14:15]
.LBB2_32349:
	s_getpc_b64 s[14:15]
.Lpost_getpc19758:
	s_add_u32 s14, s14, (.LBB2_7356-.Lpost_getpc19758)&4294967295
	s_addc_u32 s15, s15, (.LBB2_7356-.Lpost_getpc19758)>>32
	s_setpc_b64 s[14:15]
.LBB2_21693:
	s_movk_i32 s4, 0x80
	v_cmp_eq_u16_sdwa s[12:13], v3, s4 src0_sel:BYTE_3 src1_sel:DWORD
	s_mov_b64 s[4:5], -1
                                        ; implicit-def: $sgpr10
	s_and_saveexec_b64 s[8:9], s[12:13]
; %bb.21694:
	s_mov_b32 s10, 0x7f800001
	s_xor_b64 s[4:5], exec, -1
; %bb.21695:
	s_or_b64 exec, exec, s[8:9]
	s_and_b64 s[4:5], s[4:5], exec
	s_or_saveexec_b64 s[6:7], s[6:7]
	v_mov_b32_e32 v6, s10
	s_xor_b64 exec, exec, s[6:7]
	s_cbranch_execnz .LBB2_21696
; %bb.57533:
	s_getpc_b64 s[14:15]
.Lpost_getpc32350:
	s_add_u32 s14, s14, (.LBB2_7358-.Lpost_getpc32350)&4294967295
	s_addc_u32 s15, s15, (.LBB2_7358-.Lpost_getpc32350)>>32
	s_setpc_b64 s[14:15]
.LBB2_21696:
	v_mov_b32_e32 v6, 0
	v_cmp_ne_u16_sdwa s[8:9], v3, v6 src0_sel:BYTE_3 src1_sel:DWORD
	s_andn2_b64 s[4:5], s[4:5], exec
	s_and_b64 s[8:9], s[8:9], exec
	s_or_b64 s[4:5], s[4:5], s[8:9]
	s_or_b64 exec, exec, s[6:7]
	s_and_saveexec_b64 s[6:7], s[4:5]
	s_cbranch_execz .LBB2_32351
; %bb.57535:
	s_getpc_b64 s[14:15]
.Lpost_getpc32351:
	s_add_u32 s14, s14, (.LBB2_7359-.Lpost_getpc32351)&4294967295
	s_addc_u32 s15, s15, (.LBB2_7359-.Lpost_getpc32351)>>32
	s_setpc_b64 s[14:15]
.LBB2_32351:
	s_getpc_b64 s[14:15]
.Lpost_getpc19759:
	s_add_u32 s14, s14, (.LBB2_7360-.Lpost_getpc19759)&4294967295
	s_addc_u32 s15, s15, (.LBB2_7360-.Lpost_getpc19759)>>32
	s_setpc_b64 s[14:15]
.LBB2_21697:
	s_movk_i32 s4, 0x80
	v_cmp_eq_u16_sdwa s[12:13], v8, s4 src0_sel:BYTE_0 src1_sel:DWORD
	s_mov_b64 s[4:5], -1
                                        ; implicit-def: $sgpr10
	s_and_saveexec_b64 s[8:9], s[12:13]
; %bb.21698:
	s_mov_b32 s10, 0x7f800001
	s_xor_b64 s[4:5], exec, -1
; %bb.21699:
	s_or_b64 exec, exec, s[8:9]
	s_and_b64 s[4:5], s[4:5], exec
	s_or_saveexec_b64 s[6:7], s[6:7]
	v_mov_b32_e32 v2, s10
	s_xor_b64 exec, exec, s[6:7]
	s_cbranch_execnz .LBB2_21700
; %bb.57537:
	s_getpc_b64 s[14:15]
.Lpost_getpc32352:
	s_add_u32 s14, s14, (.LBB2_7362-.Lpost_getpc32352)&4294967295
	s_addc_u32 s15, s15, (.LBB2_7362-.Lpost_getpc32352)>>32
	s_setpc_b64 s[14:15]
.LBB2_21700:
	v_mov_b32_e32 v2, 0
	v_cmp_ne_u16_sdwa s[8:9], v8, v2 src0_sel:BYTE_0 src1_sel:DWORD
	s_andn2_b64 s[4:5], s[4:5], exec
	s_and_b64 s[8:9], s[8:9], exec
	s_or_b64 s[4:5], s[4:5], s[8:9]
	s_or_b64 exec, exec, s[6:7]
	s_and_saveexec_b64 s[6:7], s[4:5]
	s_cbranch_execz .LBB2_32353
; %bb.57539:
	s_getpc_b64 s[14:15]
.Lpost_getpc32353:
	s_add_u32 s14, s14, (.LBB2_7363-.Lpost_getpc32353)&4294967295
	s_addc_u32 s15, s15, (.LBB2_7363-.Lpost_getpc32353)>>32
	s_setpc_b64 s[14:15]
.LBB2_32353:
	s_getpc_b64 s[14:15]
.Lpost_getpc19760:
	s_add_u32 s14, s14, (.LBB2_7364-.Lpost_getpc19760)&4294967295
	s_addc_u32 s15, s15, (.LBB2_7364-.Lpost_getpc19760)>>32
	s_setpc_b64 s[14:15]
.LBB2_21701:
	s_movk_i32 s4, 0x80
	v_cmp_eq_u16_sdwa s[12:13], v4, s4 src0_sel:BYTE_0 src1_sel:DWORD
	s_mov_b64 s[4:5], -1
                                        ; implicit-def: $sgpr10
	s_and_saveexec_b64 s[8:9], s[12:13]
; %bb.21702:
	s_mov_b32 s10, 0x7f800001
	s_xor_b64 s[4:5], exec, -1
; %bb.21703:
	s_or_b64 exec, exec, s[8:9]
	s_and_b64 s[4:5], s[4:5], exec
	s_or_saveexec_b64 s[6:7], s[6:7]
	v_mov_b32_e32 v3, s10
	s_xor_b64 exec, exec, s[6:7]
	s_cbranch_execnz .LBB2_21704
; %bb.57541:
	s_getpc_b64 s[14:15]
.Lpost_getpc32354:
	s_add_u32 s14, s14, (.LBB2_7366-.Lpost_getpc32354)&4294967295
	s_addc_u32 s15, s15, (.LBB2_7366-.Lpost_getpc32354)>>32
	s_setpc_b64 s[14:15]
.LBB2_21704:
	v_mov_b32_e32 v3, 0
	v_cmp_ne_u16_sdwa s[8:9], v4, v3 src0_sel:BYTE_0 src1_sel:DWORD
	s_andn2_b64 s[4:5], s[4:5], exec
	s_and_b64 s[8:9], s[8:9], exec
	s_or_b64 s[4:5], s[4:5], s[8:9]
	s_or_b64 exec, exec, s[6:7]
	s_and_saveexec_b64 s[6:7], s[4:5]
	s_cbranch_execz .LBB2_32355
; %bb.57543:
	s_getpc_b64 s[14:15]
.Lpost_getpc32355:
	s_add_u32 s14, s14, (.LBB2_7367-.Lpost_getpc32355)&4294967295
	s_addc_u32 s15, s15, (.LBB2_7367-.Lpost_getpc32355)>>32
	s_setpc_b64 s[14:15]
.LBB2_32355:
	s_getpc_b64 s[14:15]
.Lpost_getpc19761:
	s_add_u32 s14, s14, (.LBB2_7368-.Lpost_getpc19761)&4294967295
	s_addc_u32 s15, s15, (.LBB2_7368-.Lpost_getpc19761)>>32
	s_setpc_b64 s[14:15]
.LBB2_21705:
	s_movk_i32 s4, 0x80
	v_cmp_eq_u16_sdwa s[12:13], v3, s4 src0_sel:BYTE_0 src1_sel:DWORD
	s_mov_b64 s[4:5], -1
                                        ; implicit-def: $sgpr10
	s_and_saveexec_b64 s[8:9], s[12:13]
; %bb.21706:
	s_mov_b32 s10, 0x7f800001
	s_xor_b64 s[4:5], exec, -1
; %bb.21707:
	s_or_b64 exec, exec, s[8:9]
	s_and_b64 s[4:5], s[4:5], exec
	s_or_saveexec_b64 s[6:7], s[6:7]
	v_mov_b32_e32 v2, s10
	s_xor_b64 exec, exec, s[6:7]
	s_cbranch_execnz .LBB2_21708
; %bb.57545:
	s_getpc_b64 s[14:15]
.Lpost_getpc32356:
	s_add_u32 s14, s14, (.LBB2_7370-.Lpost_getpc32356)&4294967295
	s_addc_u32 s15, s15, (.LBB2_7370-.Lpost_getpc32356)>>32
	s_setpc_b64 s[14:15]
.LBB2_21708:
	v_mov_b32_e32 v2, 0
	v_cmp_ne_u16_sdwa s[8:9], v3, v2 src0_sel:BYTE_0 src1_sel:DWORD
	s_andn2_b64 s[4:5], s[4:5], exec
	s_and_b64 s[8:9], s[8:9], exec
	s_or_b64 s[4:5], s[4:5], s[8:9]
	s_or_b64 exec, exec, s[6:7]
	s_and_saveexec_b64 s[6:7], s[4:5]
	s_cbranch_execz .LBB2_32357
; %bb.57547:
	s_getpc_b64 s[14:15]
.Lpost_getpc32357:
	s_add_u32 s14, s14, (.LBB2_7371-.Lpost_getpc32357)&4294967295
	s_addc_u32 s15, s15, (.LBB2_7371-.Lpost_getpc32357)>>32
	s_setpc_b64 s[14:15]
.LBB2_32357:
	s_getpc_b64 s[14:15]
.Lpost_getpc19762:
	s_add_u32 s14, s14, (.LBB2_7372-.Lpost_getpc19762)&4294967295
	s_addc_u32 s15, s15, (.LBB2_7372-.Lpost_getpc19762)>>32
	s_setpc_b64 s[14:15]
.LBB2_21709:
	s_movk_i32 s4, 0x80
	v_cmp_eq_u16_sdwa s[12:13], v3, s4 src0_sel:BYTE_0 src1_sel:DWORD
	s_mov_b64 s[4:5], -1
                                        ; implicit-def: $sgpr10
	s_and_saveexec_b64 s[8:9], s[12:13]
; %bb.21710:
	s_mov_b32 s10, 0x7f800001
	s_xor_b64 s[4:5], exec, -1
; %bb.21711:
	s_or_b64 exec, exec, s[8:9]
	s_and_b64 s[4:5], s[4:5], exec
	s_or_saveexec_b64 s[6:7], s[6:7]
	v_mov_b32_e32 v6, s10
	s_xor_b64 exec, exec, s[6:7]
	s_cbranch_execnz .LBB2_21712
; %bb.57549:
	s_getpc_b64 s[14:15]
.Lpost_getpc32358:
	s_add_u32 s14, s14, (.LBB2_7374-.Lpost_getpc32358)&4294967295
	s_addc_u32 s15, s15, (.LBB2_7374-.Lpost_getpc32358)>>32
	s_setpc_b64 s[14:15]
.LBB2_21712:
	v_mov_b32_e32 v6, 0
	v_cmp_ne_u16_sdwa s[8:9], v3, v6 src0_sel:BYTE_0 src1_sel:DWORD
	s_andn2_b64 s[4:5], s[4:5], exec
	s_and_b64 s[8:9], s[8:9], exec
	s_or_b64 s[4:5], s[4:5], s[8:9]
	s_or_b64 exec, exec, s[6:7]
	s_and_saveexec_b64 s[6:7], s[4:5]
	s_cbranch_execz .LBB2_32359
; %bb.57551:
	s_getpc_b64 s[14:15]
.Lpost_getpc32359:
	s_add_u32 s14, s14, (.LBB2_7375-.Lpost_getpc32359)&4294967295
	s_addc_u32 s15, s15, (.LBB2_7375-.Lpost_getpc32359)>>32
	s_setpc_b64 s[14:15]
.LBB2_32359:
	s_getpc_b64 s[14:15]
.Lpost_getpc19763:
	s_add_u32 s14, s14, (.LBB2_7376-.Lpost_getpc19763)&4294967295
	s_addc_u32 s15, s15, (.LBB2_7376-.Lpost_getpc19763)>>32
	s_setpc_b64 s[14:15]
.LBB2_21713:
	s_movk_i32 s4, 0x80
	v_cmp_eq_u16_e32 vcc, s4, v3
	s_mov_b64 s[4:5], -1
                                        ; implicit-def: $sgpr10
	s_and_saveexec_b64 s[8:9], vcc
; %bb.21714:
	s_mov_b32 s10, 0x7f800001
	s_xor_b64 s[4:5], exec, -1
; %bb.21715:
	s_or_b64 exec, exec, s[8:9]
	s_and_b64 s[4:5], s[4:5], exec
                                        ; implicit-def: $vgpr3
	s_or_saveexec_b64 s[6:7], s[6:7]
	v_mov_b32_e32 v2, s10
	s_xor_b64 exec, exec, s[6:7]
	s_cbranch_execnz .LBB2_21716
; %bb.57553:
	s_getpc_b64 s[14:15]
.Lpost_getpc32360:
	s_add_u32 s14, s14, (.LBB2_7378-.Lpost_getpc32360)&4294967295
	s_addc_u32 s15, s15, (.LBB2_7378-.Lpost_getpc32360)>>32
	s_setpc_b64 s[14:15]
.LBB2_21716:
	v_cmp_ne_u16_e32 vcc, 0, v3
	s_andn2_b64 s[4:5], s[4:5], exec
	s_and_b64 s[8:9], vcc, exec
	v_mov_b32_e32 v2, 0
	s_or_b64 s[4:5], s[4:5], s[8:9]
	s_or_b64 exec, exec, s[6:7]
	s_and_saveexec_b64 s[6:7], s[4:5]
	s_cbranch_execz .LBB2_32361
; %bb.57555:
	s_getpc_b64 s[14:15]
.Lpost_getpc32361:
	s_add_u32 s14, s14, (.LBB2_7379-.Lpost_getpc32361)&4294967295
	s_addc_u32 s15, s15, (.LBB2_7379-.Lpost_getpc32361)>>32
	s_setpc_b64 s[14:15]
.LBB2_32361:
	s_getpc_b64 s[14:15]
.Lpost_getpc19764:
	s_add_u32 s14, s14, (.LBB2_7380-.Lpost_getpc19764)&4294967295
	s_addc_u32 s15, s15, (.LBB2_7380-.Lpost_getpc19764)>>32
	s_setpc_b64 s[14:15]
.LBB2_21717:
	s_movk_i32 s4, 0x80
	v_cmp_eq_u16_e32 vcc, s4, v3
	s_mov_b64 s[4:5], -1
                                        ; implicit-def: $sgpr10
	s_and_saveexec_b64 s[8:9], vcc
; %bb.21718:
	s_mov_b32 s10, 0x7f800001
	s_xor_b64 s[4:5], exec, -1
; %bb.21719:
	s_or_b64 exec, exec, s[8:9]
	s_and_b64 s[4:5], s[4:5], exec
                                        ; implicit-def: $vgpr3
	s_or_saveexec_b64 s[6:7], s[6:7]
	v_mov_b32_e32 v6, s10
	s_xor_b64 exec, exec, s[6:7]
	s_cbranch_execnz .LBB2_21720
; %bb.57557:
	s_getpc_b64 s[14:15]
.Lpost_getpc32362:
	s_add_u32 s14, s14, (.LBB2_7382-.Lpost_getpc32362)&4294967295
	s_addc_u32 s15, s15, (.LBB2_7382-.Lpost_getpc32362)>>32
	s_setpc_b64 s[14:15]
.LBB2_21720:
	v_cmp_ne_u16_e32 vcc, 0, v3
	s_andn2_b64 s[4:5], s[4:5], exec
	s_and_b64 s[8:9], vcc, exec
	v_mov_b32_e32 v6, 0
	s_or_b64 s[4:5], s[4:5], s[8:9]
	s_or_b64 exec, exec, s[6:7]
	s_and_saveexec_b64 s[6:7], s[4:5]
	s_cbranch_execz .LBB2_32363
; %bb.57559:
	s_getpc_b64 s[14:15]
.Lpost_getpc32363:
	s_add_u32 s14, s14, (.LBB2_7383-.Lpost_getpc32363)&4294967295
	s_addc_u32 s15, s15, (.LBB2_7383-.Lpost_getpc32363)>>32
	s_setpc_b64 s[14:15]
.LBB2_32363:
	s_getpc_b64 s[14:15]
.Lpost_getpc19765:
	s_add_u32 s14, s14, (.LBB2_7384-.Lpost_getpc19765)&4294967295
	s_addc_u32 s15, s15, (.LBB2_7384-.Lpost_getpc19765)>>32
	s_setpc_b64 s[14:15]
.LBB2_21721:
	s_movk_i32 s4, 0x80
	v_cmp_eq_u16_sdwa s[12:13], v8, s4 src0_sel:BYTE_3 src1_sel:DWORD
	s_mov_b64 s[4:5], -1
                                        ; implicit-def: $sgpr10
	s_and_saveexec_b64 s[8:9], s[12:13]
; %bb.21722:
	s_mov_b32 s10, 0x7f800001
	s_xor_b64 s[4:5], exec, -1
; %bb.21723:
	s_or_b64 exec, exec, s[8:9]
	s_and_b64 s[4:5], s[4:5], exec
	s_or_saveexec_b64 s[6:7], s[6:7]
	v_mov_b32_e32 v2, s10
	s_xor_b64 exec, exec, s[6:7]
	s_cbranch_execnz .LBB2_21724
; %bb.57561:
	s_getpc_b64 s[14:15]
.Lpost_getpc32364:
	s_add_u32 s14, s14, (.LBB2_7386-.Lpost_getpc32364)&4294967295
	s_addc_u32 s15, s15, (.LBB2_7386-.Lpost_getpc32364)>>32
	s_setpc_b64 s[14:15]
.LBB2_21724:
	v_mov_b32_e32 v2, 0
	v_cmp_ne_u16_sdwa s[8:9], v8, v2 src0_sel:BYTE_3 src1_sel:DWORD
	s_andn2_b64 s[4:5], s[4:5], exec
	s_and_b64 s[8:9], s[8:9], exec
	s_or_b64 s[4:5], s[4:5], s[8:9]
	s_or_b64 exec, exec, s[6:7]
	s_and_saveexec_b64 s[6:7], s[4:5]
	s_cbranch_execz .LBB2_32365
; %bb.57563:
	s_getpc_b64 s[14:15]
.Lpost_getpc32365:
	s_add_u32 s14, s14, (.LBB2_7387-.Lpost_getpc32365)&4294967295
	s_addc_u32 s15, s15, (.LBB2_7387-.Lpost_getpc32365)>>32
	s_setpc_b64 s[14:15]
.LBB2_32365:
	s_getpc_b64 s[14:15]
.Lpost_getpc19766:
	s_add_u32 s14, s14, (.LBB2_7388-.Lpost_getpc19766)&4294967295
	s_addc_u32 s15, s15, (.LBB2_7388-.Lpost_getpc19766)>>32
	s_setpc_b64 s[14:15]
.LBB2_21725:
	s_movk_i32 s4, 0x80
	v_cmp_eq_u16_sdwa s[12:13], v4, s4 src0_sel:BYTE_3 src1_sel:DWORD
	s_mov_b64 s[4:5], -1
                                        ; implicit-def: $sgpr10
	s_and_saveexec_b64 s[8:9], s[12:13]
; %bb.21726:
	s_mov_b32 s10, 0x7f800001
	s_xor_b64 s[4:5], exec, -1
; %bb.21727:
	s_or_b64 exec, exec, s[8:9]
	s_and_b64 s[4:5], s[4:5], exec
	s_or_saveexec_b64 s[6:7], s[6:7]
	v_mov_b32_e32 v3, s10
	s_xor_b64 exec, exec, s[6:7]
	s_cbranch_execnz .LBB2_21728
; %bb.57565:
	s_getpc_b64 s[14:15]
.Lpost_getpc32366:
	s_add_u32 s14, s14, (.LBB2_7390-.Lpost_getpc32366)&4294967295
	s_addc_u32 s15, s15, (.LBB2_7390-.Lpost_getpc32366)>>32
	s_setpc_b64 s[14:15]
.LBB2_21728:
	v_mov_b32_e32 v3, 0
	v_cmp_ne_u16_sdwa s[8:9], v4, v3 src0_sel:BYTE_3 src1_sel:DWORD
	s_andn2_b64 s[4:5], s[4:5], exec
	s_and_b64 s[8:9], s[8:9], exec
	s_or_b64 s[4:5], s[4:5], s[8:9]
	s_or_b64 exec, exec, s[6:7]
	s_and_saveexec_b64 s[6:7], s[4:5]
	s_cbranch_execz .LBB2_32367
; %bb.57567:
	s_getpc_b64 s[14:15]
.Lpost_getpc32367:
	s_add_u32 s14, s14, (.LBB2_7391-.Lpost_getpc32367)&4294967295
	s_addc_u32 s15, s15, (.LBB2_7391-.Lpost_getpc32367)>>32
	s_setpc_b64 s[14:15]
.LBB2_32367:
	s_getpc_b64 s[14:15]
.Lpost_getpc19767:
	s_add_u32 s14, s14, (.LBB2_7392-.Lpost_getpc19767)&4294967295
	s_addc_u32 s15, s15, (.LBB2_7392-.Lpost_getpc19767)>>32
	s_setpc_b64 s[14:15]
.LBB2_21729:
	s_movk_i32 s4, 0x80
	v_cmp_eq_u16_sdwa s[12:13], v9, s4 src0_sel:BYTE_0 src1_sel:DWORD
	s_mov_b64 s[4:5], -1
                                        ; implicit-def: $sgpr10
	s_and_saveexec_b64 s[8:9], s[12:13]
; %bb.21730:
	s_mov_b32 s10, 0x7f800001
	s_xor_b64 s[4:5], exec, -1
; %bb.21731:
	s_or_b64 exec, exec, s[8:9]
	s_and_b64 s[4:5], s[4:5], exec
	s_or_saveexec_b64 s[6:7], s[6:7]
	v_mov_b32_e32 v2, s10
	s_xor_b64 exec, exec, s[6:7]
	s_cbranch_execnz .LBB2_21732
; %bb.57569:
	s_getpc_b64 s[14:15]
.Lpost_getpc32368:
	s_add_u32 s14, s14, (.LBB2_7394-.Lpost_getpc32368)&4294967295
	s_addc_u32 s15, s15, (.LBB2_7394-.Lpost_getpc32368)>>32
	s_setpc_b64 s[14:15]
.LBB2_21732:
	v_mov_b32_e32 v2, 0
	v_cmp_ne_u16_sdwa s[8:9], v9, v2 src0_sel:BYTE_0 src1_sel:DWORD
	s_andn2_b64 s[4:5], s[4:5], exec
	s_and_b64 s[8:9], s[8:9], exec
	s_or_b64 s[4:5], s[4:5], s[8:9]
	s_or_b64 exec, exec, s[6:7]
	s_and_saveexec_b64 s[6:7], s[4:5]
	s_cbranch_execz .LBB2_32369
; %bb.57571:
	s_getpc_b64 s[14:15]
.Lpost_getpc32369:
	s_add_u32 s14, s14, (.LBB2_7395-.Lpost_getpc32369)&4294967295
	s_addc_u32 s15, s15, (.LBB2_7395-.Lpost_getpc32369)>>32
	s_setpc_b64 s[14:15]
.LBB2_32369:
	s_getpc_b64 s[14:15]
.Lpost_getpc19768:
	s_add_u32 s14, s14, (.LBB2_7396-.Lpost_getpc19768)&4294967295
	s_addc_u32 s15, s15, (.LBB2_7396-.Lpost_getpc19768)>>32
	s_setpc_b64 s[14:15]
.LBB2_21733:
	s_movk_i32 s4, 0x80
	v_cmp_eq_u16_sdwa s[12:13], v5, s4 src0_sel:BYTE_0 src1_sel:DWORD
	s_mov_b64 s[4:5], -1
                                        ; implicit-def: $sgpr10
	s_and_saveexec_b64 s[8:9], s[12:13]
; %bb.21734:
	s_mov_b32 s10, 0x7f800001
	s_xor_b64 s[4:5], exec, -1
; %bb.21735:
	s_or_b64 exec, exec, s[8:9]
	s_and_b64 s[4:5], s[4:5], exec
	s_or_saveexec_b64 s[6:7], s[6:7]
	v_mov_b32_e32 v3, s10
	s_xor_b64 exec, exec, s[6:7]
	s_cbranch_execnz .LBB2_21736
; %bb.57573:
	s_getpc_b64 s[14:15]
.Lpost_getpc32370:
	s_add_u32 s14, s14, (.LBB2_7398-.Lpost_getpc32370)&4294967295
	s_addc_u32 s15, s15, (.LBB2_7398-.Lpost_getpc32370)>>32
	s_setpc_b64 s[14:15]
.LBB2_21736:
	v_mov_b32_e32 v3, 0
	v_cmp_ne_u16_sdwa s[8:9], v5, v3 src0_sel:BYTE_0 src1_sel:DWORD
	s_andn2_b64 s[4:5], s[4:5], exec
	s_and_b64 s[8:9], s[8:9], exec
	s_or_b64 s[4:5], s[4:5], s[8:9]
	s_or_b64 exec, exec, s[6:7]
	s_and_saveexec_b64 s[6:7], s[4:5]
	s_cbranch_execz .LBB2_32371
; %bb.57575:
	s_getpc_b64 s[14:15]
.Lpost_getpc32371:
	s_add_u32 s14, s14, (.LBB2_7399-.Lpost_getpc32371)&4294967295
	s_addc_u32 s15, s15, (.LBB2_7399-.Lpost_getpc32371)>>32
	s_setpc_b64 s[14:15]
.LBB2_32371:
	s_getpc_b64 s[14:15]
.Lpost_getpc19769:
	s_add_u32 s14, s14, (.LBB2_7400-.Lpost_getpc19769)&4294967295
	s_addc_u32 s15, s15, (.LBB2_7400-.Lpost_getpc19769)>>32
	s_setpc_b64 s[14:15]
.LBB2_21737:
	s_movk_i32 s4, 0x80
	v_cmp_eq_u16_sdwa s[12:13], v3, s4 src0_sel:BYTE_0 src1_sel:DWORD
	s_mov_b64 s[4:5], -1
                                        ; implicit-def: $sgpr10
	s_and_saveexec_b64 s[8:9], s[12:13]
; %bb.21738:
	s_mov_b32 s10, 0x7f800001
	s_xor_b64 s[4:5], exec, -1
; %bb.21739:
	s_or_b64 exec, exec, s[8:9]
	s_and_b64 s[4:5], s[4:5], exec
	s_or_saveexec_b64 s[6:7], s[6:7]
	v_mov_b32_e32 v2, s10
	s_xor_b64 exec, exec, s[6:7]
	s_cbranch_execnz .LBB2_21740
; %bb.57577:
	s_getpc_b64 s[14:15]
.Lpost_getpc32372:
	s_add_u32 s14, s14, (.LBB2_7402-.Lpost_getpc32372)&4294967295
	s_addc_u32 s15, s15, (.LBB2_7402-.Lpost_getpc32372)>>32
	s_setpc_b64 s[14:15]
.LBB2_21740:
	v_mov_b32_e32 v2, 0
	v_cmp_ne_u16_sdwa s[8:9], v3, v2 src0_sel:BYTE_0 src1_sel:DWORD
	s_andn2_b64 s[4:5], s[4:5], exec
	s_and_b64 s[8:9], s[8:9], exec
	s_or_b64 s[4:5], s[4:5], s[8:9]
	s_or_b64 exec, exec, s[6:7]
	s_and_saveexec_b64 s[6:7], s[4:5]
	s_cbranch_execz .LBB2_32373
; %bb.57579:
	s_getpc_b64 s[14:15]
.Lpost_getpc32373:
	s_add_u32 s14, s14, (.LBB2_7403-.Lpost_getpc32373)&4294967295
	s_addc_u32 s15, s15, (.LBB2_7403-.Lpost_getpc32373)>>32
	s_setpc_b64 s[14:15]
.LBB2_32373:
	s_getpc_b64 s[14:15]
.Lpost_getpc19770:
	s_add_u32 s14, s14, (.LBB2_7404-.Lpost_getpc19770)&4294967295
	s_addc_u32 s15, s15, (.LBB2_7404-.Lpost_getpc19770)>>32
	s_setpc_b64 s[14:15]
.LBB2_21741:
	s_movk_i32 s4, 0x80
	v_cmp_eq_u16_sdwa s[12:13], v3, s4 src0_sel:BYTE_0 src1_sel:DWORD
	s_mov_b64 s[4:5], -1
                                        ; implicit-def: $sgpr10
	s_and_saveexec_b64 s[8:9], s[12:13]
; %bb.21742:
	s_mov_b32 s10, 0x7f800001
	s_xor_b64 s[4:5], exec, -1
; %bb.21743:
	s_or_b64 exec, exec, s[8:9]
	s_and_b64 s[4:5], s[4:5], exec
	s_or_saveexec_b64 s[6:7], s[6:7]
	v_mov_b32_e32 v4, s10
	s_xor_b64 exec, exec, s[6:7]
	s_cbranch_execnz .LBB2_21744
; %bb.57581:
	s_getpc_b64 s[14:15]
.Lpost_getpc32374:
	s_add_u32 s14, s14, (.LBB2_7406-.Lpost_getpc32374)&4294967295
	s_addc_u32 s15, s15, (.LBB2_7406-.Lpost_getpc32374)>>32
	s_setpc_b64 s[14:15]
.LBB2_21744:
	v_mov_b32_e32 v4, 0
	v_cmp_ne_u16_sdwa s[8:9], v3, v4 src0_sel:BYTE_0 src1_sel:DWORD
	s_andn2_b64 s[4:5], s[4:5], exec
	s_and_b64 s[8:9], s[8:9], exec
	s_or_b64 s[4:5], s[4:5], s[8:9]
	s_or_b64 exec, exec, s[6:7]
	s_and_saveexec_b64 s[6:7], s[4:5]
	s_cbranch_execz .LBB2_32375
; %bb.57583:
	s_getpc_b64 s[14:15]
.Lpost_getpc32375:
	s_add_u32 s14, s14, (.LBB2_7407-.Lpost_getpc32375)&4294967295
	s_addc_u32 s15, s15, (.LBB2_7407-.Lpost_getpc32375)>>32
	s_setpc_b64 s[14:15]
.LBB2_32375:
	s_getpc_b64 s[14:15]
.Lpost_getpc19771:
	s_add_u32 s14, s14, (.LBB2_7408-.Lpost_getpc19771)&4294967295
	s_addc_u32 s15, s15, (.LBB2_7408-.Lpost_getpc19771)>>32
	s_setpc_b64 s[14:15]
.LBB2_21745:
	s_movk_i32 s4, 0x80
	v_cmp_eq_u16_e32 vcc, s4, v3
	s_mov_b64 s[4:5], -1
                                        ; implicit-def: $sgpr10
	s_and_saveexec_b64 s[8:9], vcc
; %bb.21746:
	s_mov_b32 s10, 0x7f800001
	s_xor_b64 s[4:5], exec, -1
; %bb.21747:
	s_or_b64 exec, exec, s[8:9]
	s_and_b64 s[4:5], s[4:5], exec
                                        ; implicit-def: $vgpr3
	s_or_saveexec_b64 s[6:7], s[6:7]
	v_mov_b32_e32 v2, s10
	s_xor_b64 exec, exec, s[6:7]
	s_cbranch_execnz .LBB2_21748
; %bb.57585:
	s_getpc_b64 s[14:15]
.Lpost_getpc32376:
	s_add_u32 s14, s14, (.LBB2_7410-.Lpost_getpc32376)&4294967295
	s_addc_u32 s15, s15, (.LBB2_7410-.Lpost_getpc32376)>>32
	s_setpc_b64 s[14:15]
.LBB2_21748:
	v_cmp_ne_u16_e32 vcc, 0, v3
	s_andn2_b64 s[4:5], s[4:5], exec
	s_and_b64 s[8:9], vcc, exec
	v_mov_b32_e32 v2, 0
	s_or_b64 s[4:5], s[4:5], s[8:9]
	s_or_b64 exec, exec, s[6:7]
	s_and_saveexec_b64 s[6:7], s[4:5]
	s_cbranch_execz .LBB2_32377
; %bb.57587:
	s_getpc_b64 s[14:15]
.Lpost_getpc32377:
	s_add_u32 s14, s14, (.LBB2_7411-.Lpost_getpc32377)&4294967295
	s_addc_u32 s15, s15, (.LBB2_7411-.Lpost_getpc32377)>>32
	s_setpc_b64 s[14:15]
.LBB2_32377:
	s_getpc_b64 s[14:15]
.Lpost_getpc19772:
	s_add_u32 s14, s14, (.LBB2_7412-.Lpost_getpc19772)&4294967295
	s_addc_u32 s15, s15, (.LBB2_7412-.Lpost_getpc19772)>>32
	s_setpc_b64 s[14:15]
.LBB2_21749:
	s_movk_i32 s4, 0x80
	v_cmp_eq_u16_e32 vcc, s4, v3
	s_mov_b64 s[4:5], -1
                                        ; implicit-def: $sgpr10
	s_and_saveexec_b64 s[8:9], vcc
; %bb.21750:
	s_mov_b32 s10, 0x7f800001
	s_xor_b64 s[4:5], exec, -1
; %bb.21751:
	s_or_b64 exec, exec, s[8:9]
	s_and_b64 s[4:5], s[4:5], exec
                                        ; implicit-def: $vgpr3
	s_or_saveexec_b64 s[6:7], s[6:7]
	v_mov_b32_e32 v4, s10
	s_xor_b64 exec, exec, s[6:7]
	s_cbranch_execnz .LBB2_21752
; %bb.57589:
	s_getpc_b64 s[14:15]
.Lpost_getpc32378:
	s_add_u32 s14, s14, (.LBB2_7414-.Lpost_getpc32378)&4294967295
	s_addc_u32 s15, s15, (.LBB2_7414-.Lpost_getpc32378)>>32
	s_setpc_b64 s[14:15]
.LBB2_21752:
	v_cmp_ne_u16_e32 vcc, 0, v3
	s_andn2_b64 s[4:5], s[4:5], exec
	s_and_b64 s[8:9], vcc, exec
	v_mov_b32_e32 v4, 0
	s_or_b64 s[4:5], s[4:5], s[8:9]
	s_or_b64 exec, exec, s[6:7]
	s_and_saveexec_b64 s[6:7], s[4:5]
	s_cbranch_execz .LBB2_32379
; %bb.57591:
	s_getpc_b64 s[14:15]
.Lpost_getpc32379:
	s_add_u32 s14, s14, (.LBB2_7415-.Lpost_getpc32379)&4294967295
	s_addc_u32 s15, s15, (.LBB2_7415-.Lpost_getpc32379)>>32
	s_setpc_b64 s[14:15]
.LBB2_32379:
	s_getpc_b64 s[14:15]
.Lpost_getpc19773:
	s_add_u32 s14, s14, (.LBB2_7416-.Lpost_getpc19773)&4294967295
	s_addc_u32 s15, s15, (.LBB2_7416-.Lpost_getpc19773)>>32
	s_setpc_b64 s[14:15]
.LBB2_21753:
	s_movk_i32 s4, 0x80
	v_cmp_eq_u16_sdwa s[12:13], v9, s4 src0_sel:BYTE_3 src1_sel:DWORD
	s_mov_b64 s[4:5], -1
                                        ; implicit-def: $sgpr10
	s_and_saveexec_b64 s[8:9], s[12:13]
; %bb.21754:
	s_mov_b32 s10, 0x7f800001
	s_xor_b64 s[4:5], exec, -1
; %bb.21755:
	s_or_b64 exec, exec, s[8:9]
	s_and_b64 s[4:5], s[4:5], exec
	s_or_saveexec_b64 s[6:7], s[6:7]
	v_mov_b32_e32 v2, s10
	s_xor_b64 exec, exec, s[6:7]
	s_cbranch_execnz .LBB2_21756
; %bb.57593:
	s_getpc_b64 s[14:15]
.Lpost_getpc32380:
	s_add_u32 s14, s14, (.LBB2_7418-.Lpost_getpc32380)&4294967295
	s_addc_u32 s15, s15, (.LBB2_7418-.Lpost_getpc32380)>>32
	s_setpc_b64 s[14:15]
.LBB2_21756:
	v_mov_b32_e32 v2, 0
	v_cmp_ne_u16_sdwa s[8:9], v9, v2 src0_sel:BYTE_3 src1_sel:DWORD
	s_andn2_b64 s[4:5], s[4:5], exec
	s_and_b64 s[8:9], s[8:9], exec
	s_or_b64 s[4:5], s[4:5], s[8:9]
	s_or_b64 exec, exec, s[6:7]
	s_and_saveexec_b64 s[6:7], s[4:5]
	s_cbranch_execz .LBB2_32381
; %bb.57595:
	s_getpc_b64 s[14:15]
.Lpost_getpc32381:
	s_add_u32 s14, s14, (.LBB2_7419-.Lpost_getpc32381)&4294967295
	s_addc_u32 s15, s15, (.LBB2_7419-.Lpost_getpc32381)>>32
	s_setpc_b64 s[14:15]
.LBB2_32381:
	s_getpc_b64 s[14:15]
.Lpost_getpc19774:
	s_add_u32 s14, s14, (.LBB2_7420-.Lpost_getpc19774)&4294967295
	s_addc_u32 s15, s15, (.LBB2_7420-.Lpost_getpc19774)>>32
	s_setpc_b64 s[14:15]
.LBB2_21757:
	s_movk_i32 s4, 0x80
	v_cmp_eq_u16_sdwa s[12:13], v5, s4 src0_sel:BYTE_3 src1_sel:DWORD
	s_mov_b64 s[4:5], -1
                                        ; implicit-def: $sgpr10
	s_and_saveexec_b64 s[8:9], s[12:13]
; %bb.21758:
	s_mov_b32 s10, 0x7f800001
	s_xor_b64 s[4:5], exec, -1
; %bb.21759:
	s_or_b64 exec, exec, s[8:9]
	s_and_b64 s[4:5], s[4:5], exec
	s_or_saveexec_b64 s[6:7], s[6:7]
	v_mov_b32_e32 v3, s10
	s_xor_b64 exec, exec, s[6:7]
	s_cbranch_execnz .LBB2_21760
; %bb.57597:
	s_getpc_b64 s[14:15]
.Lpost_getpc32382:
	s_add_u32 s14, s14, (.LBB2_7422-.Lpost_getpc32382)&4294967295
	s_addc_u32 s15, s15, (.LBB2_7422-.Lpost_getpc32382)>>32
	s_setpc_b64 s[14:15]
.LBB2_21760:
	v_mov_b32_e32 v3, 0
	v_cmp_ne_u16_sdwa s[8:9], v5, v3 src0_sel:BYTE_3 src1_sel:DWORD
	s_andn2_b64 s[4:5], s[4:5], exec
	s_and_b64 s[8:9], s[8:9], exec
	s_or_b64 s[4:5], s[4:5], s[8:9]
	s_or_b64 exec, exec, s[6:7]
	s_and_saveexec_b64 s[6:7], s[4:5]
	s_cbranch_execz .LBB2_32383
; %bb.57599:
	s_getpc_b64 s[14:15]
.Lpost_getpc32383:
	s_add_u32 s14, s14, (.LBB2_7423-.Lpost_getpc32383)&4294967295
	s_addc_u32 s15, s15, (.LBB2_7423-.Lpost_getpc32383)>>32
	s_setpc_b64 s[14:15]
.LBB2_32383:
	s_getpc_b64 s[14:15]
.Lpost_getpc19775:
	s_add_u32 s14, s14, (.LBB2_7424-.Lpost_getpc19775)&4294967295
	s_addc_u32 s15, s15, (.LBB2_7424-.Lpost_getpc19775)>>32
	s_setpc_b64 s[14:15]
.LBB2_21761:
	s_movk_i32 s4, 0x80
	v_cmp_eq_u16_sdwa s[12:13], v6, s4 src0_sel:BYTE_0 src1_sel:DWORD
	s_mov_b64 s[4:5], -1
                                        ; implicit-def: $sgpr10
	s_and_saveexec_b64 s[8:9], s[12:13]
; %bb.21762:
	s_mov_b32 s10, 0x7f800001
	s_xor_b64 s[4:5], exec, -1
; %bb.21763:
	s_or_b64 exec, exec, s[8:9]
	s_and_b64 s[4:5], s[4:5], exec
	s_or_saveexec_b64 s[6:7], s[6:7]
	v_mov_b32_e32 v12, s10
	s_xor_b64 exec, exec, s[6:7]
	s_cbranch_execnz .LBB2_21764
; %bb.57601:
	s_getpc_b64 s[14:15]
.Lpost_getpc32384:
	s_add_u32 s14, s14, (.LBB2_7426-.Lpost_getpc32384)&4294967295
	s_addc_u32 s15, s15, (.LBB2_7426-.Lpost_getpc32384)>>32
	s_setpc_b64 s[14:15]
.LBB2_21764:
	v_mov_b32_e32 v12, 0
	v_cmp_ne_u16_sdwa s[8:9], v6, v12 src0_sel:BYTE_0 src1_sel:DWORD
	s_andn2_b64 s[4:5], s[4:5], exec
	s_and_b64 s[8:9], s[8:9], exec
	s_or_b64 s[4:5], s[4:5], s[8:9]
	s_or_b64 exec, exec, s[6:7]
	s_and_saveexec_b64 s[6:7], s[4:5]
	s_cbranch_execz .LBB2_32385
; %bb.57603:
	s_getpc_b64 s[14:15]
.Lpost_getpc32385:
	s_add_u32 s14, s14, (.LBB2_7427-.Lpost_getpc32385)&4294967295
	s_addc_u32 s15, s15, (.LBB2_7427-.Lpost_getpc32385)>>32
	s_setpc_b64 s[14:15]
.LBB2_32385:
	s_getpc_b64 s[14:15]
.Lpost_getpc19776:
	s_add_u32 s14, s14, (.LBB2_7428-.Lpost_getpc19776)&4294967295
	s_addc_u32 s15, s15, (.LBB2_7428-.Lpost_getpc19776)>>32
	s_setpc_b64 s[14:15]
.LBB2_21765:
	s_movk_i32 s4, 0x80
	v_cmp_eq_u16_sdwa s[12:13], v2, s4 src0_sel:BYTE_0 src1_sel:DWORD
	s_mov_b64 s[4:5], -1
                                        ; implicit-def: $sgpr10
	s_and_saveexec_b64 s[8:9], s[12:13]
; %bb.21766:
	s_mov_b32 s10, 0x7f800001
	s_xor_b64 s[4:5], exec, -1
; %bb.21767:
	s_or_b64 exec, exec, s[8:9]
	s_and_b64 s[4:5], s[4:5], exec
	s_or_saveexec_b64 s[6:7], s[6:7]
	v_mov_b32_e32 v13, s10
	s_xor_b64 exec, exec, s[6:7]
	s_cbranch_execnz .LBB2_21768
; %bb.57605:
	s_getpc_b64 s[14:15]
.Lpost_getpc32386:
	s_add_u32 s14, s14, (.LBB2_7430-.Lpost_getpc32386)&4294967295
	s_addc_u32 s15, s15, (.LBB2_7430-.Lpost_getpc32386)>>32
	s_setpc_b64 s[14:15]
.LBB2_21768:
	v_mov_b32_e32 v13, 0
	v_cmp_ne_u16_sdwa s[8:9], v2, v13 src0_sel:BYTE_0 src1_sel:DWORD
	s_andn2_b64 s[4:5], s[4:5], exec
	s_and_b64 s[8:9], s[8:9], exec
	s_or_b64 s[4:5], s[4:5], s[8:9]
	s_or_b64 exec, exec, s[6:7]
	s_and_saveexec_b64 s[6:7], s[4:5]
	s_cbranch_execz .LBB2_32387
; %bb.57607:
	s_getpc_b64 s[14:15]
.Lpost_getpc32387:
	s_add_u32 s14, s14, (.LBB2_7431-.Lpost_getpc32387)&4294967295
	s_addc_u32 s15, s15, (.LBB2_7431-.Lpost_getpc32387)>>32
	s_setpc_b64 s[14:15]
.LBB2_32387:
	s_getpc_b64 s[14:15]
.Lpost_getpc19777:
	s_add_u32 s14, s14, (.LBB2_7432-.Lpost_getpc19777)&4294967295
	s_addc_u32 s15, s15, (.LBB2_7432-.Lpost_getpc19777)>>32
	s_setpc_b64 s[14:15]
.LBB2_21769:
	s_movk_i32 s4, 0x80
	v_cmp_eq_u16_sdwa s[12:13], v13, s4 src0_sel:BYTE_0 src1_sel:DWORD
	s_mov_b64 s[4:5], -1
                                        ; implicit-def: $sgpr10
	s_and_saveexec_b64 s[8:9], s[12:13]
; %bb.21770:
	s_mov_b32 s10, 0x7f800001
	s_xor_b64 s[4:5], exec, -1
; %bb.21771:
	s_or_b64 exec, exec, s[8:9]
	s_and_b64 s[4:5], s[4:5], exec
	s_or_saveexec_b64 s[6:7], s[6:7]
	v_mov_b32_e32 v12, s10
	s_xor_b64 exec, exec, s[6:7]
	s_cbranch_execnz .LBB2_21772
; %bb.57609:
	s_getpc_b64 s[14:15]
.Lpost_getpc32388:
	s_add_u32 s14, s14, (.LBB2_7434-.Lpost_getpc32388)&4294967295
	s_addc_u32 s15, s15, (.LBB2_7434-.Lpost_getpc32388)>>32
	s_setpc_b64 s[14:15]
.LBB2_21772:
	v_mov_b32_e32 v12, 0
	v_cmp_ne_u16_sdwa s[8:9], v13, v12 src0_sel:BYTE_0 src1_sel:DWORD
	s_andn2_b64 s[4:5], s[4:5], exec
	s_and_b64 s[8:9], s[8:9], exec
	s_or_b64 s[4:5], s[4:5], s[8:9]
	s_or_b64 exec, exec, s[6:7]
	s_and_saveexec_b64 s[6:7], s[4:5]
	s_cbranch_execz .LBB2_32389
; %bb.57611:
	s_getpc_b64 s[14:15]
.Lpost_getpc32389:
	s_add_u32 s14, s14, (.LBB2_7435-.Lpost_getpc32389)&4294967295
	s_addc_u32 s15, s15, (.LBB2_7435-.Lpost_getpc32389)>>32
	s_setpc_b64 s[14:15]
.LBB2_32389:
	s_getpc_b64 s[14:15]
.Lpost_getpc19778:
	s_add_u32 s14, s14, (.LBB2_7436-.Lpost_getpc19778)&4294967295
	s_addc_u32 s15, s15, (.LBB2_7436-.Lpost_getpc19778)>>32
	s_setpc_b64 s[14:15]
.LBB2_21773:
	s_movk_i32 s4, 0x80
	v_cmp_eq_u16_sdwa s[12:13], v13, s4 src0_sel:BYTE_0 src1_sel:DWORD
	s_mov_b64 s[4:5], -1
                                        ; implicit-def: $sgpr10
	s_and_saveexec_b64 s[8:9], s[12:13]
; %bb.21774:
	s_mov_b32 s10, 0x7f800001
	s_xor_b64 s[4:5], exec, -1
; %bb.21775:
	s_or_b64 exec, exec, s[8:9]
	s_and_b64 s[4:5], s[4:5], exec
	s_or_saveexec_b64 s[6:7], s[6:7]
	v_mov_b32_e32 v14, s10
	s_xor_b64 exec, exec, s[6:7]
	s_cbranch_execnz .LBB2_21776
; %bb.57613:
	s_getpc_b64 s[14:15]
.Lpost_getpc32390:
	s_add_u32 s14, s14, (.LBB2_7438-.Lpost_getpc32390)&4294967295
	s_addc_u32 s15, s15, (.LBB2_7438-.Lpost_getpc32390)>>32
	s_setpc_b64 s[14:15]
.LBB2_21776:
	v_mov_b32_e32 v14, 0
	v_cmp_ne_u16_sdwa s[8:9], v13, v14 src0_sel:BYTE_0 src1_sel:DWORD
	s_andn2_b64 s[4:5], s[4:5], exec
	s_and_b64 s[8:9], s[8:9], exec
	s_or_b64 s[4:5], s[4:5], s[8:9]
	s_or_b64 exec, exec, s[6:7]
	s_and_saveexec_b64 s[6:7], s[4:5]
	s_cbranch_execz .LBB2_32391
; %bb.57615:
	s_getpc_b64 s[14:15]
.Lpost_getpc32391:
	s_add_u32 s14, s14, (.LBB2_7439-.Lpost_getpc32391)&4294967295
	s_addc_u32 s15, s15, (.LBB2_7439-.Lpost_getpc32391)>>32
	s_setpc_b64 s[14:15]
.LBB2_32391:
	s_getpc_b64 s[14:15]
.Lpost_getpc19779:
	s_add_u32 s14, s14, (.LBB2_7440-.Lpost_getpc19779)&4294967295
	s_addc_u32 s15, s15, (.LBB2_7440-.Lpost_getpc19779)>>32
	s_setpc_b64 s[14:15]
.LBB2_21777:
	s_movk_i32 s4, 0x80
	v_cmp_eq_u16_e32 vcc, s4, v13
	s_mov_b64 s[4:5], -1
                                        ; implicit-def: $sgpr10
	s_and_saveexec_b64 s[8:9], vcc
; %bb.21778:
	s_mov_b32 s10, 0x7f800001
	s_xor_b64 s[4:5], exec, -1
; %bb.21779:
	s_or_b64 exec, exec, s[8:9]
	s_and_b64 s[4:5], s[4:5], exec
                                        ; implicit-def: $vgpr13
	s_or_saveexec_b64 s[6:7], s[6:7]
	v_mov_b32_e32 v12, s10
	s_xor_b64 exec, exec, s[6:7]
	s_cbranch_execnz .LBB2_21780
; %bb.57617:
	s_getpc_b64 s[14:15]
.Lpost_getpc32392:
	s_add_u32 s14, s14, (.LBB2_7442-.Lpost_getpc32392)&4294967295
	s_addc_u32 s15, s15, (.LBB2_7442-.Lpost_getpc32392)>>32
	s_setpc_b64 s[14:15]
.LBB2_21780:
	v_cmp_ne_u16_e32 vcc, 0, v13
	s_andn2_b64 s[4:5], s[4:5], exec
	s_and_b64 s[8:9], vcc, exec
	v_mov_b32_e32 v12, 0
	s_or_b64 s[4:5], s[4:5], s[8:9]
	s_or_b64 exec, exec, s[6:7]
	s_and_saveexec_b64 s[6:7], s[4:5]
	s_cbranch_execz .LBB2_32393
; %bb.57619:
	s_getpc_b64 s[14:15]
.Lpost_getpc32393:
	s_add_u32 s14, s14, (.LBB2_7443-.Lpost_getpc32393)&4294967295
	s_addc_u32 s15, s15, (.LBB2_7443-.Lpost_getpc32393)>>32
	s_setpc_b64 s[14:15]
.LBB2_32393:
	s_getpc_b64 s[14:15]
.Lpost_getpc19780:
	s_add_u32 s14, s14, (.LBB2_7444-.Lpost_getpc19780)&4294967295
	s_addc_u32 s15, s15, (.LBB2_7444-.Lpost_getpc19780)>>32
	s_setpc_b64 s[14:15]
.LBB2_21781:
	s_movk_i32 s4, 0x80
	v_cmp_eq_u16_e32 vcc, s4, v13
	s_mov_b64 s[4:5], -1
                                        ; implicit-def: $sgpr10
	s_and_saveexec_b64 s[8:9], vcc
; %bb.21782:
	s_mov_b32 s10, 0x7f800001
	s_xor_b64 s[4:5], exec, -1
; %bb.21783:
	s_or_b64 exec, exec, s[8:9]
	s_and_b64 s[4:5], s[4:5], exec
                                        ; implicit-def: $vgpr13
	s_or_saveexec_b64 s[6:7], s[6:7]
	v_mov_b32_e32 v14, s10
	s_xor_b64 exec, exec, s[6:7]
	s_cbranch_execnz .LBB2_21784
; %bb.57621:
	s_getpc_b64 s[14:15]
.Lpost_getpc32394:
	s_add_u32 s14, s14, (.LBB2_7446-.Lpost_getpc32394)&4294967295
	s_addc_u32 s15, s15, (.LBB2_7446-.Lpost_getpc32394)>>32
	s_setpc_b64 s[14:15]
.LBB2_21784:
	v_cmp_ne_u16_e32 vcc, 0, v13
	s_andn2_b64 s[4:5], s[4:5], exec
	s_and_b64 s[8:9], vcc, exec
	v_mov_b32_e32 v14, 0
	s_or_b64 s[4:5], s[4:5], s[8:9]
	s_or_b64 exec, exec, s[6:7]
	s_and_saveexec_b64 s[6:7], s[4:5]
	s_cbranch_execz .LBB2_32395
; %bb.57623:
	s_getpc_b64 s[14:15]
.Lpost_getpc32395:
	s_add_u32 s14, s14, (.LBB2_7447-.Lpost_getpc32395)&4294967295
	s_addc_u32 s15, s15, (.LBB2_7447-.Lpost_getpc32395)>>32
	s_setpc_b64 s[14:15]
.LBB2_32395:
	s_getpc_b64 s[14:15]
.Lpost_getpc19781:
	s_add_u32 s14, s14, (.LBB2_7448-.Lpost_getpc19781)&4294967295
	s_addc_u32 s15, s15, (.LBB2_7448-.Lpost_getpc19781)>>32
	s_setpc_b64 s[14:15]
.LBB2_21785:
	s_movk_i32 s4, 0x80
	v_cmp_eq_u16_sdwa s[12:13], v6, s4 src0_sel:BYTE_3 src1_sel:DWORD
	s_mov_b64 s[4:5], -1
                                        ; implicit-def: $sgpr10
	s_and_saveexec_b64 s[8:9], s[12:13]
; %bb.21786:
	s_mov_b32 s10, 0x7f800001
	s_xor_b64 s[4:5], exec, -1
; %bb.21787:
	s_or_b64 exec, exec, s[8:9]
	s_and_b64 s[4:5], s[4:5], exec
	s_or_saveexec_b64 s[6:7], s[6:7]
	v_mov_b32_e32 v12, s10
	s_xor_b64 exec, exec, s[6:7]
	s_cbranch_execnz .LBB2_21788
; %bb.57625:
	s_getpc_b64 s[14:15]
.Lpost_getpc32396:
	s_add_u32 s14, s14, (.LBB2_7450-.Lpost_getpc32396)&4294967295
	s_addc_u32 s15, s15, (.LBB2_7450-.Lpost_getpc32396)>>32
	s_setpc_b64 s[14:15]
.LBB2_21788:
	v_mov_b32_e32 v12, 0
	v_cmp_ne_u16_sdwa s[8:9], v6, v12 src0_sel:BYTE_3 src1_sel:DWORD
	s_andn2_b64 s[4:5], s[4:5], exec
	s_and_b64 s[8:9], s[8:9], exec
	s_or_b64 s[4:5], s[4:5], s[8:9]
	s_or_b64 exec, exec, s[6:7]
	s_and_saveexec_b64 s[6:7], s[4:5]
	s_cbranch_execz .LBB2_32397
; %bb.57627:
	s_getpc_b64 s[14:15]
.Lpost_getpc32397:
	s_add_u32 s14, s14, (.LBB2_7451-.Lpost_getpc32397)&4294967295
	s_addc_u32 s15, s15, (.LBB2_7451-.Lpost_getpc32397)>>32
	s_setpc_b64 s[14:15]
.LBB2_32397:
	s_getpc_b64 s[14:15]
.Lpost_getpc19782:
	s_add_u32 s14, s14, (.LBB2_7452-.Lpost_getpc19782)&4294967295
	s_addc_u32 s15, s15, (.LBB2_7452-.Lpost_getpc19782)>>32
	s_setpc_b64 s[14:15]
.LBB2_21789:
	s_movk_i32 s4, 0x80
	v_cmp_eq_u16_sdwa s[12:13], v2, s4 src0_sel:BYTE_3 src1_sel:DWORD
	s_mov_b64 s[4:5], -1
                                        ; implicit-def: $sgpr10
	s_and_saveexec_b64 s[8:9], s[12:13]
; %bb.21790:
	s_mov_b32 s10, 0x7f800001
	s_xor_b64 s[4:5], exec, -1
; %bb.21791:
	s_or_b64 exec, exec, s[8:9]
	s_and_b64 s[4:5], s[4:5], exec
	s_or_saveexec_b64 s[6:7], s[6:7]
	v_mov_b32_e32 v6, s10
	s_xor_b64 exec, exec, s[6:7]
	s_cbranch_execnz .LBB2_21792
; %bb.57629:
	s_getpc_b64 s[14:15]
.Lpost_getpc32398:
	s_add_u32 s14, s14, (.LBB2_7454-.Lpost_getpc32398)&4294967295
	s_addc_u32 s15, s15, (.LBB2_7454-.Lpost_getpc32398)>>32
	s_setpc_b64 s[14:15]
.LBB2_21792:
	v_mov_b32_e32 v6, 0
	v_cmp_ne_u16_sdwa s[8:9], v2, v6 src0_sel:BYTE_3 src1_sel:DWORD
	s_andn2_b64 s[4:5], s[4:5], exec
	s_and_b64 s[8:9], s[8:9], exec
	s_or_b64 s[4:5], s[4:5], s[8:9]
	s_or_b64 exec, exec, s[6:7]
	s_and_saveexec_b64 s[6:7], s[4:5]
	s_cbranch_execz .LBB2_32399
; %bb.57631:
	s_getpc_b64 s[14:15]
.Lpost_getpc32399:
	s_add_u32 s14, s14, (.LBB2_7455-.Lpost_getpc32399)&4294967295
	s_addc_u32 s15, s15, (.LBB2_7455-.Lpost_getpc32399)>>32
	s_setpc_b64 s[14:15]
.LBB2_32399:
	s_getpc_b64 s[14:15]
.Lpost_getpc19783:
	s_add_u32 s14, s14, (.LBB2_7456-.Lpost_getpc19783)&4294967295
	s_addc_u32 s15, s15, (.LBB2_7456-.Lpost_getpc19783)>>32
	s_setpc_b64 s[14:15]
.LBB2_21793:
	s_movk_i32 s4, 0x80
	v_cmp_eq_u16_sdwa s[12:13], v7, s4 src0_sel:BYTE_0 src1_sel:DWORD
	s_mov_b64 s[4:5], -1
                                        ; implicit-def: $sgpr10
	s_and_saveexec_b64 s[8:9], s[12:13]
; %bb.21794:
	s_mov_b32 s10, 0x7f800001
	s_xor_b64 s[4:5], exec, -1
; %bb.21795:
	s_or_b64 exec, exec, s[8:9]
	s_and_b64 s[4:5], s[4:5], exec
	s_or_saveexec_b64 s[6:7], s[6:7]
	v_mov_b32_e32 v2, s10
	s_xor_b64 exec, exec, s[6:7]
	s_cbranch_execnz .LBB2_21796
; %bb.57633:
	s_getpc_b64 s[14:15]
.Lpost_getpc32400:
	s_add_u32 s14, s14, (.LBB2_7458-.Lpost_getpc32400)&4294967295
	s_addc_u32 s15, s15, (.LBB2_7458-.Lpost_getpc32400)>>32
	s_setpc_b64 s[14:15]
.LBB2_21796:
	v_mov_b32_e32 v2, 0
	v_cmp_ne_u16_sdwa s[8:9], v7, v2 src0_sel:BYTE_0 src1_sel:DWORD
	s_andn2_b64 s[4:5], s[4:5], exec
	s_and_b64 s[8:9], s[8:9], exec
	s_or_b64 s[4:5], s[4:5], s[8:9]
	s_or_b64 exec, exec, s[6:7]
	s_and_saveexec_b64 s[6:7], s[4:5]
	s_cbranch_execz .LBB2_32401
; %bb.57635:
	s_getpc_b64 s[14:15]
.Lpost_getpc32401:
	s_add_u32 s14, s14, (.LBB2_7459-.Lpost_getpc32401)&4294967295
	s_addc_u32 s15, s15, (.LBB2_7459-.Lpost_getpc32401)>>32
	s_setpc_b64 s[14:15]
.LBB2_32401:
	s_getpc_b64 s[14:15]
.Lpost_getpc19784:
	s_add_u32 s14, s14, (.LBB2_7460-.Lpost_getpc19784)&4294967295
	s_addc_u32 s15, s15, (.LBB2_7460-.Lpost_getpc19784)>>32
	s_setpc_b64 s[14:15]
.LBB2_21797:
	s_movk_i32 s4, 0x80
	v_cmp_eq_u16_sdwa s[12:13], v3, s4 src0_sel:BYTE_0 src1_sel:DWORD
	s_mov_b64 s[4:5], -1
                                        ; implicit-def: $sgpr10
	s_and_saveexec_b64 s[8:9], s[12:13]
; %bb.21798:
	s_mov_b32 s10, 0x7f800001
	s_xor_b64 s[4:5], exec, -1
; %bb.21799:
	s_or_b64 exec, exec, s[8:9]
	s_and_b64 s[4:5], s[4:5], exec
	s_or_saveexec_b64 s[6:7], s[6:7]
	v_mov_b32_e32 v6, s10
	s_xor_b64 exec, exec, s[6:7]
	s_cbranch_execnz .LBB2_21800
; %bb.57637:
	s_getpc_b64 s[14:15]
.Lpost_getpc32402:
	s_add_u32 s14, s14, (.LBB2_7462-.Lpost_getpc32402)&4294967295
	s_addc_u32 s15, s15, (.LBB2_7462-.Lpost_getpc32402)>>32
	s_setpc_b64 s[14:15]
.LBB2_21800:
	v_mov_b32_e32 v6, 0
	v_cmp_ne_u16_sdwa s[8:9], v3, v6 src0_sel:BYTE_0 src1_sel:DWORD
	s_andn2_b64 s[4:5], s[4:5], exec
	s_and_b64 s[8:9], s[8:9], exec
	s_or_b64 s[4:5], s[4:5], s[8:9]
	s_or_b64 exec, exec, s[6:7]
	s_and_saveexec_b64 s[6:7], s[4:5]
	s_cbranch_execz .LBB2_32403
; %bb.57639:
	s_getpc_b64 s[14:15]
.Lpost_getpc32403:
	s_add_u32 s14, s14, (.LBB2_7463-.Lpost_getpc32403)&4294967295
	s_addc_u32 s15, s15, (.LBB2_7463-.Lpost_getpc32403)>>32
	s_setpc_b64 s[14:15]
.LBB2_32403:
	s_getpc_b64 s[14:15]
.Lpost_getpc19785:
	s_add_u32 s14, s14, (.LBB2_7464-.Lpost_getpc19785)&4294967295
	s_addc_u32 s15, s15, (.LBB2_7464-.Lpost_getpc19785)>>32
	s_setpc_b64 s[14:15]
.LBB2_21801:
	s_movk_i32 s4, 0x80
	v_cmp_eq_u16_sdwa s[12:13], v6, s4 src0_sel:BYTE_0 src1_sel:DWORD
	s_mov_b64 s[4:5], -1
                                        ; implicit-def: $sgpr10
	s_and_saveexec_b64 s[8:9], s[12:13]
; %bb.21802:
	s_mov_b32 s10, 0x7f800001
	s_xor_b64 s[4:5], exec, -1
; %bb.21803:
	s_or_b64 exec, exec, s[8:9]
	s_and_b64 s[4:5], s[4:5], exec
	s_or_saveexec_b64 s[6:7], s[6:7]
	v_mov_b32_e32 v2, s10
	s_xor_b64 exec, exec, s[6:7]
	s_cbranch_execnz .LBB2_21804
; %bb.57641:
	s_getpc_b64 s[14:15]
.Lpost_getpc32404:
	s_add_u32 s14, s14, (.LBB2_7466-.Lpost_getpc32404)&4294967295
	s_addc_u32 s15, s15, (.LBB2_7466-.Lpost_getpc32404)>>32
	s_setpc_b64 s[14:15]
.LBB2_21804:
	v_mov_b32_e32 v2, 0
	v_cmp_ne_u16_sdwa s[8:9], v6, v2 src0_sel:BYTE_0 src1_sel:DWORD
	s_andn2_b64 s[4:5], s[4:5], exec
	s_and_b64 s[8:9], s[8:9], exec
	s_or_b64 s[4:5], s[4:5], s[8:9]
	s_or_b64 exec, exec, s[6:7]
	s_and_saveexec_b64 s[6:7], s[4:5]
	s_cbranch_execz .LBB2_32405
; %bb.57643:
	s_getpc_b64 s[14:15]
.Lpost_getpc32405:
	s_add_u32 s14, s14, (.LBB2_7467-.Lpost_getpc32405)&4294967295
	s_addc_u32 s15, s15, (.LBB2_7467-.Lpost_getpc32405)>>32
	s_setpc_b64 s[14:15]
.LBB2_32405:
	s_getpc_b64 s[14:15]
.Lpost_getpc19786:
	s_add_u32 s14, s14, (.LBB2_7468-.Lpost_getpc19786)&4294967295
	s_addc_u32 s15, s15, (.LBB2_7468-.Lpost_getpc19786)>>32
	s_setpc_b64 s[14:15]
.LBB2_21805:
	s_movk_i32 s4, 0x80
	v_cmp_eq_u16_sdwa s[12:13], v6, s4 src0_sel:BYTE_0 src1_sel:DWORD
	s_mov_b64 s[4:5], -1
                                        ; implicit-def: $sgpr10
	s_and_saveexec_b64 s[8:9], s[12:13]
; %bb.21806:
	s_mov_b32 s10, 0x7f800001
	s_xor_b64 s[4:5], exec, -1
; %bb.21807:
	s_or_b64 exec, exec, s[8:9]
	s_and_b64 s[4:5], s[4:5], exec
	s_or_saveexec_b64 s[6:7], s[6:7]
	v_mov_b32_e32 v12, s10
	s_xor_b64 exec, exec, s[6:7]
	s_cbranch_execnz .LBB2_21808
; %bb.57645:
	s_getpc_b64 s[14:15]
.Lpost_getpc32406:
	s_add_u32 s14, s14, (.LBB2_7470-.Lpost_getpc32406)&4294967295
	s_addc_u32 s15, s15, (.LBB2_7470-.Lpost_getpc32406)>>32
	s_setpc_b64 s[14:15]
.LBB2_21808:
	v_mov_b32_e32 v12, 0
	v_cmp_ne_u16_sdwa s[8:9], v6, v12 src0_sel:BYTE_0 src1_sel:DWORD
	s_andn2_b64 s[4:5], s[4:5], exec
	s_and_b64 s[8:9], s[8:9], exec
	s_or_b64 s[4:5], s[4:5], s[8:9]
	s_or_b64 exec, exec, s[6:7]
	s_and_saveexec_b64 s[6:7], s[4:5]
	s_cbranch_execz .LBB2_32407
; %bb.57647:
	s_getpc_b64 s[14:15]
.Lpost_getpc32407:
	s_add_u32 s14, s14, (.LBB2_7471-.Lpost_getpc32407)&4294967295
	s_addc_u32 s15, s15, (.LBB2_7471-.Lpost_getpc32407)>>32
	s_setpc_b64 s[14:15]
.LBB2_32407:
	s_getpc_b64 s[14:15]
.Lpost_getpc19787:
	s_add_u32 s14, s14, (.LBB2_7472-.Lpost_getpc19787)&4294967295
	s_addc_u32 s15, s15, (.LBB2_7472-.Lpost_getpc19787)>>32
	s_setpc_b64 s[14:15]
.LBB2_21809:
	s_movk_i32 s4, 0x80
	v_cmp_eq_u16_e32 vcc, s4, v6
	s_mov_b64 s[4:5], -1
                                        ; implicit-def: $sgpr10
	s_and_saveexec_b64 s[8:9], vcc
; %bb.21810:
	s_mov_b32 s10, 0x7f800001
	s_xor_b64 s[4:5], exec, -1
; %bb.21811:
	s_or_b64 exec, exec, s[8:9]
	s_and_b64 s[4:5], s[4:5], exec
                                        ; implicit-def: $vgpr6
	s_or_saveexec_b64 s[6:7], s[6:7]
	v_mov_b32_e32 v2, s10
	s_xor_b64 exec, exec, s[6:7]
	s_cbranch_execnz .LBB2_21812
; %bb.57649:
	s_getpc_b64 s[14:15]
.Lpost_getpc32408:
	s_add_u32 s14, s14, (.LBB2_7474-.Lpost_getpc32408)&4294967295
	s_addc_u32 s15, s15, (.LBB2_7474-.Lpost_getpc32408)>>32
	s_setpc_b64 s[14:15]
.LBB2_21812:
	v_cmp_ne_u16_e32 vcc, 0, v6
	s_andn2_b64 s[4:5], s[4:5], exec
	s_and_b64 s[8:9], vcc, exec
	v_mov_b32_e32 v2, 0
	s_or_b64 s[4:5], s[4:5], s[8:9]
	s_or_b64 exec, exec, s[6:7]
	s_and_saveexec_b64 s[6:7], s[4:5]
	s_cbranch_execz .LBB2_32409
; %bb.57651:
	s_getpc_b64 s[14:15]
.Lpost_getpc32409:
	s_add_u32 s14, s14, (.LBB2_7475-.Lpost_getpc32409)&4294967295
	s_addc_u32 s15, s15, (.LBB2_7475-.Lpost_getpc32409)>>32
	s_setpc_b64 s[14:15]
.LBB2_32409:
	s_getpc_b64 s[14:15]
.Lpost_getpc19788:
	s_add_u32 s14, s14, (.LBB2_7476-.Lpost_getpc19788)&4294967295
	s_addc_u32 s15, s15, (.LBB2_7476-.Lpost_getpc19788)>>32
	s_setpc_b64 s[14:15]
.LBB2_21813:
	s_movk_i32 s4, 0x80
	v_cmp_eq_u16_e32 vcc, s4, v6
	s_mov_b64 s[4:5], -1
                                        ; implicit-def: $sgpr10
	s_and_saveexec_b64 s[8:9], vcc
; %bb.21814:
	s_mov_b32 s10, 0x7f800001
	s_xor_b64 s[4:5], exec, -1
; %bb.21815:
	s_or_b64 exec, exec, s[8:9]
	s_and_b64 s[4:5], s[4:5], exec
                                        ; implicit-def: $vgpr6
	s_or_saveexec_b64 s[6:7], s[6:7]
	v_mov_b32_e32 v12, s10
	s_xor_b64 exec, exec, s[6:7]
	s_cbranch_execnz .LBB2_21816
; %bb.57653:
	s_getpc_b64 s[14:15]
.Lpost_getpc32410:
	s_add_u32 s14, s14, (.LBB2_7478-.Lpost_getpc32410)&4294967295
	s_addc_u32 s15, s15, (.LBB2_7478-.Lpost_getpc32410)>>32
	s_setpc_b64 s[14:15]
.LBB2_21816:
	v_cmp_ne_u16_e32 vcc, 0, v6
	s_andn2_b64 s[4:5], s[4:5], exec
	s_and_b64 s[8:9], vcc, exec
	v_mov_b32_e32 v12, 0
	s_or_b64 s[4:5], s[4:5], s[8:9]
	s_or_b64 exec, exec, s[6:7]
	s_and_saveexec_b64 s[6:7], s[4:5]
	s_cbranch_execz .LBB2_32411
; %bb.57655:
	s_getpc_b64 s[14:15]
.Lpost_getpc32411:
	s_add_u32 s14, s14, (.LBB2_7479-.Lpost_getpc32411)&4294967295
	s_addc_u32 s15, s15, (.LBB2_7479-.Lpost_getpc32411)>>32
	s_setpc_b64 s[14:15]
.LBB2_32411:
	s_getpc_b64 s[14:15]
.Lpost_getpc19789:
	s_add_u32 s14, s14, (.LBB2_7480-.Lpost_getpc19789)&4294967295
	s_addc_u32 s15, s15, (.LBB2_7480-.Lpost_getpc19789)>>32
	s_setpc_b64 s[14:15]
.LBB2_21817:
	s_movk_i32 s4, 0x80
	v_cmp_eq_u16_sdwa s[12:13], v7, s4 src0_sel:BYTE_3 src1_sel:DWORD
	s_mov_b64 s[4:5], -1
                                        ; implicit-def: $sgpr10
	s_and_saveexec_b64 s[8:9], s[12:13]
; %bb.21818:
	s_mov_b32 s10, 0x7f800001
	s_xor_b64 s[4:5], exec, -1
; %bb.21819:
	s_or_b64 exec, exec, s[8:9]
	s_and_b64 s[4:5], s[4:5], exec
	s_or_saveexec_b64 s[6:7], s[6:7]
	v_mov_b32_e32 v2, s10
	s_xor_b64 exec, exec, s[6:7]
	s_cbranch_execnz .LBB2_21820
; %bb.57657:
	s_getpc_b64 s[14:15]
.Lpost_getpc32412:
	s_add_u32 s14, s14, (.LBB2_7482-.Lpost_getpc32412)&4294967295
	s_addc_u32 s15, s15, (.LBB2_7482-.Lpost_getpc32412)>>32
	s_setpc_b64 s[14:15]
.LBB2_21820:
	v_mov_b32_e32 v2, 0
	v_cmp_ne_u16_sdwa s[8:9], v7, v2 src0_sel:BYTE_3 src1_sel:DWORD
	s_andn2_b64 s[4:5], s[4:5], exec
	s_and_b64 s[8:9], s[8:9], exec
	s_or_b64 s[4:5], s[4:5], s[8:9]
	s_or_b64 exec, exec, s[6:7]
	s_and_saveexec_b64 s[6:7], s[4:5]
	s_cbranch_execz .LBB2_32413
; %bb.57659:
	s_getpc_b64 s[14:15]
.Lpost_getpc32413:
	s_add_u32 s14, s14, (.LBB2_7483-.Lpost_getpc32413)&4294967295
	s_addc_u32 s15, s15, (.LBB2_7483-.Lpost_getpc32413)>>32
	s_setpc_b64 s[14:15]
.LBB2_32413:
	s_getpc_b64 s[14:15]
.Lpost_getpc19790:
	s_add_u32 s14, s14, (.LBB2_7484-.Lpost_getpc19790)&4294967295
	s_addc_u32 s15, s15, (.LBB2_7484-.Lpost_getpc19790)>>32
	s_setpc_b64 s[14:15]
.LBB2_21821:
	s_movk_i32 s4, 0x80
	v_cmp_eq_u16_sdwa s[12:13], v3, s4 src0_sel:BYTE_3 src1_sel:DWORD
	s_mov_b64 s[4:5], -1
                                        ; implicit-def: $sgpr10
	s_and_saveexec_b64 s[8:9], s[12:13]
; %bb.21822:
	s_mov_b32 s10, 0x7f800001
	s_xor_b64 s[4:5], exec, -1
; %bb.21823:
	s_or_b64 exec, exec, s[8:9]
	s_and_b64 s[4:5], s[4:5], exec
	s_or_saveexec_b64 s[6:7], s[6:7]
	v_mov_b32_e32 v6, s10
	s_xor_b64 exec, exec, s[6:7]
	s_cbranch_execnz .LBB2_21824
; %bb.57661:
	s_getpc_b64 s[14:15]
.Lpost_getpc32414:
	s_add_u32 s14, s14, (.LBB2_7486-.Lpost_getpc32414)&4294967295
	s_addc_u32 s15, s15, (.LBB2_7486-.Lpost_getpc32414)>>32
	s_setpc_b64 s[14:15]
.LBB2_21824:
	v_mov_b32_e32 v6, 0
	v_cmp_ne_u16_sdwa s[8:9], v3, v6 src0_sel:BYTE_3 src1_sel:DWORD
	s_andn2_b64 s[4:5], s[4:5], exec
	s_and_b64 s[8:9], s[8:9], exec
	s_or_b64 s[4:5], s[4:5], s[8:9]
	s_or_b64 exec, exec, s[6:7]
	s_and_saveexec_b64 s[6:7], s[4:5]
	s_cbranch_execz .LBB2_32415
; %bb.57663:
	s_getpc_b64 s[14:15]
.Lpost_getpc32415:
	s_add_u32 s14, s14, (.LBB2_7487-.Lpost_getpc32415)&4294967295
	s_addc_u32 s15, s15, (.LBB2_7487-.Lpost_getpc32415)>>32
	s_setpc_b64 s[14:15]
.LBB2_32415:
	s_getpc_b64 s[14:15]
.Lpost_getpc19791:
	s_add_u32 s14, s14, (.LBB2_7488-.Lpost_getpc19791)&4294967295
	s_addc_u32 s15, s15, (.LBB2_7488-.Lpost_getpc19791)>>32
	s_setpc_b64 s[14:15]
.LBB2_21825:
	s_movk_i32 s4, 0x80
	v_cmp_eq_u16_sdwa s[12:13], v8, s4 src0_sel:BYTE_0 src1_sel:DWORD
	s_mov_b64 s[4:5], -1
                                        ; implicit-def: $sgpr10
	s_and_saveexec_b64 s[8:9], s[12:13]
; %bb.21826:
	s_mov_b32 s10, 0x7f800001
	s_xor_b64 s[4:5], exec, -1
; %bb.21827:
	s_or_b64 exec, exec, s[8:9]
	s_and_b64 s[4:5], s[4:5], exec
	s_or_saveexec_b64 s[6:7], s[6:7]
	v_mov_b32_e32 v2, s10
	s_xor_b64 exec, exec, s[6:7]
	s_cbranch_execnz .LBB2_21828
; %bb.57665:
	s_getpc_b64 s[14:15]
.Lpost_getpc32416:
	s_add_u32 s14, s14, (.LBB2_7490-.Lpost_getpc32416)&4294967295
	s_addc_u32 s15, s15, (.LBB2_7490-.Lpost_getpc32416)>>32
	s_setpc_b64 s[14:15]
.LBB2_21828:
	v_mov_b32_e32 v2, 0
	v_cmp_ne_u16_sdwa s[8:9], v8, v2 src0_sel:BYTE_0 src1_sel:DWORD
	s_andn2_b64 s[4:5], s[4:5], exec
	s_and_b64 s[8:9], s[8:9], exec
	s_or_b64 s[4:5], s[4:5], s[8:9]
	s_or_b64 exec, exec, s[6:7]
	s_and_saveexec_b64 s[6:7], s[4:5]
	s_cbranch_execz .LBB2_32417
; %bb.57667:
	s_getpc_b64 s[14:15]
.Lpost_getpc32417:
	s_add_u32 s14, s14, (.LBB2_7491-.Lpost_getpc32417)&4294967295
	s_addc_u32 s15, s15, (.LBB2_7491-.Lpost_getpc32417)>>32
	s_setpc_b64 s[14:15]
.LBB2_32417:
	s_getpc_b64 s[14:15]
.Lpost_getpc19792:
	s_add_u32 s14, s14, (.LBB2_7492-.Lpost_getpc19792)&4294967295
	s_addc_u32 s15, s15, (.LBB2_7492-.Lpost_getpc19792)>>32
	s_setpc_b64 s[14:15]
.LBB2_21829:
	s_movk_i32 s4, 0x80
	v_cmp_eq_u16_sdwa s[12:13], v4, s4 src0_sel:BYTE_0 src1_sel:DWORD
	s_mov_b64 s[4:5], -1
                                        ; implicit-def: $sgpr10
	s_and_saveexec_b64 s[8:9], s[12:13]
; %bb.21830:
	s_mov_b32 s10, 0x7f800001
	s_xor_b64 s[4:5], exec, -1
; %bb.21831:
	s_or_b64 exec, exec, s[8:9]
	s_and_b64 s[4:5], s[4:5], exec
	s_or_saveexec_b64 s[6:7], s[6:7]
	v_mov_b32_e32 v3, s10
	s_xor_b64 exec, exec, s[6:7]
	s_cbranch_execnz .LBB2_21832
; %bb.57669:
	s_getpc_b64 s[14:15]
.Lpost_getpc32418:
	s_add_u32 s14, s14, (.LBB2_7494-.Lpost_getpc32418)&4294967295
	s_addc_u32 s15, s15, (.LBB2_7494-.Lpost_getpc32418)>>32
	s_setpc_b64 s[14:15]
.LBB2_21832:
	v_mov_b32_e32 v3, 0
	v_cmp_ne_u16_sdwa s[8:9], v4, v3 src0_sel:BYTE_0 src1_sel:DWORD
	s_andn2_b64 s[4:5], s[4:5], exec
	s_and_b64 s[8:9], s[8:9], exec
	s_or_b64 s[4:5], s[4:5], s[8:9]
	s_or_b64 exec, exec, s[6:7]
	s_and_saveexec_b64 s[6:7], s[4:5]
	s_cbranch_execz .LBB2_32419
; %bb.57671:
	s_getpc_b64 s[14:15]
.Lpost_getpc32419:
	s_add_u32 s14, s14, (.LBB2_7495-.Lpost_getpc32419)&4294967295
	s_addc_u32 s15, s15, (.LBB2_7495-.Lpost_getpc32419)>>32
	s_setpc_b64 s[14:15]
.LBB2_32419:
	s_getpc_b64 s[14:15]
.Lpost_getpc19793:
	s_add_u32 s14, s14, (.LBB2_7496-.Lpost_getpc19793)&4294967295
	s_addc_u32 s15, s15, (.LBB2_7496-.Lpost_getpc19793)>>32
	s_setpc_b64 s[14:15]
.LBB2_21833:
	s_movk_i32 s4, 0x80
	v_cmp_eq_u16_sdwa s[12:13], v3, s4 src0_sel:BYTE_0 src1_sel:DWORD
	s_mov_b64 s[4:5], -1
                                        ; implicit-def: $sgpr10
	s_and_saveexec_b64 s[8:9], s[12:13]
; %bb.21834:
	s_mov_b32 s10, 0x7f800001
	s_xor_b64 s[4:5], exec, -1
; %bb.21835:
	s_or_b64 exec, exec, s[8:9]
	s_and_b64 s[4:5], s[4:5], exec
	s_or_saveexec_b64 s[6:7], s[6:7]
	v_mov_b32_e32 v2, s10
	s_xor_b64 exec, exec, s[6:7]
	s_cbranch_execnz .LBB2_21836
; %bb.57673:
	s_getpc_b64 s[14:15]
.Lpost_getpc32420:
	s_add_u32 s14, s14, (.LBB2_7498-.Lpost_getpc32420)&4294967295
	s_addc_u32 s15, s15, (.LBB2_7498-.Lpost_getpc32420)>>32
	s_setpc_b64 s[14:15]
.LBB2_21836:
	v_mov_b32_e32 v2, 0
	v_cmp_ne_u16_sdwa s[8:9], v3, v2 src0_sel:BYTE_0 src1_sel:DWORD
	s_andn2_b64 s[4:5], s[4:5], exec
	s_and_b64 s[8:9], s[8:9], exec
	s_or_b64 s[4:5], s[4:5], s[8:9]
	s_or_b64 exec, exec, s[6:7]
	s_and_saveexec_b64 s[6:7], s[4:5]
	s_cbranch_execz .LBB2_32421
; %bb.57675:
	s_getpc_b64 s[14:15]
.Lpost_getpc32421:
	s_add_u32 s14, s14, (.LBB2_7499-.Lpost_getpc32421)&4294967295
	s_addc_u32 s15, s15, (.LBB2_7499-.Lpost_getpc32421)>>32
	s_setpc_b64 s[14:15]
.LBB2_32421:
	s_getpc_b64 s[14:15]
.Lpost_getpc19794:
	s_add_u32 s14, s14, (.LBB2_7500-.Lpost_getpc19794)&4294967295
	s_addc_u32 s15, s15, (.LBB2_7500-.Lpost_getpc19794)>>32
	s_setpc_b64 s[14:15]
.LBB2_21837:
	s_movk_i32 s4, 0x80
	v_cmp_eq_u16_sdwa s[12:13], v3, s4 src0_sel:BYTE_0 src1_sel:DWORD
	s_mov_b64 s[4:5], -1
                                        ; implicit-def: $sgpr10
	s_and_saveexec_b64 s[8:9], s[12:13]
; %bb.21838:
	s_mov_b32 s10, 0x7f800001
	s_xor_b64 s[4:5], exec, -1
; %bb.21839:
	s_or_b64 exec, exec, s[8:9]
	s_and_b64 s[4:5], s[4:5], exec
	s_or_saveexec_b64 s[6:7], s[6:7]
	v_mov_b32_e32 v6, s10
	s_xor_b64 exec, exec, s[6:7]
	s_cbranch_execnz .LBB2_21840
; %bb.57677:
	s_getpc_b64 s[14:15]
.Lpost_getpc32422:
	s_add_u32 s14, s14, (.LBB2_7502-.Lpost_getpc32422)&4294967295
	s_addc_u32 s15, s15, (.LBB2_7502-.Lpost_getpc32422)>>32
	s_setpc_b64 s[14:15]
.LBB2_21840:
	v_mov_b32_e32 v6, 0
	v_cmp_ne_u16_sdwa s[8:9], v3, v6 src0_sel:BYTE_0 src1_sel:DWORD
	s_andn2_b64 s[4:5], s[4:5], exec
	s_and_b64 s[8:9], s[8:9], exec
	s_or_b64 s[4:5], s[4:5], s[8:9]
	s_or_b64 exec, exec, s[6:7]
	s_and_saveexec_b64 s[6:7], s[4:5]
	s_cbranch_execz .LBB2_32423
; %bb.57679:
	s_getpc_b64 s[14:15]
.Lpost_getpc32423:
	s_add_u32 s14, s14, (.LBB2_7503-.Lpost_getpc32423)&4294967295
	s_addc_u32 s15, s15, (.LBB2_7503-.Lpost_getpc32423)>>32
	s_setpc_b64 s[14:15]
.LBB2_32423:
	s_getpc_b64 s[14:15]
.Lpost_getpc19795:
	s_add_u32 s14, s14, (.LBB2_7504-.Lpost_getpc19795)&4294967295
	s_addc_u32 s15, s15, (.LBB2_7504-.Lpost_getpc19795)>>32
	s_setpc_b64 s[14:15]
.LBB2_21841:
	s_movk_i32 s4, 0x80
	v_cmp_eq_u16_e32 vcc, s4, v3
	s_mov_b64 s[4:5], -1
                                        ; implicit-def: $sgpr10
	s_and_saveexec_b64 s[8:9], vcc
; %bb.21842:
	s_mov_b32 s10, 0x7f800001
	s_xor_b64 s[4:5], exec, -1
; %bb.21843:
	s_or_b64 exec, exec, s[8:9]
	s_and_b64 s[4:5], s[4:5], exec
                                        ; implicit-def: $vgpr3
	s_or_saveexec_b64 s[6:7], s[6:7]
	v_mov_b32_e32 v2, s10
	s_xor_b64 exec, exec, s[6:7]
	s_cbranch_execnz .LBB2_21844
; %bb.57681:
	s_getpc_b64 s[14:15]
.Lpost_getpc32424:
	s_add_u32 s14, s14, (.LBB2_7506-.Lpost_getpc32424)&4294967295
	s_addc_u32 s15, s15, (.LBB2_7506-.Lpost_getpc32424)>>32
	s_setpc_b64 s[14:15]
.LBB2_21844:
	v_cmp_ne_u16_e32 vcc, 0, v3
	s_andn2_b64 s[4:5], s[4:5], exec
	s_and_b64 s[8:9], vcc, exec
	v_mov_b32_e32 v2, 0
	s_or_b64 s[4:5], s[4:5], s[8:9]
	s_or_b64 exec, exec, s[6:7]
	s_and_saveexec_b64 s[6:7], s[4:5]
	s_cbranch_execz .LBB2_32425
; %bb.57683:
	s_getpc_b64 s[14:15]
.Lpost_getpc32425:
	s_add_u32 s14, s14, (.LBB2_7507-.Lpost_getpc32425)&4294967295
	s_addc_u32 s15, s15, (.LBB2_7507-.Lpost_getpc32425)>>32
	s_setpc_b64 s[14:15]
.LBB2_32425:
	s_getpc_b64 s[14:15]
.Lpost_getpc19796:
	s_add_u32 s14, s14, (.LBB2_7508-.Lpost_getpc19796)&4294967295
	s_addc_u32 s15, s15, (.LBB2_7508-.Lpost_getpc19796)>>32
	s_setpc_b64 s[14:15]
.LBB2_21845:
	s_movk_i32 s4, 0x80
	v_cmp_eq_u16_e32 vcc, s4, v3
	s_mov_b64 s[4:5], -1
                                        ; implicit-def: $sgpr10
	s_and_saveexec_b64 s[8:9], vcc
; %bb.21846:
	s_mov_b32 s10, 0x7f800001
	s_xor_b64 s[4:5], exec, -1
; %bb.21847:
	s_or_b64 exec, exec, s[8:9]
	s_and_b64 s[4:5], s[4:5], exec
                                        ; implicit-def: $vgpr3
	s_or_saveexec_b64 s[6:7], s[6:7]
	v_mov_b32_e32 v6, s10
	s_xor_b64 exec, exec, s[6:7]
	s_cbranch_execnz .LBB2_21848
; %bb.57685:
	s_getpc_b64 s[14:15]
.Lpost_getpc32426:
	s_add_u32 s14, s14, (.LBB2_7510-.Lpost_getpc32426)&4294967295
	s_addc_u32 s15, s15, (.LBB2_7510-.Lpost_getpc32426)>>32
	s_setpc_b64 s[14:15]
.LBB2_21848:
	v_cmp_ne_u16_e32 vcc, 0, v3
	s_andn2_b64 s[4:5], s[4:5], exec
	s_and_b64 s[8:9], vcc, exec
	v_mov_b32_e32 v6, 0
	s_or_b64 s[4:5], s[4:5], s[8:9]
	s_or_b64 exec, exec, s[6:7]
	s_and_saveexec_b64 s[6:7], s[4:5]
	s_cbranch_execz .LBB2_32427
; %bb.57687:
	s_getpc_b64 s[14:15]
.Lpost_getpc32427:
	s_add_u32 s14, s14, (.LBB2_7511-.Lpost_getpc32427)&4294967295
	s_addc_u32 s15, s15, (.LBB2_7511-.Lpost_getpc32427)>>32
	s_setpc_b64 s[14:15]
.LBB2_32427:
	s_getpc_b64 s[14:15]
.Lpost_getpc19797:
	s_add_u32 s14, s14, (.LBB2_7512-.Lpost_getpc19797)&4294967295
	s_addc_u32 s15, s15, (.LBB2_7512-.Lpost_getpc19797)>>32
	s_setpc_b64 s[14:15]
.LBB2_21849:
	s_movk_i32 s4, 0x80
	v_cmp_eq_u16_sdwa s[12:13], v8, s4 src0_sel:BYTE_3 src1_sel:DWORD
	s_mov_b64 s[4:5], -1
                                        ; implicit-def: $sgpr10
	s_and_saveexec_b64 s[8:9], s[12:13]
; %bb.21850:
	s_mov_b32 s10, 0x7f800001
	s_xor_b64 s[4:5], exec, -1
; %bb.21851:
	s_or_b64 exec, exec, s[8:9]
	s_and_b64 s[4:5], s[4:5], exec
	s_or_saveexec_b64 s[6:7], s[6:7]
	v_mov_b32_e32 v2, s10
	s_xor_b64 exec, exec, s[6:7]
	s_cbranch_execnz .LBB2_21852
; %bb.57689:
	s_getpc_b64 s[14:15]
.Lpost_getpc32428:
	s_add_u32 s14, s14, (.LBB2_7514-.Lpost_getpc32428)&4294967295
	s_addc_u32 s15, s15, (.LBB2_7514-.Lpost_getpc32428)>>32
	s_setpc_b64 s[14:15]
.LBB2_21852:
	v_mov_b32_e32 v2, 0
	v_cmp_ne_u16_sdwa s[8:9], v8, v2 src0_sel:BYTE_3 src1_sel:DWORD
	s_andn2_b64 s[4:5], s[4:5], exec
	s_and_b64 s[8:9], s[8:9], exec
	s_or_b64 s[4:5], s[4:5], s[8:9]
	s_or_b64 exec, exec, s[6:7]
	s_and_saveexec_b64 s[6:7], s[4:5]
	s_cbranch_execz .LBB2_32429
; %bb.57691:
	s_getpc_b64 s[14:15]
.Lpost_getpc32429:
	s_add_u32 s14, s14, (.LBB2_7515-.Lpost_getpc32429)&4294967295
	s_addc_u32 s15, s15, (.LBB2_7515-.Lpost_getpc32429)>>32
	s_setpc_b64 s[14:15]
.LBB2_32429:
	s_getpc_b64 s[14:15]
.Lpost_getpc19798:
	s_add_u32 s14, s14, (.LBB2_7516-.Lpost_getpc19798)&4294967295
	s_addc_u32 s15, s15, (.LBB2_7516-.Lpost_getpc19798)>>32
	s_setpc_b64 s[14:15]
.LBB2_21853:
	s_movk_i32 s4, 0x80
	v_cmp_eq_u16_sdwa s[12:13], v4, s4 src0_sel:BYTE_3 src1_sel:DWORD
	s_mov_b64 s[4:5], -1
                                        ; implicit-def: $sgpr10
	s_and_saveexec_b64 s[8:9], s[12:13]
; %bb.21854:
	s_mov_b32 s10, 0x7f800001
	s_xor_b64 s[4:5], exec, -1
; %bb.21855:
	s_or_b64 exec, exec, s[8:9]
	s_and_b64 s[4:5], s[4:5], exec
	s_or_saveexec_b64 s[6:7], s[6:7]
	v_mov_b32_e32 v3, s10
	s_xor_b64 exec, exec, s[6:7]
	s_cbranch_execnz .LBB2_21856
; %bb.57693:
	s_getpc_b64 s[14:15]
.Lpost_getpc32430:
	s_add_u32 s14, s14, (.LBB2_7518-.Lpost_getpc32430)&4294967295
	s_addc_u32 s15, s15, (.LBB2_7518-.Lpost_getpc32430)>>32
	s_setpc_b64 s[14:15]
.LBB2_21856:
	v_mov_b32_e32 v3, 0
	v_cmp_ne_u16_sdwa s[8:9], v4, v3 src0_sel:BYTE_3 src1_sel:DWORD
	s_andn2_b64 s[4:5], s[4:5], exec
	s_and_b64 s[8:9], s[8:9], exec
	s_or_b64 s[4:5], s[4:5], s[8:9]
	s_or_b64 exec, exec, s[6:7]
	s_and_saveexec_b64 s[6:7], s[4:5]
	s_cbranch_execz .LBB2_32431
; %bb.57695:
	s_getpc_b64 s[14:15]
.Lpost_getpc32431:
	s_add_u32 s14, s14, (.LBB2_7519-.Lpost_getpc32431)&4294967295
	s_addc_u32 s15, s15, (.LBB2_7519-.Lpost_getpc32431)>>32
	s_setpc_b64 s[14:15]
.LBB2_32431:
	s_getpc_b64 s[14:15]
.Lpost_getpc19799:
	s_add_u32 s14, s14, (.LBB2_7520-.Lpost_getpc19799)&4294967295
	s_addc_u32 s15, s15, (.LBB2_7520-.Lpost_getpc19799)>>32
	s_setpc_b64 s[14:15]
.LBB2_21857:
	s_movk_i32 s4, 0x80
	v_cmp_eq_u16_sdwa s[12:13], v9, s4 src0_sel:BYTE_0 src1_sel:DWORD
	s_mov_b64 s[4:5], -1
                                        ; implicit-def: $sgpr10
	s_and_saveexec_b64 s[8:9], s[12:13]
; %bb.21858:
	s_mov_b32 s10, 0x7f800001
	s_xor_b64 s[4:5], exec, -1
; %bb.21859:
	s_or_b64 exec, exec, s[8:9]
	s_and_b64 s[4:5], s[4:5], exec
	s_or_saveexec_b64 s[6:7], s[6:7]
	v_mov_b32_e32 v2, s10
	s_xor_b64 exec, exec, s[6:7]
	s_cbranch_execnz .LBB2_21860
; %bb.57697:
	s_getpc_b64 s[14:15]
.Lpost_getpc32432:
	s_add_u32 s14, s14, (.LBB2_7522-.Lpost_getpc32432)&4294967295
	s_addc_u32 s15, s15, (.LBB2_7522-.Lpost_getpc32432)>>32
	s_setpc_b64 s[14:15]
.LBB2_21860:
	v_mov_b32_e32 v2, 0
	v_cmp_ne_u16_sdwa s[8:9], v9, v2 src0_sel:BYTE_0 src1_sel:DWORD
	s_andn2_b64 s[4:5], s[4:5], exec
	s_and_b64 s[8:9], s[8:9], exec
	s_or_b64 s[4:5], s[4:5], s[8:9]
	s_or_b64 exec, exec, s[6:7]
	s_and_saveexec_b64 s[6:7], s[4:5]
	s_cbranch_execz .LBB2_32433
; %bb.57699:
	s_getpc_b64 s[14:15]
.Lpost_getpc32433:
	s_add_u32 s14, s14, (.LBB2_7523-.Lpost_getpc32433)&4294967295
	s_addc_u32 s15, s15, (.LBB2_7523-.Lpost_getpc32433)>>32
	s_setpc_b64 s[14:15]
.LBB2_32433:
	s_getpc_b64 s[14:15]
.Lpost_getpc19800:
	s_add_u32 s14, s14, (.LBB2_7524-.Lpost_getpc19800)&4294967295
	s_addc_u32 s15, s15, (.LBB2_7524-.Lpost_getpc19800)>>32
	s_setpc_b64 s[14:15]
.LBB2_21861:
	s_movk_i32 s4, 0x80
	v_cmp_eq_u16_sdwa s[12:13], v5, s4 src0_sel:BYTE_0 src1_sel:DWORD
	s_mov_b64 s[4:5], -1
                                        ; implicit-def: $sgpr10
	s_and_saveexec_b64 s[8:9], s[12:13]
; %bb.21862:
	s_mov_b32 s10, 0x7f800001
	s_xor_b64 s[4:5], exec, -1
; %bb.21863:
	s_or_b64 exec, exec, s[8:9]
	s_and_b64 s[4:5], s[4:5], exec
	s_or_saveexec_b64 s[6:7], s[6:7]
	v_mov_b32_e32 v3, s10
	s_xor_b64 exec, exec, s[6:7]
	s_cbranch_execnz .LBB2_21864
; %bb.57701:
	s_getpc_b64 s[14:15]
.Lpost_getpc32434:
	s_add_u32 s14, s14, (.LBB2_7526-.Lpost_getpc32434)&4294967295
	s_addc_u32 s15, s15, (.LBB2_7526-.Lpost_getpc32434)>>32
	s_setpc_b64 s[14:15]
.LBB2_21864:
	v_mov_b32_e32 v3, 0
	v_cmp_ne_u16_sdwa s[8:9], v5, v3 src0_sel:BYTE_0 src1_sel:DWORD
	s_andn2_b64 s[4:5], s[4:5], exec
	s_and_b64 s[8:9], s[8:9], exec
	s_or_b64 s[4:5], s[4:5], s[8:9]
	s_or_b64 exec, exec, s[6:7]
	s_and_saveexec_b64 s[6:7], s[4:5]
	s_cbranch_execz .LBB2_32435
; %bb.57703:
	s_getpc_b64 s[14:15]
.Lpost_getpc32435:
	s_add_u32 s14, s14, (.LBB2_7527-.Lpost_getpc32435)&4294967295
	s_addc_u32 s15, s15, (.LBB2_7527-.Lpost_getpc32435)>>32
	s_setpc_b64 s[14:15]
.LBB2_32435:
	s_getpc_b64 s[14:15]
.Lpost_getpc19801:
	s_add_u32 s14, s14, (.LBB2_7528-.Lpost_getpc19801)&4294967295
	s_addc_u32 s15, s15, (.LBB2_7528-.Lpost_getpc19801)>>32
	s_setpc_b64 s[14:15]
.LBB2_21865:
	s_movk_i32 s4, 0x80
	v_cmp_eq_u16_sdwa s[12:13], v3, s4 src0_sel:BYTE_0 src1_sel:DWORD
	s_mov_b64 s[4:5], -1
                                        ; implicit-def: $sgpr10
	s_and_saveexec_b64 s[8:9], s[12:13]
; %bb.21866:
	s_mov_b32 s10, 0x7f800001
	s_xor_b64 s[4:5], exec, -1
; %bb.21867:
	s_or_b64 exec, exec, s[8:9]
	s_and_b64 s[4:5], s[4:5], exec
	s_or_saveexec_b64 s[6:7], s[6:7]
	v_mov_b32_e32 v2, s10
	s_xor_b64 exec, exec, s[6:7]
	s_cbranch_execnz .LBB2_21868
; %bb.57705:
	s_getpc_b64 s[14:15]
.Lpost_getpc32436:
	s_add_u32 s14, s14, (.LBB2_7530-.Lpost_getpc32436)&4294967295
	s_addc_u32 s15, s15, (.LBB2_7530-.Lpost_getpc32436)>>32
	s_setpc_b64 s[14:15]
.LBB2_21868:
	v_mov_b32_e32 v2, 0
	v_cmp_ne_u16_sdwa s[8:9], v3, v2 src0_sel:BYTE_0 src1_sel:DWORD
	s_andn2_b64 s[4:5], s[4:5], exec
	s_and_b64 s[8:9], s[8:9], exec
	s_or_b64 s[4:5], s[4:5], s[8:9]
	s_or_b64 exec, exec, s[6:7]
	s_and_saveexec_b64 s[6:7], s[4:5]
	s_cbranch_execz .LBB2_32437
; %bb.57707:
	s_getpc_b64 s[14:15]
.Lpost_getpc32437:
	s_add_u32 s14, s14, (.LBB2_7531-.Lpost_getpc32437)&4294967295
	s_addc_u32 s15, s15, (.LBB2_7531-.Lpost_getpc32437)>>32
	s_setpc_b64 s[14:15]
.LBB2_32437:
	s_getpc_b64 s[14:15]
.Lpost_getpc19802:
	s_add_u32 s14, s14, (.LBB2_7532-.Lpost_getpc19802)&4294967295
	s_addc_u32 s15, s15, (.LBB2_7532-.Lpost_getpc19802)>>32
	s_setpc_b64 s[14:15]
.LBB2_21869:
	s_movk_i32 s4, 0x80
	v_cmp_eq_u16_sdwa s[12:13], v3, s4 src0_sel:BYTE_0 src1_sel:DWORD
	s_mov_b64 s[4:5], -1
                                        ; implicit-def: $sgpr10
	s_and_saveexec_b64 s[8:9], s[12:13]
; %bb.21870:
	s_mov_b32 s10, 0x7f800001
	s_xor_b64 s[4:5], exec, -1
; %bb.21871:
	s_or_b64 exec, exec, s[8:9]
	s_and_b64 s[4:5], s[4:5], exec
	s_or_saveexec_b64 s[6:7], s[6:7]
	v_mov_b32_e32 v4, s10
	s_xor_b64 exec, exec, s[6:7]
	s_cbranch_execnz .LBB2_21872
; %bb.57709:
	s_getpc_b64 s[14:15]
.Lpost_getpc32438:
	s_add_u32 s14, s14, (.LBB2_7534-.Lpost_getpc32438)&4294967295
	s_addc_u32 s15, s15, (.LBB2_7534-.Lpost_getpc32438)>>32
	s_setpc_b64 s[14:15]
.LBB2_21872:
	v_mov_b32_e32 v4, 0
	v_cmp_ne_u16_sdwa s[8:9], v3, v4 src0_sel:BYTE_0 src1_sel:DWORD
	s_andn2_b64 s[4:5], s[4:5], exec
	s_and_b64 s[8:9], s[8:9], exec
	s_or_b64 s[4:5], s[4:5], s[8:9]
	s_or_b64 exec, exec, s[6:7]
	s_and_saveexec_b64 s[6:7], s[4:5]
	s_cbranch_execz .LBB2_32439
; %bb.57711:
	s_getpc_b64 s[14:15]
.Lpost_getpc32439:
	s_add_u32 s14, s14, (.LBB2_7535-.Lpost_getpc32439)&4294967295
	s_addc_u32 s15, s15, (.LBB2_7535-.Lpost_getpc32439)>>32
	s_setpc_b64 s[14:15]
.LBB2_32439:
	s_getpc_b64 s[14:15]
.Lpost_getpc19803:
	s_add_u32 s14, s14, (.LBB2_7536-.Lpost_getpc19803)&4294967295
	s_addc_u32 s15, s15, (.LBB2_7536-.Lpost_getpc19803)>>32
	s_setpc_b64 s[14:15]
.LBB2_21873:
	s_movk_i32 s4, 0x80
	v_cmp_eq_u16_e32 vcc, s4, v3
	s_mov_b64 s[4:5], -1
                                        ; implicit-def: $sgpr10
	s_and_saveexec_b64 s[8:9], vcc
; %bb.21874:
	s_mov_b32 s10, 0x7f800001
	s_xor_b64 s[4:5], exec, -1
; %bb.21875:
	s_or_b64 exec, exec, s[8:9]
	s_and_b64 s[4:5], s[4:5], exec
                                        ; implicit-def: $vgpr3
	s_or_saveexec_b64 s[6:7], s[6:7]
	v_mov_b32_e32 v2, s10
	s_xor_b64 exec, exec, s[6:7]
	s_cbranch_execnz .LBB2_21876
; %bb.57713:
	s_getpc_b64 s[14:15]
.Lpost_getpc32440:
	s_add_u32 s14, s14, (.LBB2_7538-.Lpost_getpc32440)&4294967295
	s_addc_u32 s15, s15, (.LBB2_7538-.Lpost_getpc32440)>>32
	s_setpc_b64 s[14:15]
.LBB2_21876:
	v_cmp_ne_u16_e32 vcc, 0, v3
	s_andn2_b64 s[4:5], s[4:5], exec
	s_and_b64 s[8:9], vcc, exec
	v_mov_b32_e32 v2, 0
	s_or_b64 s[4:5], s[4:5], s[8:9]
	s_or_b64 exec, exec, s[6:7]
	s_and_saveexec_b64 s[6:7], s[4:5]
	s_cbranch_execz .LBB2_32441
; %bb.57715:
	s_getpc_b64 s[14:15]
.Lpost_getpc32441:
	s_add_u32 s14, s14, (.LBB2_7539-.Lpost_getpc32441)&4294967295
	s_addc_u32 s15, s15, (.LBB2_7539-.Lpost_getpc32441)>>32
	s_setpc_b64 s[14:15]
.LBB2_32441:
	s_getpc_b64 s[14:15]
.Lpost_getpc19804:
	s_add_u32 s14, s14, (.LBB2_7540-.Lpost_getpc19804)&4294967295
	s_addc_u32 s15, s15, (.LBB2_7540-.Lpost_getpc19804)>>32
	s_setpc_b64 s[14:15]
.LBB2_21877:
	s_movk_i32 s4, 0x80
	v_cmp_eq_u16_e32 vcc, s4, v3
	s_mov_b64 s[4:5], -1
                                        ; implicit-def: $sgpr10
	s_and_saveexec_b64 s[8:9], vcc
; %bb.21878:
	s_mov_b32 s10, 0x7f800001
	s_xor_b64 s[4:5], exec, -1
; %bb.21879:
	s_or_b64 exec, exec, s[8:9]
	s_and_b64 s[4:5], s[4:5], exec
                                        ; implicit-def: $vgpr3
	s_or_saveexec_b64 s[6:7], s[6:7]
	v_mov_b32_e32 v4, s10
	s_xor_b64 exec, exec, s[6:7]
	s_cbranch_execnz .LBB2_21880
; %bb.57717:
	s_getpc_b64 s[14:15]
.Lpost_getpc32442:
	s_add_u32 s14, s14, (.LBB2_7542-.Lpost_getpc32442)&4294967295
	s_addc_u32 s15, s15, (.LBB2_7542-.Lpost_getpc32442)>>32
	s_setpc_b64 s[14:15]
.LBB2_21880:
	v_cmp_ne_u16_e32 vcc, 0, v3
	s_andn2_b64 s[4:5], s[4:5], exec
	s_and_b64 s[8:9], vcc, exec
	v_mov_b32_e32 v4, 0
	s_or_b64 s[4:5], s[4:5], s[8:9]
	s_or_b64 exec, exec, s[6:7]
	s_and_saveexec_b64 s[6:7], s[4:5]
	s_cbranch_execz .LBB2_32443
; %bb.57719:
	s_getpc_b64 s[14:15]
.Lpost_getpc32443:
	s_add_u32 s14, s14, (.LBB2_7543-.Lpost_getpc32443)&4294967295
	s_addc_u32 s15, s15, (.LBB2_7543-.Lpost_getpc32443)>>32
	s_setpc_b64 s[14:15]
.LBB2_32443:
	s_getpc_b64 s[14:15]
.Lpost_getpc19805:
	s_add_u32 s14, s14, (.LBB2_7544-.Lpost_getpc19805)&4294967295
	s_addc_u32 s15, s15, (.LBB2_7544-.Lpost_getpc19805)>>32
	s_setpc_b64 s[14:15]
.LBB2_21881:
	s_movk_i32 s4, 0x80
	v_cmp_eq_u16_sdwa s[12:13], v9, s4 src0_sel:BYTE_3 src1_sel:DWORD
	s_mov_b64 s[4:5], -1
                                        ; implicit-def: $sgpr10
	s_and_saveexec_b64 s[8:9], s[12:13]
; %bb.21882:
	s_mov_b32 s10, 0x7f800001
	s_xor_b64 s[4:5], exec, -1
; %bb.21883:
	s_or_b64 exec, exec, s[8:9]
	s_and_b64 s[4:5], s[4:5], exec
	s_or_saveexec_b64 s[6:7], s[6:7]
	v_mov_b32_e32 v2, s10
	s_xor_b64 exec, exec, s[6:7]
	s_cbranch_execnz .LBB2_21884
; %bb.57721:
	s_getpc_b64 s[14:15]
.Lpost_getpc32444:
	s_add_u32 s14, s14, (.LBB2_7546-.Lpost_getpc32444)&4294967295
	s_addc_u32 s15, s15, (.LBB2_7546-.Lpost_getpc32444)>>32
	s_setpc_b64 s[14:15]
.LBB2_21884:
	v_mov_b32_e32 v2, 0
	v_cmp_ne_u16_sdwa s[8:9], v9, v2 src0_sel:BYTE_3 src1_sel:DWORD
	s_andn2_b64 s[4:5], s[4:5], exec
	s_and_b64 s[8:9], s[8:9], exec
	s_or_b64 s[4:5], s[4:5], s[8:9]
	s_or_b64 exec, exec, s[6:7]
	s_and_saveexec_b64 s[6:7], s[4:5]
	s_cbranch_execz .LBB2_32445
; %bb.57723:
	s_getpc_b64 s[14:15]
.Lpost_getpc32445:
	s_add_u32 s14, s14, (.LBB2_7547-.Lpost_getpc32445)&4294967295
	s_addc_u32 s15, s15, (.LBB2_7547-.Lpost_getpc32445)>>32
	s_setpc_b64 s[14:15]
.LBB2_32445:
	s_getpc_b64 s[14:15]
.Lpost_getpc19806:
	s_add_u32 s14, s14, (.LBB2_7548-.Lpost_getpc19806)&4294967295
	s_addc_u32 s15, s15, (.LBB2_7548-.Lpost_getpc19806)>>32
	s_setpc_b64 s[14:15]
.LBB2_21885:
	s_movk_i32 s4, 0x80
	v_cmp_eq_u16_sdwa s[12:13], v5, s4 src0_sel:BYTE_3 src1_sel:DWORD
	s_mov_b64 s[4:5], -1
                                        ; implicit-def: $sgpr10
	s_and_saveexec_b64 s[8:9], s[12:13]
; %bb.21886:
	s_mov_b32 s10, 0x7f800001
	s_xor_b64 s[4:5], exec, -1
; %bb.21887:
	s_or_b64 exec, exec, s[8:9]
	s_and_b64 s[4:5], s[4:5], exec
	s_or_saveexec_b64 s[6:7], s[6:7]
	v_mov_b32_e32 v3, s10
	s_xor_b64 exec, exec, s[6:7]
	s_cbranch_execnz .LBB2_21888
; %bb.57725:
	s_getpc_b64 s[14:15]
.Lpost_getpc32446:
	s_add_u32 s14, s14, (.LBB2_7550-.Lpost_getpc32446)&4294967295
	s_addc_u32 s15, s15, (.LBB2_7550-.Lpost_getpc32446)>>32
	s_setpc_b64 s[14:15]
.LBB2_21888:
	v_mov_b32_e32 v3, 0
	v_cmp_ne_u16_sdwa s[8:9], v5, v3 src0_sel:BYTE_3 src1_sel:DWORD
	s_andn2_b64 s[4:5], s[4:5], exec
	s_and_b64 s[8:9], s[8:9], exec
	s_or_b64 s[4:5], s[4:5], s[8:9]
	s_or_b64 exec, exec, s[6:7]
	s_and_saveexec_b64 s[6:7], s[4:5]
	s_cbranch_execz .LBB2_32447
; %bb.57727:
	s_getpc_b64 s[14:15]
.Lpost_getpc32447:
	s_add_u32 s14, s14, (.LBB2_7551-.Lpost_getpc32447)&4294967295
	s_addc_u32 s15, s15, (.LBB2_7551-.Lpost_getpc32447)>>32
	s_setpc_b64 s[14:15]
.LBB2_32447:
	s_getpc_b64 s[14:15]
.Lpost_getpc19807:
	s_add_u32 s14, s14, (.LBB2_7552-.Lpost_getpc19807)&4294967295
	s_addc_u32 s15, s15, (.LBB2_7552-.Lpost_getpc19807)>>32
	s_setpc_b64 s[14:15]
.LBB2_21889:
	s_movk_i32 s4, 0x80
	v_cmp_eq_u16_sdwa s[12:13], v6, s4 src0_sel:BYTE_0 src1_sel:DWORD
	s_mov_b64 s[4:5], -1
                                        ; implicit-def: $sgpr10
	s_and_saveexec_b64 s[8:9], s[12:13]
; %bb.21890:
	s_mov_b32 s10, 0x7f800001
	s_xor_b64 s[4:5], exec, -1
; %bb.21891:
	s_or_b64 exec, exec, s[8:9]
	s_and_b64 s[4:5], s[4:5], exec
	s_or_saveexec_b64 s[6:7], s[6:7]
	v_mov_b32_e32 v12, s10
	s_xor_b64 exec, exec, s[6:7]
	s_cbranch_execnz .LBB2_21892
; %bb.57729:
	s_getpc_b64 s[14:15]
.Lpost_getpc32448:
	s_add_u32 s14, s14, (.LBB2_7554-.Lpost_getpc32448)&4294967295
	s_addc_u32 s15, s15, (.LBB2_7554-.Lpost_getpc32448)>>32
	s_setpc_b64 s[14:15]
.LBB2_21892:
	v_mov_b32_e32 v12, 0
	v_cmp_ne_u16_sdwa s[8:9], v6, v12 src0_sel:BYTE_0 src1_sel:DWORD
	s_andn2_b64 s[4:5], s[4:5], exec
	s_and_b64 s[8:9], s[8:9], exec
	s_or_b64 s[4:5], s[4:5], s[8:9]
	s_or_b64 exec, exec, s[6:7]
	s_and_saveexec_b64 s[6:7], s[4:5]
	s_cbranch_execz .LBB2_32449
; %bb.57731:
	s_getpc_b64 s[14:15]
.Lpost_getpc32449:
	s_add_u32 s14, s14, (.LBB2_7555-.Lpost_getpc32449)&4294967295
	s_addc_u32 s15, s15, (.LBB2_7555-.Lpost_getpc32449)>>32
	s_setpc_b64 s[14:15]
.LBB2_32449:
	s_getpc_b64 s[14:15]
.Lpost_getpc19808:
	s_add_u32 s14, s14, (.LBB2_7556-.Lpost_getpc19808)&4294967295
	s_addc_u32 s15, s15, (.LBB2_7556-.Lpost_getpc19808)>>32
	s_setpc_b64 s[14:15]
.LBB2_21893:
	s_movk_i32 s4, 0x80
	v_cmp_eq_u16_sdwa s[12:13], v2, s4 src0_sel:BYTE_0 src1_sel:DWORD
	s_mov_b64 s[4:5], -1
                                        ; implicit-def: $sgpr10
	s_and_saveexec_b64 s[8:9], s[12:13]
; %bb.21894:
	s_mov_b32 s10, 0x7f800001
	s_xor_b64 s[4:5], exec, -1
; %bb.21895:
	s_or_b64 exec, exec, s[8:9]
	s_and_b64 s[4:5], s[4:5], exec
	s_or_saveexec_b64 s[6:7], s[6:7]
	v_mov_b32_e32 v13, s10
	s_xor_b64 exec, exec, s[6:7]
	s_cbranch_execnz .LBB2_21896
; %bb.57733:
	s_getpc_b64 s[14:15]
.Lpost_getpc32450:
	s_add_u32 s14, s14, (.LBB2_7558-.Lpost_getpc32450)&4294967295
	s_addc_u32 s15, s15, (.LBB2_7558-.Lpost_getpc32450)>>32
	s_setpc_b64 s[14:15]
.LBB2_21896:
	v_mov_b32_e32 v13, 0
	v_cmp_ne_u16_sdwa s[8:9], v2, v13 src0_sel:BYTE_0 src1_sel:DWORD
	s_andn2_b64 s[4:5], s[4:5], exec
	s_and_b64 s[8:9], s[8:9], exec
	s_or_b64 s[4:5], s[4:5], s[8:9]
	s_or_b64 exec, exec, s[6:7]
	s_and_saveexec_b64 s[6:7], s[4:5]
	s_cbranch_execz .LBB2_32451
; %bb.57735:
	s_getpc_b64 s[14:15]
.Lpost_getpc32451:
	s_add_u32 s14, s14, (.LBB2_7559-.Lpost_getpc32451)&4294967295
	s_addc_u32 s15, s15, (.LBB2_7559-.Lpost_getpc32451)>>32
	s_setpc_b64 s[14:15]
.LBB2_32451:
	s_getpc_b64 s[14:15]
.Lpost_getpc19809:
	s_add_u32 s14, s14, (.LBB2_7560-.Lpost_getpc19809)&4294967295
	s_addc_u32 s15, s15, (.LBB2_7560-.Lpost_getpc19809)>>32
	s_setpc_b64 s[14:15]
.LBB2_21897:
	s_movk_i32 s4, 0x80
	v_cmp_eq_u16_sdwa s[12:13], v13, s4 src0_sel:BYTE_0 src1_sel:DWORD
	s_mov_b64 s[4:5], -1
                                        ; implicit-def: $sgpr10
	s_and_saveexec_b64 s[8:9], s[12:13]
; %bb.21898:
	s_mov_b32 s10, 0x7f800001
	s_xor_b64 s[4:5], exec, -1
; %bb.21899:
	s_or_b64 exec, exec, s[8:9]
	s_and_b64 s[4:5], s[4:5], exec
	s_or_saveexec_b64 s[6:7], s[6:7]
	v_mov_b32_e32 v12, s10
	s_xor_b64 exec, exec, s[6:7]
	s_cbranch_execnz .LBB2_21900
; %bb.57737:
	s_getpc_b64 s[14:15]
.Lpost_getpc32452:
	s_add_u32 s14, s14, (.LBB2_7562-.Lpost_getpc32452)&4294967295
	s_addc_u32 s15, s15, (.LBB2_7562-.Lpost_getpc32452)>>32
	s_setpc_b64 s[14:15]
.LBB2_21900:
	v_mov_b32_e32 v12, 0
	v_cmp_ne_u16_sdwa s[8:9], v13, v12 src0_sel:BYTE_0 src1_sel:DWORD
	s_andn2_b64 s[4:5], s[4:5], exec
	s_and_b64 s[8:9], s[8:9], exec
	s_or_b64 s[4:5], s[4:5], s[8:9]
	s_or_b64 exec, exec, s[6:7]
	s_and_saveexec_b64 s[6:7], s[4:5]
	s_cbranch_execz .LBB2_32453
; %bb.57739:
	s_getpc_b64 s[14:15]
.Lpost_getpc32453:
	s_add_u32 s14, s14, (.LBB2_7563-.Lpost_getpc32453)&4294967295
	s_addc_u32 s15, s15, (.LBB2_7563-.Lpost_getpc32453)>>32
	s_setpc_b64 s[14:15]
.LBB2_32453:
	s_getpc_b64 s[14:15]
.Lpost_getpc19810:
	s_add_u32 s14, s14, (.LBB2_7564-.Lpost_getpc19810)&4294967295
	s_addc_u32 s15, s15, (.LBB2_7564-.Lpost_getpc19810)>>32
	s_setpc_b64 s[14:15]
.LBB2_21901:
	s_movk_i32 s4, 0x80
	v_cmp_eq_u16_sdwa s[12:13], v13, s4 src0_sel:BYTE_0 src1_sel:DWORD
	s_mov_b64 s[4:5], -1
                                        ; implicit-def: $sgpr10
	s_and_saveexec_b64 s[8:9], s[12:13]
; %bb.21902:
	s_mov_b32 s10, 0x7f800001
	s_xor_b64 s[4:5], exec, -1
; %bb.21903:
	s_or_b64 exec, exec, s[8:9]
	s_and_b64 s[4:5], s[4:5], exec
	s_or_saveexec_b64 s[6:7], s[6:7]
	v_mov_b32_e32 v14, s10
	s_xor_b64 exec, exec, s[6:7]
	s_cbranch_execnz .LBB2_21904
; %bb.57741:
	s_getpc_b64 s[14:15]
.Lpost_getpc32454:
	s_add_u32 s14, s14, (.LBB2_7566-.Lpost_getpc32454)&4294967295
	s_addc_u32 s15, s15, (.LBB2_7566-.Lpost_getpc32454)>>32
	s_setpc_b64 s[14:15]
.LBB2_21904:
	v_mov_b32_e32 v14, 0
	v_cmp_ne_u16_sdwa s[8:9], v13, v14 src0_sel:BYTE_0 src1_sel:DWORD
	s_andn2_b64 s[4:5], s[4:5], exec
	s_and_b64 s[8:9], s[8:9], exec
	s_or_b64 s[4:5], s[4:5], s[8:9]
	s_or_b64 exec, exec, s[6:7]
	s_and_saveexec_b64 s[6:7], s[4:5]
	s_cbranch_execz .LBB2_32455
; %bb.57743:
	s_getpc_b64 s[14:15]
.Lpost_getpc32455:
	s_add_u32 s14, s14, (.LBB2_7567-.Lpost_getpc32455)&4294967295
	s_addc_u32 s15, s15, (.LBB2_7567-.Lpost_getpc32455)>>32
	s_setpc_b64 s[14:15]
.LBB2_32455:
	s_getpc_b64 s[14:15]
.Lpost_getpc19811:
	s_add_u32 s14, s14, (.LBB2_7568-.Lpost_getpc19811)&4294967295
	s_addc_u32 s15, s15, (.LBB2_7568-.Lpost_getpc19811)>>32
	s_setpc_b64 s[14:15]
.LBB2_21905:
	s_movk_i32 s4, 0x80
	v_cmp_eq_u16_e32 vcc, s4, v13
	s_mov_b64 s[4:5], -1
                                        ; implicit-def: $sgpr10
	s_and_saveexec_b64 s[8:9], vcc
; %bb.21906:
	s_mov_b32 s10, 0x7f800001
	s_xor_b64 s[4:5], exec, -1
; %bb.21907:
	s_or_b64 exec, exec, s[8:9]
	s_and_b64 s[4:5], s[4:5], exec
                                        ; implicit-def: $vgpr13
	s_or_saveexec_b64 s[6:7], s[6:7]
	v_mov_b32_e32 v12, s10
	s_xor_b64 exec, exec, s[6:7]
	s_cbranch_execnz .LBB2_21908
; %bb.57745:
	s_getpc_b64 s[14:15]
.Lpost_getpc32456:
	s_add_u32 s14, s14, (.LBB2_7570-.Lpost_getpc32456)&4294967295
	s_addc_u32 s15, s15, (.LBB2_7570-.Lpost_getpc32456)>>32
	s_setpc_b64 s[14:15]
.LBB2_21908:
	v_cmp_ne_u16_e32 vcc, 0, v13
	s_andn2_b64 s[4:5], s[4:5], exec
	s_and_b64 s[8:9], vcc, exec
	v_mov_b32_e32 v12, 0
	s_or_b64 s[4:5], s[4:5], s[8:9]
	s_or_b64 exec, exec, s[6:7]
	s_and_saveexec_b64 s[6:7], s[4:5]
	s_cbranch_execz .LBB2_32457
; %bb.57747:
	s_getpc_b64 s[14:15]
.Lpost_getpc32457:
	s_add_u32 s14, s14, (.LBB2_7571-.Lpost_getpc32457)&4294967295
	s_addc_u32 s15, s15, (.LBB2_7571-.Lpost_getpc32457)>>32
	s_setpc_b64 s[14:15]
.LBB2_32457:
	s_getpc_b64 s[14:15]
.Lpost_getpc19812:
	s_add_u32 s14, s14, (.LBB2_7572-.Lpost_getpc19812)&4294967295
	s_addc_u32 s15, s15, (.LBB2_7572-.Lpost_getpc19812)>>32
	s_setpc_b64 s[14:15]
.LBB2_21909:
	s_movk_i32 s4, 0x80
	v_cmp_eq_u16_e32 vcc, s4, v13
	s_mov_b64 s[4:5], -1
                                        ; implicit-def: $sgpr10
	s_and_saveexec_b64 s[8:9], vcc
; %bb.21910:
	s_mov_b32 s10, 0x7f800001
	s_xor_b64 s[4:5], exec, -1
; %bb.21911:
	s_or_b64 exec, exec, s[8:9]
	s_and_b64 s[4:5], s[4:5], exec
                                        ; implicit-def: $vgpr13
	s_or_saveexec_b64 s[6:7], s[6:7]
	v_mov_b32_e32 v14, s10
	s_xor_b64 exec, exec, s[6:7]
	s_cbranch_execnz .LBB2_21912
; %bb.57749:
	s_getpc_b64 s[14:15]
.Lpost_getpc32458:
	s_add_u32 s14, s14, (.LBB2_7574-.Lpost_getpc32458)&4294967295
	s_addc_u32 s15, s15, (.LBB2_7574-.Lpost_getpc32458)>>32
	s_setpc_b64 s[14:15]
.LBB2_21912:
	v_cmp_ne_u16_e32 vcc, 0, v13
	s_andn2_b64 s[4:5], s[4:5], exec
	s_and_b64 s[8:9], vcc, exec
	v_mov_b32_e32 v14, 0
	s_or_b64 s[4:5], s[4:5], s[8:9]
	s_or_b64 exec, exec, s[6:7]
	s_and_saveexec_b64 s[6:7], s[4:5]
	s_cbranch_execz .LBB2_32459
; %bb.57751:
	s_getpc_b64 s[14:15]
.Lpost_getpc32459:
	s_add_u32 s14, s14, (.LBB2_7575-.Lpost_getpc32459)&4294967295
	s_addc_u32 s15, s15, (.LBB2_7575-.Lpost_getpc32459)>>32
	s_setpc_b64 s[14:15]
.LBB2_32459:
	s_getpc_b64 s[14:15]
.Lpost_getpc19813:
	s_add_u32 s14, s14, (.LBB2_7576-.Lpost_getpc19813)&4294967295
	s_addc_u32 s15, s15, (.LBB2_7576-.Lpost_getpc19813)>>32
	s_setpc_b64 s[14:15]
.LBB2_21913:
	s_movk_i32 s4, 0x80
	v_cmp_eq_u16_sdwa s[12:13], v6, s4 src0_sel:BYTE_3 src1_sel:DWORD
	s_mov_b64 s[4:5], -1
                                        ; implicit-def: $sgpr10
	s_and_saveexec_b64 s[8:9], s[12:13]
; %bb.21914:
	s_mov_b32 s10, 0x7f800001
	s_xor_b64 s[4:5], exec, -1
; %bb.21915:
	s_or_b64 exec, exec, s[8:9]
	s_and_b64 s[4:5], s[4:5], exec
	s_or_saveexec_b64 s[6:7], s[6:7]
	v_mov_b32_e32 v12, s10
	s_xor_b64 exec, exec, s[6:7]
	s_cbranch_execnz .LBB2_21916
; %bb.57753:
	s_getpc_b64 s[14:15]
.Lpost_getpc32460:
	s_add_u32 s14, s14, (.LBB2_7578-.Lpost_getpc32460)&4294967295
	s_addc_u32 s15, s15, (.LBB2_7578-.Lpost_getpc32460)>>32
	s_setpc_b64 s[14:15]
.LBB2_21916:
	v_mov_b32_e32 v12, 0
	v_cmp_ne_u16_sdwa s[8:9], v6, v12 src0_sel:BYTE_3 src1_sel:DWORD
	s_andn2_b64 s[4:5], s[4:5], exec
	s_and_b64 s[8:9], s[8:9], exec
	s_or_b64 s[4:5], s[4:5], s[8:9]
	s_or_b64 exec, exec, s[6:7]
	s_and_saveexec_b64 s[6:7], s[4:5]
	s_cbranch_execz .LBB2_32461
; %bb.57755:
	s_getpc_b64 s[14:15]
.Lpost_getpc32461:
	s_add_u32 s14, s14, (.LBB2_7579-.Lpost_getpc32461)&4294967295
	s_addc_u32 s15, s15, (.LBB2_7579-.Lpost_getpc32461)>>32
	s_setpc_b64 s[14:15]
.LBB2_32461:
	s_getpc_b64 s[14:15]
.Lpost_getpc19814:
	s_add_u32 s14, s14, (.LBB2_7580-.Lpost_getpc19814)&4294967295
	s_addc_u32 s15, s15, (.LBB2_7580-.Lpost_getpc19814)>>32
	s_setpc_b64 s[14:15]
.LBB2_21917:
	s_movk_i32 s4, 0x80
	v_cmp_eq_u16_sdwa s[12:13], v2, s4 src0_sel:BYTE_3 src1_sel:DWORD
	s_mov_b64 s[4:5], -1
                                        ; implicit-def: $sgpr10
	s_and_saveexec_b64 s[8:9], s[12:13]
; %bb.21918:
	s_mov_b32 s10, 0x7f800001
	s_xor_b64 s[4:5], exec, -1
; %bb.21919:
	s_or_b64 exec, exec, s[8:9]
	s_and_b64 s[4:5], s[4:5], exec
	s_or_saveexec_b64 s[6:7], s[6:7]
	v_mov_b32_e32 v6, s10
	s_xor_b64 exec, exec, s[6:7]
	s_cbranch_execnz .LBB2_21920
; %bb.57757:
	s_getpc_b64 s[14:15]
.Lpost_getpc32462:
	s_add_u32 s14, s14, (.LBB2_7582-.Lpost_getpc32462)&4294967295
	s_addc_u32 s15, s15, (.LBB2_7582-.Lpost_getpc32462)>>32
	s_setpc_b64 s[14:15]
.LBB2_21920:
	v_mov_b32_e32 v6, 0
	v_cmp_ne_u16_sdwa s[8:9], v2, v6 src0_sel:BYTE_3 src1_sel:DWORD
	s_andn2_b64 s[4:5], s[4:5], exec
	s_and_b64 s[8:9], s[8:9], exec
	s_or_b64 s[4:5], s[4:5], s[8:9]
	s_or_b64 exec, exec, s[6:7]
	s_and_saveexec_b64 s[6:7], s[4:5]
	s_cbranch_execz .LBB2_32463
; %bb.57759:
	s_getpc_b64 s[14:15]
.Lpost_getpc32463:
	s_add_u32 s14, s14, (.LBB2_7583-.Lpost_getpc32463)&4294967295
	s_addc_u32 s15, s15, (.LBB2_7583-.Lpost_getpc32463)>>32
	s_setpc_b64 s[14:15]
.LBB2_32463:
	s_getpc_b64 s[14:15]
.Lpost_getpc19815:
	s_add_u32 s14, s14, (.LBB2_7584-.Lpost_getpc19815)&4294967295
	s_addc_u32 s15, s15, (.LBB2_7584-.Lpost_getpc19815)>>32
	s_setpc_b64 s[14:15]
.LBB2_21921:
	s_movk_i32 s4, 0x80
	v_cmp_eq_u16_sdwa s[12:13], v7, s4 src0_sel:BYTE_0 src1_sel:DWORD
	s_mov_b64 s[4:5], -1
                                        ; implicit-def: $sgpr10
	s_and_saveexec_b64 s[8:9], s[12:13]
; %bb.21922:
	s_mov_b32 s10, 0x7f800001
	s_xor_b64 s[4:5], exec, -1
; %bb.21923:
	s_or_b64 exec, exec, s[8:9]
	s_and_b64 s[4:5], s[4:5], exec
	s_or_saveexec_b64 s[6:7], s[6:7]
	v_mov_b32_e32 v2, s10
	s_xor_b64 exec, exec, s[6:7]
	s_cbranch_execnz .LBB2_21924
; %bb.57761:
	s_getpc_b64 s[14:15]
.Lpost_getpc32464:
	s_add_u32 s14, s14, (.LBB2_7586-.Lpost_getpc32464)&4294967295
	s_addc_u32 s15, s15, (.LBB2_7586-.Lpost_getpc32464)>>32
	s_setpc_b64 s[14:15]
.LBB2_21924:
	v_mov_b32_e32 v2, 0
	v_cmp_ne_u16_sdwa s[8:9], v7, v2 src0_sel:BYTE_0 src1_sel:DWORD
	s_andn2_b64 s[4:5], s[4:5], exec
	s_and_b64 s[8:9], s[8:9], exec
	s_or_b64 s[4:5], s[4:5], s[8:9]
	s_or_b64 exec, exec, s[6:7]
	s_and_saveexec_b64 s[6:7], s[4:5]
	s_cbranch_execz .LBB2_32465
; %bb.57763:
	s_getpc_b64 s[14:15]
.Lpost_getpc32465:
	s_add_u32 s14, s14, (.LBB2_7587-.Lpost_getpc32465)&4294967295
	s_addc_u32 s15, s15, (.LBB2_7587-.Lpost_getpc32465)>>32
	s_setpc_b64 s[14:15]
.LBB2_32465:
	s_getpc_b64 s[14:15]
.Lpost_getpc19816:
	s_add_u32 s14, s14, (.LBB2_7588-.Lpost_getpc19816)&4294967295
	s_addc_u32 s15, s15, (.LBB2_7588-.Lpost_getpc19816)>>32
	s_setpc_b64 s[14:15]
.LBB2_21925:
	s_movk_i32 s4, 0x80
	v_cmp_eq_u16_sdwa s[12:13], v3, s4 src0_sel:BYTE_0 src1_sel:DWORD
	s_mov_b64 s[4:5], -1
                                        ; implicit-def: $sgpr10
	s_and_saveexec_b64 s[8:9], s[12:13]
; %bb.21926:
	s_mov_b32 s10, 0x7f800001
	s_xor_b64 s[4:5], exec, -1
; %bb.21927:
	s_or_b64 exec, exec, s[8:9]
	s_and_b64 s[4:5], s[4:5], exec
	s_or_saveexec_b64 s[6:7], s[6:7]
	v_mov_b32_e32 v6, s10
	s_xor_b64 exec, exec, s[6:7]
	s_cbranch_execnz .LBB2_21928
; %bb.57765:
	s_getpc_b64 s[14:15]
.Lpost_getpc32466:
	s_add_u32 s14, s14, (.LBB2_7590-.Lpost_getpc32466)&4294967295
	s_addc_u32 s15, s15, (.LBB2_7590-.Lpost_getpc32466)>>32
	s_setpc_b64 s[14:15]
.LBB2_21928:
	v_mov_b32_e32 v6, 0
	v_cmp_ne_u16_sdwa s[8:9], v3, v6 src0_sel:BYTE_0 src1_sel:DWORD
	s_andn2_b64 s[4:5], s[4:5], exec
	s_and_b64 s[8:9], s[8:9], exec
	s_or_b64 s[4:5], s[4:5], s[8:9]
	s_or_b64 exec, exec, s[6:7]
	s_and_saveexec_b64 s[6:7], s[4:5]
	s_cbranch_execz .LBB2_32467
; %bb.57767:
	s_getpc_b64 s[14:15]
.Lpost_getpc32467:
	s_add_u32 s14, s14, (.LBB2_7591-.Lpost_getpc32467)&4294967295
	s_addc_u32 s15, s15, (.LBB2_7591-.Lpost_getpc32467)>>32
	s_setpc_b64 s[14:15]
.LBB2_32467:
	s_getpc_b64 s[14:15]
.Lpost_getpc19817:
	s_add_u32 s14, s14, (.LBB2_7592-.Lpost_getpc19817)&4294967295
	s_addc_u32 s15, s15, (.LBB2_7592-.Lpost_getpc19817)>>32
	s_setpc_b64 s[14:15]
.LBB2_21929:
	s_movk_i32 s4, 0x80
	v_cmp_eq_u16_sdwa s[12:13], v6, s4 src0_sel:BYTE_0 src1_sel:DWORD
	s_mov_b64 s[4:5], -1
                                        ; implicit-def: $sgpr10
	s_and_saveexec_b64 s[8:9], s[12:13]
; %bb.21930:
	s_mov_b32 s10, 0x7f800001
	s_xor_b64 s[4:5], exec, -1
; %bb.21931:
	s_or_b64 exec, exec, s[8:9]
	s_and_b64 s[4:5], s[4:5], exec
	s_or_saveexec_b64 s[6:7], s[6:7]
	v_mov_b32_e32 v2, s10
	s_xor_b64 exec, exec, s[6:7]
	s_cbranch_execnz .LBB2_21932
; %bb.57769:
	s_getpc_b64 s[14:15]
.Lpost_getpc32468:
	s_add_u32 s14, s14, (.LBB2_7594-.Lpost_getpc32468)&4294967295
	s_addc_u32 s15, s15, (.LBB2_7594-.Lpost_getpc32468)>>32
	s_setpc_b64 s[14:15]
.LBB2_21932:
	v_mov_b32_e32 v2, 0
	v_cmp_ne_u16_sdwa s[8:9], v6, v2 src0_sel:BYTE_0 src1_sel:DWORD
	s_andn2_b64 s[4:5], s[4:5], exec
	s_and_b64 s[8:9], s[8:9], exec
	s_or_b64 s[4:5], s[4:5], s[8:9]
	s_or_b64 exec, exec, s[6:7]
	s_and_saveexec_b64 s[6:7], s[4:5]
	s_cbranch_execz .LBB2_32469
; %bb.57771:
	s_getpc_b64 s[14:15]
.Lpost_getpc32469:
	s_add_u32 s14, s14, (.LBB2_7595-.Lpost_getpc32469)&4294967295
	s_addc_u32 s15, s15, (.LBB2_7595-.Lpost_getpc32469)>>32
	s_setpc_b64 s[14:15]
.LBB2_32469:
	s_getpc_b64 s[14:15]
.Lpost_getpc19818:
	s_add_u32 s14, s14, (.LBB2_7596-.Lpost_getpc19818)&4294967295
	s_addc_u32 s15, s15, (.LBB2_7596-.Lpost_getpc19818)>>32
	s_setpc_b64 s[14:15]
.LBB2_21933:
	s_movk_i32 s4, 0x80
	v_cmp_eq_u16_sdwa s[12:13], v6, s4 src0_sel:BYTE_0 src1_sel:DWORD
	s_mov_b64 s[4:5], -1
                                        ; implicit-def: $sgpr10
	s_and_saveexec_b64 s[8:9], s[12:13]
; %bb.21934:
	s_mov_b32 s10, 0x7f800001
	s_xor_b64 s[4:5], exec, -1
; %bb.21935:
	s_or_b64 exec, exec, s[8:9]
	s_and_b64 s[4:5], s[4:5], exec
	s_or_saveexec_b64 s[6:7], s[6:7]
	v_mov_b32_e32 v12, s10
	s_xor_b64 exec, exec, s[6:7]
	s_cbranch_execnz .LBB2_21936
; %bb.57773:
	s_getpc_b64 s[14:15]
.Lpost_getpc32470:
	s_add_u32 s14, s14, (.LBB2_7598-.Lpost_getpc32470)&4294967295
	s_addc_u32 s15, s15, (.LBB2_7598-.Lpost_getpc32470)>>32
	s_setpc_b64 s[14:15]
.LBB2_21936:
	v_mov_b32_e32 v12, 0
	v_cmp_ne_u16_sdwa s[8:9], v6, v12 src0_sel:BYTE_0 src1_sel:DWORD
	s_andn2_b64 s[4:5], s[4:5], exec
	s_and_b64 s[8:9], s[8:9], exec
	s_or_b64 s[4:5], s[4:5], s[8:9]
	s_or_b64 exec, exec, s[6:7]
	s_and_saveexec_b64 s[6:7], s[4:5]
	s_cbranch_execz .LBB2_32471
; %bb.57775:
	s_getpc_b64 s[14:15]
.Lpost_getpc32471:
	s_add_u32 s14, s14, (.LBB2_7599-.Lpost_getpc32471)&4294967295
	s_addc_u32 s15, s15, (.LBB2_7599-.Lpost_getpc32471)>>32
	s_setpc_b64 s[14:15]
.LBB2_32471:
	s_getpc_b64 s[14:15]
.Lpost_getpc19819:
	s_add_u32 s14, s14, (.LBB2_7600-.Lpost_getpc19819)&4294967295
	s_addc_u32 s15, s15, (.LBB2_7600-.Lpost_getpc19819)>>32
	s_setpc_b64 s[14:15]
.LBB2_21937:
	s_movk_i32 s4, 0x80
	v_cmp_eq_u16_e32 vcc, s4, v6
	s_mov_b64 s[4:5], -1
                                        ; implicit-def: $sgpr10
	s_and_saveexec_b64 s[8:9], vcc
; %bb.21938:
	s_mov_b32 s10, 0x7f800001
	s_xor_b64 s[4:5], exec, -1
; %bb.21939:
	s_or_b64 exec, exec, s[8:9]
	s_and_b64 s[4:5], s[4:5], exec
                                        ; implicit-def: $vgpr6
	s_or_saveexec_b64 s[6:7], s[6:7]
	v_mov_b32_e32 v2, s10
	s_xor_b64 exec, exec, s[6:7]
	s_cbranch_execnz .LBB2_21940
; %bb.57777:
	s_getpc_b64 s[14:15]
.Lpost_getpc32472:
	s_add_u32 s14, s14, (.LBB2_7602-.Lpost_getpc32472)&4294967295
	s_addc_u32 s15, s15, (.LBB2_7602-.Lpost_getpc32472)>>32
	s_setpc_b64 s[14:15]
.LBB2_21940:
	v_cmp_ne_u16_e32 vcc, 0, v6
	s_andn2_b64 s[4:5], s[4:5], exec
	s_and_b64 s[8:9], vcc, exec
	v_mov_b32_e32 v2, 0
	s_or_b64 s[4:5], s[4:5], s[8:9]
	s_or_b64 exec, exec, s[6:7]
	s_and_saveexec_b64 s[6:7], s[4:5]
	s_cbranch_execz .LBB2_32473
; %bb.57779:
	s_getpc_b64 s[14:15]
.Lpost_getpc32473:
	s_add_u32 s14, s14, (.LBB2_7603-.Lpost_getpc32473)&4294967295
	s_addc_u32 s15, s15, (.LBB2_7603-.Lpost_getpc32473)>>32
	s_setpc_b64 s[14:15]
.LBB2_32473:
	s_getpc_b64 s[14:15]
.Lpost_getpc19820:
	s_add_u32 s14, s14, (.LBB2_7604-.Lpost_getpc19820)&4294967295
	s_addc_u32 s15, s15, (.LBB2_7604-.Lpost_getpc19820)>>32
	s_setpc_b64 s[14:15]
.LBB2_21941:
	s_movk_i32 s4, 0x80
	v_cmp_eq_u16_e32 vcc, s4, v6
	s_mov_b64 s[4:5], -1
                                        ; implicit-def: $sgpr10
	s_and_saveexec_b64 s[8:9], vcc
; %bb.21942:
	s_mov_b32 s10, 0x7f800001
	s_xor_b64 s[4:5], exec, -1
; %bb.21943:
	s_or_b64 exec, exec, s[8:9]
	s_and_b64 s[4:5], s[4:5], exec
                                        ; implicit-def: $vgpr6
	s_or_saveexec_b64 s[6:7], s[6:7]
	v_mov_b32_e32 v12, s10
	s_xor_b64 exec, exec, s[6:7]
	s_cbranch_execnz .LBB2_21944
; %bb.57781:
	s_getpc_b64 s[14:15]
.Lpost_getpc32474:
	s_add_u32 s14, s14, (.LBB2_7606-.Lpost_getpc32474)&4294967295
	s_addc_u32 s15, s15, (.LBB2_7606-.Lpost_getpc32474)>>32
	s_setpc_b64 s[14:15]
.LBB2_21944:
	v_cmp_ne_u16_e32 vcc, 0, v6
	s_andn2_b64 s[4:5], s[4:5], exec
	s_and_b64 s[8:9], vcc, exec
	v_mov_b32_e32 v12, 0
	s_or_b64 s[4:5], s[4:5], s[8:9]
	s_or_b64 exec, exec, s[6:7]
	s_and_saveexec_b64 s[6:7], s[4:5]
	s_cbranch_execz .LBB2_32475
; %bb.57783:
	s_getpc_b64 s[14:15]
.Lpost_getpc32475:
	s_add_u32 s14, s14, (.LBB2_7607-.Lpost_getpc32475)&4294967295
	s_addc_u32 s15, s15, (.LBB2_7607-.Lpost_getpc32475)>>32
	s_setpc_b64 s[14:15]
.LBB2_32475:
	s_getpc_b64 s[14:15]
.Lpost_getpc19821:
	s_add_u32 s14, s14, (.LBB2_7608-.Lpost_getpc19821)&4294967295
	s_addc_u32 s15, s15, (.LBB2_7608-.Lpost_getpc19821)>>32
	s_setpc_b64 s[14:15]
.LBB2_21945:
	s_movk_i32 s4, 0x80
	v_cmp_eq_u16_sdwa s[12:13], v7, s4 src0_sel:BYTE_3 src1_sel:DWORD
	s_mov_b64 s[4:5], -1
                                        ; implicit-def: $sgpr10
	s_and_saveexec_b64 s[8:9], s[12:13]
; %bb.21946:
	s_mov_b32 s10, 0x7f800001
	s_xor_b64 s[4:5], exec, -1
; %bb.21947:
	s_or_b64 exec, exec, s[8:9]
	s_and_b64 s[4:5], s[4:5], exec
	s_or_saveexec_b64 s[6:7], s[6:7]
	v_mov_b32_e32 v2, s10
	s_xor_b64 exec, exec, s[6:7]
	s_cbranch_execnz .LBB2_21948
; %bb.57785:
	s_getpc_b64 s[14:15]
.Lpost_getpc32476:
	s_add_u32 s14, s14, (.LBB2_7610-.Lpost_getpc32476)&4294967295
	s_addc_u32 s15, s15, (.LBB2_7610-.Lpost_getpc32476)>>32
	s_setpc_b64 s[14:15]
.LBB2_21948:
	v_mov_b32_e32 v2, 0
	v_cmp_ne_u16_sdwa s[8:9], v7, v2 src0_sel:BYTE_3 src1_sel:DWORD
	s_andn2_b64 s[4:5], s[4:5], exec
	s_and_b64 s[8:9], s[8:9], exec
	s_or_b64 s[4:5], s[4:5], s[8:9]
	s_or_b64 exec, exec, s[6:7]
	s_and_saveexec_b64 s[6:7], s[4:5]
	s_cbranch_execz .LBB2_32477
; %bb.57787:
	s_getpc_b64 s[14:15]
.Lpost_getpc32477:
	s_add_u32 s14, s14, (.LBB2_7611-.Lpost_getpc32477)&4294967295
	s_addc_u32 s15, s15, (.LBB2_7611-.Lpost_getpc32477)>>32
	s_setpc_b64 s[14:15]
.LBB2_32477:
	s_getpc_b64 s[14:15]
.Lpost_getpc19822:
	s_add_u32 s14, s14, (.LBB2_7612-.Lpost_getpc19822)&4294967295
	s_addc_u32 s15, s15, (.LBB2_7612-.Lpost_getpc19822)>>32
	s_setpc_b64 s[14:15]
.LBB2_21949:
	s_movk_i32 s4, 0x80
	v_cmp_eq_u16_sdwa s[12:13], v3, s4 src0_sel:BYTE_3 src1_sel:DWORD
	s_mov_b64 s[4:5], -1
                                        ; implicit-def: $sgpr10
	s_and_saveexec_b64 s[8:9], s[12:13]
; %bb.21950:
	s_mov_b32 s10, 0x7f800001
	s_xor_b64 s[4:5], exec, -1
; %bb.21951:
	s_or_b64 exec, exec, s[8:9]
	s_and_b64 s[4:5], s[4:5], exec
	s_or_saveexec_b64 s[6:7], s[6:7]
	v_mov_b32_e32 v6, s10
	s_xor_b64 exec, exec, s[6:7]
	s_cbranch_execnz .LBB2_21952
; %bb.57789:
	s_getpc_b64 s[14:15]
.Lpost_getpc32478:
	s_add_u32 s14, s14, (.LBB2_7614-.Lpost_getpc32478)&4294967295
	s_addc_u32 s15, s15, (.LBB2_7614-.Lpost_getpc32478)>>32
	s_setpc_b64 s[14:15]
.LBB2_21952:
	v_mov_b32_e32 v6, 0
	v_cmp_ne_u16_sdwa s[8:9], v3, v6 src0_sel:BYTE_3 src1_sel:DWORD
	s_andn2_b64 s[4:5], s[4:5], exec
	s_and_b64 s[8:9], s[8:9], exec
	s_or_b64 s[4:5], s[4:5], s[8:9]
	s_or_b64 exec, exec, s[6:7]
	s_and_saveexec_b64 s[6:7], s[4:5]
	s_cbranch_execz .LBB2_32479
; %bb.57791:
	s_getpc_b64 s[14:15]
.Lpost_getpc32479:
	s_add_u32 s14, s14, (.LBB2_7615-.Lpost_getpc32479)&4294967295
	s_addc_u32 s15, s15, (.LBB2_7615-.Lpost_getpc32479)>>32
	s_setpc_b64 s[14:15]
.LBB2_32479:
	s_getpc_b64 s[14:15]
.Lpost_getpc19823:
	s_add_u32 s14, s14, (.LBB2_7616-.Lpost_getpc19823)&4294967295
	s_addc_u32 s15, s15, (.LBB2_7616-.Lpost_getpc19823)>>32
	s_setpc_b64 s[14:15]
.LBB2_21953:
	s_movk_i32 s4, 0x80
	v_cmp_eq_u16_sdwa s[12:13], v8, s4 src0_sel:BYTE_0 src1_sel:DWORD
	s_mov_b64 s[4:5], -1
                                        ; implicit-def: $sgpr10
	s_and_saveexec_b64 s[8:9], s[12:13]
; %bb.21954:
	s_mov_b32 s10, 0x7f800001
	s_xor_b64 s[4:5], exec, -1
; %bb.21955:
	s_or_b64 exec, exec, s[8:9]
	s_and_b64 s[4:5], s[4:5], exec
	s_or_saveexec_b64 s[6:7], s[6:7]
	v_mov_b32_e32 v2, s10
	s_xor_b64 exec, exec, s[6:7]
	s_cbranch_execnz .LBB2_21956
; %bb.57793:
	s_getpc_b64 s[14:15]
.Lpost_getpc32480:
	s_add_u32 s14, s14, (.LBB2_7618-.Lpost_getpc32480)&4294967295
	s_addc_u32 s15, s15, (.LBB2_7618-.Lpost_getpc32480)>>32
	s_setpc_b64 s[14:15]
.LBB2_21956:
	v_mov_b32_e32 v2, 0
	v_cmp_ne_u16_sdwa s[8:9], v8, v2 src0_sel:BYTE_0 src1_sel:DWORD
	s_andn2_b64 s[4:5], s[4:5], exec
	s_and_b64 s[8:9], s[8:9], exec
	s_or_b64 s[4:5], s[4:5], s[8:9]
	s_or_b64 exec, exec, s[6:7]
	s_and_saveexec_b64 s[6:7], s[4:5]
	s_cbranch_execz .LBB2_32481
; %bb.57795:
	s_getpc_b64 s[14:15]
.Lpost_getpc32481:
	s_add_u32 s14, s14, (.LBB2_7619-.Lpost_getpc32481)&4294967295
	s_addc_u32 s15, s15, (.LBB2_7619-.Lpost_getpc32481)>>32
	s_setpc_b64 s[14:15]
.LBB2_32481:
	s_getpc_b64 s[14:15]
.Lpost_getpc19824:
	s_add_u32 s14, s14, (.LBB2_7620-.Lpost_getpc19824)&4294967295
	s_addc_u32 s15, s15, (.LBB2_7620-.Lpost_getpc19824)>>32
	s_setpc_b64 s[14:15]
.LBB2_21957:
	s_movk_i32 s4, 0x80
	v_cmp_eq_u16_sdwa s[12:13], v4, s4 src0_sel:BYTE_0 src1_sel:DWORD
	s_mov_b64 s[4:5], -1
                                        ; implicit-def: $sgpr10
	s_and_saveexec_b64 s[8:9], s[12:13]
; %bb.21958:
	s_mov_b32 s10, 0x7f800001
	s_xor_b64 s[4:5], exec, -1
; %bb.21959:
	s_or_b64 exec, exec, s[8:9]
	s_and_b64 s[4:5], s[4:5], exec
	s_or_saveexec_b64 s[6:7], s[6:7]
	v_mov_b32_e32 v3, s10
	s_xor_b64 exec, exec, s[6:7]
	s_cbranch_execnz .LBB2_21960
; %bb.57797:
	s_getpc_b64 s[14:15]
.Lpost_getpc32482:
	s_add_u32 s14, s14, (.LBB2_7622-.Lpost_getpc32482)&4294967295
	s_addc_u32 s15, s15, (.LBB2_7622-.Lpost_getpc32482)>>32
	s_setpc_b64 s[14:15]
.LBB2_21960:
	v_mov_b32_e32 v3, 0
	v_cmp_ne_u16_sdwa s[8:9], v4, v3 src0_sel:BYTE_0 src1_sel:DWORD
	s_andn2_b64 s[4:5], s[4:5], exec
	s_and_b64 s[8:9], s[8:9], exec
	s_or_b64 s[4:5], s[4:5], s[8:9]
	s_or_b64 exec, exec, s[6:7]
	s_and_saveexec_b64 s[6:7], s[4:5]
	s_cbranch_execz .LBB2_32483
; %bb.57799:
	s_getpc_b64 s[14:15]
.Lpost_getpc32483:
	s_add_u32 s14, s14, (.LBB2_7623-.Lpost_getpc32483)&4294967295
	s_addc_u32 s15, s15, (.LBB2_7623-.Lpost_getpc32483)>>32
	s_setpc_b64 s[14:15]
.LBB2_32483:
	s_getpc_b64 s[14:15]
.Lpost_getpc19825:
	s_add_u32 s14, s14, (.LBB2_7624-.Lpost_getpc19825)&4294967295
	s_addc_u32 s15, s15, (.LBB2_7624-.Lpost_getpc19825)>>32
	s_setpc_b64 s[14:15]
.LBB2_21961:
	s_movk_i32 s4, 0x80
	v_cmp_eq_u16_sdwa s[12:13], v3, s4 src0_sel:BYTE_0 src1_sel:DWORD
	s_mov_b64 s[4:5], -1
                                        ; implicit-def: $sgpr10
	s_and_saveexec_b64 s[8:9], s[12:13]
; %bb.21962:
	s_mov_b32 s10, 0x7f800001
	s_xor_b64 s[4:5], exec, -1
; %bb.21963:
	s_or_b64 exec, exec, s[8:9]
	s_and_b64 s[4:5], s[4:5], exec
	s_or_saveexec_b64 s[6:7], s[6:7]
	v_mov_b32_e32 v2, s10
	s_xor_b64 exec, exec, s[6:7]
	s_cbranch_execnz .LBB2_21964
; %bb.57801:
	s_getpc_b64 s[14:15]
.Lpost_getpc32484:
	s_add_u32 s14, s14, (.LBB2_7626-.Lpost_getpc32484)&4294967295
	s_addc_u32 s15, s15, (.LBB2_7626-.Lpost_getpc32484)>>32
	s_setpc_b64 s[14:15]
.LBB2_21964:
	v_mov_b32_e32 v2, 0
	v_cmp_ne_u16_sdwa s[8:9], v3, v2 src0_sel:BYTE_0 src1_sel:DWORD
	s_andn2_b64 s[4:5], s[4:5], exec
	s_and_b64 s[8:9], s[8:9], exec
	s_or_b64 s[4:5], s[4:5], s[8:9]
	s_or_b64 exec, exec, s[6:7]
	s_and_saveexec_b64 s[6:7], s[4:5]
	s_cbranch_execz .LBB2_32485
; %bb.57803:
	s_getpc_b64 s[14:15]
.Lpost_getpc32485:
	s_add_u32 s14, s14, (.LBB2_7627-.Lpost_getpc32485)&4294967295
	s_addc_u32 s15, s15, (.LBB2_7627-.Lpost_getpc32485)>>32
	s_setpc_b64 s[14:15]
.LBB2_32485:
	s_getpc_b64 s[14:15]
.Lpost_getpc19826:
	s_add_u32 s14, s14, (.LBB2_7628-.Lpost_getpc19826)&4294967295
	s_addc_u32 s15, s15, (.LBB2_7628-.Lpost_getpc19826)>>32
	s_setpc_b64 s[14:15]
.LBB2_21965:
	s_movk_i32 s4, 0x80
	v_cmp_eq_u16_sdwa s[12:13], v3, s4 src0_sel:BYTE_0 src1_sel:DWORD
	s_mov_b64 s[4:5], -1
                                        ; implicit-def: $sgpr10
	s_and_saveexec_b64 s[8:9], s[12:13]
; %bb.21966:
	s_mov_b32 s10, 0x7f800001
	s_xor_b64 s[4:5], exec, -1
; %bb.21967:
	s_or_b64 exec, exec, s[8:9]
	s_and_b64 s[4:5], s[4:5], exec
	s_or_saveexec_b64 s[6:7], s[6:7]
	v_mov_b32_e32 v6, s10
	s_xor_b64 exec, exec, s[6:7]
	s_cbranch_execnz .LBB2_21968
; %bb.57805:
	s_getpc_b64 s[14:15]
.Lpost_getpc32486:
	s_add_u32 s14, s14, (.LBB2_7630-.Lpost_getpc32486)&4294967295
	s_addc_u32 s15, s15, (.LBB2_7630-.Lpost_getpc32486)>>32
	s_setpc_b64 s[14:15]
.LBB2_21968:
	v_mov_b32_e32 v6, 0
	v_cmp_ne_u16_sdwa s[8:9], v3, v6 src0_sel:BYTE_0 src1_sel:DWORD
	s_andn2_b64 s[4:5], s[4:5], exec
	s_and_b64 s[8:9], s[8:9], exec
	s_or_b64 s[4:5], s[4:5], s[8:9]
	s_or_b64 exec, exec, s[6:7]
	s_and_saveexec_b64 s[6:7], s[4:5]
	s_cbranch_execz .LBB2_32487
; %bb.57807:
	s_getpc_b64 s[14:15]
.Lpost_getpc32487:
	s_add_u32 s14, s14, (.LBB2_7631-.Lpost_getpc32487)&4294967295
	s_addc_u32 s15, s15, (.LBB2_7631-.Lpost_getpc32487)>>32
	s_setpc_b64 s[14:15]
.LBB2_32487:
	s_getpc_b64 s[14:15]
.Lpost_getpc19827:
	s_add_u32 s14, s14, (.LBB2_7632-.Lpost_getpc19827)&4294967295
	s_addc_u32 s15, s15, (.LBB2_7632-.Lpost_getpc19827)>>32
	s_setpc_b64 s[14:15]
.LBB2_21969:
	s_movk_i32 s4, 0x80
	v_cmp_eq_u16_e32 vcc, s4, v3
	s_mov_b64 s[4:5], -1
                                        ; implicit-def: $sgpr10
	s_and_saveexec_b64 s[8:9], vcc
; %bb.21970:
	s_mov_b32 s10, 0x7f800001
	s_xor_b64 s[4:5], exec, -1
; %bb.21971:
	s_or_b64 exec, exec, s[8:9]
	s_and_b64 s[4:5], s[4:5], exec
                                        ; implicit-def: $vgpr3
	s_or_saveexec_b64 s[6:7], s[6:7]
	v_mov_b32_e32 v2, s10
	s_xor_b64 exec, exec, s[6:7]
	s_cbranch_execnz .LBB2_21972
; %bb.57809:
	s_getpc_b64 s[14:15]
.Lpost_getpc32488:
	s_add_u32 s14, s14, (.LBB2_7634-.Lpost_getpc32488)&4294967295
	s_addc_u32 s15, s15, (.LBB2_7634-.Lpost_getpc32488)>>32
	s_setpc_b64 s[14:15]
.LBB2_21972:
	v_cmp_ne_u16_e32 vcc, 0, v3
	s_andn2_b64 s[4:5], s[4:5], exec
	s_and_b64 s[8:9], vcc, exec
	v_mov_b32_e32 v2, 0
	s_or_b64 s[4:5], s[4:5], s[8:9]
	s_or_b64 exec, exec, s[6:7]
	s_and_saveexec_b64 s[6:7], s[4:5]
	s_cbranch_execz .LBB2_32489
; %bb.57811:
	s_getpc_b64 s[14:15]
.Lpost_getpc32489:
	s_add_u32 s14, s14, (.LBB2_7635-.Lpost_getpc32489)&4294967295
	s_addc_u32 s15, s15, (.LBB2_7635-.Lpost_getpc32489)>>32
	s_setpc_b64 s[14:15]
.LBB2_32489:
	s_getpc_b64 s[14:15]
.Lpost_getpc19828:
	s_add_u32 s14, s14, (.LBB2_7636-.Lpost_getpc19828)&4294967295
	s_addc_u32 s15, s15, (.LBB2_7636-.Lpost_getpc19828)>>32
	s_setpc_b64 s[14:15]
.LBB2_21973:
	s_movk_i32 s4, 0x80
	v_cmp_eq_u16_e32 vcc, s4, v3
	s_mov_b64 s[4:5], -1
                                        ; implicit-def: $sgpr10
	s_and_saveexec_b64 s[8:9], vcc
; %bb.21974:
	s_mov_b32 s10, 0x7f800001
	s_xor_b64 s[4:5], exec, -1
; %bb.21975:
	s_or_b64 exec, exec, s[8:9]
	s_and_b64 s[4:5], s[4:5], exec
                                        ; implicit-def: $vgpr3
	s_or_saveexec_b64 s[6:7], s[6:7]
	v_mov_b32_e32 v6, s10
	s_xor_b64 exec, exec, s[6:7]
	s_cbranch_execnz .LBB2_21976
; %bb.57813:
	s_getpc_b64 s[14:15]
.Lpost_getpc32490:
	s_add_u32 s14, s14, (.LBB2_7638-.Lpost_getpc32490)&4294967295
	s_addc_u32 s15, s15, (.LBB2_7638-.Lpost_getpc32490)>>32
	s_setpc_b64 s[14:15]
.LBB2_21976:
	v_cmp_ne_u16_e32 vcc, 0, v3
	s_andn2_b64 s[4:5], s[4:5], exec
	s_and_b64 s[8:9], vcc, exec
	v_mov_b32_e32 v6, 0
	s_or_b64 s[4:5], s[4:5], s[8:9]
	s_or_b64 exec, exec, s[6:7]
	s_and_saveexec_b64 s[6:7], s[4:5]
	s_cbranch_execz .LBB2_32491
; %bb.57815:
	s_getpc_b64 s[14:15]
.Lpost_getpc32491:
	s_add_u32 s14, s14, (.LBB2_7639-.Lpost_getpc32491)&4294967295
	s_addc_u32 s15, s15, (.LBB2_7639-.Lpost_getpc32491)>>32
	s_setpc_b64 s[14:15]
.LBB2_32491:
	s_getpc_b64 s[14:15]
.Lpost_getpc19829:
	s_add_u32 s14, s14, (.LBB2_7640-.Lpost_getpc19829)&4294967295
	s_addc_u32 s15, s15, (.LBB2_7640-.Lpost_getpc19829)>>32
	s_setpc_b64 s[14:15]
.LBB2_21977:
	s_movk_i32 s4, 0x80
	v_cmp_eq_u16_sdwa s[12:13], v8, s4 src0_sel:BYTE_3 src1_sel:DWORD
	s_mov_b64 s[4:5], -1
                                        ; implicit-def: $sgpr10
	s_and_saveexec_b64 s[8:9], s[12:13]
; %bb.21978:
	s_mov_b32 s10, 0x7f800001
	s_xor_b64 s[4:5], exec, -1
; %bb.21979:
	s_or_b64 exec, exec, s[8:9]
	s_and_b64 s[4:5], s[4:5], exec
	s_or_saveexec_b64 s[6:7], s[6:7]
	v_mov_b32_e32 v2, s10
	s_xor_b64 exec, exec, s[6:7]
	s_cbranch_execnz .LBB2_21980
; %bb.57817:
	s_getpc_b64 s[14:15]
.Lpost_getpc32492:
	s_add_u32 s14, s14, (.LBB2_7642-.Lpost_getpc32492)&4294967295
	s_addc_u32 s15, s15, (.LBB2_7642-.Lpost_getpc32492)>>32
	s_setpc_b64 s[14:15]
.LBB2_21980:
	v_mov_b32_e32 v2, 0
	v_cmp_ne_u16_sdwa s[8:9], v8, v2 src0_sel:BYTE_3 src1_sel:DWORD
	s_andn2_b64 s[4:5], s[4:5], exec
	s_and_b64 s[8:9], s[8:9], exec
	s_or_b64 s[4:5], s[4:5], s[8:9]
	s_or_b64 exec, exec, s[6:7]
	s_and_saveexec_b64 s[6:7], s[4:5]
	s_cbranch_execz .LBB2_32493
; %bb.57819:
	s_getpc_b64 s[14:15]
.Lpost_getpc32493:
	s_add_u32 s14, s14, (.LBB2_7643-.Lpost_getpc32493)&4294967295
	s_addc_u32 s15, s15, (.LBB2_7643-.Lpost_getpc32493)>>32
	s_setpc_b64 s[14:15]
.LBB2_32493:
	s_getpc_b64 s[14:15]
.Lpost_getpc19830:
	s_add_u32 s14, s14, (.LBB2_7644-.Lpost_getpc19830)&4294967295
	s_addc_u32 s15, s15, (.LBB2_7644-.Lpost_getpc19830)>>32
	s_setpc_b64 s[14:15]
.LBB2_21981:
	s_movk_i32 s4, 0x80
	v_cmp_eq_u16_sdwa s[12:13], v4, s4 src0_sel:BYTE_3 src1_sel:DWORD
	s_mov_b64 s[4:5], -1
                                        ; implicit-def: $sgpr10
	s_and_saveexec_b64 s[8:9], s[12:13]
; %bb.21982:
	s_mov_b32 s10, 0x7f800001
	s_xor_b64 s[4:5], exec, -1
; %bb.21983:
	s_or_b64 exec, exec, s[8:9]
	s_and_b64 s[4:5], s[4:5], exec
	s_or_saveexec_b64 s[6:7], s[6:7]
	v_mov_b32_e32 v3, s10
	s_xor_b64 exec, exec, s[6:7]
	s_cbranch_execnz .LBB2_21984
; %bb.57821:
	s_getpc_b64 s[14:15]
.Lpost_getpc32494:
	s_add_u32 s14, s14, (.LBB2_7646-.Lpost_getpc32494)&4294967295
	s_addc_u32 s15, s15, (.LBB2_7646-.Lpost_getpc32494)>>32
	s_setpc_b64 s[14:15]
.LBB2_21984:
	v_mov_b32_e32 v3, 0
	v_cmp_ne_u16_sdwa s[8:9], v4, v3 src0_sel:BYTE_3 src1_sel:DWORD
	s_andn2_b64 s[4:5], s[4:5], exec
	s_and_b64 s[8:9], s[8:9], exec
	s_or_b64 s[4:5], s[4:5], s[8:9]
	s_or_b64 exec, exec, s[6:7]
	s_and_saveexec_b64 s[6:7], s[4:5]
	s_cbranch_execz .LBB2_32495
; %bb.57823:
	s_getpc_b64 s[14:15]
.Lpost_getpc32495:
	s_add_u32 s14, s14, (.LBB2_7647-.Lpost_getpc32495)&4294967295
	s_addc_u32 s15, s15, (.LBB2_7647-.Lpost_getpc32495)>>32
	s_setpc_b64 s[14:15]
.LBB2_32495:
	s_getpc_b64 s[14:15]
.Lpost_getpc19831:
	s_add_u32 s14, s14, (.LBB2_7648-.Lpost_getpc19831)&4294967295
	s_addc_u32 s15, s15, (.LBB2_7648-.Lpost_getpc19831)>>32
	s_setpc_b64 s[14:15]
.LBB2_21985:
	s_movk_i32 s4, 0x80
	v_cmp_eq_u16_sdwa s[12:13], v9, s4 src0_sel:BYTE_0 src1_sel:DWORD
	s_mov_b64 s[4:5], -1
                                        ; implicit-def: $sgpr10
	s_and_saveexec_b64 s[8:9], s[12:13]
; %bb.21986:
	s_mov_b32 s10, 0x7f800001
	s_xor_b64 s[4:5], exec, -1
; %bb.21987:
	s_or_b64 exec, exec, s[8:9]
	s_and_b64 s[4:5], s[4:5], exec
	s_or_saveexec_b64 s[6:7], s[6:7]
	v_mov_b32_e32 v2, s10
	s_xor_b64 exec, exec, s[6:7]
	s_cbranch_execnz .LBB2_21988
; %bb.57825:
	s_getpc_b64 s[14:15]
.Lpost_getpc32496:
	s_add_u32 s14, s14, (.LBB2_7650-.Lpost_getpc32496)&4294967295
	s_addc_u32 s15, s15, (.LBB2_7650-.Lpost_getpc32496)>>32
	s_setpc_b64 s[14:15]
.LBB2_21988:
	v_mov_b32_e32 v2, 0
	v_cmp_ne_u16_sdwa s[8:9], v9, v2 src0_sel:BYTE_0 src1_sel:DWORD
	s_andn2_b64 s[4:5], s[4:5], exec
	s_and_b64 s[8:9], s[8:9], exec
	s_or_b64 s[4:5], s[4:5], s[8:9]
	s_or_b64 exec, exec, s[6:7]
	s_and_saveexec_b64 s[6:7], s[4:5]
	s_cbranch_execz .LBB2_32497
; %bb.57827:
	s_getpc_b64 s[14:15]
.Lpost_getpc32497:
	s_add_u32 s14, s14, (.LBB2_7651-.Lpost_getpc32497)&4294967295
	s_addc_u32 s15, s15, (.LBB2_7651-.Lpost_getpc32497)>>32
	s_setpc_b64 s[14:15]
.LBB2_32497:
	s_getpc_b64 s[14:15]
.Lpost_getpc19832:
	s_add_u32 s14, s14, (.LBB2_7652-.Lpost_getpc19832)&4294967295
	s_addc_u32 s15, s15, (.LBB2_7652-.Lpost_getpc19832)>>32
	s_setpc_b64 s[14:15]
.LBB2_21989:
	s_movk_i32 s4, 0x80
	v_cmp_eq_u16_sdwa s[12:13], v5, s4 src0_sel:BYTE_0 src1_sel:DWORD
	s_mov_b64 s[4:5], -1
                                        ; implicit-def: $sgpr10
	s_and_saveexec_b64 s[8:9], s[12:13]
; %bb.21990:
	s_mov_b32 s10, 0x7f800001
	s_xor_b64 s[4:5], exec, -1
; %bb.21991:
	s_or_b64 exec, exec, s[8:9]
	s_and_b64 s[4:5], s[4:5], exec
	s_or_saveexec_b64 s[6:7], s[6:7]
	v_mov_b32_e32 v3, s10
	s_xor_b64 exec, exec, s[6:7]
	s_cbranch_execnz .LBB2_21992
; %bb.57829:
	s_getpc_b64 s[14:15]
.Lpost_getpc32498:
	s_add_u32 s14, s14, (.LBB2_7654-.Lpost_getpc32498)&4294967295
	s_addc_u32 s15, s15, (.LBB2_7654-.Lpost_getpc32498)>>32
	s_setpc_b64 s[14:15]
.LBB2_21992:
	v_mov_b32_e32 v3, 0
	v_cmp_ne_u16_sdwa s[8:9], v5, v3 src0_sel:BYTE_0 src1_sel:DWORD
	s_andn2_b64 s[4:5], s[4:5], exec
	s_and_b64 s[8:9], s[8:9], exec
	s_or_b64 s[4:5], s[4:5], s[8:9]
	s_or_b64 exec, exec, s[6:7]
	s_and_saveexec_b64 s[6:7], s[4:5]
	s_cbranch_execz .LBB2_32499
; %bb.57831:
	s_getpc_b64 s[14:15]
.Lpost_getpc32499:
	s_add_u32 s14, s14, (.LBB2_7655-.Lpost_getpc32499)&4294967295
	s_addc_u32 s15, s15, (.LBB2_7655-.Lpost_getpc32499)>>32
	s_setpc_b64 s[14:15]
.LBB2_32499:
	s_getpc_b64 s[14:15]
.Lpost_getpc19833:
	s_add_u32 s14, s14, (.LBB2_7656-.Lpost_getpc19833)&4294967295
	s_addc_u32 s15, s15, (.LBB2_7656-.Lpost_getpc19833)>>32
	s_setpc_b64 s[14:15]
.LBB2_21993:
	s_movk_i32 s4, 0x80
	v_cmp_eq_u16_sdwa s[12:13], v3, s4 src0_sel:BYTE_0 src1_sel:DWORD
	s_mov_b64 s[4:5], -1
                                        ; implicit-def: $sgpr10
	s_and_saveexec_b64 s[8:9], s[12:13]
; %bb.21994:
	s_mov_b32 s10, 0x7f800001
	s_xor_b64 s[4:5], exec, -1
; %bb.21995:
	s_or_b64 exec, exec, s[8:9]
	s_and_b64 s[4:5], s[4:5], exec
	s_or_saveexec_b64 s[6:7], s[6:7]
	v_mov_b32_e32 v2, s10
	s_xor_b64 exec, exec, s[6:7]
	s_cbranch_execnz .LBB2_21996
; %bb.57833:
	s_getpc_b64 s[14:15]
.Lpost_getpc32500:
	s_add_u32 s14, s14, (.LBB2_7658-.Lpost_getpc32500)&4294967295
	s_addc_u32 s15, s15, (.LBB2_7658-.Lpost_getpc32500)>>32
	s_setpc_b64 s[14:15]
.LBB2_21996:
	v_mov_b32_e32 v2, 0
	v_cmp_ne_u16_sdwa s[8:9], v3, v2 src0_sel:BYTE_0 src1_sel:DWORD
	s_andn2_b64 s[4:5], s[4:5], exec
	s_and_b64 s[8:9], s[8:9], exec
	s_or_b64 s[4:5], s[4:5], s[8:9]
	s_or_b64 exec, exec, s[6:7]
	s_and_saveexec_b64 s[6:7], s[4:5]
	s_cbranch_execz .LBB2_32501
; %bb.57835:
	s_getpc_b64 s[14:15]
.Lpost_getpc32501:
	s_add_u32 s14, s14, (.LBB2_7659-.Lpost_getpc32501)&4294967295
	s_addc_u32 s15, s15, (.LBB2_7659-.Lpost_getpc32501)>>32
	s_setpc_b64 s[14:15]
.LBB2_32501:
	s_getpc_b64 s[14:15]
.Lpost_getpc19834:
	s_add_u32 s14, s14, (.LBB2_7660-.Lpost_getpc19834)&4294967295
	s_addc_u32 s15, s15, (.LBB2_7660-.Lpost_getpc19834)>>32
	s_setpc_b64 s[14:15]
.LBB2_21997:
	s_movk_i32 s4, 0x80
	v_cmp_eq_u16_sdwa s[12:13], v3, s4 src0_sel:BYTE_0 src1_sel:DWORD
	s_mov_b64 s[4:5], -1
                                        ; implicit-def: $sgpr10
	s_and_saveexec_b64 s[8:9], s[12:13]
; %bb.21998:
	s_mov_b32 s10, 0x7f800001
	s_xor_b64 s[4:5], exec, -1
; %bb.21999:
	s_or_b64 exec, exec, s[8:9]
	s_and_b64 s[4:5], s[4:5], exec
	s_or_saveexec_b64 s[6:7], s[6:7]
	v_mov_b32_e32 v4, s10
	s_xor_b64 exec, exec, s[6:7]
	s_cbranch_execnz .LBB2_22000
; %bb.57837:
	s_getpc_b64 s[14:15]
.Lpost_getpc32502:
	s_add_u32 s14, s14, (.LBB2_7662-.Lpost_getpc32502)&4294967295
	s_addc_u32 s15, s15, (.LBB2_7662-.Lpost_getpc32502)>>32
	s_setpc_b64 s[14:15]
.LBB2_22000:
	v_mov_b32_e32 v4, 0
	v_cmp_ne_u16_sdwa s[8:9], v3, v4 src0_sel:BYTE_0 src1_sel:DWORD
	s_andn2_b64 s[4:5], s[4:5], exec
	s_and_b64 s[8:9], s[8:9], exec
	s_or_b64 s[4:5], s[4:5], s[8:9]
	s_or_b64 exec, exec, s[6:7]
	s_and_saveexec_b64 s[6:7], s[4:5]
	s_cbranch_execz .LBB2_32503
; %bb.57839:
	s_getpc_b64 s[14:15]
.Lpost_getpc32503:
	s_add_u32 s14, s14, (.LBB2_7663-.Lpost_getpc32503)&4294967295
	s_addc_u32 s15, s15, (.LBB2_7663-.Lpost_getpc32503)>>32
	s_setpc_b64 s[14:15]
.LBB2_32503:
	s_getpc_b64 s[14:15]
.Lpost_getpc19835:
	s_add_u32 s14, s14, (.LBB2_7664-.Lpost_getpc19835)&4294967295
	s_addc_u32 s15, s15, (.LBB2_7664-.Lpost_getpc19835)>>32
	s_setpc_b64 s[14:15]
.LBB2_22001:
	s_movk_i32 s4, 0x80
	v_cmp_eq_u16_e32 vcc, s4, v3
	s_mov_b64 s[4:5], -1
                                        ; implicit-def: $sgpr10
	s_and_saveexec_b64 s[8:9], vcc
; %bb.22002:
	s_mov_b32 s10, 0x7f800001
	s_xor_b64 s[4:5], exec, -1
; %bb.22003:
	s_or_b64 exec, exec, s[8:9]
	s_and_b64 s[4:5], s[4:5], exec
                                        ; implicit-def: $vgpr3
	s_or_saveexec_b64 s[6:7], s[6:7]
	v_mov_b32_e32 v2, s10
	s_xor_b64 exec, exec, s[6:7]
	s_cbranch_execnz .LBB2_22004
; %bb.57841:
	s_getpc_b64 s[14:15]
.Lpost_getpc32504:
	s_add_u32 s14, s14, (.LBB2_7666-.Lpost_getpc32504)&4294967295
	s_addc_u32 s15, s15, (.LBB2_7666-.Lpost_getpc32504)>>32
	s_setpc_b64 s[14:15]
.LBB2_22004:
	v_cmp_ne_u16_e32 vcc, 0, v3
	s_andn2_b64 s[4:5], s[4:5], exec
	s_and_b64 s[8:9], vcc, exec
	v_mov_b32_e32 v2, 0
	s_or_b64 s[4:5], s[4:5], s[8:9]
	s_or_b64 exec, exec, s[6:7]
	s_and_saveexec_b64 s[6:7], s[4:5]
	s_cbranch_execz .LBB2_32505
; %bb.57843:
	s_getpc_b64 s[14:15]
.Lpost_getpc32505:
	s_add_u32 s14, s14, (.LBB2_7667-.Lpost_getpc32505)&4294967295
	s_addc_u32 s15, s15, (.LBB2_7667-.Lpost_getpc32505)>>32
	s_setpc_b64 s[14:15]
.LBB2_32505:
	s_getpc_b64 s[14:15]
.Lpost_getpc19836:
	s_add_u32 s14, s14, (.LBB2_7668-.Lpost_getpc19836)&4294967295
	s_addc_u32 s15, s15, (.LBB2_7668-.Lpost_getpc19836)>>32
	s_setpc_b64 s[14:15]
.LBB2_22005:
	s_movk_i32 s4, 0x80
	v_cmp_eq_u16_e32 vcc, s4, v3
	s_mov_b64 s[4:5], -1
                                        ; implicit-def: $sgpr10
	s_and_saveexec_b64 s[8:9], vcc
; %bb.22006:
	s_mov_b32 s10, 0x7f800001
	s_xor_b64 s[4:5], exec, -1
; %bb.22007:
	s_or_b64 exec, exec, s[8:9]
	s_and_b64 s[4:5], s[4:5], exec
                                        ; implicit-def: $vgpr3
	s_or_saveexec_b64 s[6:7], s[6:7]
	v_mov_b32_e32 v4, s10
	s_xor_b64 exec, exec, s[6:7]
	s_cbranch_execnz .LBB2_22008
; %bb.57845:
	s_getpc_b64 s[14:15]
.Lpost_getpc32506:
	s_add_u32 s14, s14, (.LBB2_7670-.Lpost_getpc32506)&4294967295
	s_addc_u32 s15, s15, (.LBB2_7670-.Lpost_getpc32506)>>32
	s_setpc_b64 s[14:15]
.LBB2_22008:
	v_cmp_ne_u16_e32 vcc, 0, v3
	s_andn2_b64 s[4:5], s[4:5], exec
	s_and_b64 s[8:9], vcc, exec
	v_mov_b32_e32 v4, 0
	s_or_b64 s[4:5], s[4:5], s[8:9]
	s_or_b64 exec, exec, s[6:7]
	s_and_saveexec_b64 s[6:7], s[4:5]
	s_cbranch_execz .LBB2_32507
; %bb.57847:
	s_getpc_b64 s[14:15]
.Lpost_getpc32507:
	s_add_u32 s14, s14, (.LBB2_7671-.Lpost_getpc32507)&4294967295
	s_addc_u32 s15, s15, (.LBB2_7671-.Lpost_getpc32507)>>32
	s_setpc_b64 s[14:15]
.LBB2_32507:
	s_getpc_b64 s[14:15]
.Lpost_getpc19837:
	s_add_u32 s14, s14, (.LBB2_7672-.Lpost_getpc19837)&4294967295
	s_addc_u32 s15, s15, (.LBB2_7672-.Lpost_getpc19837)>>32
	s_setpc_b64 s[14:15]
.LBB2_22009:
	s_movk_i32 s4, 0x80
	v_cmp_eq_u16_sdwa s[12:13], v9, s4 src0_sel:BYTE_3 src1_sel:DWORD
	s_mov_b64 s[4:5], -1
                                        ; implicit-def: $sgpr10
	s_and_saveexec_b64 s[8:9], s[12:13]
; %bb.22010:
	s_mov_b32 s10, 0x7f800001
	s_xor_b64 s[4:5], exec, -1
; %bb.22011:
	s_or_b64 exec, exec, s[8:9]
	s_and_b64 s[4:5], s[4:5], exec
	s_or_saveexec_b64 s[6:7], s[6:7]
	v_mov_b32_e32 v2, s10
	s_xor_b64 exec, exec, s[6:7]
	s_cbranch_execnz .LBB2_22012
; %bb.57849:
	s_getpc_b64 s[14:15]
.Lpost_getpc32508:
	s_add_u32 s14, s14, (.LBB2_7674-.Lpost_getpc32508)&4294967295
	s_addc_u32 s15, s15, (.LBB2_7674-.Lpost_getpc32508)>>32
	s_setpc_b64 s[14:15]
.LBB2_22012:
	v_mov_b32_e32 v2, 0
	v_cmp_ne_u16_sdwa s[8:9], v9, v2 src0_sel:BYTE_3 src1_sel:DWORD
	s_andn2_b64 s[4:5], s[4:5], exec
	s_and_b64 s[8:9], s[8:9], exec
	s_or_b64 s[4:5], s[4:5], s[8:9]
	s_or_b64 exec, exec, s[6:7]
	s_and_saveexec_b64 s[6:7], s[4:5]
	s_cbranch_execz .LBB2_32509
; %bb.57851:
	s_getpc_b64 s[14:15]
.Lpost_getpc32509:
	s_add_u32 s14, s14, (.LBB2_7675-.Lpost_getpc32509)&4294967295
	s_addc_u32 s15, s15, (.LBB2_7675-.Lpost_getpc32509)>>32
	s_setpc_b64 s[14:15]
.LBB2_32509:
	s_getpc_b64 s[14:15]
.Lpost_getpc19838:
	s_add_u32 s14, s14, (.LBB2_7676-.Lpost_getpc19838)&4294967295
	s_addc_u32 s15, s15, (.LBB2_7676-.Lpost_getpc19838)>>32
	s_setpc_b64 s[14:15]
.LBB2_22013:
	s_movk_i32 s4, 0x80
	v_cmp_eq_u16_sdwa s[12:13], v5, s4 src0_sel:BYTE_3 src1_sel:DWORD
	s_mov_b64 s[4:5], -1
                                        ; implicit-def: $sgpr10
	s_and_saveexec_b64 s[8:9], s[12:13]
; %bb.22014:
	s_mov_b32 s10, 0x7f800001
	s_xor_b64 s[4:5], exec, -1
; %bb.22015:
	s_or_b64 exec, exec, s[8:9]
	s_and_b64 s[4:5], s[4:5], exec
	s_or_saveexec_b64 s[6:7], s[6:7]
	v_mov_b32_e32 v3, s10
	s_xor_b64 exec, exec, s[6:7]
	s_cbranch_execnz .LBB2_22016
; %bb.57853:
	s_getpc_b64 s[14:15]
.Lpost_getpc32510:
	s_add_u32 s14, s14, (.LBB2_7678-.Lpost_getpc32510)&4294967295
	s_addc_u32 s15, s15, (.LBB2_7678-.Lpost_getpc32510)>>32
	s_setpc_b64 s[14:15]
.LBB2_22016:
	v_mov_b32_e32 v3, 0
	v_cmp_ne_u16_sdwa s[8:9], v5, v3 src0_sel:BYTE_3 src1_sel:DWORD
	s_andn2_b64 s[4:5], s[4:5], exec
	s_and_b64 s[8:9], s[8:9], exec
	s_or_b64 s[4:5], s[4:5], s[8:9]
	s_or_b64 exec, exec, s[6:7]
	s_and_saveexec_b64 s[6:7], s[4:5]
	s_cbranch_execz .LBB2_32511
; %bb.57855:
	s_getpc_b64 s[14:15]
.Lpost_getpc32511:
	s_add_u32 s14, s14, (.LBB2_7679-.Lpost_getpc32511)&4294967295
	s_addc_u32 s15, s15, (.LBB2_7679-.Lpost_getpc32511)>>32
	s_setpc_b64 s[14:15]
.LBB2_32511:
	s_getpc_b64 s[14:15]
.Lpost_getpc19839:
	s_add_u32 s14, s14, (.LBB2_7680-.Lpost_getpc19839)&4294967295
	s_addc_u32 s15, s15, (.LBB2_7680-.Lpost_getpc19839)>>32
	s_setpc_b64 s[14:15]
.LBB2_22017:
	s_movk_i32 s4, 0x80
	v_cmp_eq_u16_sdwa s[12:13], v6, s4 src0_sel:BYTE_0 src1_sel:DWORD
	s_mov_b64 s[4:5], -1
                                        ; implicit-def: $sgpr10
	s_and_saveexec_b64 s[8:9], s[12:13]
; %bb.22018:
	s_mov_b32 s10, 0x7f800001
	s_xor_b64 s[4:5], exec, -1
; %bb.22019:
	s_or_b64 exec, exec, s[8:9]
	s_and_b64 s[4:5], s[4:5], exec
	s_or_saveexec_b64 s[6:7], s[6:7]
	v_mov_b32_e32 v12, s10
	s_xor_b64 exec, exec, s[6:7]
	s_cbranch_execnz .LBB2_22020
; %bb.57857:
	s_getpc_b64 s[14:15]
.Lpost_getpc32512:
	s_add_u32 s14, s14, (.LBB2_7682-.Lpost_getpc32512)&4294967295
	s_addc_u32 s15, s15, (.LBB2_7682-.Lpost_getpc32512)>>32
	s_setpc_b64 s[14:15]
.LBB2_22020:
	v_mov_b32_e32 v12, 0
	v_cmp_ne_u16_sdwa s[8:9], v6, v12 src0_sel:BYTE_0 src1_sel:DWORD
	s_andn2_b64 s[4:5], s[4:5], exec
	s_and_b64 s[8:9], s[8:9], exec
	s_or_b64 s[4:5], s[4:5], s[8:9]
	s_or_b64 exec, exec, s[6:7]
	s_and_saveexec_b64 s[6:7], s[4:5]
	s_cbranch_execz .LBB2_32513
; %bb.57859:
	s_getpc_b64 s[14:15]
.Lpost_getpc32513:
	s_add_u32 s14, s14, (.LBB2_7683-.Lpost_getpc32513)&4294967295
	s_addc_u32 s15, s15, (.LBB2_7683-.Lpost_getpc32513)>>32
	s_setpc_b64 s[14:15]
.LBB2_32513:
	s_getpc_b64 s[14:15]
.Lpost_getpc19840:
	s_add_u32 s14, s14, (.LBB2_7684-.Lpost_getpc19840)&4294967295
	s_addc_u32 s15, s15, (.LBB2_7684-.Lpost_getpc19840)>>32
	s_setpc_b64 s[14:15]
.LBB2_22021:
	s_movk_i32 s4, 0x80
	v_cmp_eq_u16_sdwa s[12:13], v2, s4 src0_sel:BYTE_0 src1_sel:DWORD
	s_mov_b64 s[4:5], -1
                                        ; implicit-def: $sgpr10
	s_and_saveexec_b64 s[8:9], s[12:13]
; %bb.22022:
	s_mov_b32 s10, 0x7f800001
	s_xor_b64 s[4:5], exec, -1
; %bb.22023:
	s_or_b64 exec, exec, s[8:9]
	s_and_b64 s[4:5], s[4:5], exec
	s_or_saveexec_b64 s[6:7], s[6:7]
	v_mov_b32_e32 v13, s10
	s_xor_b64 exec, exec, s[6:7]
	s_cbranch_execnz .LBB2_22024
; %bb.57861:
	s_getpc_b64 s[14:15]
.Lpost_getpc32514:
	s_add_u32 s14, s14, (.LBB2_7686-.Lpost_getpc32514)&4294967295
	s_addc_u32 s15, s15, (.LBB2_7686-.Lpost_getpc32514)>>32
	s_setpc_b64 s[14:15]
.LBB2_22024:
	v_mov_b32_e32 v13, 0
	v_cmp_ne_u16_sdwa s[8:9], v2, v13 src0_sel:BYTE_0 src1_sel:DWORD
	s_andn2_b64 s[4:5], s[4:5], exec
	s_and_b64 s[8:9], s[8:9], exec
	s_or_b64 s[4:5], s[4:5], s[8:9]
	s_or_b64 exec, exec, s[6:7]
	s_and_saveexec_b64 s[6:7], s[4:5]
	s_cbranch_execz .LBB2_32515
; %bb.57863:
	s_getpc_b64 s[14:15]
.Lpost_getpc32515:
	s_add_u32 s14, s14, (.LBB2_7687-.Lpost_getpc32515)&4294967295
	s_addc_u32 s15, s15, (.LBB2_7687-.Lpost_getpc32515)>>32
	s_setpc_b64 s[14:15]
.LBB2_32515:
	s_getpc_b64 s[14:15]
.Lpost_getpc19841:
	s_add_u32 s14, s14, (.LBB2_7688-.Lpost_getpc19841)&4294967295
	s_addc_u32 s15, s15, (.LBB2_7688-.Lpost_getpc19841)>>32
	s_setpc_b64 s[14:15]
.LBB2_22025:
	s_movk_i32 s4, 0x80
	v_cmp_eq_u16_sdwa s[12:13], v13, s4 src0_sel:BYTE_0 src1_sel:DWORD
	s_mov_b64 s[4:5], -1
                                        ; implicit-def: $sgpr10
	s_and_saveexec_b64 s[8:9], s[12:13]
; %bb.22026:
	s_mov_b32 s10, 0x7f800001
	s_xor_b64 s[4:5], exec, -1
; %bb.22027:
	s_or_b64 exec, exec, s[8:9]
	s_and_b64 s[4:5], s[4:5], exec
	s_or_saveexec_b64 s[6:7], s[6:7]
	v_mov_b32_e32 v12, s10
	s_xor_b64 exec, exec, s[6:7]
	s_cbranch_execnz .LBB2_22028
; %bb.57865:
	s_getpc_b64 s[14:15]
.Lpost_getpc32516:
	s_add_u32 s14, s14, (.LBB2_7690-.Lpost_getpc32516)&4294967295
	s_addc_u32 s15, s15, (.LBB2_7690-.Lpost_getpc32516)>>32
	s_setpc_b64 s[14:15]
.LBB2_22028:
	v_mov_b32_e32 v12, 0
	v_cmp_ne_u16_sdwa s[8:9], v13, v12 src0_sel:BYTE_0 src1_sel:DWORD
	s_andn2_b64 s[4:5], s[4:5], exec
	s_and_b64 s[8:9], s[8:9], exec
	s_or_b64 s[4:5], s[4:5], s[8:9]
	s_or_b64 exec, exec, s[6:7]
	s_and_saveexec_b64 s[6:7], s[4:5]
	s_cbranch_execz .LBB2_32517
; %bb.57867:
	s_getpc_b64 s[14:15]
.Lpost_getpc32517:
	s_add_u32 s14, s14, (.LBB2_7691-.Lpost_getpc32517)&4294967295
	s_addc_u32 s15, s15, (.LBB2_7691-.Lpost_getpc32517)>>32
	s_setpc_b64 s[14:15]
.LBB2_32517:
	s_getpc_b64 s[14:15]
.Lpost_getpc19842:
	s_add_u32 s14, s14, (.LBB2_7692-.Lpost_getpc19842)&4294967295
	s_addc_u32 s15, s15, (.LBB2_7692-.Lpost_getpc19842)>>32
	s_setpc_b64 s[14:15]
.LBB2_22029:
	s_movk_i32 s4, 0x80
	v_cmp_eq_u16_sdwa s[12:13], v13, s4 src0_sel:BYTE_0 src1_sel:DWORD
	s_mov_b64 s[4:5], -1
                                        ; implicit-def: $sgpr10
	s_and_saveexec_b64 s[8:9], s[12:13]
; %bb.22030:
	s_mov_b32 s10, 0x7f800001
	s_xor_b64 s[4:5], exec, -1
; %bb.22031:
	s_or_b64 exec, exec, s[8:9]
	s_and_b64 s[4:5], s[4:5], exec
	s_or_saveexec_b64 s[6:7], s[6:7]
	v_mov_b32_e32 v14, s10
	s_xor_b64 exec, exec, s[6:7]
	s_cbranch_execnz .LBB2_22032
; %bb.57869:
	s_getpc_b64 s[14:15]
.Lpost_getpc32518:
	s_add_u32 s14, s14, (.LBB2_7694-.Lpost_getpc32518)&4294967295
	s_addc_u32 s15, s15, (.LBB2_7694-.Lpost_getpc32518)>>32
	s_setpc_b64 s[14:15]
.LBB2_22032:
	v_mov_b32_e32 v14, 0
	v_cmp_ne_u16_sdwa s[8:9], v13, v14 src0_sel:BYTE_0 src1_sel:DWORD
	s_andn2_b64 s[4:5], s[4:5], exec
	s_and_b64 s[8:9], s[8:9], exec
	s_or_b64 s[4:5], s[4:5], s[8:9]
	s_or_b64 exec, exec, s[6:7]
	s_and_saveexec_b64 s[6:7], s[4:5]
	s_cbranch_execz .LBB2_32519
; %bb.57871:
	s_getpc_b64 s[14:15]
.Lpost_getpc32519:
	s_add_u32 s14, s14, (.LBB2_7695-.Lpost_getpc32519)&4294967295
	s_addc_u32 s15, s15, (.LBB2_7695-.Lpost_getpc32519)>>32
	s_setpc_b64 s[14:15]
.LBB2_32519:
	s_getpc_b64 s[14:15]
.Lpost_getpc19843:
	s_add_u32 s14, s14, (.LBB2_7696-.Lpost_getpc19843)&4294967295
	s_addc_u32 s15, s15, (.LBB2_7696-.Lpost_getpc19843)>>32
	s_setpc_b64 s[14:15]
.LBB2_22033:
	s_movk_i32 s4, 0x80
	v_cmp_eq_u16_e32 vcc, s4, v13
	s_mov_b64 s[4:5], -1
                                        ; implicit-def: $sgpr10
	s_and_saveexec_b64 s[8:9], vcc
; %bb.22034:
	s_mov_b32 s10, 0x7f800001
	s_xor_b64 s[4:5], exec, -1
; %bb.22035:
	s_or_b64 exec, exec, s[8:9]
	s_and_b64 s[4:5], s[4:5], exec
                                        ; implicit-def: $vgpr13
	s_or_saveexec_b64 s[6:7], s[6:7]
	v_mov_b32_e32 v12, s10
	s_xor_b64 exec, exec, s[6:7]
	s_cbranch_execnz .LBB2_22036
; %bb.57873:
	s_getpc_b64 s[14:15]
.Lpost_getpc32520:
	s_add_u32 s14, s14, (.LBB2_7698-.Lpost_getpc32520)&4294967295
	s_addc_u32 s15, s15, (.LBB2_7698-.Lpost_getpc32520)>>32
	s_setpc_b64 s[14:15]
.LBB2_22036:
	v_cmp_ne_u16_e32 vcc, 0, v13
	s_andn2_b64 s[4:5], s[4:5], exec
	s_and_b64 s[8:9], vcc, exec
	v_mov_b32_e32 v12, 0
	s_or_b64 s[4:5], s[4:5], s[8:9]
	s_or_b64 exec, exec, s[6:7]
	s_and_saveexec_b64 s[6:7], s[4:5]
	s_cbranch_execz .LBB2_32521
; %bb.57875:
	s_getpc_b64 s[14:15]
.Lpost_getpc32521:
	s_add_u32 s14, s14, (.LBB2_7699-.Lpost_getpc32521)&4294967295
	s_addc_u32 s15, s15, (.LBB2_7699-.Lpost_getpc32521)>>32
	s_setpc_b64 s[14:15]
.LBB2_32521:
	s_getpc_b64 s[14:15]
.Lpost_getpc19844:
	s_add_u32 s14, s14, (.LBB2_7700-.Lpost_getpc19844)&4294967295
	s_addc_u32 s15, s15, (.LBB2_7700-.Lpost_getpc19844)>>32
	s_setpc_b64 s[14:15]
.LBB2_22037:
	s_movk_i32 s4, 0x80
	v_cmp_eq_u16_e32 vcc, s4, v13
	s_mov_b64 s[4:5], -1
                                        ; implicit-def: $sgpr10
	s_and_saveexec_b64 s[8:9], vcc
; %bb.22038:
	s_mov_b32 s10, 0x7f800001
	s_xor_b64 s[4:5], exec, -1
; %bb.22039:
	s_or_b64 exec, exec, s[8:9]
	s_and_b64 s[4:5], s[4:5], exec
                                        ; implicit-def: $vgpr13
	s_or_saveexec_b64 s[6:7], s[6:7]
	v_mov_b32_e32 v14, s10
	s_xor_b64 exec, exec, s[6:7]
	s_cbranch_execnz .LBB2_22040
; %bb.57877:
	s_getpc_b64 s[14:15]
.Lpost_getpc32522:
	s_add_u32 s14, s14, (.LBB2_7702-.Lpost_getpc32522)&4294967295
	s_addc_u32 s15, s15, (.LBB2_7702-.Lpost_getpc32522)>>32
	s_setpc_b64 s[14:15]
.LBB2_22040:
	v_cmp_ne_u16_e32 vcc, 0, v13
	s_andn2_b64 s[4:5], s[4:5], exec
	s_and_b64 s[8:9], vcc, exec
	v_mov_b32_e32 v14, 0
	s_or_b64 s[4:5], s[4:5], s[8:9]
	s_or_b64 exec, exec, s[6:7]
	s_and_saveexec_b64 s[6:7], s[4:5]
	s_cbranch_execz .LBB2_32523
; %bb.57879:
	s_getpc_b64 s[14:15]
.Lpost_getpc32523:
	s_add_u32 s14, s14, (.LBB2_7703-.Lpost_getpc32523)&4294967295
	s_addc_u32 s15, s15, (.LBB2_7703-.Lpost_getpc32523)>>32
	s_setpc_b64 s[14:15]
.LBB2_32523:
	s_getpc_b64 s[14:15]
.Lpost_getpc19845:
	s_add_u32 s14, s14, (.LBB2_7704-.Lpost_getpc19845)&4294967295
	s_addc_u32 s15, s15, (.LBB2_7704-.Lpost_getpc19845)>>32
	s_setpc_b64 s[14:15]
.LBB2_22041:
	s_movk_i32 s4, 0x80
	v_cmp_eq_u16_sdwa s[12:13], v6, s4 src0_sel:BYTE_3 src1_sel:DWORD
	s_mov_b64 s[4:5], -1
                                        ; implicit-def: $sgpr10
	s_and_saveexec_b64 s[8:9], s[12:13]
; %bb.22042:
	s_mov_b32 s10, 0x7f800001
	s_xor_b64 s[4:5], exec, -1
; %bb.22043:
	s_or_b64 exec, exec, s[8:9]
	s_and_b64 s[4:5], s[4:5], exec
	s_or_saveexec_b64 s[6:7], s[6:7]
	v_mov_b32_e32 v12, s10
	s_xor_b64 exec, exec, s[6:7]
	s_cbranch_execnz .LBB2_22044
; %bb.57881:
	s_getpc_b64 s[14:15]
.Lpost_getpc32524:
	s_add_u32 s14, s14, (.LBB2_7706-.Lpost_getpc32524)&4294967295
	s_addc_u32 s15, s15, (.LBB2_7706-.Lpost_getpc32524)>>32
	s_setpc_b64 s[14:15]
.LBB2_22044:
	v_mov_b32_e32 v12, 0
	v_cmp_ne_u16_sdwa s[8:9], v6, v12 src0_sel:BYTE_3 src1_sel:DWORD
	s_andn2_b64 s[4:5], s[4:5], exec
	s_and_b64 s[8:9], s[8:9], exec
	s_or_b64 s[4:5], s[4:5], s[8:9]
	s_or_b64 exec, exec, s[6:7]
	s_and_saveexec_b64 s[6:7], s[4:5]
	s_cbranch_execz .LBB2_32525
; %bb.57883:
	s_getpc_b64 s[14:15]
.Lpost_getpc32525:
	s_add_u32 s14, s14, (.LBB2_7707-.Lpost_getpc32525)&4294967295
	s_addc_u32 s15, s15, (.LBB2_7707-.Lpost_getpc32525)>>32
	s_setpc_b64 s[14:15]
.LBB2_32525:
	s_getpc_b64 s[14:15]
.Lpost_getpc19846:
	s_add_u32 s14, s14, (.LBB2_7708-.Lpost_getpc19846)&4294967295
	s_addc_u32 s15, s15, (.LBB2_7708-.Lpost_getpc19846)>>32
	s_setpc_b64 s[14:15]
.LBB2_22045:
	s_movk_i32 s4, 0x80
	v_cmp_eq_u16_sdwa s[12:13], v2, s4 src0_sel:BYTE_3 src1_sel:DWORD
	s_mov_b64 s[4:5], -1
                                        ; implicit-def: $sgpr10
	s_and_saveexec_b64 s[8:9], s[12:13]
; %bb.22046:
	s_mov_b32 s10, 0x7f800001
	s_xor_b64 s[4:5], exec, -1
; %bb.22047:
	s_or_b64 exec, exec, s[8:9]
	s_and_b64 s[4:5], s[4:5], exec
	s_or_saveexec_b64 s[6:7], s[6:7]
	v_mov_b32_e32 v6, s10
	s_xor_b64 exec, exec, s[6:7]
	s_cbranch_execnz .LBB2_22048
; %bb.57885:
	s_getpc_b64 s[14:15]
.Lpost_getpc32526:
	s_add_u32 s14, s14, (.LBB2_7710-.Lpost_getpc32526)&4294967295
	s_addc_u32 s15, s15, (.LBB2_7710-.Lpost_getpc32526)>>32
	s_setpc_b64 s[14:15]
.LBB2_22048:
	v_mov_b32_e32 v6, 0
	v_cmp_ne_u16_sdwa s[8:9], v2, v6 src0_sel:BYTE_3 src1_sel:DWORD
	s_andn2_b64 s[4:5], s[4:5], exec
	s_and_b64 s[8:9], s[8:9], exec
	s_or_b64 s[4:5], s[4:5], s[8:9]
	s_or_b64 exec, exec, s[6:7]
	s_and_saveexec_b64 s[6:7], s[4:5]
	s_cbranch_execz .LBB2_32527
; %bb.57887:
	s_getpc_b64 s[14:15]
.Lpost_getpc32527:
	s_add_u32 s14, s14, (.LBB2_7711-.Lpost_getpc32527)&4294967295
	s_addc_u32 s15, s15, (.LBB2_7711-.Lpost_getpc32527)>>32
	s_setpc_b64 s[14:15]
.LBB2_32527:
	s_getpc_b64 s[14:15]
.Lpost_getpc19847:
	s_add_u32 s14, s14, (.LBB2_7712-.Lpost_getpc19847)&4294967295
	s_addc_u32 s15, s15, (.LBB2_7712-.Lpost_getpc19847)>>32
	s_setpc_b64 s[14:15]
.LBB2_22049:
	s_movk_i32 s4, 0x80
	v_cmp_eq_u16_sdwa s[12:13], v7, s4 src0_sel:BYTE_0 src1_sel:DWORD
	s_mov_b64 s[4:5], -1
                                        ; implicit-def: $sgpr10
	s_and_saveexec_b64 s[8:9], s[12:13]
; %bb.22050:
	s_mov_b32 s10, 0x7f800001
	s_xor_b64 s[4:5], exec, -1
; %bb.22051:
	s_or_b64 exec, exec, s[8:9]
	s_and_b64 s[4:5], s[4:5], exec
	s_or_saveexec_b64 s[6:7], s[6:7]
	v_mov_b32_e32 v2, s10
	s_xor_b64 exec, exec, s[6:7]
	s_cbranch_execnz .LBB2_22052
; %bb.57889:
	s_getpc_b64 s[14:15]
.Lpost_getpc32528:
	s_add_u32 s14, s14, (.LBB2_7714-.Lpost_getpc32528)&4294967295
	s_addc_u32 s15, s15, (.LBB2_7714-.Lpost_getpc32528)>>32
	s_setpc_b64 s[14:15]
.LBB2_22052:
	v_mov_b32_e32 v2, 0
	v_cmp_ne_u16_sdwa s[8:9], v7, v2 src0_sel:BYTE_0 src1_sel:DWORD
	s_andn2_b64 s[4:5], s[4:5], exec
	s_and_b64 s[8:9], s[8:9], exec
	s_or_b64 s[4:5], s[4:5], s[8:9]
	s_or_b64 exec, exec, s[6:7]
	s_and_saveexec_b64 s[6:7], s[4:5]
	s_cbranch_execz .LBB2_32529
; %bb.57891:
	s_getpc_b64 s[14:15]
.Lpost_getpc32529:
	s_add_u32 s14, s14, (.LBB2_7715-.Lpost_getpc32529)&4294967295
	s_addc_u32 s15, s15, (.LBB2_7715-.Lpost_getpc32529)>>32
	s_setpc_b64 s[14:15]
.LBB2_32529:
	s_getpc_b64 s[14:15]
.Lpost_getpc19848:
	s_add_u32 s14, s14, (.LBB2_7716-.Lpost_getpc19848)&4294967295
	s_addc_u32 s15, s15, (.LBB2_7716-.Lpost_getpc19848)>>32
	s_setpc_b64 s[14:15]
.LBB2_22053:
	s_movk_i32 s4, 0x80
	v_cmp_eq_u16_sdwa s[12:13], v3, s4 src0_sel:BYTE_0 src1_sel:DWORD
	s_mov_b64 s[4:5], -1
                                        ; implicit-def: $sgpr10
	s_and_saveexec_b64 s[8:9], s[12:13]
; %bb.22054:
	s_mov_b32 s10, 0x7f800001
	s_xor_b64 s[4:5], exec, -1
; %bb.22055:
	s_or_b64 exec, exec, s[8:9]
	s_and_b64 s[4:5], s[4:5], exec
	s_or_saveexec_b64 s[6:7], s[6:7]
	v_mov_b32_e32 v6, s10
	s_xor_b64 exec, exec, s[6:7]
	s_cbranch_execnz .LBB2_22056
; %bb.57893:
	s_getpc_b64 s[14:15]
.Lpost_getpc32530:
	s_add_u32 s14, s14, (.LBB2_7718-.Lpost_getpc32530)&4294967295
	s_addc_u32 s15, s15, (.LBB2_7718-.Lpost_getpc32530)>>32
	s_setpc_b64 s[14:15]
.LBB2_22056:
	v_mov_b32_e32 v6, 0
	v_cmp_ne_u16_sdwa s[8:9], v3, v6 src0_sel:BYTE_0 src1_sel:DWORD
	s_andn2_b64 s[4:5], s[4:5], exec
	s_and_b64 s[8:9], s[8:9], exec
	s_or_b64 s[4:5], s[4:5], s[8:9]
	s_or_b64 exec, exec, s[6:7]
	s_and_saveexec_b64 s[6:7], s[4:5]
	s_cbranch_execz .LBB2_32531
; %bb.57895:
	s_getpc_b64 s[14:15]
.Lpost_getpc32531:
	s_add_u32 s14, s14, (.LBB2_7719-.Lpost_getpc32531)&4294967295
	s_addc_u32 s15, s15, (.LBB2_7719-.Lpost_getpc32531)>>32
	s_setpc_b64 s[14:15]
.LBB2_32531:
	s_getpc_b64 s[14:15]
.Lpost_getpc19849:
	s_add_u32 s14, s14, (.LBB2_7720-.Lpost_getpc19849)&4294967295
	s_addc_u32 s15, s15, (.LBB2_7720-.Lpost_getpc19849)>>32
	s_setpc_b64 s[14:15]
.LBB2_22057:
	s_movk_i32 s4, 0x80
	v_cmp_eq_u16_sdwa s[12:13], v6, s4 src0_sel:BYTE_0 src1_sel:DWORD
	s_mov_b64 s[4:5], -1
                                        ; implicit-def: $sgpr10
	s_and_saveexec_b64 s[8:9], s[12:13]
; %bb.22058:
	s_mov_b32 s10, 0x7f800001
	s_xor_b64 s[4:5], exec, -1
; %bb.22059:
	s_or_b64 exec, exec, s[8:9]
	s_and_b64 s[4:5], s[4:5], exec
	s_or_saveexec_b64 s[6:7], s[6:7]
	v_mov_b32_e32 v2, s10
	s_xor_b64 exec, exec, s[6:7]
	s_cbranch_execnz .LBB2_22060
; %bb.57897:
	s_getpc_b64 s[14:15]
.Lpost_getpc32532:
	s_add_u32 s14, s14, (.LBB2_7722-.Lpost_getpc32532)&4294967295
	s_addc_u32 s15, s15, (.LBB2_7722-.Lpost_getpc32532)>>32
	s_setpc_b64 s[14:15]
.LBB2_22060:
	v_mov_b32_e32 v2, 0
	v_cmp_ne_u16_sdwa s[8:9], v6, v2 src0_sel:BYTE_0 src1_sel:DWORD
	s_andn2_b64 s[4:5], s[4:5], exec
	s_and_b64 s[8:9], s[8:9], exec
	s_or_b64 s[4:5], s[4:5], s[8:9]
	s_or_b64 exec, exec, s[6:7]
	s_and_saveexec_b64 s[6:7], s[4:5]
	s_cbranch_execz .LBB2_32533
; %bb.57899:
	s_getpc_b64 s[14:15]
.Lpost_getpc32533:
	s_add_u32 s14, s14, (.LBB2_7723-.Lpost_getpc32533)&4294967295
	s_addc_u32 s15, s15, (.LBB2_7723-.Lpost_getpc32533)>>32
	s_setpc_b64 s[14:15]
.LBB2_32533:
	s_getpc_b64 s[14:15]
.Lpost_getpc19850:
	s_add_u32 s14, s14, (.LBB2_7724-.Lpost_getpc19850)&4294967295
	s_addc_u32 s15, s15, (.LBB2_7724-.Lpost_getpc19850)>>32
	s_setpc_b64 s[14:15]
.LBB2_22061:
	s_movk_i32 s4, 0x80
	v_cmp_eq_u16_sdwa s[12:13], v6, s4 src0_sel:BYTE_0 src1_sel:DWORD
	s_mov_b64 s[4:5], -1
                                        ; implicit-def: $sgpr10
	s_and_saveexec_b64 s[8:9], s[12:13]
; %bb.22062:
	s_mov_b32 s10, 0x7f800001
	s_xor_b64 s[4:5], exec, -1
; %bb.22063:
	s_or_b64 exec, exec, s[8:9]
	s_and_b64 s[4:5], s[4:5], exec
	s_or_saveexec_b64 s[6:7], s[6:7]
	v_mov_b32_e32 v12, s10
	s_xor_b64 exec, exec, s[6:7]
	s_cbranch_execnz .LBB2_22064
; %bb.57901:
	s_getpc_b64 s[14:15]
.Lpost_getpc32534:
	s_add_u32 s14, s14, (.LBB2_7726-.Lpost_getpc32534)&4294967295
	s_addc_u32 s15, s15, (.LBB2_7726-.Lpost_getpc32534)>>32
	s_setpc_b64 s[14:15]
.LBB2_22064:
	v_mov_b32_e32 v12, 0
	v_cmp_ne_u16_sdwa s[8:9], v6, v12 src0_sel:BYTE_0 src1_sel:DWORD
	s_andn2_b64 s[4:5], s[4:5], exec
	s_and_b64 s[8:9], s[8:9], exec
	s_or_b64 s[4:5], s[4:5], s[8:9]
	s_or_b64 exec, exec, s[6:7]
	s_and_saveexec_b64 s[6:7], s[4:5]
	s_cbranch_execz .LBB2_32535
; %bb.57903:
	s_getpc_b64 s[14:15]
.Lpost_getpc32535:
	s_add_u32 s14, s14, (.LBB2_7727-.Lpost_getpc32535)&4294967295
	s_addc_u32 s15, s15, (.LBB2_7727-.Lpost_getpc32535)>>32
	s_setpc_b64 s[14:15]
.LBB2_32535:
	s_getpc_b64 s[14:15]
.Lpost_getpc19851:
	s_add_u32 s14, s14, (.LBB2_7728-.Lpost_getpc19851)&4294967295
	s_addc_u32 s15, s15, (.LBB2_7728-.Lpost_getpc19851)>>32
	s_setpc_b64 s[14:15]
.LBB2_22065:
	s_movk_i32 s4, 0x80
	v_cmp_eq_u16_e32 vcc, s4, v6
	s_mov_b64 s[4:5], -1
                                        ; implicit-def: $sgpr10
	s_and_saveexec_b64 s[8:9], vcc
; %bb.22066:
	s_mov_b32 s10, 0x7f800001
	s_xor_b64 s[4:5], exec, -1
; %bb.22067:
	s_or_b64 exec, exec, s[8:9]
	s_and_b64 s[4:5], s[4:5], exec
                                        ; implicit-def: $vgpr6
	s_or_saveexec_b64 s[6:7], s[6:7]
	v_mov_b32_e32 v2, s10
	s_xor_b64 exec, exec, s[6:7]
	s_cbranch_execnz .LBB2_22068
; %bb.57905:
	s_getpc_b64 s[14:15]
.Lpost_getpc32536:
	s_add_u32 s14, s14, (.LBB2_7730-.Lpost_getpc32536)&4294967295
	s_addc_u32 s15, s15, (.LBB2_7730-.Lpost_getpc32536)>>32
	s_setpc_b64 s[14:15]
.LBB2_22068:
	v_cmp_ne_u16_e32 vcc, 0, v6
	s_andn2_b64 s[4:5], s[4:5], exec
	s_and_b64 s[8:9], vcc, exec
	v_mov_b32_e32 v2, 0
	s_or_b64 s[4:5], s[4:5], s[8:9]
	s_or_b64 exec, exec, s[6:7]
	s_and_saveexec_b64 s[6:7], s[4:5]
	s_cbranch_execz .LBB2_32537
; %bb.57907:
	s_getpc_b64 s[14:15]
.Lpost_getpc32537:
	s_add_u32 s14, s14, (.LBB2_7731-.Lpost_getpc32537)&4294967295
	s_addc_u32 s15, s15, (.LBB2_7731-.Lpost_getpc32537)>>32
	s_setpc_b64 s[14:15]
.LBB2_32537:
	s_getpc_b64 s[14:15]
.Lpost_getpc19852:
	s_add_u32 s14, s14, (.LBB2_7732-.Lpost_getpc19852)&4294967295
	s_addc_u32 s15, s15, (.LBB2_7732-.Lpost_getpc19852)>>32
	s_setpc_b64 s[14:15]
.LBB2_22069:
	s_movk_i32 s4, 0x80
	v_cmp_eq_u16_e32 vcc, s4, v6
	s_mov_b64 s[4:5], -1
                                        ; implicit-def: $sgpr10
	s_and_saveexec_b64 s[8:9], vcc
; %bb.22070:
	s_mov_b32 s10, 0x7f800001
	s_xor_b64 s[4:5], exec, -1
; %bb.22071:
	s_or_b64 exec, exec, s[8:9]
	s_and_b64 s[4:5], s[4:5], exec
                                        ; implicit-def: $vgpr6
	s_or_saveexec_b64 s[6:7], s[6:7]
	v_mov_b32_e32 v12, s10
	s_xor_b64 exec, exec, s[6:7]
	s_cbranch_execnz .LBB2_22072
; %bb.57909:
	s_getpc_b64 s[14:15]
.Lpost_getpc32538:
	s_add_u32 s14, s14, (.LBB2_7734-.Lpost_getpc32538)&4294967295
	s_addc_u32 s15, s15, (.LBB2_7734-.Lpost_getpc32538)>>32
	s_setpc_b64 s[14:15]
.LBB2_22072:
	v_cmp_ne_u16_e32 vcc, 0, v6
	s_andn2_b64 s[4:5], s[4:5], exec
	s_and_b64 s[8:9], vcc, exec
	v_mov_b32_e32 v12, 0
	s_or_b64 s[4:5], s[4:5], s[8:9]
	s_or_b64 exec, exec, s[6:7]
	s_and_saveexec_b64 s[6:7], s[4:5]
	s_cbranch_execz .LBB2_32539
; %bb.57911:
	s_getpc_b64 s[14:15]
.Lpost_getpc32539:
	s_add_u32 s14, s14, (.LBB2_7735-.Lpost_getpc32539)&4294967295
	s_addc_u32 s15, s15, (.LBB2_7735-.Lpost_getpc32539)>>32
	s_setpc_b64 s[14:15]
.LBB2_32539:
	s_getpc_b64 s[14:15]
.Lpost_getpc19853:
	s_add_u32 s14, s14, (.LBB2_7736-.Lpost_getpc19853)&4294967295
	s_addc_u32 s15, s15, (.LBB2_7736-.Lpost_getpc19853)>>32
	s_setpc_b64 s[14:15]
.LBB2_22073:
	s_movk_i32 s4, 0x80
	v_cmp_eq_u16_sdwa s[12:13], v7, s4 src0_sel:BYTE_3 src1_sel:DWORD
	s_mov_b64 s[4:5], -1
                                        ; implicit-def: $sgpr10
	s_and_saveexec_b64 s[8:9], s[12:13]
; %bb.22074:
	s_mov_b32 s10, 0x7f800001
	s_xor_b64 s[4:5], exec, -1
; %bb.22075:
	s_or_b64 exec, exec, s[8:9]
	s_and_b64 s[4:5], s[4:5], exec
	s_or_saveexec_b64 s[6:7], s[6:7]
	v_mov_b32_e32 v2, s10
	s_xor_b64 exec, exec, s[6:7]
	s_cbranch_execnz .LBB2_22076
; %bb.57913:
	s_getpc_b64 s[14:15]
.Lpost_getpc32540:
	s_add_u32 s14, s14, (.LBB2_7738-.Lpost_getpc32540)&4294967295
	s_addc_u32 s15, s15, (.LBB2_7738-.Lpost_getpc32540)>>32
	s_setpc_b64 s[14:15]
.LBB2_22076:
	v_mov_b32_e32 v2, 0
	v_cmp_ne_u16_sdwa s[8:9], v7, v2 src0_sel:BYTE_3 src1_sel:DWORD
	s_andn2_b64 s[4:5], s[4:5], exec
	s_and_b64 s[8:9], s[8:9], exec
	s_or_b64 s[4:5], s[4:5], s[8:9]
	s_or_b64 exec, exec, s[6:7]
	s_and_saveexec_b64 s[6:7], s[4:5]
	s_cbranch_execz .LBB2_32541
; %bb.57915:
	s_getpc_b64 s[14:15]
.Lpost_getpc32541:
	s_add_u32 s14, s14, (.LBB2_7739-.Lpost_getpc32541)&4294967295
	s_addc_u32 s15, s15, (.LBB2_7739-.Lpost_getpc32541)>>32
	s_setpc_b64 s[14:15]
.LBB2_32541:
	s_getpc_b64 s[14:15]
.Lpost_getpc19854:
	s_add_u32 s14, s14, (.LBB2_7740-.Lpost_getpc19854)&4294967295
	s_addc_u32 s15, s15, (.LBB2_7740-.Lpost_getpc19854)>>32
	s_setpc_b64 s[14:15]
.LBB2_22077:
	s_movk_i32 s4, 0x80
	v_cmp_eq_u16_sdwa s[12:13], v3, s4 src0_sel:BYTE_3 src1_sel:DWORD
	s_mov_b64 s[4:5], -1
                                        ; implicit-def: $sgpr10
	s_and_saveexec_b64 s[8:9], s[12:13]
; %bb.22078:
	s_mov_b32 s10, 0x7f800001
	s_xor_b64 s[4:5], exec, -1
; %bb.22079:
	s_or_b64 exec, exec, s[8:9]
	s_and_b64 s[4:5], s[4:5], exec
	s_or_saveexec_b64 s[6:7], s[6:7]
	v_mov_b32_e32 v6, s10
	s_xor_b64 exec, exec, s[6:7]
	s_cbranch_execnz .LBB2_22080
; %bb.57917:
	s_getpc_b64 s[14:15]
.Lpost_getpc32542:
	s_add_u32 s14, s14, (.LBB2_7742-.Lpost_getpc32542)&4294967295
	s_addc_u32 s15, s15, (.LBB2_7742-.Lpost_getpc32542)>>32
	s_setpc_b64 s[14:15]
.LBB2_22080:
	v_mov_b32_e32 v6, 0
	v_cmp_ne_u16_sdwa s[8:9], v3, v6 src0_sel:BYTE_3 src1_sel:DWORD
	s_andn2_b64 s[4:5], s[4:5], exec
	s_and_b64 s[8:9], s[8:9], exec
	s_or_b64 s[4:5], s[4:5], s[8:9]
	s_or_b64 exec, exec, s[6:7]
	s_and_saveexec_b64 s[6:7], s[4:5]
	s_cbranch_execz .LBB2_32543
; %bb.57919:
	s_getpc_b64 s[14:15]
.Lpost_getpc32543:
	s_add_u32 s14, s14, (.LBB2_7743-.Lpost_getpc32543)&4294967295
	s_addc_u32 s15, s15, (.LBB2_7743-.Lpost_getpc32543)>>32
	s_setpc_b64 s[14:15]
.LBB2_32543:
	s_getpc_b64 s[14:15]
.Lpost_getpc19855:
	s_add_u32 s14, s14, (.LBB2_7744-.Lpost_getpc19855)&4294967295
	s_addc_u32 s15, s15, (.LBB2_7744-.Lpost_getpc19855)>>32
	s_setpc_b64 s[14:15]
.LBB2_22081:
	s_movk_i32 s4, 0x80
	v_cmp_eq_u16_sdwa s[12:13], v8, s4 src0_sel:BYTE_0 src1_sel:DWORD
	s_mov_b64 s[4:5], -1
                                        ; implicit-def: $sgpr10
	s_and_saveexec_b64 s[8:9], s[12:13]
; %bb.22082:
	s_mov_b32 s10, 0x7f800001
	s_xor_b64 s[4:5], exec, -1
; %bb.22083:
	s_or_b64 exec, exec, s[8:9]
	s_and_b64 s[4:5], s[4:5], exec
	s_or_saveexec_b64 s[6:7], s[6:7]
	v_mov_b32_e32 v2, s10
	s_xor_b64 exec, exec, s[6:7]
	s_cbranch_execnz .LBB2_22084
; %bb.57921:
	s_getpc_b64 s[14:15]
.Lpost_getpc32544:
	s_add_u32 s14, s14, (.LBB2_7746-.Lpost_getpc32544)&4294967295
	s_addc_u32 s15, s15, (.LBB2_7746-.Lpost_getpc32544)>>32
	s_setpc_b64 s[14:15]
.LBB2_22084:
	v_mov_b32_e32 v2, 0
	v_cmp_ne_u16_sdwa s[8:9], v8, v2 src0_sel:BYTE_0 src1_sel:DWORD
	s_andn2_b64 s[4:5], s[4:5], exec
	s_and_b64 s[8:9], s[8:9], exec
	s_or_b64 s[4:5], s[4:5], s[8:9]
	s_or_b64 exec, exec, s[6:7]
	s_and_saveexec_b64 s[6:7], s[4:5]
	s_cbranch_execz .LBB2_32545
; %bb.57923:
	s_getpc_b64 s[14:15]
.Lpost_getpc32545:
	s_add_u32 s14, s14, (.LBB2_7747-.Lpost_getpc32545)&4294967295
	s_addc_u32 s15, s15, (.LBB2_7747-.Lpost_getpc32545)>>32
	s_setpc_b64 s[14:15]
.LBB2_32545:
	s_getpc_b64 s[14:15]
.Lpost_getpc19856:
	s_add_u32 s14, s14, (.LBB2_7748-.Lpost_getpc19856)&4294967295
	s_addc_u32 s15, s15, (.LBB2_7748-.Lpost_getpc19856)>>32
	s_setpc_b64 s[14:15]
.LBB2_22085:
	s_movk_i32 s4, 0x80
	v_cmp_eq_u16_sdwa s[12:13], v4, s4 src0_sel:BYTE_0 src1_sel:DWORD
	s_mov_b64 s[4:5], -1
                                        ; implicit-def: $sgpr10
	s_and_saveexec_b64 s[8:9], s[12:13]
; %bb.22086:
	s_mov_b32 s10, 0x7f800001
	s_xor_b64 s[4:5], exec, -1
; %bb.22087:
	s_or_b64 exec, exec, s[8:9]
	s_and_b64 s[4:5], s[4:5], exec
	s_or_saveexec_b64 s[6:7], s[6:7]
	v_mov_b32_e32 v3, s10
	s_xor_b64 exec, exec, s[6:7]
	s_cbranch_execnz .LBB2_22088
; %bb.57925:
	s_getpc_b64 s[14:15]
.Lpost_getpc32546:
	s_add_u32 s14, s14, (.LBB2_7750-.Lpost_getpc32546)&4294967295
	s_addc_u32 s15, s15, (.LBB2_7750-.Lpost_getpc32546)>>32
	s_setpc_b64 s[14:15]
.LBB2_22088:
	v_mov_b32_e32 v3, 0
	v_cmp_ne_u16_sdwa s[8:9], v4, v3 src0_sel:BYTE_0 src1_sel:DWORD
	s_andn2_b64 s[4:5], s[4:5], exec
	s_and_b64 s[8:9], s[8:9], exec
	s_or_b64 s[4:5], s[4:5], s[8:9]
	s_or_b64 exec, exec, s[6:7]
	s_and_saveexec_b64 s[6:7], s[4:5]
	s_cbranch_execz .LBB2_32547
; %bb.57927:
	s_getpc_b64 s[14:15]
.Lpost_getpc32547:
	s_add_u32 s14, s14, (.LBB2_7751-.Lpost_getpc32547)&4294967295
	s_addc_u32 s15, s15, (.LBB2_7751-.Lpost_getpc32547)>>32
	s_setpc_b64 s[14:15]
.LBB2_32547:
	s_getpc_b64 s[14:15]
.Lpost_getpc19857:
	s_add_u32 s14, s14, (.LBB2_7752-.Lpost_getpc19857)&4294967295
	s_addc_u32 s15, s15, (.LBB2_7752-.Lpost_getpc19857)>>32
	s_setpc_b64 s[14:15]
.LBB2_22089:
	s_movk_i32 s4, 0x80
	v_cmp_eq_u16_sdwa s[12:13], v3, s4 src0_sel:BYTE_0 src1_sel:DWORD
	s_mov_b64 s[4:5], -1
                                        ; implicit-def: $sgpr10
	s_and_saveexec_b64 s[8:9], s[12:13]
; %bb.22090:
	s_mov_b32 s10, 0x7f800001
	s_xor_b64 s[4:5], exec, -1
; %bb.22091:
	s_or_b64 exec, exec, s[8:9]
	s_and_b64 s[4:5], s[4:5], exec
	s_or_saveexec_b64 s[6:7], s[6:7]
	v_mov_b32_e32 v2, s10
	s_xor_b64 exec, exec, s[6:7]
	s_cbranch_execnz .LBB2_22092
; %bb.57929:
	s_getpc_b64 s[14:15]
.Lpost_getpc32548:
	s_add_u32 s14, s14, (.LBB2_7754-.Lpost_getpc32548)&4294967295
	s_addc_u32 s15, s15, (.LBB2_7754-.Lpost_getpc32548)>>32
	s_setpc_b64 s[14:15]
.LBB2_22092:
	v_mov_b32_e32 v2, 0
	v_cmp_ne_u16_sdwa s[8:9], v3, v2 src0_sel:BYTE_0 src1_sel:DWORD
	s_andn2_b64 s[4:5], s[4:5], exec
	s_and_b64 s[8:9], s[8:9], exec
	s_or_b64 s[4:5], s[4:5], s[8:9]
	s_or_b64 exec, exec, s[6:7]
	s_and_saveexec_b64 s[6:7], s[4:5]
	s_cbranch_execz .LBB2_32549
; %bb.57931:
	s_getpc_b64 s[14:15]
.Lpost_getpc32549:
	s_add_u32 s14, s14, (.LBB2_7755-.Lpost_getpc32549)&4294967295
	s_addc_u32 s15, s15, (.LBB2_7755-.Lpost_getpc32549)>>32
	s_setpc_b64 s[14:15]
.LBB2_32549:
	s_getpc_b64 s[14:15]
.Lpost_getpc19858:
	s_add_u32 s14, s14, (.LBB2_7756-.Lpost_getpc19858)&4294967295
	s_addc_u32 s15, s15, (.LBB2_7756-.Lpost_getpc19858)>>32
	s_setpc_b64 s[14:15]
.LBB2_22093:
	s_movk_i32 s4, 0x80
	v_cmp_eq_u16_sdwa s[12:13], v3, s4 src0_sel:BYTE_0 src1_sel:DWORD
	s_mov_b64 s[4:5], -1
                                        ; implicit-def: $sgpr10
	s_and_saveexec_b64 s[8:9], s[12:13]
; %bb.22094:
	s_mov_b32 s10, 0x7f800001
	s_xor_b64 s[4:5], exec, -1
; %bb.22095:
	s_or_b64 exec, exec, s[8:9]
	s_and_b64 s[4:5], s[4:5], exec
	s_or_saveexec_b64 s[6:7], s[6:7]
	v_mov_b32_e32 v6, s10
	s_xor_b64 exec, exec, s[6:7]
	s_cbranch_execnz .LBB2_22096
; %bb.57933:
	s_getpc_b64 s[14:15]
.Lpost_getpc32550:
	s_add_u32 s14, s14, (.LBB2_7758-.Lpost_getpc32550)&4294967295
	s_addc_u32 s15, s15, (.LBB2_7758-.Lpost_getpc32550)>>32
	s_setpc_b64 s[14:15]
.LBB2_22096:
	v_mov_b32_e32 v6, 0
	v_cmp_ne_u16_sdwa s[8:9], v3, v6 src0_sel:BYTE_0 src1_sel:DWORD
	s_andn2_b64 s[4:5], s[4:5], exec
	s_and_b64 s[8:9], s[8:9], exec
	s_or_b64 s[4:5], s[4:5], s[8:9]
	s_or_b64 exec, exec, s[6:7]
	s_and_saveexec_b64 s[6:7], s[4:5]
	s_cbranch_execz .LBB2_32551
; %bb.57935:
	s_getpc_b64 s[14:15]
.Lpost_getpc32551:
	s_add_u32 s14, s14, (.LBB2_7759-.Lpost_getpc32551)&4294967295
	s_addc_u32 s15, s15, (.LBB2_7759-.Lpost_getpc32551)>>32
	s_setpc_b64 s[14:15]
.LBB2_32551:
	s_getpc_b64 s[14:15]
.Lpost_getpc19859:
	s_add_u32 s14, s14, (.LBB2_7760-.Lpost_getpc19859)&4294967295
	s_addc_u32 s15, s15, (.LBB2_7760-.Lpost_getpc19859)>>32
	s_setpc_b64 s[14:15]
.LBB2_22097:
	s_movk_i32 s4, 0x80
	v_cmp_eq_u16_e32 vcc, s4, v3
	s_mov_b64 s[4:5], -1
                                        ; implicit-def: $sgpr10
	s_and_saveexec_b64 s[8:9], vcc
; %bb.22098:
	s_mov_b32 s10, 0x7f800001
	s_xor_b64 s[4:5], exec, -1
; %bb.22099:
	s_or_b64 exec, exec, s[8:9]
	s_and_b64 s[4:5], s[4:5], exec
                                        ; implicit-def: $vgpr3
	s_or_saveexec_b64 s[6:7], s[6:7]
	v_mov_b32_e32 v2, s10
	s_xor_b64 exec, exec, s[6:7]
	s_cbranch_execnz .LBB2_22100
; %bb.57937:
	s_getpc_b64 s[14:15]
.Lpost_getpc32552:
	s_add_u32 s14, s14, (.LBB2_7762-.Lpost_getpc32552)&4294967295
	s_addc_u32 s15, s15, (.LBB2_7762-.Lpost_getpc32552)>>32
	s_setpc_b64 s[14:15]
.LBB2_22100:
	v_cmp_ne_u16_e32 vcc, 0, v3
	s_andn2_b64 s[4:5], s[4:5], exec
	s_and_b64 s[8:9], vcc, exec
	v_mov_b32_e32 v2, 0
	s_or_b64 s[4:5], s[4:5], s[8:9]
	s_or_b64 exec, exec, s[6:7]
	s_and_saveexec_b64 s[6:7], s[4:5]
	s_cbranch_execz .LBB2_32553
; %bb.57939:
	s_getpc_b64 s[14:15]
.Lpost_getpc32553:
	s_add_u32 s14, s14, (.LBB2_7763-.Lpost_getpc32553)&4294967295
	s_addc_u32 s15, s15, (.LBB2_7763-.Lpost_getpc32553)>>32
	s_setpc_b64 s[14:15]
.LBB2_32553:
	s_getpc_b64 s[14:15]
.Lpost_getpc19860:
	s_add_u32 s14, s14, (.LBB2_7764-.Lpost_getpc19860)&4294967295
	s_addc_u32 s15, s15, (.LBB2_7764-.Lpost_getpc19860)>>32
	s_setpc_b64 s[14:15]
.LBB2_22101:
	s_movk_i32 s4, 0x80
	v_cmp_eq_u16_e32 vcc, s4, v3
	s_mov_b64 s[4:5], -1
                                        ; implicit-def: $sgpr10
	s_and_saveexec_b64 s[8:9], vcc
; %bb.22102:
	s_mov_b32 s10, 0x7f800001
	s_xor_b64 s[4:5], exec, -1
; %bb.22103:
	s_or_b64 exec, exec, s[8:9]
	s_and_b64 s[4:5], s[4:5], exec
                                        ; implicit-def: $vgpr3
	s_or_saveexec_b64 s[6:7], s[6:7]
	v_mov_b32_e32 v6, s10
	s_xor_b64 exec, exec, s[6:7]
	s_cbranch_execnz .LBB2_22104
; %bb.57941:
	s_getpc_b64 s[14:15]
.Lpost_getpc32554:
	s_add_u32 s14, s14, (.LBB2_7766-.Lpost_getpc32554)&4294967295
	s_addc_u32 s15, s15, (.LBB2_7766-.Lpost_getpc32554)>>32
	s_setpc_b64 s[14:15]
.LBB2_22104:
	v_cmp_ne_u16_e32 vcc, 0, v3
	s_andn2_b64 s[4:5], s[4:5], exec
	s_and_b64 s[8:9], vcc, exec
	v_mov_b32_e32 v6, 0
	s_or_b64 s[4:5], s[4:5], s[8:9]
	s_or_b64 exec, exec, s[6:7]
	s_and_saveexec_b64 s[6:7], s[4:5]
	s_cbranch_execz .LBB2_32555
; %bb.57943:
	s_getpc_b64 s[14:15]
.Lpost_getpc32555:
	s_add_u32 s14, s14, (.LBB2_7767-.Lpost_getpc32555)&4294967295
	s_addc_u32 s15, s15, (.LBB2_7767-.Lpost_getpc32555)>>32
	s_setpc_b64 s[14:15]
.LBB2_32555:
	s_getpc_b64 s[14:15]
.Lpost_getpc19861:
	s_add_u32 s14, s14, (.LBB2_7768-.Lpost_getpc19861)&4294967295
	s_addc_u32 s15, s15, (.LBB2_7768-.Lpost_getpc19861)>>32
	s_setpc_b64 s[14:15]
.LBB2_22105:
	s_movk_i32 s4, 0x80
	v_cmp_eq_u16_sdwa s[12:13], v8, s4 src0_sel:BYTE_3 src1_sel:DWORD
	s_mov_b64 s[4:5], -1
                                        ; implicit-def: $sgpr10
	s_and_saveexec_b64 s[8:9], s[12:13]
; %bb.22106:
	s_mov_b32 s10, 0x7f800001
	s_xor_b64 s[4:5], exec, -1
; %bb.22107:
	s_or_b64 exec, exec, s[8:9]
	s_and_b64 s[4:5], s[4:5], exec
	s_or_saveexec_b64 s[6:7], s[6:7]
	v_mov_b32_e32 v2, s10
	s_xor_b64 exec, exec, s[6:7]
	s_cbranch_execnz .LBB2_22108
; %bb.57945:
	s_getpc_b64 s[14:15]
.Lpost_getpc32556:
	s_add_u32 s14, s14, (.LBB2_7770-.Lpost_getpc32556)&4294967295
	s_addc_u32 s15, s15, (.LBB2_7770-.Lpost_getpc32556)>>32
	s_setpc_b64 s[14:15]
.LBB2_22108:
	v_mov_b32_e32 v2, 0
	v_cmp_ne_u16_sdwa s[8:9], v8, v2 src0_sel:BYTE_3 src1_sel:DWORD
	s_andn2_b64 s[4:5], s[4:5], exec
	s_and_b64 s[8:9], s[8:9], exec
	s_or_b64 s[4:5], s[4:5], s[8:9]
	s_or_b64 exec, exec, s[6:7]
	s_and_saveexec_b64 s[6:7], s[4:5]
	s_cbranch_execz .LBB2_32557
; %bb.57947:
	s_getpc_b64 s[14:15]
.Lpost_getpc32557:
	s_add_u32 s14, s14, (.LBB2_7771-.Lpost_getpc32557)&4294967295
	s_addc_u32 s15, s15, (.LBB2_7771-.Lpost_getpc32557)>>32
	s_setpc_b64 s[14:15]
.LBB2_32557:
	s_getpc_b64 s[14:15]
.Lpost_getpc19862:
	s_add_u32 s14, s14, (.LBB2_7772-.Lpost_getpc19862)&4294967295
	s_addc_u32 s15, s15, (.LBB2_7772-.Lpost_getpc19862)>>32
	s_setpc_b64 s[14:15]
.LBB2_22109:
	s_movk_i32 s4, 0x80
	v_cmp_eq_u16_sdwa s[12:13], v4, s4 src0_sel:BYTE_3 src1_sel:DWORD
	s_mov_b64 s[4:5], -1
                                        ; implicit-def: $sgpr10
	s_and_saveexec_b64 s[8:9], s[12:13]
; %bb.22110:
	s_mov_b32 s10, 0x7f800001
	s_xor_b64 s[4:5], exec, -1
; %bb.22111:
	s_or_b64 exec, exec, s[8:9]
	s_and_b64 s[4:5], s[4:5], exec
	s_or_saveexec_b64 s[6:7], s[6:7]
	v_mov_b32_e32 v3, s10
	s_xor_b64 exec, exec, s[6:7]
	s_cbranch_execnz .LBB2_22112
; %bb.57949:
	s_getpc_b64 s[14:15]
.Lpost_getpc32558:
	s_add_u32 s14, s14, (.LBB2_7774-.Lpost_getpc32558)&4294967295
	s_addc_u32 s15, s15, (.LBB2_7774-.Lpost_getpc32558)>>32
	s_setpc_b64 s[14:15]
.LBB2_22112:
	v_mov_b32_e32 v3, 0
	v_cmp_ne_u16_sdwa s[8:9], v4, v3 src0_sel:BYTE_3 src1_sel:DWORD
	s_andn2_b64 s[4:5], s[4:5], exec
	s_and_b64 s[8:9], s[8:9], exec
	s_or_b64 s[4:5], s[4:5], s[8:9]
	s_or_b64 exec, exec, s[6:7]
	s_and_saveexec_b64 s[6:7], s[4:5]
	s_cbranch_execz .LBB2_32559
; %bb.57951:
	s_getpc_b64 s[14:15]
.Lpost_getpc32559:
	s_add_u32 s14, s14, (.LBB2_7775-.Lpost_getpc32559)&4294967295
	s_addc_u32 s15, s15, (.LBB2_7775-.Lpost_getpc32559)>>32
	s_setpc_b64 s[14:15]
.LBB2_32559:
	s_getpc_b64 s[14:15]
.Lpost_getpc19863:
	s_add_u32 s14, s14, (.LBB2_7776-.Lpost_getpc19863)&4294967295
	s_addc_u32 s15, s15, (.LBB2_7776-.Lpost_getpc19863)>>32
	s_setpc_b64 s[14:15]
.LBB2_22113:
	s_movk_i32 s4, 0x80
	v_cmp_eq_u16_sdwa s[12:13], v9, s4 src0_sel:BYTE_0 src1_sel:DWORD
	s_mov_b64 s[4:5], -1
                                        ; implicit-def: $sgpr10
	s_and_saveexec_b64 s[8:9], s[12:13]
; %bb.22114:
	s_mov_b32 s10, 0x7f800001
	s_xor_b64 s[4:5], exec, -1
; %bb.22115:
	s_or_b64 exec, exec, s[8:9]
	s_and_b64 s[4:5], s[4:5], exec
	s_or_saveexec_b64 s[6:7], s[6:7]
	v_mov_b32_e32 v2, s10
	s_xor_b64 exec, exec, s[6:7]
	s_cbranch_execnz .LBB2_22116
; %bb.57953:
	s_getpc_b64 s[14:15]
.Lpost_getpc32560:
	s_add_u32 s14, s14, (.LBB2_7778-.Lpost_getpc32560)&4294967295
	s_addc_u32 s15, s15, (.LBB2_7778-.Lpost_getpc32560)>>32
	s_setpc_b64 s[14:15]
.LBB2_22116:
	v_mov_b32_e32 v2, 0
	v_cmp_ne_u16_sdwa s[8:9], v9, v2 src0_sel:BYTE_0 src1_sel:DWORD
	s_andn2_b64 s[4:5], s[4:5], exec
	s_and_b64 s[8:9], s[8:9], exec
	s_or_b64 s[4:5], s[4:5], s[8:9]
	s_or_b64 exec, exec, s[6:7]
	s_and_saveexec_b64 s[6:7], s[4:5]
	s_cbranch_execz .LBB2_32561
; %bb.57955:
	s_getpc_b64 s[14:15]
.Lpost_getpc32561:
	s_add_u32 s14, s14, (.LBB2_7779-.Lpost_getpc32561)&4294967295
	s_addc_u32 s15, s15, (.LBB2_7779-.Lpost_getpc32561)>>32
	s_setpc_b64 s[14:15]
.LBB2_32561:
	s_getpc_b64 s[14:15]
.Lpost_getpc19864:
	s_add_u32 s14, s14, (.LBB2_7780-.Lpost_getpc19864)&4294967295
	s_addc_u32 s15, s15, (.LBB2_7780-.Lpost_getpc19864)>>32
	s_setpc_b64 s[14:15]
.LBB2_22117:
	s_movk_i32 s4, 0x80
	v_cmp_eq_u16_sdwa s[12:13], v5, s4 src0_sel:BYTE_0 src1_sel:DWORD
	s_mov_b64 s[4:5], -1
                                        ; implicit-def: $sgpr10
	s_and_saveexec_b64 s[8:9], s[12:13]
; %bb.22118:
	s_mov_b32 s10, 0x7f800001
	s_xor_b64 s[4:5], exec, -1
; %bb.22119:
	s_or_b64 exec, exec, s[8:9]
	s_and_b64 s[4:5], s[4:5], exec
	s_or_saveexec_b64 s[6:7], s[6:7]
	v_mov_b32_e32 v3, s10
	s_xor_b64 exec, exec, s[6:7]
	s_cbranch_execnz .LBB2_22120
; %bb.57957:
	s_getpc_b64 s[14:15]
.Lpost_getpc32562:
	s_add_u32 s14, s14, (.LBB2_7782-.Lpost_getpc32562)&4294967295
	s_addc_u32 s15, s15, (.LBB2_7782-.Lpost_getpc32562)>>32
	s_setpc_b64 s[14:15]
.LBB2_22120:
	v_mov_b32_e32 v3, 0
	v_cmp_ne_u16_sdwa s[8:9], v5, v3 src0_sel:BYTE_0 src1_sel:DWORD
	s_andn2_b64 s[4:5], s[4:5], exec
	s_and_b64 s[8:9], s[8:9], exec
	s_or_b64 s[4:5], s[4:5], s[8:9]
	s_or_b64 exec, exec, s[6:7]
	s_and_saveexec_b64 s[6:7], s[4:5]
	s_cbranch_execz .LBB2_32563
; %bb.57959:
	s_getpc_b64 s[14:15]
.Lpost_getpc32563:
	s_add_u32 s14, s14, (.LBB2_7783-.Lpost_getpc32563)&4294967295
	s_addc_u32 s15, s15, (.LBB2_7783-.Lpost_getpc32563)>>32
	s_setpc_b64 s[14:15]
.LBB2_32563:
	s_getpc_b64 s[14:15]
.Lpost_getpc19865:
	s_add_u32 s14, s14, (.LBB2_7784-.Lpost_getpc19865)&4294967295
	s_addc_u32 s15, s15, (.LBB2_7784-.Lpost_getpc19865)>>32
	s_setpc_b64 s[14:15]
.LBB2_22121:
	s_movk_i32 s4, 0x80
	v_cmp_eq_u16_sdwa s[12:13], v3, s4 src0_sel:BYTE_0 src1_sel:DWORD
	s_mov_b64 s[4:5], -1
                                        ; implicit-def: $sgpr10
	s_and_saveexec_b64 s[8:9], s[12:13]
; %bb.22122:
	s_mov_b32 s10, 0x7f800001
	s_xor_b64 s[4:5], exec, -1
; %bb.22123:
	s_or_b64 exec, exec, s[8:9]
	s_and_b64 s[4:5], s[4:5], exec
	s_or_saveexec_b64 s[6:7], s[6:7]
	v_mov_b32_e32 v2, s10
	s_xor_b64 exec, exec, s[6:7]
	s_cbranch_execnz .LBB2_22124
; %bb.57961:
	s_getpc_b64 s[14:15]
.Lpost_getpc32564:
	s_add_u32 s14, s14, (.LBB2_7786-.Lpost_getpc32564)&4294967295
	s_addc_u32 s15, s15, (.LBB2_7786-.Lpost_getpc32564)>>32
	s_setpc_b64 s[14:15]
.LBB2_22124:
	v_mov_b32_e32 v2, 0
	v_cmp_ne_u16_sdwa s[8:9], v3, v2 src0_sel:BYTE_0 src1_sel:DWORD
	s_andn2_b64 s[4:5], s[4:5], exec
	s_and_b64 s[8:9], s[8:9], exec
	s_or_b64 s[4:5], s[4:5], s[8:9]
	s_or_b64 exec, exec, s[6:7]
	s_and_saveexec_b64 s[6:7], s[4:5]
	s_cbranch_execz .LBB2_32565
; %bb.57963:
	s_getpc_b64 s[14:15]
.Lpost_getpc32565:
	s_add_u32 s14, s14, (.LBB2_7787-.Lpost_getpc32565)&4294967295
	s_addc_u32 s15, s15, (.LBB2_7787-.Lpost_getpc32565)>>32
	s_setpc_b64 s[14:15]
.LBB2_32565:
	s_getpc_b64 s[14:15]
.Lpost_getpc19866:
	s_add_u32 s14, s14, (.LBB2_7788-.Lpost_getpc19866)&4294967295
	s_addc_u32 s15, s15, (.LBB2_7788-.Lpost_getpc19866)>>32
	s_setpc_b64 s[14:15]
.LBB2_22125:
	s_movk_i32 s4, 0x80
	v_cmp_eq_u16_sdwa s[12:13], v3, s4 src0_sel:BYTE_0 src1_sel:DWORD
	s_mov_b64 s[4:5], -1
                                        ; implicit-def: $sgpr10
	s_and_saveexec_b64 s[8:9], s[12:13]
; %bb.22126:
	s_mov_b32 s10, 0x7f800001
	s_xor_b64 s[4:5], exec, -1
; %bb.22127:
	s_or_b64 exec, exec, s[8:9]
	s_and_b64 s[4:5], s[4:5], exec
	s_or_saveexec_b64 s[6:7], s[6:7]
	v_mov_b32_e32 v4, s10
	s_xor_b64 exec, exec, s[6:7]
	s_cbranch_execnz .LBB2_22128
; %bb.57965:
	s_getpc_b64 s[14:15]
.Lpost_getpc32566:
	s_add_u32 s14, s14, (.LBB2_7790-.Lpost_getpc32566)&4294967295
	s_addc_u32 s15, s15, (.LBB2_7790-.Lpost_getpc32566)>>32
	s_setpc_b64 s[14:15]
.LBB2_22128:
	v_mov_b32_e32 v4, 0
	v_cmp_ne_u16_sdwa s[8:9], v3, v4 src0_sel:BYTE_0 src1_sel:DWORD
	s_andn2_b64 s[4:5], s[4:5], exec
	s_and_b64 s[8:9], s[8:9], exec
	s_or_b64 s[4:5], s[4:5], s[8:9]
	s_or_b64 exec, exec, s[6:7]
	s_and_saveexec_b64 s[6:7], s[4:5]
	s_cbranch_execz .LBB2_32567
; %bb.57967:
	s_getpc_b64 s[14:15]
.Lpost_getpc32567:
	s_add_u32 s14, s14, (.LBB2_7791-.Lpost_getpc32567)&4294967295
	s_addc_u32 s15, s15, (.LBB2_7791-.Lpost_getpc32567)>>32
	s_setpc_b64 s[14:15]
.LBB2_32567:
	s_getpc_b64 s[14:15]
.Lpost_getpc19867:
	s_add_u32 s14, s14, (.LBB2_7792-.Lpost_getpc19867)&4294967295
	s_addc_u32 s15, s15, (.LBB2_7792-.Lpost_getpc19867)>>32
	s_setpc_b64 s[14:15]
.LBB2_22129:
	s_movk_i32 s4, 0x80
	v_cmp_eq_u16_e32 vcc, s4, v3
	s_mov_b64 s[4:5], -1
                                        ; implicit-def: $sgpr10
	s_and_saveexec_b64 s[8:9], vcc
; %bb.22130:
	s_mov_b32 s10, 0x7f800001
	s_xor_b64 s[4:5], exec, -1
; %bb.22131:
	s_or_b64 exec, exec, s[8:9]
	s_and_b64 s[4:5], s[4:5], exec
                                        ; implicit-def: $vgpr3
	s_or_saveexec_b64 s[6:7], s[6:7]
	v_mov_b32_e32 v2, s10
	s_xor_b64 exec, exec, s[6:7]
	s_cbranch_execnz .LBB2_22132
; %bb.57969:
	s_getpc_b64 s[14:15]
.Lpost_getpc32568:
	s_add_u32 s14, s14, (.LBB2_7794-.Lpost_getpc32568)&4294967295
	s_addc_u32 s15, s15, (.LBB2_7794-.Lpost_getpc32568)>>32
	s_setpc_b64 s[14:15]
.LBB2_22132:
	v_cmp_ne_u16_e32 vcc, 0, v3
	s_andn2_b64 s[4:5], s[4:5], exec
	s_and_b64 s[8:9], vcc, exec
	v_mov_b32_e32 v2, 0
	s_or_b64 s[4:5], s[4:5], s[8:9]
	s_or_b64 exec, exec, s[6:7]
	s_and_saveexec_b64 s[6:7], s[4:5]
	s_cbranch_execz .LBB2_32569
; %bb.57971:
	s_getpc_b64 s[14:15]
.Lpost_getpc32569:
	s_add_u32 s14, s14, (.LBB2_7795-.Lpost_getpc32569)&4294967295
	s_addc_u32 s15, s15, (.LBB2_7795-.Lpost_getpc32569)>>32
	s_setpc_b64 s[14:15]
.LBB2_32569:
	s_getpc_b64 s[14:15]
.Lpost_getpc19868:
	s_add_u32 s14, s14, (.LBB2_7796-.Lpost_getpc19868)&4294967295
	s_addc_u32 s15, s15, (.LBB2_7796-.Lpost_getpc19868)>>32
	s_setpc_b64 s[14:15]
.LBB2_22133:
	s_movk_i32 s4, 0x80
	v_cmp_eq_u16_e32 vcc, s4, v3
	s_mov_b64 s[4:5], -1
                                        ; implicit-def: $sgpr10
	s_and_saveexec_b64 s[8:9], vcc
; %bb.22134:
	s_mov_b32 s10, 0x7f800001
	s_xor_b64 s[4:5], exec, -1
; %bb.22135:
	s_or_b64 exec, exec, s[8:9]
	s_and_b64 s[4:5], s[4:5], exec
                                        ; implicit-def: $vgpr3
	s_or_saveexec_b64 s[6:7], s[6:7]
	v_mov_b32_e32 v4, s10
	s_xor_b64 exec, exec, s[6:7]
	s_cbranch_execnz .LBB2_22136
; %bb.57973:
	s_getpc_b64 s[14:15]
.Lpost_getpc32570:
	s_add_u32 s14, s14, (.LBB2_7798-.Lpost_getpc32570)&4294967295
	s_addc_u32 s15, s15, (.LBB2_7798-.Lpost_getpc32570)>>32
	s_setpc_b64 s[14:15]
.LBB2_22136:
	v_cmp_ne_u16_e32 vcc, 0, v3
	s_andn2_b64 s[4:5], s[4:5], exec
	s_and_b64 s[8:9], vcc, exec
	v_mov_b32_e32 v4, 0
	s_or_b64 s[4:5], s[4:5], s[8:9]
	s_or_b64 exec, exec, s[6:7]
	s_and_saveexec_b64 s[6:7], s[4:5]
	s_cbranch_execz .LBB2_32571
; %bb.57975:
	s_getpc_b64 s[14:15]
.Lpost_getpc32571:
	s_add_u32 s14, s14, (.LBB2_7799-.Lpost_getpc32571)&4294967295
	s_addc_u32 s15, s15, (.LBB2_7799-.Lpost_getpc32571)>>32
	s_setpc_b64 s[14:15]
.LBB2_32571:
	s_getpc_b64 s[14:15]
.Lpost_getpc19869:
	s_add_u32 s14, s14, (.LBB2_7800-.Lpost_getpc19869)&4294967295
	s_addc_u32 s15, s15, (.LBB2_7800-.Lpost_getpc19869)>>32
	s_setpc_b64 s[14:15]
.LBB2_22137:
	s_movk_i32 s4, 0x80
	v_cmp_eq_u16_sdwa s[12:13], v9, s4 src0_sel:BYTE_3 src1_sel:DWORD
	s_mov_b64 s[4:5], -1
                                        ; implicit-def: $sgpr10
	s_and_saveexec_b64 s[8:9], s[12:13]
; %bb.22138:
	s_mov_b32 s10, 0x7f800001
	s_xor_b64 s[4:5], exec, -1
; %bb.22139:
	s_or_b64 exec, exec, s[8:9]
	s_and_b64 s[4:5], s[4:5], exec
	s_or_saveexec_b64 s[6:7], s[6:7]
	v_mov_b32_e32 v2, s10
	s_xor_b64 exec, exec, s[6:7]
	s_cbranch_execnz .LBB2_22140
; %bb.57977:
	s_getpc_b64 s[14:15]
.Lpost_getpc32572:
	s_add_u32 s14, s14, (.LBB2_7802-.Lpost_getpc32572)&4294967295
	s_addc_u32 s15, s15, (.LBB2_7802-.Lpost_getpc32572)>>32
	s_setpc_b64 s[14:15]
.LBB2_22140:
	v_mov_b32_e32 v2, 0
	v_cmp_ne_u16_sdwa s[8:9], v9, v2 src0_sel:BYTE_3 src1_sel:DWORD
	s_andn2_b64 s[4:5], s[4:5], exec
	s_and_b64 s[8:9], s[8:9], exec
	s_or_b64 s[4:5], s[4:5], s[8:9]
	s_or_b64 exec, exec, s[6:7]
	s_and_saveexec_b64 s[6:7], s[4:5]
	s_cbranch_execz .LBB2_32573
; %bb.57979:
	s_getpc_b64 s[14:15]
.Lpost_getpc32573:
	s_add_u32 s14, s14, (.LBB2_7803-.Lpost_getpc32573)&4294967295
	s_addc_u32 s15, s15, (.LBB2_7803-.Lpost_getpc32573)>>32
	s_setpc_b64 s[14:15]
.LBB2_32573:
	s_getpc_b64 s[14:15]
.Lpost_getpc19870:
	s_add_u32 s14, s14, (.LBB2_7804-.Lpost_getpc19870)&4294967295
	s_addc_u32 s15, s15, (.LBB2_7804-.Lpost_getpc19870)>>32
	s_setpc_b64 s[14:15]
.LBB2_22141:
	s_movk_i32 s4, 0x80
	v_cmp_eq_u16_sdwa s[12:13], v5, s4 src0_sel:BYTE_3 src1_sel:DWORD
	s_mov_b64 s[4:5], -1
                                        ; implicit-def: $sgpr10
	s_and_saveexec_b64 s[8:9], s[12:13]
; %bb.22142:
	s_mov_b32 s10, 0x7f800001
	s_xor_b64 s[4:5], exec, -1
; %bb.22143:
	s_or_b64 exec, exec, s[8:9]
	s_and_b64 s[4:5], s[4:5], exec
	s_or_saveexec_b64 s[6:7], s[6:7]
	v_mov_b32_e32 v3, s10
	s_xor_b64 exec, exec, s[6:7]
	s_cbranch_execnz .LBB2_22144
; %bb.57981:
	s_getpc_b64 s[14:15]
.Lpost_getpc32574:
	s_add_u32 s14, s14, (.LBB2_7806-.Lpost_getpc32574)&4294967295
	s_addc_u32 s15, s15, (.LBB2_7806-.Lpost_getpc32574)>>32
	s_setpc_b64 s[14:15]
.LBB2_22144:
	v_mov_b32_e32 v3, 0
	v_cmp_ne_u16_sdwa s[8:9], v5, v3 src0_sel:BYTE_3 src1_sel:DWORD
	s_andn2_b64 s[4:5], s[4:5], exec
	s_and_b64 s[8:9], s[8:9], exec
	s_or_b64 s[4:5], s[4:5], s[8:9]
	s_or_b64 exec, exec, s[6:7]
	s_and_saveexec_b64 s[6:7], s[4:5]
	s_cbranch_execz .LBB2_32575
; %bb.57983:
	s_getpc_b64 s[14:15]
.Lpost_getpc32575:
	s_add_u32 s14, s14, (.LBB2_7807-.Lpost_getpc32575)&4294967295
	s_addc_u32 s15, s15, (.LBB2_7807-.Lpost_getpc32575)>>32
	s_setpc_b64 s[14:15]
.LBB2_32575:
	s_getpc_b64 s[14:15]
.Lpost_getpc19871:
	s_add_u32 s14, s14, (.LBB2_7808-.Lpost_getpc19871)&4294967295
	s_addc_u32 s15, s15, (.LBB2_7808-.Lpost_getpc19871)>>32
	s_setpc_b64 s[14:15]
.LBB2_22145:
	s_movk_i32 s4, 0x80
	v_cmp_eq_u16_sdwa s[12:13], v6, s4 src0_sel:BYTE_0 src1_sel:DWORD
	s_mov_b64 s[4:5], -1
                                        ; implicit-def: $sgpr10
	s_and_saveexec_b64 s[8:9], s[12:13]
; %bb.22146:
	s_mov_b32 s10, 0x7f800001
	s_xor_b64 s[4:5], exec, -1
; %bb.22147:
	s_or_b64 exec, exec, s[8:9]
	s_and_b64 s[4:5], s[4:5], exec
	s_or_saveexec_b64 s[6:7], s[6:7]
	v_mov_b32_e32 v12, s10
	s_xor_b64 exec, exec, s[6:7]
	s_cbranch_execnz .LBB2_22148
; %bb.57985:
	s_getpc_b64 s[14:15]
.Lpost_getpc32576:
	s_add_u32 s14, s14, (.LBB2_7810-.Lpost_getpc32576)&4294967295
	s_addc_u32 s15, s15, (.LBB2_7810-.Lpost_getpc32576)>>32
	s_setpc_b64 s[14:15]
.LBB2_22148:
	v_mov_b32_e32 v12, 0
	v_cmp_ne_u16_sdwa s[8:9], v6, v12 src0_sel:BYTE_0 src1_sel:DWORD
	s_andn2_b64 s[4:5], s[4:5], exec
	s_and_b64 s[8:9], s[8:9], exec
	s_or_b64 s[4:5], s[4:5], s[8:9]
	s_or_b64 exec, exec, s[6:7]
	s_and_saveexec_b64 s[6:7], s[4:5]
	s_cbranch_execz .LBB2_32577
; %bb.57987:
	s_getpc_b64 s[14:15]
.Lpost_getpc32577:
	s_add_u32 s14, s14, (.LBB2_7811-.Lpost_getpc32577)&4294967295
	s_addc_u32 s15, s15, (.LBB2_7811-.Lpost_getpc32577)>>32
	s_setpc_b64 s[14:15]
.LBB2_32577:
	s_getpc_b64 s[14:15]
.Lpost_getpc19872:
	s_add_u32 s14, s14, (.LBB2_7812-.Lpost_getpc19872)&4294967295
	s_addc_u32 s15, s15, (.LBB2_7812-.Lpost_getpc19872)>>32
	s_setpc_b64 s[14:15]
.LBB2_22149:
	s_movk_i32 s4, 0x80
	v_cmp_eq_u16_sdwa s[12:13], v2, s4 src0_sel:BYTE_0 src1_sel:DWORD
	s_mov_b64 s[4:5], -1
                                        ; implicit-def: $sgpr10
	s_and_saveexec_b64 s[8:9], s[12:13]
; %bb.22150:
	s_mov_b32 s10, 0x7f800001
	s_xor_b64 s[4:5], exec, -1
; %bb.22151:
	s_or_b64 exec, exec, s[8:9]
	s_and_b64 s[4:5], s[4:5], exec
	s_or_saveexec_b64 s[6:7], s[6:7]
	v_mov_b32_e32 v13, s10
	s_xor_b64 exec, exec, s[6:7]
	s_cbranch_execnz .LBB2_22152
; %bb.57989:
	s_getpc_b64 s[14:15]
.Lpost_getpc32578:
	s_add_u32 s14, s14, (.LBB2_7814-.Lpost_getpc32578)&4294967295
	s_addc_u32 s15, s15, (.LBB2_7814-.Lpost_getpc32578)>>32
	s_setpc_b64 s[14:15]
.LBB2_22152:
	v_mov_b32_e32 v13, 0
	v_cmp_ne_u16_sdwa s[8:9], v2, v13 src0_sel:BYTE_0 src1_sel:DWORD
	s_andn2_b64 s[4:5], s[4:5], exec
	s_and_b64 s[8:9], s[8:9], exec
	s_or_b64 s[4:5], s[4:5], s[8:9]
	s_or_b64 exec, exec, s[6:7]
	s_and_saveexec_b64 s[6:7], s[4:5]
	s_cbranch_execz .LBB2_32579
; %bb.57991:
	s_getpc_b64 s[14:15]
.Lpost_getpc32579:
	s_add_u32 s14, s14, (.LBB2_7815-.Lpost_getpc32579)&4294967295
	s_addc_u32 s15, s15, (.LBB2_7815-.Lpost_getpc32579)>>32
	s_setpc_b64 s[14:15]
.LBB2_32579:
	s_getpc_b64 s[14:15]
.Lpost_getpc19873:
	s_add_u32 s14, s14, (.LBB2_7816-.Lpost_getpc19873)&4294967295
	s_addc_u32 s15, s15, (.LBB2_7816-.Lpost_getpc19873)>>32
	s_setpc_b64 s[14:15]
.LBB2_22153:
	s_movk_i32 s4, 0x80
	v_cmp_eq_u16_sdwa s[12:13], v13, s4 src0_sel:BYTE_0 src1_sel:DWORD
	s_mov_b64 s[4:5], -1
                                        ; implicit-def: $sgpr10
	s_and_saveexec_b64 s[8:9], s[12:13]
; %bb.22154:
	s_mov_b32 s10, 0x7f800001
	s_xor_b64 s[4:5], exec, -1
; %bb.22155:
	s_or_b64 exec, exec, s[8:9]
	s_and_b64 s[4:5], s[4:5], exec
	s_or_saveexec_b64 s[6:7], s[6:7]
	v_mov_b32_e32 v12, s10
	s_xor_b64 exec, exec, s[6:7]
	s_cbranch_execnz .LBB2_22156
; %bb.57993:
	s_getpc_b64 s[14:15]
.Lpost_getpc32580:
	s_add_u32 s14, s14, (.LBB2_7818-.Lpost_getpc32580)&4294967295
	s_addc_u32 s15, s15, (.LBB2_7818-.Lpost_getpc32580)>>32
	s_setpc_b64 s[14:15]
.LBB2_22156:
	v_mov_b32_e32 v12, 0
	v_cmp_ne_u16_sdwa s[8:9], v13, v12 src0_sel:BYTE_0 src1_sel:DWORD
	s_andn2_b64 s[4:5], s[4:5], exec
	s_and_b64 s[8:9], s[8:9], exec
	s_or_b64 s[4:5], s[4:5], s[8:9]
	s_or_b64 exec, exec, s[6:7]
	s_and_saveexec_b64 s[6:7], s[4:5]
	s_cbranch_execz .LBB2_32581
; %bb.57995:
	s_getpc_b64 s[14:15]
.Lpost_getpc32581:
	s_add_u32 s14, s14, (.LBB2_7819-.Lpost_getpc32581)&4294967295
	s_addc_u32 s15, s15, (.LBB2_7819-.Lpost_getpc32581)>>32
	s_setpc_b64 s[14:15]
.LBB2_32581:
	s_getpc_b64 s[14:15]
.Lpost_getpc19874:
	s_add_u32 s14, s14, (.LBB2_7820-.Lpost_getpc19874)&4294967295
	s_addc_u32 s15, s15, (.LBB2_7820-.Lpost_getpc19874)>>32
	s_setpc_b64 s[14:15]
.LBB2_22157:
	s_movk_i32 s4, 0x80
	v_cmp_eq_u16_sdwa s[12:13], v13, s4 src0_sel:BYTE_0 src1_sel:DWORD
	s_mov_b64 s[4:5], -1
                                        ; implicit-def: $sgpr10
	s_and_saveexec_b64 s[8:9], s[12:13]
; %bb.22158:
	s_mov_b32 s10, 0x7f800001
	s_xor_b64 s[4:5], exec, -1
; %bb.22159:
	s_or_b64 exec, exec, s[8:9]
	s_and_b64 s[4:5], s[4:5], exec
	s_or_saveexec_b64 s[6:7], s[6:7]
	v_mov_b32_e32 v14, s10
	s_xor_b64 exec, exec, s[6:7]
	s_cbranch_execnz .LBB2_22160
; %bb.57997:
	s_getpc_b64 s[14:15]
.Lpost_getpc32582:
	s_add_u32 s14, s14, (.LBB2_7822-.Lpost_getpc32582)&4294967295
	s_addc_u32 s15, s15, (.LBB2_7822-.Lpost_getpc32582)>>32
	s_setpc_b64 s[14:15]
.LBB2_22160:
	v_mov_b32_e32 v14, 0
	v_cmp_ne_u16_sdwa s[8:9], v13, v14 src0_sel:BYTE_0 src1_sel:DWORD
	s_andn2_b64 s[4:5], s[4:5], exec
	s_and_b64 s[8:9], s[8:9], exec
	s_or_b64 s[4:5], s[4:5], s[8:9]
	s_or_b64 exec, exec, s[6:7]
	s_and_saveexec_b64 s[6:7], s[4:5]
	s_cbranch_execz .LBB2_32583
; %bb.57999:
	s_getpc_b64 s[14:15]
.Lpost_getpc32583:
	s_add_u32 s14, s14, (.LBB2_7823-.Lpost_getpc32583)&4294967295
	s_addc_u32 s15, s15, (.LBB2_7823-.Lpost_getpc32583)>>32
	s_setpc_b64 s[14:15]
.LBB2_32583:
	s_getpc_b64 s[14:15]
.Lpost_getpc19875:
	s_add_u32 s14, s14, (.LBB2_7824-.Lpost_getpc19875)&4294967295
	s_addc_u32 s15, s15, (.LBB2_7824-.Lpost_getpc19875)>>32
	s_setpc_b64 s[14:15]
.LBB2_22161:
	s_movk_i32 s4, 0x80
	v_cmp_eq_u16_e32 vcc, s4, v13
	s_mov_b64 s[4:5], -1
                                        ; implicit-def: $sgpr10
	s_and_saveexec_b64 s[8:9], vcc
; %bb.22162:
	s_mov_b32 s10, 0x7f800001
	s_xor_b64 s[4:5], exec, -1
; %bb.22163:
	s_or_b64 exec, exec, s[8:9]
	s_and_b64 s[4:5], s[4:5], exec
                                        ; implicit-def: $vgpr13
	s_or_saveexec_b64 s[6:7], s[6:7]
	v_mov_b32_e32 v12, s10
	s_xor_b64 exec, exec, s[6:7]
	s_cbranch_execnz .LBB2_22164
; %bb.58001:
	s_getpc_b64 s[14:15]
.Lpost_getpc32584:
	s_add_u32 s14, s14, (.LBB2_7826-.Lpost_getpc32584)&4294967295
	s_addc_u32 s15, s15, (.LBB2_7826-.Lpost_getpc32584)>>32
	s_setpc_b64 s[14:15]
.LBB2_22164:
	v_cmp_ne_u16_e32 vcc, 0, v13
	s_andn2_b64 s[4:5], s[4:5], exec
	s_and_b64 s[8:9], vcc, exec
	v_mov_b32_e32 v12, 0
	s_or_b64 s[4:5], s[4:5], s[8:9]
	s_or_b64 exec, exec, s[6:7]
	s_and_saveexec_b64 s[6:7], s[4:5]
	s_cbranch_execz .LBB2_32585
; %bb.58003:
	s_getpc_b64 s[14:15]
.Lpost_getpc32585:
	s_add_u32 s14, s14, (.LBB2_7827-.Lpost_getpc32585)&4294967295
	s_addc_u32 s15, s15, (.LBB2_7827-.Lpost_getpc32585)>>32
	s_setpc_b64 s[14:15]
.LBB2_32585:
	s_getpc_b64 s[14:15]
.Lpost_getpc19876:
	s_add_u32 s14, s14, (.LBB2_7828-.Lpost_getpc19876)&4294967295
	s_addc_u32 s15, s15, (.LBB2_7828-.Lpost_getpc19876)>>32
	s_setpc_b64 s[14:15]
.LBB2_22165:
	s_movk_i32 s4, 0x80
	v_cmp_eq_u16_e32 vcc, s4, v13
	s_mov_b64 s[4:5], -1
                                        ; implicit-def: $sgpr10
	s_and_saveexec_b64 s[8:9], vcc
; %bb.22166:
	s_mov_b32 s10, 0x7f800001
	s_xor_b64 s[4:5], exec, -1
; %bb.22167:
	s_or_b64 exec, exec, s[8:9]
	s_and_b64 s[4:5], s[4:5], exec
                                        ; implicit-def: $vgpr13
	s_or_saveexec_b64 s[6:7], s[6:7]
	v_mov_b32_e32 v14, s10
	s_xor_b64 exec, exec, s[6:7]
	s_cbranch_execnz .LBB2_22168
; %bb.58005:
	s_getpc_b64 s[14:15]
.Lpost_getpc32586:
	s_add_u32 s14, s14, (.LBB2_7830-.Lpost_getpc32586)&4294967295
	s_addc_u32 s15, s15, (.LBB2_7830-.Lpost_getpc32586)>>32
	s_setpc_b64 s[14:15]
.LBB2_22168:
	v_cmp_ne_u16_e32 vcc, 0, v13
	s_andn2_b64 s[4:5], s[4:5], exec
	s_and_b64 s[8:9], vcc, exec
	v_mov_b32_e32 v14, 0
	s_or_b64 s[4:5], s[4:5], s[8:9]
	s_or_b64 exec, exec, s[6:7]
	s_and_saveexec_b64 s[6:7], s[4:5]
	s_cbranch_execz .LBB2_32587
; %bb.58007:
	s_getpc_b64 s[14:15]
.Lpost_getpc32587:
	s_add_u32 s14, s14, (.LBB2_7831-.Lpost_getpc32587)&4294967295
	s_addc_u32 s15, s15, (.LBB2_7831-.Lpost_getpc32587)>>32
	s_setpc_b64 s[14:15]
.LBB2_32587:
	s_getpc_b64 s[14:15]
.Lpost_getpc19877:
	s_add_u32 s14, s14, (.LBB2_7832-.Lpost_getpc19877)&4294967295
	s_addc_u32 s15, s15, (.LBB2_7832-.Lpost_getpc19877)>>32
	s_setpc_b64 s[14:15]
.LBB2_22169:
	s_movk_i32 s4, 0x80
	v_cmp_eq_u16_sdwa s[12:13], v6, s4 src0_sel:BYTE_3 src1_sel:DWORD
	s_mov_b64 s[4:5], -1
                                        ; implicit-def: $sgpr10
	s_and_saveexec_b64 s[8:9], s[12:13]
; %bb.22170:
	s_mov_b32 s10, 0x7f800001
	s_xor_b64 s[4:5], exec, -1
; %bb.22171:
	s_or_b64 exec, exec, s[8:9]
	s_and_b64 s[4:5], s[4:5], exec
	s_or_saveexec_b64 s[6:7], s[6:7]
	v_mov_b32_e32 v12, s10
	s_xor_b64 exec, exec, s[6:7]
	s_cbranch_execnz .LBB2_22172
; %bb.58009:
	s_getpc_b64 s[14:15]
.Lpost_getpc32588:
	s_add_u32 s14, s14, (.LBB2_7834-.Lpost_getpc32588)&4294967295
	s_addc_u32 s15, s15, (.LBB2_7834-.Lpost_getpc32588)>>32
	s_setpc_b64 s[14:15]
.LBB2_22172:
	v_mov_b32_e32 v12, 0
	v_cmp_ne_u16_sdwa s[8:9], v6, v12 src0_sel:BYTE_3 src1_sel:DWORD
	s_andn2_b64 s[4:5], s[4:5], exec
	s_and_b64 s[8:9], s[8:9], exec
	s_or_b64 s[4:5], s[4:5], s[8:9]
	s_or_b64 exec, exec, s[6:7]
	s_and_saveexec_b64 s[6:7], s[4:5]
	s_cbranch_execz .LBB2_32589
; %bb.58011:
	s_getpc_b64 s[14:15]
.Lpost_getpc32589:
	s_add_u32 s14, s14, (.LBB2_7835-.Lpost_getpc32589)&4294967295
	s_addc_u32 s15, s15, (.LBB2_7835-.Lpost_getpc32589)>>32
	s_setpc_b64 s[14:15]
.LBB2_32589:
	s_getpc_b64 s[14:15]
.Lpost_getpc19878:
	s_add_u32 s14, s14, (.LBB2_7836-.Lpost_getpc19878)&4294967295
	s_addc_u32 s15, s15, (.LBB2_7836-.Lpost_getpc19878)>>32
	s_setpc_b64 s[14:15]
.LBB2_22173:
	s_movk_i32 s4, 0x80
	v_cmp_eq_u16_sdwa s[12:13], v2, s4 src0_sel:BYTE_3 src1_sel:DWORD
	s_mov_b64 s[4:5], -1
                                        ; implicit-def: $sgpr10
	s_and_saveexec_b64 s[8:9], s[12:13]
; %bb.22174:
	s_mov_b32 s10, 0x7f800001
	s_xor_b64 s[4:5], exec, -1
; %bb.22175:
	s_or_b64 exec, exec, s[8:9]
	s_and_b64 s[4:5], s[4:5], exec
	s_or_saveexec_b64 s[6:7], s[6:7]
	v_mov_b32_e32 v6, s10
	s_xor_b64 exec, exec, s[6:7]
	s_cbranch_execnz .LBB2_22176
; %bb.58013:
	s_getpc_b64 s[14:15]
.Lpost_getpc32590:
	s_add_u32 s14, s14, (.LBB2_7838-.Lpost_getpc32590)&4294967295
	s_addc_u32 s15, s15, (.LBB2_7838-.Lpost_getpc32590)>>32
	s_setpc_b64 s[14:15]
.LBB2_22176:
	v_mov_b32_e32 v6, 0
	v_cmp_ne_u16_sdwa s[8:9], v2, v6 src0_sel:BYTE_3 src1_sel:DWORD
	s_andn2_b64 s[4:5], s[4:5], exec
	s_and_b64 s[8:9], s[8:9], exec
	s_or_b64 s[4:5], s[4:5], s[8:9]
	s_or_b64 exec, exec, s[6:7]
	s_and_saveexec_b64 s[6:7], s[4:5]
	s_cbranch_execz .LBB2_32591
; %bb.58015:
	s_getpc_b64 s[14:15]
.Lpost_getpc32591:
	s_add_u32 s14, s14, (.LBB2_7839-.Lpost_getpc32591)&4294967295
	s_addc_u32 s15, s15, (.LBB2_7839-.Lpost_getpc32591)>>32
	s_setpc_b64 s[14:15]
.LBB2_32591:
	s_getpc_b64 s[14:15]
.Lpost_getpc19879:
	s_add_u32 s14, s14, (.LBB2_7840-.Lpost_getpc19879)&4294967295
	s_addc_u32 s15, s15, (.LBB2_7840-.Lpost_getpc19879)>>32
	s_setpc_b64 s[14:15]
.LBB2_22177:
	s_movk_i32 s4, 0x80
	v_cmp_eq_u16_sdwa s[12:13], v7, s4 src0_sel:BYTE_0 src1_sel:DWORD
	s_mov_b64 s[4:5], -1
                                        ; implicit-def: $sgpr10
	s_and_saveexec_b64 s[8:9], s[12:13]
; %bb.22178:
	s_mov_b32 s10, 0x7f800001
	s_xor_b64 s[4:5], exec, -1
; %bb.22179:
	s_or_b64 exec, exec, s[8:9]
	s_and_b64 s[4:5], s[4:5], exec
	s_or_saveexec_b64 s[6:7], s[6:7]
	v_mov_b32_e32 v2, s10
	s_xor_b64 exec, exec, s[6:7]
	s_cbranch_execnz .LBB2_22180
; %bb.58017:
	s_getpc_b64 s[14:15]
.Lpost_getpc32592:
	s_add_u32 s14, s14, (.LBB2_7842-.Lpost_getpc32592)&4294967295
	s_addc_u32 s15, s15, (.LBB2_7842-.Lpost_getpc32592)>>32
	s_setpc_b64 s[14:15]
.LBB2_22180:
	v_mov_b32_e32 v2, 0
	v_cmp_ne_u16_sdwa s[8:9], v7, v2 src0_sel:BYTE_0 src1_sel:DWORD
	s_andn2_b64 s[4:5], s[4:5], exec
	s_and_b64 s[8:9], s[8:9], exec
	s_or_b64 s[4:5], s[4:5], s[8:9]
	s_or_b64 exec, exec, s[6:7]
	s_and_saveexec_b64 s[6:7], s[4:5]
	s_cbranch_execz .LBB2_32593
; %bb.58019:
	s_getpc_b64 s[14:15]
.Lpost_getpc32593:
	s_add_u32 s14, s14, (.LBB2_7843-.Lpost_getpc32593)&4294967295
	s_addc_u32 s15, s15, (.LBB2_7843-.Lpost_getpc32593)>>32
	s_setpc_b64 s[14:15]
.LBB2_32593:
	s_getpc_b64 s[14:15]
.Lpost_getpc19880:
	s_add_u32 s14, s14, (.LBB2_7844-.Lpost_getpc19880)&4294967295
	s_addc_u32 s15, s15, (.LBB2_7844-.Lpost_getpc19880)>>32
	s_setpc_b64 s[14:15]
.LBB2_22181:
	s_movk_i32 s4, 0x80
	v_cmp_eq_u16_sdwa s[12:13], v3, s4 src0_sel:BYTE_0 src1_sel:DWORD
	s_mov_b64 s[4:5], -1
                                        ; implicit-def: $sgpr10
	s_and_saveexec_b64 s[8:9], s[12:13]
; %bb.22182:
	s_mov_b32 s10, 0x7f800001
	s_xor_b64 s[4:5], exec, -1
; %bb.22183:
	s_or_b64 exec, exec, s[8:9]
	s_and_b64 s[4:5], s[4:5], exec
	s_or_saveexec_b64 s[6:7], s[6:7]
	v_mov_b32_e32 v6, s10
	s_xor_b64 exec, exec, s[6:7]
	s_cbranch_execnz .LBB2_22184
; %bb.58021:
	s_getpc_b64 s[14:15]
.Lpost_getpc32594:
	s_add_u32 s14, s14, (.LBB2_7846-.Lpost_getpc32594)&4294967295
	s_addc_u32 s15, s15, (.LBB2_7846-.Lpost_getpc32594)>>32
	s_setpc_b64 s[14:15]
.LBB2_22184:
	v_mov_b32_e32 v6, 0
	v_cmp_ne_u16_sdwa s[8:9], v3, v6 src0_sel:BYTE_0 src1_sel:DWORD
	s_andn2_b64 s[4:5], s[4:5], exec
	s_and_b64 s[8:9], s[8:9], exec
	s_or_b64 s[4:5], s[4:5], s[8:9]
	s_or_b64 exec, exec, s[6:7]
	s_and_saveexec_b64 s[6:7], s[4:5]
	s_cbranch_execz .LBB2_32595
; %bb.58023:
	s_getpc_b64 s[14:15]
.Lpost_getpc32595:
	s_add_u32 s14, s14, (.LBB2_7847-.Lpost_getpc32595)&4294967295
	s_addc_u32 s15, s15, (.LBB2_7847-.Lpost_getpc32595)>>32
	s_setpc_b64 s[14:15]
.LBB2_32595:
	s_getpc_b64 s[14:15]
.Lpost_getpc19881:
	s_add_u32 s14, s14, (.LBB2_7848-.Lpost_getpc19881)&4294967295
	s_addc_u32 s15, s15, (.LBB2_7848-.Lpost_getpc19881)>>32
	s_setpc_b64 s[14:15]
.LBB2_22185:
	s_movk_i32 s4, 0x80
	v_cmp_eq_u16_sdwa s[12:13], v6, s4 src0_sel:BYTE_0 src1_sel:DWORD
	s_mov_b64 s[4:5], -1
                                        ; implicit-def: $sgpr10
	s_and_saveexec_b64 s[8:9], s[12:13]
; %bb.22186:
	s_mov_b32 s10, 0x7f800001
	s_xor_b64 s[4:5], exec, -1
; %bb.22187:
	s_or_b64 exec, exec, s[8:9]
	s_and_b64 s[4:5], s[4:5], exec
	s_or_saveexec_b64 s[6:7], s[6:7]
	v_mov_b32_e32 v2, s10
	s_xor_b64 exec, exec, s[6:7]
	s_cbranch_execnz .LBB2_22188
; %bb.58025:
	s_getpc_b64 s[14:15]
.Lpost_getpc32596:
	s_add_u32 s14, s14, (.LBB2_7850-.Lpost_getpc32596)&4294967295
	s_addc_u32 s15, s15, (.LBB2_7850-.Lpost_getpc32596)>>32
	s_setpc_b64 s[14:15]
.LBB2_22188:
	v_mov_b32_e32 v2, 0
	v_cmp_ne_u16_sdwa s[8:9], v6, v2 src0_sel:BYTE_0 src1_sel:DWORD
	s_andn2_b64 s[4:5], s[4:5], exec
	s_and_b64 s[8:9], s[8:9], exec
	s_or_b64 s[4:5], s[4:5], s[8:9]
	s_or_b64 exec, exec, s[6:7]
	s_and_saveexec_b64 s[6:7], s[4:5]
	s_cbranch_execz .LBB2_32597
; %bb.58027:
	s_getpc_b64 s[14:15]
.Lpost_getpc32597:
	s_add_u32 s14, s14, (.LBB2_7851-.Lpost_getpc32597)&4294967295
	s_addc_u32 s15, s15, (.LBB2_7851-.Lpost_getpc32597)>>32
	s_setpc_b64 s[14:15]
.LBB2_32597:
	s_getpc_b64 s[14:15]
.Lpost_getpc19882:
	s_add_u32 s14, s14, (.LBB2_7852-.Lpost_getpc19882)&4294967295
	s_addc_u32 s15, s15, (.LBB2_7852-.Lpost_getpc19882)>>32
	s_setpc_b64 s[14:15]
.LBB2_22189:
	s_movk_i32 s4, 0x80
	v_cmp_eq_u16_sdwa s[12:13], v6, s4 src0_sel:BYTE_0 src1_sel:DWORD
	s_mov_b64 s[4:5], -1
                                        ; implicit-def: $sgpr10
	s_and_saveexec_b64 s[8:9], s[12:13]
; %bb.22190:
	s_mov_b32 s10, 0x7f800001
	s_xor_b64 s[4:5], exec, -1
; %bb.22191:
	s_or_b64 exec, exec, s[8:9]
	s_and_b64 s[4:5], s[4:5], exec
	s_or_saveexec_b64 s[6:7], s[6:7]
	v_mov_b32_e32 v12, s10
	s_xor_b64 exec, exec, s[6:7]
	s_cbranch_execnz .LBB2_22192
; %bb.58029:
	s_getpc_b64 s[14:15]
.Lpost_getpc32598:
	s_add_u32 s14, s14, (.LBB2_7854-.Lpost_getpc32598)&4294967295
	s_addc_u32 s15, s15, (.LBB2_7854-.Lpost_getpc32598)>>32
	s_setpc_b64 s[14:15]
.LBB2_22192:
	v_mov_b32_e32 v12, 0
	v_cmp_ne_u16_sdwa s[8:9], v6, v12 src0_sel:BYTE_0 src1_sel:DWORD
	s_andn2_b64 s[4:5], s[4:5], exec
	s_and_b64 s[8:9], s[8:9], exec
	s_or_b64 s[4:5], s[4:5], s[8:9]
	s_or_b64 exec, exec, s[6:7]
	s_and_saveexec_b64 s[6:7], s[4:5]
	s_cbranch_execz .LBB2_32599
; %bb.58031:
	s_getpc_b64 s[14:15]
.Lpost_getpc32599:
	s_add_u32 s14, s14, (.LBB2_7855-.Lpost_getpc32599)&4294967295
	s_addc_u32 s15, s15, (.LBB2_7855-.Lpost_getpc32599)>>32
	s_setpc_b64 s[14:15]
.LBB2_32599:
	s_getpc_b64 s[14:15]
.Lpost_getpc19883:
	s_add_u32 s14, s14, (.LBB2_7856-.Lpost_getpc19883)&4294967295
	s_addc_u32 s15, s15, (.LBB2_7856-.Lpost_getpc19883)>>32
	s_setpc_b64 s[14:15]
.LBB2_22193:
	s_movk_i32 s4, 0x80
	v_cmp_eq_u16_e32 vcc, s4, v6
	s_mov_b64 s[4:5], -1
                                        ; implicit-def: $sgpr10
	s_and_saveexec_b64 s[8:9], vcc
; %bb.22194:
	s_mov_b32 s10, 0x7f800001
	s_xor_b64 s[4:5], exec, -1
; %bb.22195:
	s_or_b64 exec, exec, s[8:9]
	s_and_b64 s[4:5], s[4:5], exec
                                        ; implicit-def: $vgpr6
	s_or_saveexec_b64 s[6:7], s[6:7]
	v_mov_b32_e32 v2, s10
	s_xor_b64 exec, exec, s[6:7]
	s_cbranch_execnz .LBB2_22196
; %bb.58033:
	s_getpc_b64 s[14:15]
.Lpost_getpc32600:
	s_add_u32 s14, s14, (.LBB2_7858-.Lpost_getpc32600)&4294967295
	s_addc_u32 s15, s15, (.LBB2_7858-.Lpost_getpc32600)>>32
	s_setpc_b64 s[14:15]
.LBB2_22196:
	v_cmp_ne_u16_e32 vcc, 0, v6
	s_andn2_b64 s[4:5], s[4:5], exec
	s_and_b64 s[8:9], vcc, exec
	v_mov_b32_e32 v2, 0
	s_or_b64 s[4:5], s[4:5], s[8:9]
	s_or_b64 exec, exec, s[6:7]
	s_and_saveexec_b64 s[6:7], s[4:5]
	s_cbranch_execz .LBB2_32601
; %bb.58035:
	s_getpc_b64 s[14:15]
.Lpost_getpc32601:
	s_add_u32 s14, s14, (.LBB2_7859-.Lpost_getpc32601)&4294967295
	s_addc_u32 s15, s15, (.LBB2_7859-.Lpost_getpc32601)>>32
	s_setpc_b64 s[14:15]
.LBB2_32601:
	s_getpc_b64 s[14:15]
.Lpost_getpc19884:
	s_add_u32 s14, s14, (.LBB2_7860-.Lpost_getpc19884)&4294967295
	s_addc_u32 s15, s15, (.LBB2_7860-.Lpost_getpc19884)>>32
	s_setpc_b64 s[14:15]
.LBB2_22197:
	s_movk_i32 s4, 0x80
	v_cmp_eq_u16_e32 vcc, s4, v6
	s_mov_b64 s[4:5], -1
                                        ; implicit-def: $sgpr10
	s_and_saveexec_b64 s[8:9], vcc
; %bb.22198:
	s_mov_b32 s10, 0x7f800001
	s_xor_b64 s[4:5], exec, -1
; %bb.22199:
	s_or_b64 exec, exec, s[8:9]
	s_and_b64 s[4:5], s[4:5], exec
                                        ; implicit-def: $vgpr6
	s_or_saveexec_b64 s[6:7], s[6:7]
	v_mov_b32_e32 v12, s10
	s_xor_b64 exec, exec, s[6:7]
	s_cbranch_execnz .LBB2_22200
; %bb.58037:
	s_getpc_b64 s[14:15]
.Lpost_getpc32602:
	s_add_u32 s14, s14, (.LBB2_7862-.Lpost_getpc32602)&4294967295
	s_addc_u32 s15, s15, (.LBB2_7862-.Lpost_getpc32602)>>32
	s_setpc_b64 s[14:15]
.LBB2_22200:
	v_cmp_ne_u16_e32 vcc, 0, v6
	s_andn2_b64 s[4:5], s[4:5], exec
	s_and_b64 s[8:9], vcc, exec
	v_mov_b32_e32 v12, 0
	s_or_b64 s[4:5], s[4:5], s[8:9]
	s_or_b64 exec, exec, s[6:7]
	s_and_saveexec_b64 s[6:7], s[4:5]
	s_cbranch_execz .LBB2_32603
; %bb.58039:
	s_getpc_b64 s[14:15]
.Lpost_getpc32603:
	s_add_u32 s14, s14, (.LBB2_7863-.Lpost_getpc32603)&4294967295
	s_addc_u32 s15, s15, (.LBB2_7863-.Lpost_getpc32603)>>32
	s_setpc_b64 s[14:15]
.LBB2_32603:
	s_getpc_b64 s[14:15]
.Lpost_getpc19885:
	s_add_u32 s14, s14, (.LBB2_7864-.Lpost_getpc19885)&4294967295
	s_addc_u32 s15, s15, (.LBB2_7864-.Lpost_getpc19885)>>32
	s_setpc_b64 s[14:15]
.LBB2_22201:
	s_movk_i32 s4, 0x80
	v_cmp_eq_u16_sdwa s[12:13], v7, s4 src0_sel:BYTE_3 src1_sel:DWORD
	s_mov_b64 s[4:5], -1
                                        ; implicit-def: $sgpr10
	s_and_saveexec_b64 s[8:9], s[12:13]
; %bb.22202:
	s_mov_b32 s10, 0x7f800001
	s_xor_b64 s[4:5], exec, -1
; %bb.22203:
	s_or_b64 exec, exec, s[8:9]
	s_and_b64 s[4:5], s[4:5], exec
	s_or_saveexec_b64 s[6:7], s[6:7]
	v_mov_b32_e32 v2, s10
	s_xor_b64 exec, exec, s[6:7]
	s_cbranch_execnz .LBB2_22204
; %bb.58041:
	s_getpc_b64 s[14:15]
.Lpost_getpc32604:
	s_add_u32 s14, s14, (.LBB2_7866-.Lpost_getpc32604)&4294967295
	s_addc_u32 s15, s15, (.LBB2_7866-.Lpost_getpc32604)>>32
	s_setpc_b64 s[14:15]
.LBB2_22204:
	v_mov_b32_e32 v2, 0
	v_cmp_ne_u16_sdwa s[8:9], v7, v2 src0_sel:BYTE_3 src1_sel:DWORD
	s_andn2_b64 s[4:5], s[4:5], exec
	s_and_b64 s[8:9], s[8:9], exec
	s_or_b64 s[4:5], s[4:5], s[8:9]
	s_or_b64 exec, exec, s[6:7]
	s_and_saveexec_b64 s[6:7], s[4:5]
	s_cbranch_execz .LBB2_32605
; %bb.58043:
	s_getpc_b64 s[14:15]
.Lpost_getpc32605:
	s_add_u32 s14, s14, (.LBB2_7867-.Lpost_getpc32605)&4294967295
	s_addc_u32 s15, s15, (.LBB2_7867-.Lpost_getpc32605)>>32
	s_setpc_b64 s[14:15]
.LBB2_32605:
	s_getpc_b64 s[14:15]
.Lpost_getpc19886:
	s_add_u32 s14, s14, (.LBB2_7868-.Lpost_getpc19886)&4294967295
	s_addc_u32 s15, s15, (.LBB2_7868-.Lpost_getpc19886)>>32
	s_setpc_b64 s[14:15]
.LBB2_22205:
	s_movk_i32 s4, 0x80
	v_cmp_eq_u16_sdwa s[12:13], v3, s4 src0_sel:BYTE_3 src1_sel:DWORD
	s_mov_b64 s[4:5], -1
                                        ; implicit-def: $sgpr10
	s_and_saveexec_b64 s[8:9], s[12:13]
; %bb.22206:
	s_mov_b32 s10, 0x7f800001
	s_xor_b64 s[4:5], exec, -1
; %bb.22207:
	s_or_b64 exec, exec, s[8:9]
	s_and_b64 s[4:5], s[4:5], exec
	s_or_saveexec_b64 s[6:7], s[6:7]
	v_mov_b32_e32 v6, s10
	s_xor_b64 exec, exec, s[6:7]
	s_cbranch_execnz .LBB2_22208
; %bb.58045:
	s_getpc_b64 s[14:15]
.Lpost_getpc32606:
	s_add_u32 s14, s14, (.LBB2_7870-.Lpost_getpc32606)&4294967295
	s_addc_u32 s15, s15, (.LBB2_7870-.Lpost_getpc32606)>>32
	s_setpc_b64 s[14:15]
.LBB2_22208:
	v_mov_b32_e32 v6, 0
	v_cmp_ne_u16_sdwa s[8:9], v3, v6 src0_sel:BYTE_3 src1_sel:DWORD
	s_andn2_b64 s[4:5], s[4:5], exec
	s_and_b64 s[8:9], s[8:9], exec
	s_or_b64 s[4:5], s[4:5], s[8:9]
	s_or_b64 exec, exec, s[6:7]
	s_and_saveexec_b64 s[6:7], s[4:5]
	s_cbranch_execz .LBB2_32607
; %bb.58047:
	s_getpc_b64 s[14:15]
.Lpost_getpc32607:
	s_add_u32 s14, s14, (.LBB2_7871-.Lpost_getpc32607)&4294967295
	s_addc_u32 s15, s15, (.LBB2_7871-.Lpost_getpc32607)>>32
	s_setpc_b64 s[14:15]
.LBB2_32607:
	s_getpc_b64 s[14:15]
.Lpost_getpc19887:
	s_add_u32 s14, s14, (.LBB2_7872-.Lpost_getpc19887)&4294967295
	s_addc_u32 s15, s15, (.LBB2_7872-.Lpost_getpc19887)>>32
	s_setpc_b64 s[14:15]
.LBB2_22209:
	s_movk_i32 s4, 0x80
	v_cmp_eq_u16_sdwa s[12:13], v8, s4 src0_sel:BYTE_0 src1_sel:DWORD
	s_mov_b64 s[4:5], -1
                                        ; implicit-def: $sgpr10
	s_and_saveexec_b64 s[8:9], s[12:13]
; %bb.22210:
	s_mov_b32 s10, 0x7f800001
	s_xor_b64 s[4:5], exec, -1
; %bb.22211:
	s_or_b64 exec, exec, s[8:9]
	s_and_b64 s[4:5], s[4:5], exec
	s_or_saveexec_b64 s[6:7], s[6:7]
	v_mov_b32_e32 v2, s10
	s_xor_b64 exec, exec, s[6:7]
	s_cbranch_execnz .LBB2_22212
; %bb.58049:
	s_getpc_b64 s[14:15]
.Lpost_getpc32608:
	s_add_u32 s14, s14, (.LBB2_7874-.Lpost_getpc32608)&4294967295
	s_addc_u32 s15, s15, (.LBB2_7874-.Lpost_getpc32608)>>32
	s_setpc_b64 s[14:15]
.LBB2_22212:
	v_mov_b32_e32 v2, 0
	v_cmp_ne_u16_sdwa s[8:9], v8, v2 src0_sel:BYTE_0 src1_sel:DWORD
	s_andn2_b64 s[4:5], s[4:5], exec
	s_and_b64 s[8:9], s[8:9], exec
	s_or_b64 s[4:5], s[4:5], s[8:9]
	s_or_b64 exec, exec, s[6:7]
	s_and_saveexec_b64 s[6:7], s[4:5]
	s_cbranch_execz .LBB2_32609
; %bb.58051:
	s_getpc_b64 s[14:15]
.Lpost_getpc32609:
	s_add_u32 s14, s14, (.LBB2_7875-.Lpost_getpc32609)&4294967295
	s_addc_u32 s15, s15, (.LBB2_7875-.Lpost_getpc32609)>>32
	s_setpc_b64 s[14:15]
.LBB2_32609:
	s_getpc_b64 s[14:15]
.Lpost_getpc19888:
	s_add_u32 s14, s14, (.LBB2_7876-.Lpost_getpc19888)&4294967295
	s_addc_u32 s15, s15, (.LBB2_7876-.Lpost_getpc19888)>>32
	s_setpc_b64 s[14:15]
.LBB2_22213:
	s_movk_i32 s4, 0x80
	v_cmp_eq_u16_sdwa s[12:13], v4, s4 src0_sel:BYTE_0 src1_sel:DWORD
	s_mov_b64 s[4:5], -1
                                        ; implicit-def: $sgpr10
	s_and_saveexec_b64 s[8:9], s[12:13]
; %bb.22214:
	s_mov_b32 s10, 0x7f800001
	s_xor_b64 s[4:5], exec, -1
; %bb.22215:
	s_or_b64 exec, exec, s[8:9]
	s_and_b64 s[4:5], s[4:5], exec
	s_or_saveexec_b64 s[6:7], s[6:7]
	v_mov_b32_e32 v3, s10
	s_xor_b64 exec, exec, s[6:7]
	s_cbranch_execnz .LBB2_22216
; %bb.58053:
	s_getpc_b64 s[14:15]
.Lpost_getpc32610:
	s_add_u32 s14, s14, (.LBB2_7878-.Lpost_getpc32610)&4294967295
	s_addc_u32 s15, s15, (.LBB2_7878-.Lpost_getpc32610)>>32
	s_setpc_b64 s[14:15]
.LBB2_22216:
	v_mov_b32_e32 v3, 0
	v_cmp_ne_u16_sdwa s[8:9], v4, v3 src0_sel:BYTE_0 src1_sel:DWORD
	s_andn2_b64 s[4:5], s[4:5], exec
	s_and_b64 s[8:9], s[8:9], exec
	s_or_b64 s[4:5], s[4:5], s[8:9]
	s_or_b64 exec, exec, s[6:7]
	s_and_saveexec_b64 s[6:7], s[4:5]
	s_cbranch_execz .LBB2_32611
; %bb.58055:
	s_getpc_b64 s[14:15]
.Lpost_getpc32611:
	s_add_u32 s14, s14, (.LBB2_7879-.Lpost_getpc32611)&4294967295
	s_addc_u32 s15, s15, (.LBB2_7879-.Lpost_getpc32611)>>32
	s_setpc_b64 s[14:15]
.LBB2_32611:
	s_getpc_b64 s[14:15]
.Lpost_getpc19889:
	s_add_u32 s14, s14, (.LBB2_7880-.Lpost_getpc19889)&4294967295
	s_addc_u32 s15, s15, (.LBB2_7880-.Lpost_getpc19889)>>32
	s_setpc_b64 s[14:15]
.LBB2_22217:
	s_movk_i32 s4, 0x80
	v_cmp_eq_u16_sdwa s[12:13], v3, s4 src0_sel:BYTE_0 src1_sel:DWORD
	s_mov_b64 s[4:5], -1
                                        ; implicit-def: $sgpr10
	s_and_saveexec_b64 s[8:9], s[12:13]
; %bb.22218:
	s_mov_b32 s10, 0x7f800001
	s_xor_b64 s[4:5], exec, -1
; %bb.22219:
	s_or_b64 exec, exec, s[8:9]
	s_and_b64 s[4:5], s[4:5], exec
	s_or_saveexec_b64 s[6:7], s[6:7]
	v_mov_b32_e32 v2, s10
	s_xor_b64 exec, exec, s[6:7]
	s_cbranch_execnz .LBB2_22220
; %bb.58057:
	s_getpc_b64 s[14:15]
.Lpost_getpc32612:
	s_add_u32 s14, s14, (.LBB2_7882-.Lpost_getpc32612)&4294967295
	s_addc_u32 s15, s15, (.LBB2_7882-.Lpost_getpc32612)>>32
	s_setpc_b64 s[14:15]
.LBB2_22220:
	v_mov_b32_e32 v2, 0
	v_cmp_ne_u16_sdwa s[8:9], v3, v2 src0_sel:BYTE_0 src1_sel:DWORD
	s_andn2_b64 s[4:5], s[4:5], exec
	s_and_b64 s[8:9], s[8:9], exec
	s_or_b64 s[4:5], s[4:5], s[8:9]
	s_or_b64 exec, exec, s[6:7]
	s_and_saveexec_b64 s[6:7], s[4:5]
	s_cbranch_execz .LBB2_32613
; %bb.58059:
	s_getpc_b64 s[14:15]
.Lpost_getpc32613:
	s_add_u32 s14, s14, (.LBB2_7883-.Lpost_getpc32613)&4294967295
	s_addc_u32 s15, s15, (.LBB2_7883-.Lpost_getpc32613)>>32
	s_setpc_b64 s[14:15]
.LBB2_32613:
	s_getpc_b64 s[14:15]
.Lpost_getpc19890:
	s_add_u32 s14, s14, (.LBB2_7884-.Lpost_getpc19890)&4294967295
	s_addc_u32 s15, s15, (.LBB2_7884-.Lpost_getpc19890)>>32
	s_setpc_b64 s[14:15]
.LBB2_22221:
	s_movk_i32 s4, 0x80
	v_cmp_eq_u16_sdwa s[12:13], v3, s4 src0_sel:BYTE_0 src1_sel:DWORD
	s_mov_b64 s[4:5], -1
                                        ; implicit-def: $sgpr10
	s_and_saveexec_b64 s[8:9], s[12:13]
; %bb.22222:
	s_mov_b32 s10, 0x7f800001
	s_xor_b64 s[4:5], exec, -1
; %bb.22223:
	s_or_b64 exec, exec, s[8:9]
	s_and_b64 s[4:5], s[4:5], exec
	s_or_saveexec_b64 s[6:7], s[6:7]
	v_mov_b32_e32 v6, s10
	s_xor_b64 exec, exec, s[6:7]
	s_cbranch_execnz .LBB2_22224
; %bb.58061:
	s_getpc_b64 s[14:15]
.Lpost_getpc32614:
	s_add_u32 s14, s14, (.LBB2_7886-.Lpost_getpc32614)&4294967295
	s_addc_u32 s15, s15, (.LBB2_7886-.Lpost_getpc32614)>>32
	s_setpc_b64 s[14:15]
.LBB2_22224:
	v_mov_b32_e32 v6, 0
	v_cmp_ne_u16_sdwa s[8:9], v3, v6 src0_sel:BYTE_0 src1_sel:DWORD
	s_andn2_b64 s[4:5], s[4:5], exec
	s_and_b64 s[8:9], s[8:9], exec
	s_or_b64 s[4:5], s[4:5], s[8:9]
	s_or_b64 exec, exec, s[6:7]
	s_and_saveexec_b64 s[6:7], s[4:5]
	s_cbranch_execz .LBB2_32615
; %bb.58063:
	s_getpc_b64 s[14:15]
.Lpost_getpc32615:
	s_add_u32 s14, s14, (.LBB2_7887-.Lpost_getpc32615)&4294967295
	s_addc_u32 s15, s15, (.LBB2_7887-.Lpost_getpc32615)>>32
	s_setpc_b64 s[14:15]
.LBB2_32615:
	s_getpc_b64 s[14:15]
.Lpost_getpc19891:
	s_add_u32 s14, s14, (.LBB2_7888-.Lpost_getpc19891)&4294967295
	s_addc_u32 s15, s15, (.LBB2_7888-.Lpost_getpc19891)>>32
	s_setpc_b64 s[14:15]
.LBB2_22225:
	s_movk_i32 s4, 0x80
	v_cmp_eq_u16_e32 vcc, s4, v3
	s_mov_b64 s[4:5], -1
                                        ; implicit-def: $sgpr10
	s_and_saveexec_b64 s[8:9], vcc
; %bb.22226:
	s_mov_b32 s10, 0x7f800001
	s_xor_b64 s[4:5], exec, -1
; %bb.22227:
	s_or_b64 exec, exec, s[8:9]
	s_and_b64 s[4:5], s[4:5], exec
                                        ; implicit-def: $vgpr3
	s_or_saveexec_b64 s[6:7], s[6:7]
	v_mov_b32_e32 v2, s10
	s_xor_b64 exec, exec, s[6:7]
	s_cbranch_execnz .LBB2_22228
; %bb.58065:
	s_getpc_b64 s[14:15]
.Lpost_getpc32616:
	s_add_u32 s14, s14, (.LBB2_7890-.Lpost_getpc32616)&4294967295
	s_addc_u32 s15, s15, (.LBB2_7890-.Lpost_getpc32616)>>32
	s_setpc_b64 s[14:15]
.LBB2_22228:
	v_cmp_ne_u16_e32 vcc, 0, v3
	s_andn2_b64 s[4:5], s[4:5], exec
	s_and_b64 s[8:9], vcc, exec
	v_mov_b32_e32 v2, 0
	s_or_b64 s[4:5], s[4:5], s[8:9]
	s_or_b64 exec, exec, s[6:7]
	s_and_saveexec_b64 s[6:7], s[4:5]
	s_cbranch_execz .LBB2_32617
; %bb.58067:
	s_getpc_b64 s[14:15]
.Lpost_getpc32617:
	s_add_u32 s14, s14, (.LBB2_7891-.Lpost_getpc32617)&4294967295
	s_addc_u32 s15, s15, (.LBB2_7891-.Lpost_getpc32617)>>32
	s_setpc_b64 s[14:15]
.LBB2_32617:
	s_getpc_b64 s[14:15]
.Lpost_getpc19892:
	s_add_u32 s14, s14, (.LBB2_7892-.Lpost_getpc19892)&4294967295
	s_addc_u32 s15, s15, (.LBB2_7892-.Lpost_getpc19892)>>32
	s_setpc_b64 s[14:15]
.LBB2_22229:
	s_movk_i32 s4, 0x80
	v_cmp_eq_u16_e32 vcc, s4, v3
	s_mov_b64 s[4:5], -1
                                        ; implicit-def: $sgpr10
	s_and_saveexec_b64 s[8:9], vcc
; %bb.22230:
	s_mov_b32 s10, 0x7f800001
	s_xor_b64 s[4:5], exec, -1
; %bb.22231:
	s_or_b64 exec, exec, s[8:9]
	s_and_b64 s[4:5], s[4:5], exec
                                        ; implicit-def: $vgpr3
	s_or_saveexec_b64 s[6:7], s[6:7]
	v_mov_b32_e32 v6, s10
	s_xor_b64 exec, exec, s[6:7]
	s_cbranch_execnz .LBB2_22232
; %bb.58069:
	s_getpc_b64 s[14:15]
.Lpost_getpc32618:
	s_add_u32 s14, s14, (.LBB2_7894-.Lpost_getpc32618)&4294967295
	s_addc_u32 s15, s15, (.LBB2_7894-.Lpost_getpc32618)>>32
	s_setpc_b64 s[14:15]
.LBB2_22232:
	v_cmp_ne_u16_e32 vcc, 0, v3
	s_andn2_b64 s[4:5], s[4:5], exec
	s_and_b64 s[8:9], vcc, exec
	v_mov_b32_e32 v6, 0
	s_or_b64 s[4:5], s[4:5], s[8:9]
	s_or_b64 exec, exec, s[6:7]
	s_and_saveexec_b64 s[6:7], s[4:5]
	s_cbranch_execz .LBB2_32619
; %bb.58071:
	s_getpc_b64 s[14:15]
.Lpost_getpc32619:
	s_add_u32 s14, s14, (.LBB2_7895-.Lpost_getpc32619)&4294967295
	s_addc_u32 s15, s15, (.LBB2_7895-.Lpost_getpc32619)>>32
	s_setpc_b64 s[14:15]
.LBB2_32619:
	s_getpc_b64 s[14:15]
.Lpost_getpc19893:
	s_add_u32 s14, s14, (.LBB2_7896-.Lpost_getpc19893)&4294967295
	s_addc_u32 s15, s15, (.LBB2_7896-.Lpost_getpc19893)>>32
	s_setpc_b64 s[14:15]
.LBB2_22233:
	s_movk_i32 s4, 0x80
	v_cmp_eq_u16_sdwa s[12:13], v8, s4 src0_sel:BYTE_3 src1_sel:DWORD
	s_mov_b64 s[4:5], -1
                                        ; implicit-def: $sgpr10
	s_and_saveexec_b64 s[8:9], s[12:13]
; %bb.22234:
	s_mov_b32 s10, 0x7f800001
	s_xor_b64 s[4:5], exec, -1
; %bb.22235:
	s_or_b64 exec, exec, s[8:9]
	s_and_b64 s[4:5], s[4:5], exec
	s_or_saveexec_b64 s[6:7], s[6:7]
	v_mov_b32_e32 v2, s10
	s_xor_b64 exec, exec, s[6:7]
	s_cbranch_execnz .LBB2_22236
; %bb.58073:
	s_getpc_b64 s[14:15]
.Lpost_getpc32620:
	s_add_u32 s14, s14, (.LBB2_7898-.Lpost_getpc32620)&4294967295
	s_addc_u32 s15, s15, (.LBB2_7898-.Lpost_getpc32620)>>32
	s_setpc_b64 s[14:15]
.LBB2_22236:
	v_mov_b32_e32 v2, 0
	v_cmp_ne_u16_sdwa s[8:9], v8, v2 src0_sel:BYTE_3 src1_sel:DWORD
	s_andn2_b64 s[4:5], s[4:5], exec
	s_and_b64 s[8:9], s[8:9], exec
	s_or_b64 s[4:5], s[4:5], s[8:9]
	s_or_b64 exec, exec, s[6:7]
	s_and_saveexec_b64 s[6:7], s[4:5]
	s_cbranch_execz .LBB2_32621
; %bb.58075:
	s_getpc_b64 s[14:15]
.Lpost_getpc32621:
	s_add_u32 s14, s14, (.LBB2_7899-.Lpost_getpc32621)&4294967295
	s_addc_u32 s15, s15, (.LBB2_7899-.Lpost_getpc32621)>>32
	s_setpc_b64 s[14:15]
.LBB2_32621:
	s_getpc_b64 s[14:15]
.Lpost_getpc19894:
	s_add_u32 s14, s14, (.LBB2_7900-.Lpost_getpc19894)&4294967295
	s_addc_u32 s15, s15, (.LBB2_7900-.Lpost_getpc19894)>>32
	s_setpc_b64 s[14:15]
.LBB2_22237:
	s_movk_i32 s4, 0x80
	v_cmp_eq_u16_sdwa s[12:13], v4, s4 src0_sel:BYTE_3 src1_sel:DWORD
	s_mov_b64 s[4:5], -1
                                        ; implicit-def: $sgpr10
	s_and_saveexec_b64 s[8:9], s[12:13]
; %bb.22238:
	s_mov_b32 s10, 0x7f800001
	s_xor_b64 s[4:5], exec, -1
; %bb.22239:
	s_or_b64 exec, exec, s[8:9]
	s_and_b64 s[4:5], s[4:5], exec
	s_or_saveexec_b64 s[6:7], s[6:7]
	v_mov_b32_e32 v3, s10
	s_xor_b64 exec, exec, s[6:7]
	s_cbranch_execnz .LBB2_22240
; %bb.58077:
	s_getpc_b64 s[14:15]
.Lpost_getpc32622:
	s_add_u32 s14, s14, (.LBB2_7902-.Lpost_getpc32622)&4294967295
	s_addc_u32 s15, s15, (.LBB2_7902-.Lpost_getpc32622)>>32
	s_setpc_b64 s[14:15]
.LBB2_22240:
	v_mov_b32_e32 v3, 0
	v_cmp_ne_u16_sdwa s[8:9], v4, v3 src0_sel:BYTE_3 src1_sel:DWORD
	s_andn2_b64 s[4:5], s[4:5], exec
	s_and_b64 s[8:9], s[8:9], exec
	s_or_b64 s[4:5], s[4:5], s[8:9]
	s_or_b64 exec, exec, s[6:7]
	s_and_saveexec_b64 s[6:7], s[4:5]
	s_cbranch_execz .LBB2_32623
; %bb.58079:
	s_getpc_b64 s[14:15]
.Lpost_getpc32623:
	s_add_u32 s14, s14, (.LBB2_7903-.Lpost_getpc32623)&4294967295
	s_addc_u32 s15, s15, (.LBB2_7903-.Lpost_getpc32623)>>32
	s_setpc_b64 s[14:15]
.LBB2_32623:
	s_getpc_b64 s[14:15]
.Lpost_getpc19895:
	s_add_u32 s14, s14, (.LBB2_7904-.Lpost_getpc19895)&4294967295
	s_addc_u32 s15, s15, (.LBB2_7904-.Lpost_getpc19895)>>32
	s_setpc_b64 s[14:15]
.LBB2_22241:
	s_movk_i32 s4, 0x80
	v_cmp_eq_u16_sdwa s[12:13], v9, s4 src0_sel:BYTE_0 src1_sel:DWORD
	s_mov_b64 s[4:5], -1
                                        ; implicit-def: $sgpr10
	s_and_saveexec_b64 s[8:9], s[12:13]
; %bb.22242:
	s_mov_b32 s10, 0x7f800001
	s_xor_b64 s[4:5], exec, -1
; %bb.22243:
	s_or_b64 exec, exec, s[8:9]
	s_and_b64 s[4:5], s[4:5], exec
	s_or_saveexec_b64 s[6:7], s[6:7]
	v_mov_b32_e32 v2, s10
	s_xor_b64 exec, exec, s[6:7]
	s_cbranch_execnz .LBB2_22244
; %bb.58081:
	s_getpc_b64 s[14:15]
.Lpost_getpc32624:
	s_add_u32 s14, s14, (.LBB2_7906-.Lpost_getpc32624)&4294967295
	s_addc_u32 s15, s15, (.LBB2_7906-.Lpost_getpc32624)>>32
	s_setpc_b64 s[14:15]
.LBB2_22244:
	v_mov_b32_e32 v2, 0
	v_cmp_ne_u16_sdwa s[8:9], v9, v2 src0_sel:BYTE_0 src1_sel:DWORD
	s_andn2_b64 s[4:5], s[4:5], exec
	s_and_b64 s[8:9], s[8:9], exec
	s_or_b64 s[4:5], s[4:5], s[8:9]
	s_or_b64 exec, exec, s[6:7]
	s_and_saveexec_b64 s[6:7], s[4:5]
	s_cbranch_execz .LBB2_32625
; %bb.58083:
	s_getpc_b64 s[14:15]
.Lpost_getpc32625:
	s_add_u32 s14, s14, (.LBB2_7907-.Lpost_getpc32625)&4294967295
	s_addc_u32 s15, s15, (.LBB2_7907-.Lpost_getpc32625)>>32
	s_setpc_b64 s[14:15]
.LBB2_32625:
	s_getpc_b64 s[14:15]
.Lpost_getpc19896:
	s_add_u32 s14, s14, (.LBB2_7908-.Lpost_getpc19896)&4294967295
	s_addc_u32 s15, s15, (.LBB2_7908-.Lpost_getpc19896)>>32
	s_setpc_b64 s[14:15]
.LBB2_22245:
	s_movk_i32 s4, 0x80
	v_cmp_eq_u16_sdwa s[12:13], v5, s4 src0_sel:BYTE_0 src1_sel:DWORD
	s_mov_b64 s[4:5], -1
                                        ; implicit-def: $sgpr10
	s_and_saveexec_b64 s[8:9], s[12:13]
; %bb.22246:
	s_mov_b32 s10, 0x7f800001
	s_xor_b64 s[4:5], exec, -1
; %bb.22247:
	s_or_b64 exec, exec, s[8:9]
	s_and_b64 s[4:5], s[4:5], exec
	s_or_saveexec_b64 s[6:7], s[6:7]
	v_mov_b32_e32 v3, s10
	s_xor_b64 exec, exec, s[6:7]
	s_cbranch_execnz .LBB2_22248
; %bb.58085:
	s_getpc_b64 s[14:15]
.Lpost_getpc32626:
	s_add_u32 s14, s14, (.LBB2_7910-.Lpost_getpc32626)&4294967295
	s_addc_u32 s15, s15, (.LBB2_7910-.Lpost_getpc32626)>>32
	s_setpc_b64 s[14:15]
.LBB2_22248:
	v_mov_b32_e32 v3, 0
	v_cmp_ne_u16_sdwa s[8:9], v5, v3 src0_sel:BYTE_0 src1_sel:DWORD
	s_andn2_b64 s[4:5], s[4:5], exec
	s_and_b64 s[8:9], s[8:9], exec
	s_or_b64 s[4:5], s[4:5], s[8:9]
	s_or_b64 exec, exec, s[6:7]
	s_and_saveexec_b64 s[6:7], s[4:5]
	s_cbranch_execz .LBB2_32627
; %bb.58087:
	s_getpc_b64 s[14:15]
.Lpost_getpc32627:
	s_add_u32 s14, s14, (.LBB2_7911-.Lpost_getpc32627)&4294967295
	s_addc_u32 s15, s15, (.LBB2_7911-.Lpost_getpc32627)>>32
	s_setpc_b64 s[14:15]
.LBB2_32627:
	s_getpc_b64 s[14:15]
.Lpost_getpc19897:
	s_add_u32 s14, s14, (.LBB2_7912-.Lpost_getpc19897)&4294967295
	s_addc_u32 s15, s15, (.LBB2_7912-.Lpost_getpc19897)>>32
	s_setpc_b64 s[14:15]
.LBB2_22249:
	s_movk_i32 s4, 0x80
	v_cmp_eq_u16_sdwa s[12:13], v3, s4 src0_sel:BYTE_0 src1_sel:DWORD
	s_mov_b64 s[4:5], -1
                                        ; implicit-def: $sgpr10
	s_and_saveexec_b64 s[8:9], s[12:13]
; %bb.22250:
	s_mov_b32 s10, 0x7f800001
	s_xor_b64 s[4:5], exec, -1
; %bb.22251:
	s_or_b64 exec, exec, s[8:9]
	s_and_b64 s[4:5], s[4:5], exec
	s_or_saveexec_b64 s[6:7], s[6:7]
	v_mov_b32_e32 v2, s10
	s_xor_b64 exec, exec, s[6:7]
	s_cbranch_execnz .LBB2_22252
; %bb.58089:
	s_getpc_b64 s[14:15]
.Lpost_getpc32628:
	s_add_u32 s14, s14, (.LBB2_7914-.Lpost_getpc32628)&4294967295
	s_addc_u32 s15, s15, (.LBB2_7914-.Lpost_getpc32628)>>32
	s_setpc_b64 s[14:15]
.LBB2_22252:
	v_mov_b32_e32 v2, 0
	v_cmp_ne_u16_sdwa s[8:9], v3, v2 src0_sel:BYTE_0 src1_sel:DWORD
	s_andn2_b64 s[4:5], s[4:5], exec
	s_and_b64 s[8:9], s[8:9], exec
	s_or_b64 s[4:5], s[4:5], s[8:9]
	s_or_b64 exec, exec, s[6:7]
	s_and_saveexec_b64 s[6:7], s[4:5]
	s_cbranch_execz .LBB2_32629
; %bb.58091:
	s_getpc_b64 s[14:15]
.Lpost_getpc32629:
	s_add_u32 s14, s14, (.LBB2_7915-.Lpost_getpc32629)&4294967295
	s_addc_u32 s15, s15, (.LBB2_7915-.Lpost_getpc32629)>>32
	s_setpc_b64 s[14:15]
.LBB2_32629:
	s_getpc_b64 s[14:15]
.Lpost_getpc19898:
	s_add_u32 s14, s14, (.LBB2_7916-.Lpost_getpc19898)&4294967295
	s_addc_u32 s15, s15, (.LBB2_7916-.Lpost_getpc19898)>>32
	s_setpc_b64 s[14:15]
.LBB2_22253:
	s_movk_i32 s4, 0x80
	v_cmp_eq_u16_sdwa s[12:13], v3, s4 src0_sel:BYTE_0 src1_sel:DWORD
	s_mov_b64 s[4:5], -1
                                        ; implicit-def: $sgpr10
	s_and_saveexec_b64 s[8:9], s[12:13]
; %bb.22254:
	s_mov_b32 s10, 0x7f800001
	s_xor_b64 s[4:5], exec, -1
; %bb.22255:
	s_or_b64 exec, exec, s[8:9]
	s_and_b64 s[4:5], s[4:5], exec
	s_or_saveexec_b64 s[6:7], s[6:7]
	v_mov_b32_e32 v4, s10
	s_xor_b64 exec, exec, s[6:7]
	s_cbranch_execnz .LBB2_22256
; %bb.58093:
	s_getpc_b64 s[14:15]
.Lpost_getpc32630:
	s_add_u32 s14, s14, (.LBB2_7918-.Lpost_getpc32630)&4294967295
	s_addc_u32 s15, s15, (.LBB2_7918-.Lpost_getpc32630)>>32
	s_setpc_b64 s[14:15]
.LBB2_22256:
	v_mov_b32_e32 v4, 0
	v_cmp_ne_u16_sdwa s[8:9], v3, v4 src0_sel:BYTE_0 src1_sel:DWORD
	s_andn2_b64 s[4:5], s[4:5], exec
	s_and_b64 s[8:9], s[8:9], exec
	s_or_b64 s[4:5], s[4:5], s[8:9]
	s_or_b64 exec, exec, s[6:7]
	s_and_saveexec_b64 s[6:7], s[4:5]
	s_cbranch_execz .LBB2_32631
; %bb.58095:
	s_getpc_b64 s[14:15]
.Lpost_getpc32631:
	s_add_u32 s14, s14, (.LBB2_7919-.Lpost_getpc32631)&4294967295
	s_addc_u32 s15, s15, (.LBB2_7919-.Lpost_getpc32631)>>32
	s_setpc_b64 s[14:15]
.LBB2_32631:
	s_getpc_b64 s[14:15]
.Lpost_getpc19899:
	s_add_u32 s14, s14, (.LBB2_7920-.Lpost_getpc19899)&4294967295
	s_addc_u32 s15, s15, (.LBB2_7920-.Lpost_getpc19899)>>32
	s_setpc_b64 s[14:15]
.LBB2_22257:
	s_movk_i32 s4, 0x80
	v_cmp_eq_u16_e32 vcc, s4, v3
	s_mov_b64 s[4:5], -1
                                        ; implicit-def: $sgpr10
	s_and_saveexec_b64 s[8:9], vcc
; %bb.22258:
	s_mov_b32 s10, 0x7f800001
	s_xor_b64 s[4:5], exec, -1
; %bb.22259:
	s_or_b64 exec, exec, s[8:9]
	s_and_b64 s[4:5], s[4:5], exec
                                        ; implicit-def: $vgpr3
	s_or_saveexec_b64 s[6:7], s[6:7]
	v_mov_b32_e32 v2, s10
	s_xor_b64 exec, exec, s[6:7]
	s_cbranch_execnz .LBB2_22260
; %bb.58097:
	s_getpc_b64 s[14:15]
.Lpost_getpc32632:
	s_add_u32 s14, s14, (.LBB2_7922-.Lpost_getpc32632)&4294967295
	s_addc_u32 s15, s15, (.LBB2_7922-.Lpost_getpc32632)>>32
	s_setpc_b64 s[14:15]
.LBB2_22260:
	v_cmp_ne_u16_e32 vcc, 0, v3
	s_andn2_b64 s[4:5], s[4:5], exec
	s_and_b64 s[8:9], vcc, exec
	v_mov_b32_e32 v2, 0
	s_or_b64 s[4:5], s[4:5], s[8:9]
	s_or_b64 exec, exec, s[6:7]
	s_and_saveexec_b64 s[6:7], s[4:5]
	s_cbranch_execz .LBB2_32633
; %bb.58099:
	s_getpc_b64 s[14:15]
.Lpost_getpc32633:
	s_add_u32 s14, s14, (.LBB2_7923-.Lpost_getpc32633)&4294967295
	s_addc_u32 s15, s15, (.LBB2_7923-.Lpost_getpc32633)>>32
	s_setpc_b64 s[14:15]
.LBB2_32633:
	s_getpc_b64 s[14:15]
.Lpost_getpc19900:
	s_add_u32 s14, s14, (.LBB2_7924-.Lpost_getpc19900)&4294967295
	s_addc_u32 s15, s15, (.LBB2_7924-.Lpost_getpc19900)>>32
	s_setpc_b64 s[14:15]
.LBB2_22261:
	s_movk_i32 s4, 0x80
	v_cmp_eq_u16_e32 vcc, s4, v3
	s_mov_b64 s[4:5], -1
                                        ; implicit-def: $sgpr10
	s_and_saveexec_b64 s[8:9], vcc
; %bb.22262:
	s_mov_b32 s10, 0x7f800001
	s_xor_b64 s[4:5], exec, -1
; %bb.22263:
	s_or_b64 exec, exec, s[8:9]
	s_and_b64 s[4:5], s[4:5], exec
                                        ; implicit-def: $vgpr3
	s_or_saveexec_b64 s[6:7], s[6:7]
	v_mov_b32_e32 v4, s10
	s_xor_b64 exec, exec, s[6:7]
	s_cbranch_execnz .LBB2_22264
; %bb.58101:
	s_getpc_b64 s[14:15]
.Lpost_getpc32634:
	s_add_u32 s14, s14, (.LBB2_7926-.Lpost_getpc32634)&4294967295
	s_addc_u32 s15, s15, (.LBB2_7926-.Lpost_getpc32634)>>32
	s_setpc_b64 s[14:15]
.LBB2_22264:
	v_cmp_ne_u16_e32 vcc, 0, v3
	s_andn2_b64 s[4:5], s[4:5], exec
	s_and_b64 s[8:9], vcc, exec
	v_mov_b32_e32 v4, 0
	s_or_b64 s[4:5], s[4:5], s[8:9]
	s_or_b64 exec, exec, s[6:7]
	s_and_saveexec_b64 s[6:7], s[4:5]
	s_cbranch_execz .LBB2_32635
; %bb.58103:
	s_getpc_b64 s[14:15]
.Lpost_getpc32635:
	s_add_u32 s14, s14, (.LBB2_7927-.Lpost_getpc32635)&4294967295
	s_addc_u32 s15, s15, (.LBB2_7927-.Lpost_getpc32635)>>32
	s_setpc_b64 s[14:15]
.LBB2_32635:
	s_getpc_b64 s[14:15]
.Lpost_getpc19901:
	s_add_u32 s14, s14, (.LBB2_7928-.Lpost_getpc19901)&4294967295
	s_addc_u32 s15, s15, (.LBB2_7928-.Lpost_getpc19901)>>32
	s_setpc_b64 s[14:15]
.LBB2_22265:
	s_movk_i32 s4, 0x80
	v_cmp_eq_u16_sdwa s[12:13], v9, s4 src0_sel:BYTE_3 src1_sel:DWORD
	s_mov_b64 s[4:5], -1
                                        ; implicit-def: $sgpr10
	s_and_saveexec_b64 s[8:9], s[12:13]
; %bb.22266:
	s_mov_b32 s10, 0x7f800001
	s_xor_b64 s[4:5], exec, -1
; %bb.22267:
	s_or_b64 exec, exec, s[8:9]
	s_and_b64 s[4:5], s[4:5], exec
	s_or_saveexec_b64 s[6:7], s[6:7]
	v_mov_b32_e32 v2, s10
	s_xor_b64 exec, exec, s[6:7]
	s_cbranch_execnz .LBB2_22268
; %bb.58105:
	s_getpc_b64 s[14:15]
.Lpost_getpc32636:
	s_add_u32 s14, s14, (.LBB2_7930-.Lpost_getpc32636)&4294967295
	s_addc_u32 s15, s15, (.LBB2_7930-.Lpost_getpc32636)>>32
	s_setpc_b64 s[14:15]
.LBB2_22268:
	v_mov_b32_e32 v2, 0
	v_cmp_ne_u16_sdwa s[8:9], v9, v2 src0_sel:BYTE_3 src1_sel:DWORD
	s_andn2_b64 s[4:5], s[4:5], exec
	s_and_b64 s[8:9], s[8:9], exec
	s_or_b64 s[4:5], s[4:5], s[8:9]
	s_or_b64 exec, exec, s[6:7]
	s_and_saveexec_b64 s[6:7], s[4:5]
	s_cbranch_execz .LBB2_32637
; %bb.58107:
	s_getpc_b64 s[14:15]
.Lpost_getpc32637:
	s_add_u32 s14, s14, (.LBB2_7931-.Lpost_getpc32637)&4294967295
	s_addc_u32 s15, s15, (.LBB2_7931-.Lpost_getpc32637)>>32
	s_setpc_b64 s[14:15]
.LBB2_32637:
	s_getpc_b64 s[14:15]
.Lpost_getpc19902:
	s_add_u32 s14, s14, (.LBB2_7932-.Lpost_getpc19902)&4294967295
	s_addc_u32 s15, s15, (.LBB2_7932-.Lpost_getpc19902)>>32
	s_setpc_b64 s[14:15]
.LBB2_22269:
	s_movk_i32 s4, 0x80
	v_cmp_eq_u16_sdwa s[12:13], v5, s4 src0_sel:BYTE_3 src1_sel:DWORD
	s_mov_b64 s[4:5], -1
                                        ; implicit-def: $sgpr10
	s_and_saveexec_b64 s[8:9], s[12:13]
; %bb.22270:
	s_mov_b32 s10, 0x7f800001
	s_xor_b64 s[4:5], exec, -1
; %bb.22271:
	s_or_b64 exec, exec, s[8:9]
	s_and_b64 s[4:5], s[4:5], exec
	s_or_saveexec_b64 s[6:7], s[6:7]
	v_mov_b32_e32 v3, s10
	s_xor_b64 exec, exec, s[6:7]
	s_cbranch_execnz .LBB2_22272
; %bb.58109:
	s_getpc_b64 s[14:15]
.Lpost_getpc32638:
	s_add_u32 s14, s14, (.LBB2_7934-.Lpost_getpc32638)&4294967295
	s_addc_u32 s15, s15, (.LBB2_7934-.Lpost_getpc32638)>>32
	s_setpc_b64 s[14:15]
.LBB2_22272:
	v_mov_b32_e32 v3, 0
	v_cmp_ne_u16_sdwa s[8:9], v5, v3 src0_sel:BYTE_3 src1_sel:DWORD
	s_andn2_b64 s[4:5], s[4:5], exec
	s_and_b64 s[8:9], s[8:9], exec
	s_or_b64 s[4:5], s[4:5], s[8:9]
	s_or_b64 exec, exec, s[6:7]
	s_and_saveexec_b64 s[6:7], s[4:5]
	s_cbranch_execz .LBB2_32639
; %bb.58111:
	s_getpc_b64 s[14:15]
.Lpost_getpc32639:
	s_add_u32 s14, s14, (.LBB2_7935-.Lpost_getpc32639)&4294967295
	s_addc_u32 s15, s15, (.LBB2_7935-.Lpost_getpc32639)>>32
	s_setpc_b64 s[14:15]
.LBB2_32639:
	s_getpc_b64 s[14:15]
.Lpost_getpc19903:
	s_add_u32 s14, s14, (.LBB2_7936-.Lpost_getpc19903)&4294967295
	s_addc_u32 s15, s15, (.LBB2_7936-.Lpost_getpc19903)>>32
	s_setpc_b64 s[14:15]
.LBB2_22273:
	s_movk_i32 s4, 0x80
	v_cmp_eq_u16_sdwa s[12:13], v6, s4 src0_sel:BYTE_0 src1_sel:DWORD
	s_mov_b64 s[4:5], -1
                                        ; implicit-def: $sgpr10
	s_and_saveexec_b64 s[8:9], s[12:13]
; %bb.22274:
	s_mov_b32 s10, 0x7f800001
	s_xor_b64 s[4:5], exec, -1
; %bb.22275:
	s_or_b64 exec, exec, s[8:9]
	s_and_b64 s[4:5], s[4:5], exec
	s_or_saveexec_b64 s[6:7], s[6:7]
	v_mov_b32_e32 v12, s10
	s_xor_b64 exec, exec, s[6:7]
	s_cbranch_execnz .LBB2_22276
; %bb.58113:
	s_getpc_b64 s[14:15]
.Lpost_getpc32640:
	s_add_u32 s14, s14, (.LBB2_7938-.Lpost_getpc32640)&4294967295
	s_addc_u32 s15, s15, (.LBB2_7938-.Lpost_getpc32640)>>32
	s_setpc_b64 s[14:15]
.LBB2_22276:
	v_mov_b32_e32 v12, 0
	v_cmp_ne_u16_sdwa s[8:9], v6, v12 src0_sel:BYTE_0 src1_sel:DWORD
	s_andn2_b64 s[4:5], s[4:5], exec
	s_and_b64 s[8:9], s[8:9], exec
	s_or_b64 s[4:5], s[4:5], s[8:9]
	s_or_b64 exec, exec, s[6:7]
	s_and_saveexec_b64 s[6:7], s[4:5]
	s_cbranch_execz .LBB2_32641
; %bb.58115:
	s_getpc_b64 s[14:15]
.Lpost_getpc32641:
	s_add_u32 s14, s14, (.LBB2_7939-.Lpost_getpc32641)&4294967295
	s_addc_u32 s15, s15, (.LBB2_7939-.Lpost_getpc32641)>>32
	s_setpc_b64 s[14:15]
.LBB2_32641:
	s_getpc_b64 s[14:15]
.Lpost_getpc19904:
	s_add_u32 s14, s14, (.LBB2_7940-.Lpost_getpc19904)&4294967295
	s_addc_u32 s15, s15, (.LBB2_7940-.Lpost_getpc19904)>>32
	s_setpc_b64 s[14:15]
.LBB2_22277:
	s_movk_i32 s4, 0x80
	v_cmp_eq_u16_sdwa s[12:13], v2, s4 src0_sel:BYTE_0 src1_sel:DWORD
	s_mov_b64 s[4:5], -1
                                        ; implicit-def: $sgpr10
	s_and_saveexec_b64 s[8:9], s[12:13]
; %bb.22278:
	s_mov_b32 s10, 0x7f800001
	s_xor_b64 s[4:5], exec, -1
; %bb.22279:
	s_or_b64 exec, exec, s[8:9]
	s_and_b64 s[4:5], s[4:5], exec
	s_or_saveexec_b64 s[6:7], s[6:7]
	v_mov_b32_e32 v13, s10
	s_xor_b64 exec, exec, s[6:7]
	s_cbranch_execnz .LBB2_22280
; %bb.58117:
	s_getpc_b64 s[14:15]
.Lpost_getpc32642:
	s_add_u32 s14, s14, (.LBB2_7942-.Lpost_getpc32642)&4294967295
	s_addc_u32 s15, s15, (.LBB2_7942-.Lpost_getpc32642)>>32
	s_setpc_b64 s[14:15]
.LBB2_22280:
	v_mov_b32_e32 v13, 0
	v_cmp_ne_u16_sdwa s[8:9], v2, v13 src0_sel:BYTE_0 src1_sel:DWORD
	s_andn2_b64 s[4:5], s[4:5], exec
	s_and_b64 s[8:9], s[8:9], exec
	s_or_b64 s[4:5], s[4:5], s[8:9]
	s_or_b64 exec, exec, s[6:7]
	s_and_saveexec_b64 s[6:7], s[4:5]
	s_cbranch_execz .LBB2_32643
; %bb.58119:
	s_getpc_b64 s[14:15]
.Lpost_getpc32643:
	s_add_u32 s14, s14, (.LBB2_7943-.Lpost_getpc32643)&4294967295
	s_addc_u32 s15, s15, (.LBB2_7943-.Lpost_getpc32643)>>32
	s_setpc_b64 s[14:15]
.LBB2_32643:
	s_getpc_b64 s[14:15]
.Lpost_getpc19905:
	s_add_u32 s14, s14, (.LBB2_7944-.Lpost_getpc19905)&4294967295
	s_addc_u32 s15, s15, (.LBB2_7944-.Lpost_getpc19905)>>32
	s_setpc_b64 s[14:15]
.LBB2_22281:
	s_movk_i32 s4, 0x80
	v_cmp_eq_u16_sdwa s[12:13], v13, s4 src0_sel:BYTE_0 src1_sel:DWORD
	s_mov_b64 s[4:5], -1
                                        ; implicit-def: $sgpr10
	s_and_saveexec_b64 s[8:9], s[12:13]
; %bb.22282:
	s_mov_b32 s10, 0x7f800001
	s_xor_b64 s[4:5], exec, -1
; %bb.22283:
	s_or_b64 exec, exec, s[8:9]
	s_and_b64 s[4:5], s[4:5], exec
	s_or_saveexec_b64 s[6:7], s[6:7]
	v_mov_b32_e32 v12, s10
	s_xor_b64 exec, exec, s[6:7]
	s_cbranch_execnz .LBB2_22284
; %bb.58121:
	s_getpc_b64 s[14:15]
.Lpost_getpc32644:
	s_add_u32 s14, s14, (.LBB2_7946-.Lpost_getpc32644)&4294967295
	s_addc_u32 s15, s15, (.LBB2_7946-.Lpost_getpc32644)>>32
	s_setpc_b64 s[14:15]
.LBB2_22284:
	v_mov_b32_e32 v12, 0
	v_cmp_ne_u16_sdwa s[8:9], v13, v12 src0_sel:BYTE_0 src1_sel:DWORD
	s_andn2_b64 s[4:5], s[4:5], exec
	s_and_b64 s[8:9], s[8:9], exec
	s_or_b64 s[4:5], s[4:5], s[8:9]
	s_or_b64 exec, exec, s[6:7]
	s_and_saveexec_b64 s[6:7], s[4:5]
	s_cbranch_execz .LBB2_32645
; %bb.58123:
	s_getpc_b64 s[14:15]
.Lpost_getpc32645:
	s_add_u32 s14, s14, (.LBB2_7947-.Lpost_getpc32645)&4294967295
	s_addc_u32 s15, s15, (.LBB2_7947-.Lpost_getpc32645)>>32
	s_setpc_b64 s[14:15]
.LBB2_32645:
	s_getpc_b64 s[14:15]
.Lpost_getpc19906:
	s_add_u32 s14, s14, (.LBB2_7948-.Lpost_getpc19906)&4294967295
	s_addc_u32 s15, s15, (.LBB2_7948-.Lpost_getpc19906)>>32
	s_setpc_b64 s[14:15]
.LBB2_22285:
	s_movk_i32 s4, 0x80
	v_cmp_eq_u16_sdwa s[12:13], v13, s4 src0_sel:BYTE_0 src1_sel:DWORD
	s_mov_b64 s[4:5], -1
                                        ; implicit-def: $sgpr10
	s_and_saveexec_b64 s[8:9], s[12:13]
; %bb.22286:
	s_mov_b32 s10, 0x7f800001
	s_xor_b64 s[4:5], exec, -1
; %bb.22287:
	s_or_b64 exec, exec, s[8:9]
	s_and_b64 s[4:5], s[4:5], exec
	s_or_saveexec_b64 s[6:7], s[6:7]
	v_mov_b32_e32 v14, s10
	s_xor_b64 exec, exec, s[6:7]
	s_cbranch_execnz .LBB2_22288
; %bb.58125:
	s_getpc_b64 s[14:15]
.Lpost_getpc32646:
	s_add_u32 s14, s14, (.LBB2_7950-.Lpost_getpc32646)&4294967295
	s_addc_u32 s15, s15, (.LBB2_7950-.Lpost_getpc32646)>>32
	s_setpc_b64 s[14:15]
.LBB2_22288:
	v_mov_b32_e32 v14, 0
	v_cmp_ne_u16_sdwa s[8:9], v13, v14 src0_sel:BYTE_0 src1_sel:DWORD
	s_andn2_b64 s[4:5], s[4:5], exec
	s_and_b64 s[8:9], s[8:9], exec
	s_or_b64 s[4:5], s[4:5], s[8:9]
	s_or_b64 exec, exec, s[6:7]
	s_and_saveexec_b64 s[6:7], s[4:5]
	s_cbranch_execz .LBB2_32647
; %bb.58127:
	s_getpc_b64 s[14:15]
.Lpost_getpc32647:
	s_add_u32 s14, s14, (.LBB2_7951-.Lpost_getpc32647)&4294967295
	s_addc_u32 s15, s15, (.LBB2_7951-.Lpost_getpc32647)>>32
	s_setpc_b64 s[14:15]
.LBB2_32647:
	s_getpc_b64 s[14:15]
.Lpost_getpc19907:
	s_add_u32 s14, s14, (.LBB2_7952-.Lpost_getpc19907)&4294967295
	s_addc_u32 s15, s15, (.LBB2_7952-.Lpost_getpc19907)>>32
	s_setpc_b64 s[14:15]
.LBB2_22289:
	s_movk_i32 s4, 0x80
	v_cmp_eq_u16_e32 vcc, s4, v13
	s_mov_b64 s[4:5], -1
                                        ; implicit-def: $sgpr10
	s_and_saveexec_b64 s[8:9], vcc
; %bb.22290:
	s_mov_b32 s10, 0x7f800001
	s_xor_b64 s[4:5], exec, -1
; %bb.22291:
	s_or_b64 exec, exec, s[8:9]
	s_and_b64 s[4:5], s[4:5], exec
                                        ; implicit-def: $vgpr13
	s_or_saveexec_b64 s[6:7], s[6:7]
	v_mov_b32_e32 v12, s10
	s_xor_b64 exec, exec, s[6:7]
	s_cbranch_execnz .LBB2_22292
; %bb.58129:
	s_getpc_b64 s[14:15]
.Lpost_getpc32648:
	s_add_u32 s14, s14, (.LBB2_7954-.Lpost_getpc32648)&4294967295
	s_addc_u32 s15, s15, (.LBB2_7954-.Lpost_getpc32648)>>32
	s_setpc_b64 s[14:15]
.LBB2_22292:
	v_cmp_ne_u16_e32 vcc, 0, v13
	s_andn2_b64 s[4:5], s[4:5], exec
	s_and_b64 s[8:9], vcc, exec
	v_mov_b32_e32 v12, 0
	s_or_b64 s[4:5], s[4:5], s[8:9]
	s_or_b64 exec, exec, s[6:7]
	s_and_saveexec_b64 s[6:7], s[4:5]
	s_cbranch_execz .LBB2_32649
; %bb.58131:
	s_getpc_b64 s[14:15]
.Lpost_getpc32649:
	s_add_u32 s14, s14, (.LBB2_7955-.Lpost_getpc32649)&4294967295
	s_addc_u32 s15, s15, (.LBB2_7955-.Lpost_getpc32649)>>32
	s_setpc_b64 s[14:15]
.LBB2_32649:
	s_getpc_b64 s[14:15]
.Lpost_getpc19908:
	s_add_u32 s14, s14, (.LBB2_7956-.Lpost_getpc19908)&4294967295
	s_addc_u32 s15, s15, (.LBB2_7956-.Lpost_getpc19908)>>32
	s_setpc_b64 s[14:15]
.LBB2_22293:
	s_movk_i32 s4, 0x80
	v_cmp_eq_u16_e32 vcc, s4, v13
	s_mov_b64 s[4:5], -1
                                        ; implicit-def: $sgpr10
	s_and_saveexec_b64 s[8:9], vcc
; %bb.22294:
	s_mov_b32 s10, 0x7f800001
	s_xor_b64 s[4:5], exec, -1
; %bb.22295:
	s_or_b64 exec, exec, s[8:9]
	s_and_b64 s[4:5], s[4:5], exec
                                        ; implicit-def: $vgpr13
	s_or_saveexec_b64 s[6:7], s[6:7]
	v_mov_b32_e32 v14, s10
	s_xor_b64 exec, exec, s[6:7]
	s_cbranch_execnz .LBB2_22296
; %bb.58133:
	s_getpc_b64 s[14:15]
.Lpost_getpc32650:
	s_add_u32 s14, s14, (.LBB2_7958-.Lpost_getpc32650)&4294967295
	s_addc_u32 s15, s15, (.LBB2_7958-.Lpost_getpc32650)>>32
	s_setpc_b64 s[14:15]
.LBB2_22296:
	v_cmp_ne_u16_e32 vcc, 0, v13
	s_andn2_b64 s[4:5], s[4:5], exec
	s_and_b64 s[8:9], vcc, exec
	v_mov_b32_e32 v14, 0
	s_or_b64 s[4:5], s[4:5], s[8:9]
	s_or_b64 exec, exec, s[6:7]
	s_and_saveexec_b64 s[6:7], s[4:5]
	s_cbranch_execz .LBB2_32651
; %bb.58135:
	s_getpc_b64 s[14:15]
.Lpost_getpc32651:
	s_add_u32 s14, s14, (.LBB2_7959-.Lpost_getpc32651)&4294967295
	s_addc_u32 s15, s15, (.LBB2_7959-.Lpost_getpc32651)>>32
	s_setpc_b64 s[14:15]
.LBB2_32651:
	s_getpc_b64 s[14:15]
.Lpost_getpc19909:
	s_add_u32 s14, s14, (.LBB2_7960-.Lpost_getpc19909)&4294967295
	s_addc_u32 s15, s15, (.LBB2_7960-.Lpost_getpc19909)>>32
	s_setpc_b64 s[14:15]
.LBB2_22297:
	s_movk_i32 s4, 0x80
	v_cmp_eq_u16_sdwa s[12:13], v6, s4 src0_sel:BYTE_3 src1_sel:DWORD
	s_mov_b64 s[4:5], -1
                                        ; implicit-def: $sgpr10
	s_and_saveexec_b64 s[8:9], s[12:13]
; %bb.22298:
	s_mov_b32 s10, 0x7f800001
	s_xor_b64 s[4:5], exec, -1
; %bb.22299:
	s_or_b64 exec, exec, s[8:9]
	s_and_b64 s[4:5], s[4:5], exec
	s_or_saveexec_b64 s[6:7], s[6:7]
	v_mov_b32_e32 v12, s10
	s_xor_b64 exec, exec, s[6:7]
	s_cbranch_execnz .LBB2_22300
; %bb.58137:
	s_getpc_b64 s[14:15]
.Lpost_getpc32652:
	s_add_u32 s14, s14, (.LBB2_7962-.Lpost_getpc32652)&4294967295
	s_addc_u32 s15, s15, (.LBB2_7962-.Lpost_getpc32652)>>32
	s_setpc_b64 s[14:15]
.LBB2_22300:
	v_mov_b32_e32 v12, 0
	v_cmp_ne_u16_sdwa s[8:9], v6, v12 src0_sel:BYTE_3 src1_sel:DWORD
	s_andn2_b64 s[4:5], s[4:5], exec
	s_and_b64 s[8:9], s[8:9], exec
	s_or_b64 s[4:5], s[4:5], s[8:9]
	s_or_b64 exec, exec, s[6:7]
	s_and_saveexec_b64 s[6:7], s[4:5]
	s_cbranch_execz .LBB2_32653
; %bb.58139:
	s_getpc_b64 s[14:15]
.Lpost_getpc32653:
	s_add_u32 s14, s14, (.LBB2_7963-.Lpost_getpc32653)&4294967295
	s_addc_u32 s15, s15, (.LBB2_7963-.Lpost_getpc32653)>>32
	s_setpc_b64 s[14:15]
.LBB2_32653:
	s_getpc_b64 s[14:15]
.Lpost_getpc19910:
	s_add_u32 s14, s14, (.LBB2_7964-.Lpost_getpc19910)&4294967295
	s_addc_u32 s15, s15, (.LBB2_7964-.Lpost_getpc19910)>>32
	s_setpc_b64 s[14:15]
.LBB2_22301:
	s_movk_i32 s4, 0x80
	v_cmp_eq_u16_sdwa s[12:13], v2, s4 src0_sel:BYTE_3 src1_sel:DWORD
	s_mov_b64 s[4:5], -1
                                        ; implicit-def: $sgpr10
	s_and_saveexec_b64 s[8:9], s[12:13]
; %bb.22302:
	s_mov_b32 s10, 0x7f800001
	s_xor_b64 s[4:5], exec, -1
; %bb.22303:
	s_or_b64 exec, exec, s[8:9]
	s_and_b64 s[4:5], s[4:5], exec
	s_or_saveexec_b64 s[6:7], s[6:7]
	v_mov_b32_e32 v6, s10
	s_xor_b64 exec, exec, s[6:7]
	s_cbranch_execnz .LBB2_22304
; %bb.58141:
	s_getpc_b64 s[14:15]
.Lpost_getpc32654:
	s_add_u32 s14, s14, (.LBB2_7966-.Lpost_getpc32654)&4294967295
	s_addc_u32 s15, s15, (.LBB2_7966-.Lpost_getpc32654)>>32
	s_setpc_b64 s[14:15]
.LBB2_22304:
	v_mov_b32_e32 v6, 0
	v_cmp_ne_u16_sdwa s[8:9], v2, v6 src0_sel:BYTE_3 src1_sel:DWORD
	s_andn2_b64 s[4:5], s[4:5], exec
	s_and_b64 s[8:9], s[8:9], exec
	s_or_b64 s[4:5], s[4:5], s[8:9]
	s_or_b64 exec, exec, s[6:7]
	s_and_saveexec_b64 s[6:7], s[4:5]
	s_cbranch_execz .LBB2_32655
; %bb.58143:
	s_getpc_b64 s[14:15]
.Lpost_getpc32655:
	s_add_u32 s14, s14, (.LBB2_7967-.Lpost_getpc32655)&4294967295
	s_addc_u32 s15, s15, (.LBB2_7967-.Lpost_getpc32655)>>32
	s_setpc_b64 s[14:15]
.LBB2_32655:
	s_getpc_b64 s[14:15]
.Lpost_getpc19911:
	s_add_u32 s14, s14, (.LBB2_7968-.Lpost_getpc19911)&4294967295
	s_addc_u32 s15, s15, (.LBB2_7968-.Lpost_getpc19911)>>32
	s_setpc_b64 s[14:15]
.LBB2_22305:
	s_movk_i32 s4, 0x80
	v_cmp_eq_u16_sdwa s[12:13], v7, s4 src0_sel:BYTE_0 src1_sel:DWORD
	s_mov_b64 s[4:5], -1
                                        ; implicit-def: $sgpr10
	s_and_saveexec_b64 s[8:9], s[12:13]
; %bb.22306:
	s_mov_b32 s10, 0x7f800001
	s_xor_b64 s[4:5], exec, -1
; %bb.22307:
	s_or_b64 exec, exec, s[8:9]
	s_and_b64 s[4:5], s[4:5], exec
	s_or_saveexec_b64 s[6:7], s[6:7]
	v_mov_b32_e32 v2, s10
	s_xor_b64 exec, exec, s[6:7]
	s_cbranch_execnz .LBB2_22308
; %bb.58145:
	s_getpc_b64 s[14:15]
.Lpost_getpc32656:
	s_add_u32 s14, s14, (.LBB2_7970-.Lpost_getpc32656)&4294967295
	s_addc_u32 s15, s15, (.LBB2_7970-.Lpost_getpc32656)>>32
	s_setpc_b64 s[14:15]
.LBB2_22308:
	v_mov_b32_e32 v2, 0
	v_cmp_ne_u16_sdwa s[8:9], v7, v2 src0_sel:BYTE_0 src1_sel:DWORD
	s_andn2_b64 s[4:5], s[4:5], exec
	s_and_b64 s[8:9], s[8:9], exec
	s_or_b64 s[4:5], s[4:5], s[8:9]
	s_or_b64 exec, exec, s[6:7]
	s_and_saveexec_b64 s[6:7], s[4:5]
	s_cbranch_execz .LBB2_32657
; %bb.58147:
	s_getpc_b64 s[14:15]
.Lpost_getpc32657:
	s_add_u32 s14, s14, (.LBB2_7971-.Lpost_getpc32657)&4294967295
	s_addc_u32 s15, s15, (.LBB2_7971-.Lpost_getpc32657)>>32
	s_setpc_b64 s[14:15]
.LBB2_32657:
	s_getpc_b64 s[14:15]
.Lpost_getpc19912:
	s_add_u32 s14, s14, (.LBB2_7972-.Lpost_getpc19912)&4294967295
	s_addc_u32 s15, s15, (.LBB2_7972-.Lpost_getpc19912)>>32
	s_setpc_b64 s[14:15]
.LBB2_22309:
	s_movk_i32 s4, 0x80
	v_cmp_eq_u16_sdwa s[12:13], v3, s4 src0_sel:BYTE_0 src1_sel:DWORD
	s_mov_b64 s[4:5], -1
                                        ; implicit-def: $sgpr10
	s_and_saveexec_b64 s[8:9], s[12:13]
; %bb.22310:
	s_mov_b32 s10, 0x7f800001
	s_xor_b64 s[4:5], exec, -1
; %bb.22311:
	s_or_b64 exec, exec, s[8:9]
	s_and_b64 s[4:5], s[4:5], exec
	s_or_saveexec_b64 s[6:7], s[6:7]
	v_mov_b32_e32 v6, s10
	s_xor_b64 exec, exec, s[6:7]
	s_cbranch_execnz .LBB2_22312
; %bb.58149:
	s_getpc_b64 s[14:15]
.Lpost_getpc32658:
	s_add_u32 s14, s14, (.LBB2_7974-.Lpost_getpc32658)&4294967295
	s_addc_u32 s15, s15, (.LBB2_7974-.Lpost_getpc32658)>>32
	s_setpc_b64 s[14:15]
.LBB2_22312:
	v_mov_b32_e32 v6, 0
	v_cmp_ne_u16_sdwa s[8:9], v3, v6 src0_sel:BYTE_0 src1_sel:DWORD
	s_andn2_b64 s[4:5], s[4:5], exec
	s_and_b64 s[8:9], s[8:9], exec
	s_or_b64 s[4:5], s[4:5], s[8:9]
	s_or_b64 exec, exec, s[6:7]
	s_and_saveexec_b64 s[6:7], s[4:5]
	s_cbranch_execz .LBB2_32659
; %bb.58151:
	s_getpc_b64 s[14:15]
.Lpost_getpc32659:
	s_add_u32 s14, s14, (.LBB2_7975-.Lpost_getpc32659)&4294967295
	s_addc_u32 s15, s15, (.LBB2_7975-.Lpost_getpc32659)>>32
	s_setpc_b64 s[14:15]
.LBB2_32659:
	s_getpc_b64 s[14:15]
.Lpost_getpc19913:
	s_add_u32 s14, s14, (.LBB2_7976-.Lpost_getpc19913)&4294967295
	s_addc_u32 s15, s15, (.LBB2_7976-.Lpost_getpc19913)>>32
	s_setpc_b64 s[14:15]
.LBB2_22313:
	s_movk_i32 s4, 0x80
	v_cmp_eq_u16_sdwa s[12:13], v6, s4 src0_sel:BYTE_0 src1_sel:DWORD
	s_mov_b64 s[4:5], -1
                                        ; implicit-def: $sgpr10
	s_and_saveexec_b64 s[8:9], s[12:13]
; %bb.22314:
	s_mov_b32 s10, 0x7f800001
	s_xor_b64 s[4:5], exec, -1
; %bb.22315:
	s_or_b64 exec, exec, s[8:9]
	s_and_b64 s[4:5], s[4:5], exec
	s_or_saveexec_b64 s[6:7], s[6:7]
	v_mov_b32_e32 v2, s10
	s_xor_b64 exec, exec, s[6:7]
	s_cbranch_execnz .LBB2_22316
; %bb.58153:
	s_getpc_b64 s[14:15]
.Lpost_getpc32660:
	s_add_u32 s14, s14, (.LBB2_7978-.Lpost_getpc32660)&4294967295
	s_addc_u32 s15, s15, (.LBB2_7978-.Lpost_getpc32660)>>32
	s_setpc_b64 s[14:15]
.LBB2_22316:
	v_mov_b32_e32 v2, 0
	v_cmp_ne_u16_sdwa s[8:9], v6, v2 src0_sel:BYTE_0 src1_sel:DWORD
	s_andn2_b64 s[4:5], s[4:5], exec
	s_and_b64 s[8:9], s[8:9], exec
	s_or_b64 s[4:5], s[4:5], s[8:9]
	s_or_b64 exec, exec, s[6:7]
	s_and_saveexec_b64 s[6:7], s[4:5]
	s_cbranch_execz .LBB2_32661
; %bb.58155:
	s_getpc_b64 s[14:15]
.Lpost_getpc32661:
	s_add_u32 s14, s14, (.LBB2_7979-.Lpost_getpc32661)&4294967295
	s_addc_u32 s15, s15, (.LBB2_7979-.Lpost_getpc32661)>>32
	s_setpc_b64 s[14:15]
.LBB2_32661:
	s_getpc_b64 s[14:15]
.Lpost_getpc19914:
	s_add_u32 s14, s14, (.LBB2_7980-.Lpost_getpc19914)&4294967295
	s_addc_u32 s15, s15, (.LBB2_7980-.Lpost_getpc19914)>>32
	s_setpc_b64 s[14:15]
.LBB2_22317:
	s_movk_i32 s4, 0x80
	v_cmp_eq_u16_sdwa s[12:13], v6, s4 src0_sel:BYTE_0 src1_sel:DWORD
	s_mov_b64 s[4:5], -1
                                        ; implicit-def: $sgpr10
	s_and_saveexec_b64 s[8:9], s[12:13]
; %bb.22318:
	s_mov_b32 s10, 0x7f800001
	s_xor_b64 s[4:5], exec, -1
; %bb.22319:
	s_or_b64 exec, exec, s[8:9]
	s_and_b64 s[4:5], s[4:5], exec
	s_or_saveexec_b64 s[6:7], s[6:7]
	v_mov_b32_e32 v12, s10
	s_xor_b64 exec, exec, s[6:7]
	s_cbranch_execnz .LBB2_22320
; %bb.58157:
	s_getpc_b64 s[14:15]
.Lpost_getpc32662:
	s_add_u32 s14, s14, (.LBB2_7982-.Lpost_getpc32662)&4294967295
	s_addc_u32 s15, s15, (.LBB2_7982-.Lpost_getpc32662)>>32
	s_setpc_b64 s[14:15]
.LBB2_22320:
	v_mov_b32_e32 v12, 0
	v_cmp_ne_u16_sdwa s[8:9], v6, v12 src0_sel:BYTE_0 src1_sel:DWORD
	s_andn2_b64 s[4:5], s[4:5], exec
	s_and_b64 s[8:9], s[8:9], exec
	s_or_b64 s[4:5], s[4:5], s[8:9]
	s_or_b64 exec, exec, s[6:7]
	s_and_saveexec_b64 s[6:7], s[4:5]
	s_cbranch_execz .LBB2_32663
; %bb.58159:
	s_getpc_b64 s[14:15]
.Lpost_getpc32663:
	s_add_u32 s14, s14, (.LBB2_7983-.Lpost_getpc32663)&4294967295
	s_addc_u32 s15, s15, (.LBB2_7983-.Lpost_getpc32663)>>32
	s_setpc_b64 s[14:15]
.LBB2_32663:
	s_getpc_b64 s[14:15]
.Lpost_getpc19915:
	s_add_u32 s14, s14, (.LBB2_7984-.Lpost_getpc19915)&4294967295
	s_addc_u32 s15, s15, (.LBB2_7984-.Lpost_getpc19915)>>32
	s_setpc_b64 s[14:15]
.LBB2_22321:
	s_movk_i32 s4, 0x80
	v_cmp_eq_u16_e32 vcc, s4, v6
	s_mov_b64 s[4:5], -1
                                        ; implicit-def: $sgpr10
	s_and_saveexec_b64 s[8:9], vcc
; %bb.22322:
	s_mov_b32 s10, 0x7f800001
	s_xor_b64 s[4:5], exec, -1
; %bb.22323:
	s_or_b64 exec, exec, s[8:9]
	s_and_b64 s[4:5], s[4:5], exec
                                        ; implicit-def: $vgpr6
	s_or_saveexec_b64 s[6:7], s[6:7]
	v_mov_b32_e32 v2, s10
	s_xor_b64 exec, exec, s[6:7]
	s_cbranch_execnz .LBB2_22324
; %bb.58161:
	s_getpc_b64 s[14:15]
.Lpost_getpc32664:
	s_add_u32 s14, s14, (.LBB2_7986-.Lpost_getpc32664)&4294967295
	s_addc_u32 s15, s15, (.LBB2_7986-.Lpost_getpc32664)>>32
	s_setpc_b64 s[14:15]
.LBB2_22324:
	v_cmp_ne_u16_e32 vcc, 0, v6
	s_andn2_b64 s[4:5], s[4:5], exec
	s_and_b64 s[8:9], vcc, exec
	v_mov_b32_e32 v2, 0
	s_or_b64 s[4:5], s[4:5], s[8:9]
	s_or_b64 exec, exec, s[6:7]
	s_and_saveexec_b64 s[6:7], s[4:5]
	s_cbranch_execz .LBB2_32665
; %bb.58163:
	s_getpc_b64 s[14:15]
.Lpost_getpc32665:
	s_add_u32 s14, s14, (.LBB2_7987-.Lpost_getpc32665)&4294967295
	s_addc_u32 s15, s15, (.LBB2_7987-.Lpost_getpc32665)>>32
	s_setpc_b64 s[14:15]
.LBB2_32665:
	s_getpc_b64 s[14:15]
.Lpost_getpc19916:
	s_add_u32 s14, s14, (.LBB2_7988-.Lpost_getpc19916)&4294967295
	s_addc_u32 s15, s15, (.LBB2_7988-.Lpost_getpc19916)>>32
	s_setpc_b64 s[14:15]
.LBB2_22325:
	s_movk_i32 s4, 0x80
	v_cmp_eq_u16_e32 vcc, s4, v6
	s_mov_b64 s[4:5], -1
                                        ; implicit-def: $sgpr10
	s_and_saveexec_b64 s[8:9], vcc
; %bb.22326:
	s_mov_b32 s10, 0x7f800001
	s_xor_b64 s[4:5], exec, -1
; %bb.22327:
	s_or_b64 exec, exec, s[8:9]
	s_and_b64 s[4:5], s[4:5], exec
                                        ; implicit-def: $vgpr6
	s_or_saveexec_b64 s[6:7], s[6:7]
	v_mov_b32_e32 v12, s10
	s_xor_b64 exec, exec, s[6:7]
	s_cbranch_execnz .LBB2_22328
; %bb.58165:
	s_getpc_b64 s[14:15]
.Lpost_getpc32666:
	s_add_u32 s14, s14, (.LBB2_7990-.Lpost_getpc32666)&4294967295
	s_addc_u32 s15, s15, (.LBB2_7990-.Lpost_getpc32666)>>32
	s_setpc_b64 s[14:15]
.LBB2_22328:
	v_cmp_ne_u16_e32 vcc, 0, v6
	s_andn2_b64 s[4:5], s[4:5], exec
	s_and_b64 s[8:9], vcc, exec
	v_mov_b32_e32 v12, 0
	s_or_b64 s[4:5], s[4:5], s[8:9]
	s_or_b64 exec, exec, s[6:7]
	s_and_saveexec_b64 s[6:7], s[4:5]
	s_cbranch_execz .LBB2_32667
; %bb.58167:
	s_getpc_b64 s[14:15]
.Lpost_getpc32667:
	s_add_u32 s14, s14, (.LBB2_7991-.Lpost_getpc32667)&4294967295
	s_addc_u32 s15, s15, (.LBB2_7991-.Lpost_getpc32667)>>32
	s_setpc_b64 s[14:15]
.LBB2_32667:
	s_getpc_b64 s[14:15]
.Lpost_getpc19917:
	s_add_u32 s14, s14, (.LBB2_7992-.Lpost_getpc19917)&4294967295
	s_addc_u32 s15, s15, (.LBB2_7992-.Lpost_getpc19917)>>32
	s_setpc_b64 s[14:15]
.LBB2_22329:
	s_movk_i32 s4, 0x80
	v_cmp_eq_u16_sdwa s[12:13], v7, s4 src0_sel:BYTE_3 src1_sel:DWORD
	s_mov_b64 s[4:5], -1
                                        ; implicit-def: $sgpr10
	s_and_saveexec_b64 s[8:9], s[12:13]
; %bb.22330:
	s_mov_b32 s10, 0x7f800001
	s_xor_b64 s[4:5], exec, -1
; %bb.22331:
	s_or_b64 exec, exec, s[8:9]
	s_and_b64 s[4:5], s[4:5], exec
	s_or_saveexec_b64 s[6:7], s[6:7]
	v_mov_b32_e32 v2, s10
	s_xor_b64 exec, exec, s[6:7]
	s_cbranch_execnz .LBB2_22332
; %bb.58169:
	s_getpc_b64 s[14:15]
.Lpost_getpc32668:
	s_add_u32 s14, s14, (.LBB2_7994-.Lpost_getpc32668)&4294967295
	s_addc_u32 s15, s15, (.LBB2_7994-.Lpost_getpc32668)>>32
	s_setpc_b64 s[14:15]
.LBB2_22332:
	v_mov_b32_e32 v2, 0
	v_cmp_ne_u16_sdwa s[8:9], v7, v2 src0_sel:BYTE_3 src1_sel:DWORD
	s_andn2_b64 s[4:5], s[4:5], exec
	s_and_b64 s[8:9], s[8:9], exec
	s_or_b64 s[4:5], s[4:5], s[8:9]
	s_or_b64 exec, exec, s[6:7]
	s_and_saveexec_b64 s[6:7], s[4:5]
	s_cbranch_execz .LBB2_32669
; %bb.58171:
	s_getpc_b64 s[14:15]
.Lpost_getpc32669:
	s_add_u32 s14, s14, (.LBB2_7995-.Lpost_getpc32669)&4294967295
	s_addc_u32 s15, s15, (.LBB2_7995-.Lpost_getpc32669)>>32
	s_setpc_b64 s[14:15]
.LBB2_32669:
	s_getpc_b64 s[14:15]
.Lpost_getpc19918:
	s_add_u32 s14, s14, (.LBB2_7996-.Lpost_getpc19918)&4294967295
	s_addc_u32 s15, s15, (.LBB2_7996-.Lpost_getpc19918)>>32
	s_setpc_b64 s[14:15]
.LBB2_22333:
	s_movk_i32 s4, 0x80
	v_cmp_eq_u16_sdwa s[12:13], v3, s4 src0_sel:BYTE_3 src1_sel:DWORD
	s_mov_b64 s[4:5], -1
                                        ; implicit-def: $sgpr10
	s_and_saveexec_b64 s[8:9], s[12:13]
; %bb.22334:
	s_mov_b32 s10, 0x7f800001
	s_xor_b64 s[4:5], exec, -1
; %bb.22335:
	s_or_b64 exec, exec, s[8:9]
	s_and_b64 s[4:5], s[4:5], exec
	s_or_saveexec_b64 s[6:7], s[6:7]
	v_mov_b32_e32 v6, s10
	s_xor_b64 exec, exec, s[6:7]
	s_cbranch_execnz .LBB2_22336
; %bb.58173:
	s_getpc_b64 s[14:15]
.Lpost_getpc32670:
	s_add_u32 s14, s14, (.LBB2_7998-.Lpost_getpc32670)&4294967295
	s_addc_u32 s15, s15, (.LBB2_7998-.Lpost_getpc32670)>>32
	s_setpc_b64 s[14:15]
.LBB2_22336:
	v_mov_b32_e32 v6, 0
	v_cmp_ne_u16_sdwa s[8:9], v3, v6 src0_sel:BYTE_3 src1_sel:DWORD
	s_andn2_b64 s[4:5], s[4:5], exec
	s_and_b64 s[8:9], s[8:9], exec
	s_or_b64 s[4:5], s[4:5], s[8:9]
	s_or_b64 exec, exec, s[6:7]
	s_and_saveexec_b64 s[6:7], s[4:5]
	s_cbranch_execz .LBB2_32671
; %bb.58175:
	s_getpc_b64 s[14:15]
.Lpost_getpc32671:
	s_add_u32 s14, s14, (.LBB2_7999-.Lpost_getpc32671)&4294967295
	s_addc_u32 s15, s15, (.LBB2_7999-.Lpost_getpc32671)>>32
	s_setpc_b64 s[14:15]
.LBB2_32671:
	s_getpc_b64 s[14:15]
.Lpost_getpc19919:
	s_add_u32 s14, s14, (.LBB2_8000-.Lpost_getpc19919)&4294967295
	s_addc_u32 s15, s15, (.LBB2_8000-.Lpost_getpc19919)>>32
	s_setpc_b64 s[14:15]
.LBB2_22337:
	s_movk_i32 s4, 0x80
	v_cmp_eq_u16_sdwa s[12:13], v8, s4 src0_sel:BYTE_0 src1_sel:DWORD
	s_mov_b64 s[4:5], -1
                                        ; implicit-def: $sgpr10
	s_and_saveexec_b64 s[8:9], s[12:13]
; %bb.22338:
	s_mov_b32 s10, 0x7f800001
	s_xor_b64 s[4:5], exec, -1
; %bb.22339:
	s_or_b64 exec, exec, s[8:9]
	s_and_b64 s[4:5], s[4:5], exec
	s_or_saveexec_b64 s[6:7], s[6:7]
	v_mov_b32_e32 v2, s10
	s_xor_b64 exec, exec, s[6:7]
	s_cbranch_execnz .LBB2_22340
; %bb.58177:
	s_getpc_b64 s[14:15]
.Lpost_getpc32672:
	s_add_u32 s14, s14, (.LBB2_8002-.Lpost_getpc32672)&4294967295
	s_addc_u32 s15, s15, (.LBB2_8002-.Lpost_getpc32672)>>32
	s_setpc_b64 s[14:15]
.LBB2_22340:
	v_mov_b32_e32 v2, 0
	v_cmp_ne_u16_sdwa s[8:9], v8, v2 src0_sel:BYTE_0 src1_sel:DWORD
	s_andn2_b64 s[4:5], s[4:5], exec
	s_and_b64 s[8:9], s[8:9], exec
	s_or_b64 s[4:5], s[4:5], s[8:9]
	s_or_b64 exec, exec, s[6:7]
	s_and_saveexec_b64 s[6:7], s[4:5]
	s_cbranch_execz .LBB2_32673
; %bb.58179:
	s_getpc_b64 s[14:15]
.Lpost_getpc32673:
	s_add_u32 s14, s14, (.LBB2_8003-.Lpost_getpc32673)&4294967295
	s_addc_u32 s15, s15, (.LBB2_8003-.Lpost_getpc32673)>>32
	s_setpc_b64 s[14:15]
.LBB2_32673:
	s_getpc_b64 s[14:15]
.Lpost_getpc19920:
	s_add_u32 s14, s14, (.LBB2_8004-.Lpost_getpc19920)&4294967295
	s_addc_u32 s15, s15, (.LBB2_8004-.Lpost_getpc19920)>>32
	s_setpc_b64 s[14:15]
.LBB2_22341:
	s_movk_i32 s4, 0x80
	v_cmp_eq_u16_sdwa s[12:13], v4, s4 src0_sel:BYTE_0 src1_sel:DWORD
	s_mov_b64 s[4:5], -1
                                        ; implicit-def: $sgpr10
	s_and_saveexec_b64 s[8:9], s[12:13]
; %bb.22342:
	s_mov_b32 s10, 0x7f800001
	s_xor_b64 s[4:5], exec, -1
; %bb.22343:
	s_or_b64 exec, exec, s[8:9]
	s_and_b64 s[4:5], s[4:5], exec
	s_or_saveexec_b64 s[6:7], s[6:7]
	v_mov_b32_e32 v3, s10
	s_xor_b64 exec, exec, s[6:7]
	s_cbranch_execnz .LBB2_22344
; %bb.58181:
	s_getpc_b64 s[14:15]
.Lpost_getpc32674:
	s_add_u32 s14, s14, (.LBB2_8006-.Lpost_getpc32674)&4294967295
	s_addc_u32 s15, s15, (.LBB2_8006-.Lpost_getpc32674)>>32
	s_setpc_b64 s[14:15]
.LBB2_22344:
	v_mov_b32_e32 v3, 0
	v_cmp_ne_u16_sdwa s[8:9], v4, v3 src0_sel:BYTE_0 src1_sel:DWORD
	s_andn2_b64 s[4:5], s[4:5], exec
	s_and_b64 s[8:9], s[8:9], exec
	s_or_b64 s[4:5], s[4:5], s[8:9]
	s_or_b64 exec, exec, s[6:7]
	s_and_saveexec_b64 s[6:7], s[4:5]
	s_cbranch_execz .LBB2_32675
; %bb.58183:
	s_getpc_b64 s[14:15]
.Lpost_getpc32675:
	s_add_u32 s14, s14, (.LBB2_8007-.Lpost_getpc32675)&4294967295
	s_addc_u32 s15, s15, (.LBB2_8007-.Lpost_getpc32675)>>32
	s_setpc_b64 s[14:15]
.LBB2_32675:
	s_getpc_b64 s[14:15]
.Lpost_getpc19921:
	s_add_u32 s14, s14, (.LBB2_8008-.Lpost_getpc19921)&4294967295
	s_addc_u32 s15, s15, (.LBB2_8008-.Lpost_getpc19921)>>32
	s_setpc_b64 s[14:15]
.LBB2_22345:
	s_movk_i32 s4, 0x80
	v_cmp_eq_u16_sdwa s[12:13], v3, s4 src0_sel:BYTE_0 src1_sel:DWORD
	s_mov_b64 s[4:5], -1
                                        ; implicit-def: $sgpr10
	s_and_saveexec_b64 s[8:9], s[12:13]
; %bb.22346:
	s_mov_b32 s10, 0x7f800001
	s_xor_b64 s[4:5], exec, -1
; %bb.22347:
	s_or_b64 exec, exec, s[8:9]
	s_and_b64 s[4:5], s[4:5], exec
	s_or_saveexec_b64 s[6:7], s[6:7]
	v_mov_b32_e32 v2, s10
	s_xor_b64 exec, exec, s[6:7]
	s_cbranch_execnz .LBB2_22348
; %bb.58185:
	s_getpc_b64 s[14:15]
.Lpost_getpc32676:
	s_add_u32 s14, s14, (.LBB2_8010-.Lpost_getpc32676)&4294967295
	s_addc_u32 s15, s15, (.LBB2_8010-.Lpost_getpc32676)>>32
	s_setpc_b64 s[14:15]
.LBB2_22348:
	v_mov_b32_e32 v2, 0
	v_cmp_ne_u16_sdwa s[8:9], v3, v2 src0_sel:BYTE_0 src1_sel:DWORD
	s_andn2_b64 s[4:5], s[4:5], exec
	s_and_b64 s[8:9], s[8:9], exec
	s_or_b64 s[4:5], s[4:5], s[8:9]
	s_or_b64 exec, exec, s[6:7]
	s_and_saveexec_b64 s[6:7], s[4:5]
	s_cbranch_execz .LBB2_32677
; %bb.58187:
	s_getpc_b64 s[14:15]
.Lpost_getpc32677:
	s_add_u32 s14, s14, (.LBB2_8011-.Lpost_getpc32677)&4294967295
	s_addc_u32 s15, s15, (.LBB2_8011-.Lpost_getpc32677)>>32
	s_setpc_b64 s[14:15]
.LBB2_32677:
	s_getpc_b64 s[14:15]
.Lpost_getpc19922:
	s_add_u32 s14, s14, (.LBB2_8012-.Lpost_getpc19922)&4294967295
	s_addc_u32 s15, s15, (.LBB2_8012-.Lpost_getpc19922)>>32
	s_setpc_b64 s[14:15]
.LBB2_22349:
	s_movk_i32 s4, 0x80
	v_cmp_eq_u16_sdwa s[12:13], v3, s4 src0_sel:BYTE_0 src1_sel:DWORD
	s_mov_b64 s[4:5], -1
                                        ; implicit-def: $sgpr10
	s_and_saveexec_b64 s[8:9], s[12:13]
; %bb.22350:
	s_mov_b32 s10, 0x7f800001
	s_xor_b64 s[4:5], exec, -1
; %bb.22351:
	s_or_b64 exec, exec, s[8:9]
	s_and_b64 s[4:5], s[4:5], exec
	s_or_saveexec_b64 s[6:7], s[6:7]
	v_mov_b32_e32 v6, s10
	s_xor_b64 exec, exec, s[6:7]
	s_cbranch_execnz .LBB2_22352
; %bb.58189:
	s_getpc_b64 s[14:15]
.Lpost_getpc32678:
	s_add_u32 s14, s14, (.LBB2_8014-.Lpost_getpc32678)&4294967295
	s_addc_u32 s15, s15, (.LBB2_8014-.Lpost_getpc32678)>>32
	s_setpc_b64 s[14:15]
.LBB2_22352:
	v_mov_b32_e32 v6, 0
	v_cmp_ne_u16_sdwa s[8:9], v3, v6 src0_sel:BYTE_0 src1_sel:DWORD
	s_andn2_b64 s[4:5], s[4:5], exec
	s_and_b64 s[8:9], s[8:9], exec
	s_or_b64 s[4:5], s[4:5], s[8:9]
	s_or_b64 exec, exec, s[6:7]
	s_and_saveexec_b64 s[6:7], s[4:5]
	s_cbranch_execz .LBB2_32679
; %bb.58191:
	s_getpc_b64 s[14:15]
.Lpost_getpc32679:
	s_add_u32 s14, s14, (.LBB2_8015-.Lpost_getpc32679)&4294967295
	s_addc_u32 s15, s15, (.LBB2_8015-.Lpost_getpc32679)>>32
	s_setpc_b64 s[14:15]
.LBB2_32679:
	s_getpc_b64 s[14:15]
.Lpost_getpc19923:
	s_add_u32 s14, s14, (.LBB2_8016-.Lpost_getpc19923)&4294967295
	s_addc_u32 s15, s15, (.LBB2_8016-.Lpost_getpc19923)>>32
	s_setpc_b64 s[14:15]
.LBB2_22353:
	s_movk_i32 s4, 0x80
	v_cmp_eq_u16_e32 vcc, s4, v3
	s_mov_b64 s[4:5], -1
                                        ; implicit-def: $sgpr10
	s_and_saveexec_b64 s[8:9], vcc
; %bb.22354:
	s_mov_b32 s10, 0x7f800001
	s_xor_b64 s[4:5], exec, -1
; %bb.22355:
	s_or_b64 exec, exec, s[8:9]
	s_and_b64 s[4:5], s[4:5], exec
                                        ; implicit-def: $vgpr3
	s_or_saveexec_b64 s[6:7], s[6:7]
	v_mov_b32_e32 v2, s10
	s_xor_b64 exec, exec, s[6:7]
	s_cbranch_execnz .LBB2_22356
; %bb.58193:
	s_getpc_b64 s[14:15]
.Lpost_getpc32680:
	s_add_u32 s14, s14, (.LBB2_8018-.Lpost_getpc32680)&4294967295
	s_addc_u32 s15, s15, (.LBB2_8018-.Lpost_getpc32680)>>32
	s_setpc_b64 s[14:15]
.LBB2_22356:
	v_cmp_ne_u16_e32 vcc, 0, v3
	s_andn2_b64 s[4:5], s[4:5], exec
	s_and_b64 s[8:9], vcc, exec
	v_mov_b32_e32 v2, 0
	s_or_b64 s[4:5], s[4:5], s[8:9]
	s_or_b64 exec, exec, s[6:7]
	s_and_saveexec_b64 s[6:7], s[4:5]
	s_cbranch_execz .LBB2_32681
; %bb.58195:
	s_getpc_b64 s[14:15]
.Lpost_getpc32681:
	s_add_u32 s14, s14, (.LBB2_8019-.Lpost_getpc32681)&4294967295
	s_addc_u32 s15, s15, (.LBB2_8019-.Lpost_getpc32681)>>32
	s_setpc_b64 s[14:15]
.LBB2_32681:
	s_getpc_b64 s[14:15]
.Lpost_getpc19924:
	s_add_u32 s14, s14, (.LBB2_8020-.Lpost_getpc19924)&4294967295
	s_addc_u32 s15, s15, (.LBB2_8020-.Lpost_getpc19924)>>32
	s_setpc_b64 s[14:15]
.LBB2_22357:
	s_movk_i32 s4, 0x80
	v_cmp_eq_u16_e32 vcc, s4, v3
	s_mov_b64 s[4:5], -1
                                        ; implicit-def: $sgpr10
	s_and_saveexec_b64 s[8:9], vcc
; %bb.22358:
	s_mov_b32 s10, 0x7f800001
	s_xor_b64 s[4:5], exec, -1
; %bb.22359:
	s_or_b64 exec, exec, s[8:9]
	s_and_b64 s[4:5], s[4:5], exec
                                        ; implicit-def: $vgpr3
	s_or_saveexec_b64 s[6:7], s[6:7]
	v_mov_b32_e32 v6, s10
	s_xor_b64 exec, exec, s[6:7]
	s_cbranch_execnz .LBB2_22360
; %bb.58197:
	s_getpc_b64 s[14:15]
.Lpost_getpc32682:
	s_add_u32 s14, s14, (.LBB2_8022-.Lpost_getpc32682)&4294967295
	s_addc_u32 s15, s15, (.LBB2_8022-.Lpost_getpc32682)>>32
	s_setpc_b64 s[14:15]
.LBB2_22360:
	v_cmp_ne_u16_e32 vcc, 0, v3
	s_andn2_b64 s[4:5], s[4:5], exec
	s_and_b64 s[8:9], vcc, exec
	v_mov_b32_e32 v6, 0
	s_or_b64 s[4:5], s[4:5], s[8:9]
	s_or_b64 exec, exec, s[6:7]
	s_and_saveexec_b64 s[6:7], s[4:5]
	s_cbranch_execz .LBB2_32683
; %bb.58199:
	s_getpc_b64 s[14:15]
.Lpost_getpc32683:
	s_add_u32 s14, s14, (.LBB2_8023-.Lpost_getpc32683)&4294967295
	s_addc_u32 s15, s15, (.LBB2_8023-.Lpost_getpc32683)>>32
	s_setpc_b64 s[14:15]
.LBB2_32683:
	s_getpc_b64 s[14:15]
.Lpost_getpc19925:
	s_add_u32 s14, s14, (.LBB2_8024-.Lpost_getpc19925)&4294967295
	s_addc_u32 s15, s15, (.LBB2_8024-.Lpost_getpc19925)>>32
	s_setpc_b64 s[14:15]
.LBB2_22361:
	s_movk_i32 s4, 0x80
	v_cmp_eq_u16_sdwa s[12:13], v8, s4 src0_sel:BYTE_3 src1_sel:DWORD
	s_mov_b64 s[4:5], -1
                                        ; implicit-def: $sgpr10
	s_and_saveexec_b64 s[8:9], s[12:13]
; %bb.22362:
	s_mov_b32 s10, 0x7f800001
	s_xor_b64 s[4:5], exec, -1
; %bb.22363:
	s_or_b64 exec, exec, s[8:9]
	s_and_b64 s[4:5], s[4:5], exec
	s_or_saveexec_b64 s[6:7], s[6:7]
	v_mov_b32_e32 v2, s10
	s_xor_b64 exec, exec, s[6:7]
	s_cbranch_execnz .LBB2_22364
; %bb.58201:
	s_getpc_b64 s[14:15]
.Lpost_getpc32684:
	s_add_u32 s14, s14, (.LBB2_8026-.Lpost_getpc32684)&4294967295
	s_addc_u32 s15, s15, (.LBB2_8026-.Lpost_getpc32684)>>32
	s_setpc_b64 s[14:15]
.LBB2_22364:
	v_mov_b32_e32 v2, 0
	v_cmp_ne_u16_sdwa s[8:9], v8, v2 src0_sel:BYTE_3 src1_sel:DWORD
	s_andn2_b64 s[4:5], s[4:5], exec
	s_and_b64 s[8:9], s[8:9], exec
	s_or_b64 s[4:5], s[4:5], s[8:9]
	s_or_b64 exec, exec, s[6:7]
	s_and_saveexec_b64 s[6:7], s[4:5]
	s_cbranch_execz .LBB2_32685
; %bb.58203:
	s_getpc_b64 s[14:15]
.Lpost_getpc32685:
	s_add_u32 s14, s14, (.LBB2_8027-.Lpost_getpc32685)&4294967295
	s_addc_u32 s15, s15, (.LBB2_8027-.Lpost_getpc32685)>>32
	s_setpc_b64 s[14:15]
.LBB2_32685:
	s_getpc_b64 s[14:15]
.Lpost_getpc19926:
	s_add_u32 s14, s14, (.LBB2_8028-.Lpost_getpc19926)&4294967295
	s_addc_u32 s15, s15, (.LBB2_8028-.Lpost_getpc19926)>>32
	s_setpc_b64 s[14:15]
.LBB2_22365:
	s_movk_i32 s4, 0x80
	v_cmp_eq_u16_sdwa s[12:13], v4, s4 src0_sel:BYTE_3 src1_sel:DWORD
	s_mov_b64 s[4:5], -1
                                        ; implicit-def: $sgpr10
	s_and_saveexec_b64 s[8:9], s[12:13]
; %bb.22366:
	s_mov_b32 s10, 0x7f800001
	s_xor_b64 s[4:5], exec, -1
; %bb.22367:
	s_or_b64 exec, exec, s[8:9]
	s_and_b64 s[4:5], s[4:5], exec
	s_or_saveexec_b64 s[6:7], s[6:7]
	v_mov_b32_e32 v3, s10
	s_xor_b64 exec, exec, s[6:7]
	s_cbranch_execnz .LBB2_22368
; %bb.58205:
	s_getpc_b64 s[14:15]
.Lpost_getpc32686:
	s_add_u32 s14, s14, (.LBB2_8030-.Lpost_getpc32686)&4294967295
	s_addc_u32 s15, s15, (.LBB2_8030-.Lpost_getpc32686)>>32
	s_setpc_b64 s[14:15]
.LBB2_22368:
	v_mov_b32_e32 v3, 0
	v_cmp_ne_u16_sdwa s[8:9], v4, v3 src0_sel:BYTE_3 src1_sel:DWORD
	s_andn2_b64 s[4:5], s[4:5], exec
	s_and_b64 s[8:9], s[8:9], exec
	s_or_b64 s[4:5], s[4:5], s[8:9]
	s_or_b64 exec, exec, s[6:7]
	s_and_saveexec_b64 s[6:7], s[4:5]
	s_cbranch_execz .LBB2_32687
; %bb.58207:
	s_getpc_b64 s[14:15]
.Lpost_getpc32687:
	s_add_u32 s14, s14, (.LBB2_8031-.Lpost_getpc32687)&4294967295
	s_addc_u32 s15, s15, (.LBB2_8031-.Lpost_getpc32687)>>32
	s_setpc_b64 s[14:15]
.LBB2_32687:
	s_getpc_b64 s[14:15]
.Lpost_getpc19927:
	s_add_u32 s14, s14, (.LBB2_8032-.Lpost_getpc19927)&4294967295
	s_addc_u32 s15, s15, (.LBB2_8032-.Lpost_getpc19927)>>32
	s_setpc_b64 s[14:15]
.LBB2_22369:
	s_movk_i32 s4, 0x80
	v_cmp_eq_u16_sdwa s[12:13], v9, s4 src0_sel:BYTE_0 src1_sel:DWORD
	s_mov_b64 s[4:5], -1
                                        ; implicit-def: $sgpr10
	s_and_saveexec_b64 s[8:9], s[12:13]
; %bb.22370:
	s_mov_b32 s10, 0x7f800001
	s_xor_b64 s[4:5], exec, -1
; %bb.22371:
	s_or_b64 exec, exec, s[8:9]
	s_and_b64 s[4:5], s[4:5], exec
	s_or_saveexec_b64 s[6:7], s[6:7]
	v_mov_b32_e32 v2, s10
	s_xor_b64 exec, exec, s[6:7]
	s_cbranch_execnz .LBB2_22372
; %bb.58209:
	s_getpc_b64 s[14:15]
.Lpost_getpc32688:
	s_add_u32 s14, s14, (.LBB2_8034-.Lpost_getpc32688)&4294967295
	s_addc_u32 s15, s15, (.LBB2_8034-.Lpost_getpc32688)>>32
	s_setpc_b64 s[14:15]
.LBB2_22372:
	v_mov_b32_e32 v2, 0
	v_cmp_ne_u16_sdwa s[8:9], v9, v2 src0_sel:BYTE_0 src1_sel:DWORD
	s_andn2_b64 s[4:5], s[4:5], exec
	s_and_b64 s[8:9], s[8:9], exec
	s_or_b64 s[4:5], s[4:5], s[8:9]
	s_or_b64 exec, exec, s[6:7]
	s_and_saveexec_b64 s[6:7], s[4:5]
	s_cbranch_execz .LBB2_32689
; %bb.58211:
	s_getpc_b64 s[14:15]
.Lpost_getpc32689:
	s_add_u32 s14, s14, (.LBB2_8035-.Lpost_getpc32689)&4294967295
	s_addc_u32 s15, s15, (.LBB2_8035-.Lpost_getpc32689)>>32
	s_setpc_b64 s[14:15]
.LBB2_32689:
	s_getpc_b64 s[14:15]
.Lpost_getpc19928:
	s_add_u32 s14, s14, (.LBB2_8036-.Lpost_getpc19928)&4294967295
	s_addc_u32 s15, s15, (.LBB2_8036-.Lpost_getpc19928)>>32
	s_setpc_b64 s[14:15]
.LBB2_22373:
	s_movk_i32 s4, 0x80
	v_cmp_eq_u16_sdwa s[12:13], v5, s4 src0_sel:BYTE_0 src1_sel:DWORD
	s_mov_b64 s[4:5], -1
                                        ; implicit-def: $sgpr10
	s_and_saveexec_b64 s[8:9], s[12:13]
; %bb.22374:
	s_mov_b32 s10, 0x7f800001
	s_xor_b64 s[4:5], exec, -1
; %bb.22375:
	s_or_b64 exec, exec, s[8:9]
	s_and_b64 s[4:5], s[4:5], exec
	s_or_saveexec_b64 s[6:7], s[6:7]
	v_mov_b32_e32 v3, s10
	s_xor_b64 exec, exec, s[6:7]
	s_cbranch_execnz .LBB2_22376
; %bb.58213:
	s_getpc_b64 s[14:15]
.Lpost_getpc32690:
	s_add_u32 s14, s14, (.LBB2_8038-.Lpost_getpc32690)&4294967295
	s_addc_u32 s15, s15, (.LBB2_8038-.Lpost_getpc32690)>>32
	s_setpc_b64 s[14:15]
.LBB2_22376:
	v_mov_b32_e32 v3, 0
	v_cmp_ne_u16_sdwa s[8:9], v5, v3 src0_sel:BYTE_0 src1_sel:DWORD
	s_andn2_b64 s[4:5], s[4:5], exec
	s_and_b64 s[8:9], s[8:9], exec
	s_or_b64 s[4:5], s[4:5], s[8:9]
	s_or_b64 exec, exec, s[6:7]
	s_and_saveexec_b64 s[6:7], s[4:5]
	s_cbranch_execz .LBB2_32691
; %bb.58215:
	s_getpc_b64 s[14:15]
.Lpost_getpc32691:
	s_add_u32 s14, s14, (.LBB2_8039-.Lpost_getpc32691)&4294967295
	s_addc_u32 s15, s15, (.LBB2_8039-.Lpost_getpc32691)>>32
	s_setpc_b64 s[14:15]
.LBB2_32691:
	s_getpc_b64 s[14:15]
.Lpost_getpc19929:
	s_add_u32 s14, s14, (.LBB2_8040-.Lpost_getpc19929)&4294967295
	s_addc_u32 s15, s15, (.LBB2_8040-.Lpost_getpc19929)>>32
	s_setpc_b64 s[14:15]
.LBB2_22377:
	s_movk_i32 s4, 0x80
	v_cmp_eq_u16_sdwa s[12:13], v3, s4 src0_sel:BYTE_0 src1_sel:DWORD
	s_mov_b64 s[4:5], -1
                                        ; implicit-def: $sgpr10
	s_and_saveexec_b64 s[8:9], s[12:13]
; %bb.22378:
	s_mov_b32 s10, 0x7f800001
	s_xor_b64 s[4:5], exec, -1
; %bb.22379:
	s_or_b64 exec, exec, s[8:9]
	s_and_b64 s[4:5], s[4:5], exec
	s_or_saveexec_b64 s[6:7], s[6:7]
	v_mov_b32_e32 v2, s10
	s_xor_b64 exec, exec, s[6:7]
	s_cbranch_execnz .LBB2_22380
; %bb.58217:
	s_getpc_b64 s[14:15]
.Lpost_getpc32692:
	s_add_u32 s14, s14, (.LBB2_8042-.Lpost_getpc32692)&4294967295
	s_addc_u32 s15, s15, (.LBB2_8042-.Lpost_getpc32692)>>32
	s_setpc_b64 s[14:15]
.LBB2_22380:
	v_mov_b32_e32 v2, 0
	v_cmp_ne_u16_sdwa s[8:9], v3, v2 src0_sel:BYTE_0 src1_sel:DWORD
	s_andn2_b64 s[4:5], s[4:5], exec
	s_and_b64 s[8:9], s[8:9], exec
	s_or_b64 s[4:5], s[4:5], s[8:9]
	s_or_b64 exec, exec, s[6:7]
	s_and_saveexec_b64 s[6:7], s[4:5]
	s_cbranch_execz .LBB2_32693
; %bb.58219:
	s_getpc_b64 s[14:15]
.Lpost_getpc32693:
	s_add_u32 s14, s14, (.LBB2_8043-.Lpost_getpc32693)&4294967295
	s_addc_u32 s15, s15, (.LBB2_8043-.Lpost_getpc32693)>>32
	s_setpc_b64 s[14:15]
.LBB2_32693:
	s_getpc_b64 s[14:15]
.Lpost_getpc19930:
	s_add_u32 s14, s14, (.LBB2_8044-.Lpost_getpc19930)&4294967295
	s_addc_u32 s15, s15, (.LBB2_8044-.Lpost_getpc19930)>>32
	s_setpc_b64 s[14:15]
.LBB2_22381:
	s_movk_i32 s4, 0x80
	v_cmp_eq_u16_sdwa s[12:13], v3, s4 src0_sel:BYTE_0 src1_sel:DWORD
	s_mov_b64 s[4:5], -1
                                        ; implicit-def: $sgpr10
	s_and_saveexec_b64 s[8:9], s[12:13]
; %bb.22382:
	s_mov_b32 s10, 0x7f800001
	s_xor_b64 s[4:5], exec, -1
; %bb.22383:
	s_or_b64 exec, exec, s[8:9]
	s_and_b64 s[4:5], s[4:5], exec
	s_or_saveexec_b64 s[6:7], s[6:7]
	v_mov_b32_e32 v4, s10
	s_xor_b64 exec, exec, s[6:7]
	s_cbranch_execnz .LBB2_22384
; %bb.58221:
	s_getpc_b64 s[14:15]
.Lpost_getpc32694:
	s_add_u32 s14, s14, (.LBB2_8046-.Lpost_getpc32694)&4294967295
	s_addc_u32 s15, s15, (.LBB2_8046-.Lpost_getpc32694)>>32
	s_setpc_b64 s[14:15]
.LBB2_22384:
	v_mov_b32_e32 v4, 0
	v_cmp_ne_u16_sdwa s[8:9], v3, v4 src0_sel:BYTE_0 src1_sel:DWORD
	s_andn2_b64 s[4:5], s[4:5], exec
	s_and_b64 s[8:9], s[8:9], exec
	s_or_b64 s[4:5], s[4:5], s[8:9]
	s_or_b64 exec, exec, s[6:7]
	s_and_saveexec_b64 s[6:7], s[4:5]
	s_cbranch_execz .LBB2_32695
; %bb.58223:
	s_getpc_b64 s[14:15]
.Lpost_getpc32695:
	s_add_u32 s14, s14, (.LBB2_8047-.Lpost_getpc32695)&4294967295
	s_addc_u32 s15, s15, (.LBB2_8047-.Lpost_getpc32695)>>32
	s_setpc_b64 s[14:15]
.LBB2_32695:
	s_getpc_b64 s[14:15]
.Lpost_getpc19931:
	s_add_u32 s14, s14, (.LBB2_8048-.Lpost_getpc19931)&4294967295
	s_addc_u32 s15, s15, (.LBB2_8048-.Lpost_getpc19931)>>32
	s_setpc_b64 s[14:15]
.LBB2_22385:
	s_movk_i32 s4, 0x80
	v_cmp_eq_u16_e32 vcc, s4, v3
	s_mov_b64 s[4:5], -1
                                        ; implicit-def: $sgpr10
	s_and_saveexec_b64 s[8:9], vcc
; %bb.22386:
	s_mov_b32 s10, 0x7f800001
	s_xor_b64 s[4:5], exec, -1
; %bb.22387:
	s_or_b64 exec, exec, s[8:9]
	s_and_b64 s[4:5], s[4:5], exec
                                        ; implicit-def: $vgpr3
	s_or_saveexec_b64 s[6:7], s[6:7]
	v_mov_b32_e32 v2, s10
	s_xor_b64 exec, exec, s[6:7]
	s_cbranch_execnz .LBB2_22388
; %bb.58225:
	s_getpc_b64 s[14:15]
.Lpost_getpc32696:
	s_add_u32 s14, s14, (.LBB2_8050-.Lpost_getpc32696)&4294967295
	s_addc_u32 s15, s15, (.LBB2_8050-.Lpost_getpc32696)>>32
	s_setpc_b64 s[14:15]
.LBB2_22388:
	v_cmp_ne_u16_e32 vcc, 0, v3
	s_andn2_b64 s[4:5], s[4:5], exec
	s_and_b64 s[8:9], vcc, exec
	v_mov_b32_e32 v2, 0
	s_or_b64 s[4:5], s[4:5], s[8:9]
	s_or_b64 exec, exec, s[6:7]
	s_and_saveexec_b64 s[6:7], s[4:5]
	s_cbranch_execz .LBB2_32697
; %bb.58227:
	s_getpc_b64 s[14:15]
.Lpost_getpc32697:
	s_add_u32 s14, s14, (.LBB2_8051-.Lpost_getpc32697)&4294967295
	s_addc_u32 s15, s15, (.LBB2_8051-.Lpost_getpc32697)>>32
	s_setpc_b64 s[14:15]
.LBB2_32697:
	s_getpc_b64 s[14:15]
.Lpost_getpc19932:
	s_add_u32 s14, s14, (.LBB2_8052-.Lpost_getpc19932)&4294967295
	s_addc_u32 s15, s15, (.LBB2_8052-.Lpost_getpc19932)>>32
	s_setpc_b64 s[14:15]
.LBB2_22389:
	s_movk_i32 s4, 0x80
	v_cmp_eq_u16_e32 vcc, s4, v3
	s_mov_b64 s[4:5], -1
                                        ; implicit-def: $sgpr10
	s_and_saveexec_b64 s[8:9], vcc
; %bb.22390:
	s_mov_b32 s10, 0x7f800001
	s_xor_b64 s[4:5], exec, -1
; %bb.22391:
	s_or_b64 exec, exec, s[8:9]
	s_and_b64 s[4:5], s[4:5], exec
                                        ; implicit-def: $vgpr3
	s_or_saveexec_b64 s[6:7], s[6:7]
	v_mov_b32_e32 v4, s10
	s_xor_b64 exec, exec, s[6:7]
	s_cbranch_execnz .LBB2_22392
; %bb.58229:
	s_getpc_b64 s[14:15]
.Lpost_getpc32698:
	s_add_u32 s14, s14, (.LBB2_8054-.Lpost_getpc32698)&4294967295
	s_addc_u32 s15, s15, (.LBB2_8054-.Lpost_getpc32698)>>32
	s_setpc_b64 s[14:15]
.LBB2_22392:
	v_cmp_ne_u16_e32 vcc, 0, v3
	s_andn2_b64 s[4:5], s[4:5], exec
	s_and_b64 s[8:9], vcc, exec
	v_mov_b32_e32 v4, 0
	s_or_b64 s[4:5], s[4:5], s[8:9]
	s_or_b64 exec, exec, s[6:7]
	s_and_saveexec_b64 s[6:7], s[4:5]
	s_cbranch_execz .LBB2_32699
; %bb.58231:
	s_getpc_b64 s[14:15]
.Lpost_getpc32699:
	s_add_u32 s14, s14, (.LBB2_8055-.Lpost_getpc32699)&4294967295
	s_addc_u32 s15, s15, (.LBB2_8055-.Lpost_getpc32699)>>32
	s_setpc_b64 s[14:15]
.LBB2_32699:
	s_getpc_b64 s[14:15]
.Lpost_getpc19933:
	s_add_u32 s14, s14, (.LBB2_8056-.Lpost_getpc19933)&4294967295
	s_addc_u32 s15, s15, (.LBB2_8056-.Lpost_getpc19933)>>32
	s_setpc_b64 s[14:15]
.LBB2_22393:
	s_movk_i32 s4, 0x80
	v_cmp_eq_u16_sdwa s[12:13], v9, s4 src0_sel:BYTE_3 src1_sel:DWORD
	s_mov_b64 s[4:5], -1
                                        ; implicit-def: $sgpr10
	s_and_saveexec_b64 s[8:9], s[12:13]
; %bb.22394:
	s_mov_b32 s10, 0x7f800001
	s_xor_b64 s[4:5], exec, -1
; %bb.22395:
	s_or_b64 exec, exec, s[8:9]
	s_and_b64 s[4:5], s[4:5], exec
	s_or_saveexec_b64 s[6:7], s[6:7]
	v_mov_b32_e32 v2, s10
	s_xor_b64 exec, exec, s[6:7]
	s_cbranch_execnz .LBB2_22396
; %bb.58233:
	s_getpc_b64 s[14:15]
.Lpost_getpc32700:
	s_add_u32 s14, s14, (.LBB2_8058-.Lpost_getpc32700)&4294967295
	s_addc_u32 s15, s15, (.LBB2_8058-.Lpost_getpc32700)>>32
	s_setpc_b64 s[14:15]
.LBB2_22396:
	v_mov_b32_e32 v2, 0
	v_cmp_ne_u16_sdwa s[8:9], v9, v2 src0_sel:BYTE_3 src1_sel:DWORD
	s_andn2_b64 s[4:5], s[4:5], exec
	s_and_b64 s[8:9], s[8:9], exec
	s_or_b64 s[4:5], s[4:5], s[8:9]
	s_or_b64 exec, exec, s[6:7]
	s_and_saveexec_b64 s[6:7], s[4:5]
	s_cbranch_execz .LBB2_32701
; %bb.58235:
	s_getpc_b64 s[14:15]
.Lpost_getpc32701:
	s_add_u32 s14, s14, (.LBB2_8059-.Lpost_getpc32701)&4294967295
	s_addc_u32 s15, s15, (.LBB2_8059-.Lpost_getpc32701)>>32
	s_setpc_b64 s[14:15]
.LBB2_32701:
	s_getpc_b64 s[14:15]
.Lpost_getpc19934:
	s_add_u32 s14, s14, (.LBB2_8060-.Lpost_getpc19934)&4294967295
	s_addc_u32 s15, s15, (.LBB2_8060-.Lpost_getpc19934)>>32
	s_setpc_b64 s[14:15]
.LBB2_22397:
	s_movk_i32 s4, 0x80
	v_cmp_eq_u16_sdwa s[12:13], v5, s4 src0_sel:BYTE_3 src1_sel:DWORD
	s_mov_b64 s[4:5], -1
                                        ; implicit-def: $sgpr10
	s_and_saveexec_b64 s[8:9], s[12:13]
; %bb.22398:
	s_mov_b32 s10, 0x7f800001
	s_xor_b64 s[4:5], exec, -1
; %bb.22399:
	s_or_b64 exec, exec, s[8:9]
	s_and_b64 s[4:5], s[4:5], exec
	s_or_saveexec_b64 s[6:7], s[6:7]
	v_mov_b32_e32 v3, s10
	s_xor_b64 exec, exec, s[6:7]
	s_cbranch_execnz .LBB2_22400
; %bb.58237:
	s_getpc_b64 s[14:15]
.Lpost_getpc32702:
	s_add_u32 s14, s14, (.LBB2_8062-.Lpost_getpc32702)&4294967295
	s_addc_u32 s15, s15, (.LBB2_8062-.Lpost_getpc32702)>>32
	s_setpc_b64 s[14:15]
.LBB2_22400:
	v_mov_b32_e32 v3, 0
	v_cmp_ne_u16_sdwa s[8:9], v5, v3 src0_sel:BYTE_3 src1_sel:DWORD
	s_andn2_b64 s[4:5], s[4:5], exec
	s_and_b64 s[8:9], s[8:9], exec
	s_or_b64 s[4:5], s[4:5], s[8:9]
	s_or_b64 exec, exec, s[6:7]
	s_and_saveexec_b64 s[6:7], s[4:5]
	s_cbranch_execz .LBB2_32703
; %bb.58239:
	s_getpc_b64 s[14:15]
.Lpost_getpc32703:
	s_add_u32 s14, s14, (.LBB2_8063-.Lpost_getpc32703)&4294967295
	s_addc_u32 s15, s15, (.LBB2_8063-.Lpost_getpc32703)>>32
	s_setpc_b64 s[14:15]
.LBB2_32703:
	s_getpc_b64 s[14:15]
.Lpost_getpc19935:
	s_add_u32 s14, s14, (.LBB2_8064-.Lpost_getpc19935)&4294967295
	s_addc_u32 s15, s15, (.LBB2_8064-.Lpost_getpc19935)>>32
	s_setpc_b64 s[14:15]
.LBB2_22401:
	s_movk_i32 s4, 0x80
	v_cmp_eq_u16_sdwa s[12:13], v6, s4 src0_sel:BYTE_0 src1_sel:DWORD
	s_mov_b64 s[4:5], -1
                                        ; implicit-def: $sgpr10
	s_and_saveexec_b64 s[8:9], s[12:13]
; %bb.22402:
	s_mov_b32 s10, 0x7f800001
	s_xor_b64 s[4:5], exec, -1
; %bb.22403:
	s_or_b64 exec, exec, s[8:9]
	s_and_b64 s[4:5], s[4:5], exec
	s_or_saveexec_b64 s[6:7], s[6:7]
	v_mov_b32_e32 v12, s10
	s_xor_b64 exec, exec, s[6:7]
	s_cbranch_execnz .LBB2_22404
; %bb.58241:
	s_getpc_b64 s[14:15]
.Lpost_getpc32704:
	s_add_u32 s14, s14, (.LBB2_8066-.Lpost_getpc32704)&4294967295
	s_addc_u32 s15, s15, (.LBB2_8066-.Lpost_getpc32704)>>32
	s_setpc_b64 s[14:15]
.LBB2_22404:
	v_mov_b32_e32 v12, 0
	v_cmp_ne_u16_sdwa s[8:9], v6, v12 src0_sel:BYTE_0 src1_sel:DWORD
	s_andn2_b64 s[4:5], s[4:5], exec
	s_and_b64 s[8:9], s[8:9], exec
	s_or_b64 s[4:5], s[4:5], s[8:9]
	s_or_b64 exec, exec, s[6:7]
	s_and_saveexec_b64 s[6:7], s[4:5]
	s_cbranch_execz .LBB2_32705
; %bb.58243:
	s_getpc_b64 s[14:15]
.Lpost_getpc32705:
	s_add_u32 s14, s14, (.LBB2_8067-.Lpost_getpc32705)&4294967295
	s_addc_u32 s15, s15, (.LBB2_8067-.Lpost_getpc32705)>>32
	s_setpc_b64 s[14:15]
.LBB2_32705:
	s_getpc_b64 s[14:15]
.Lpost_getpc19936:
	s_add_u32 s14, s14, (.LBB2_8068-.Lpost_getpc19936)&4294967295
	s_addc_u32 s15, s15, (.LBB2_8068-.Lpost_getpc19936)>>32
	s_setpc_b64 s[14:15]
.LBB2_22405:
	s_movk_i32 s4, 0x80
	v_cmp_eq_u16_sdwa s[12:13], v2, s4 src0_sel:BYTE_0 src1_sel:DWORD
	s_mov_b64 s[4:5], -1
                                        ; implicit-def: $sgpr10
	s_and_saveexec_b64 s[8:9], s[12:13]
; %bb.22406:
	s_mov_b32 s10, 0x7f800001
	s_xor_b64 s[4:5], exec, -1
; %bb.22407:
	s_or_b64 exec, exec, s[8:9]
	s_and_b64 s[4:5], s[4:5], exec
	s_or_saveexec_b64 s[6:7], s[6:7]
	v_mov_b32_e32 v13, s10
	s_xor_b64 exec, exec, s[6:7]
	s_cbranch_execnz .LBB2_22408
; %bb.58245:
	s_getpc_b64 s[14:15]
.Lpost_getpc32706:
	s_add_u32 s14, s14, (.LBB2_8070-.Lpost_getpc32706)&4294967295
	s_addc_u32 s15, s15, (.LBB2_8070-.Lpost_getpc32706)>>32
	s_setpc_b64 s[14:15]
.LBB2_22408:
	v_mov_b32_e32 v13, 0
	v_cmp_ne_u16_sdwa s[8:9], v2, v13 src0_sel:BYTE_0 src1_sel:DWORD
	s_andn2_b64 s[4:5], s[4:5], exec
	s_and_b64 s[8:9], s[8:9], exec
	s_or_b64 s[4:5], s[4:5], s[8:9]
	s_or_b64 exec, exec, s[6:7]
	s_and_saveexec_b64 s[6:7], s[4:5]
	s_cbranch_execz .LBB2_32707
; %bb.58247:
	s_getpc_b64 s[14:15]
.Lpost_getpc32707:
	s_add_u32 s14, s14, (.LBB2_8071-.Lpost_getpc32707)&4294967295
	s_addc_u32 s15, s15, (.LBB2_8071-.Lpost_getpc32707)>>32
	s_setpc_b64 s[14:15]
.LBB2_32707:
	s_getpc_b64 s[14:15]
.Lpost_getpc19937:
	s_add_u32 s14, s14, (.LBB2_8072-.Lpost_getpc19937)&4294967295
	s_addc_u32 s15, s15, (.LBB2_8072-.Lpost_getpc19937)>>32
	s_setpc_b64 s[14:15]
.LBB2_22409:
	s_movk_i32 s4, 0x80
	v_cmp_eq_u16_sdwa s[12:13], v13, s4 src0_sel:BYTE_0 src1_sel:DWORD
	s_mov_b64 s[4:5], -1
                                        ; implicit-def: $sgpr10
	s_and_saveexec_b64 s[8:9], s[12:13]
; %bb.22410:
	s_mov_b32 s10, 0x7f800001
	s_xor_b64 s[4:5], exec, -1
; %bb.22411:
	s_or_b64 exec, exec, s[8:9]
	s_and_b64 s[4:5], s[4:5], exec
	s_or_saveexec_b64 s[6:7], s[6:7]
	v_mov_b32_e32 v12, s10
	s_xor_b64 exec, exec, s[6:7]
	s_cbranch_execnz .LBB2_22412
; %bb.58249:
	s_getpc_b64 s[14:15]
.Lpost_getpc32708:
	s_add_u32 s14, s14, (.LBB2_8074-.Lpost_getpc32708)&4294967295
	s_addc_u32 s15, s15, (.LBB2_8074-.Lpost_getpc32708)>>32
	s_setpc_b64 s[14:15]
.LBB2_22412:
	v_mov_b32_e32 v12, 0
	v_cmp_ne_u16_sdwa s[8:9], v13, v12 src0_sel:BYTE_0 src1_sel:DWORD
	s_andn2_b64 s[4:5], s[4:5], exec
	s_and_b64 s[8:9], s[8:9], exec
	s_or_b64 s[4:5], s[4:5], s[8:9]
	s_or_b64 exec, exec, s[6:7]
	s_and_saveexec_b64 s[6:7], s[4:5]
	s_cbranch_execz .LBB2_32709
; %bb.58251:
	s_getpc_b64 s[14:15]
.Lpost_getpc32709:
	s_add_u32 s14, s14, (.LBB2_8075-.Lpost_getpc32709)&4294967295
	s_addc_u32 s15, s15, (.LBB2_8075-.Lpost_getpc32709)>>32
	s_setpc_b64 s[14:15]
.LBB2_32709:
	s_getpc_b64 s[14:15]
.Lpost_getpc19938:
	s_add_u32 s14, s14, (.LBB2_8076-.Lpost_getpc19938)&4294967295
	s_addc_u32 s15, s15, (.LBB2_8076-.Lpost_getpc19938)>>32
	s_setpc_b64 s[14:15]
.LBB2_22413:
	s_movk_i32 s4, 0x80
	v_cmp_eq_u16_sdwa s[12:13], v13, s4 src0_sel:BYTE_0 src1_sel:DWORD
	s_mov_b64 s[4:5], -1
                                        ; implicit-def: $sgpr10
	s_and_saveexec_b64 s[8:9], s[12:13]
; %bb.22414:
	s_mov_b32 s10, 0x7f800001
	s_xor_b64 s[4:5], exec, -1
; %bb.22415:
	s_or_b64 exec, exec, s[8:9]
	s_and_b64 s[4:5], s[4:5], exec
	s_or_saveexec_b64 s[6:7], s[6:7]
	v_mov_b32_e32 v14, s10
	s_xor_b64 exec, exec, s[6:7]
	s_cbranch_execnz .LBB2_22416
; %bb.58253:
	s_getpc_b64 s[14:15]
.Lpost_getpc32710:
	s_add_u32 s14, s14, (.LBB2_8078-.Lpost_getpc32710)&4294967295
	s_addc_u32 s15, s15, (.LBB2_8078-.Lpost_getpc32710)>>32
	s_setpc_b64 s[14:15]
.LBB2_22416:
	v_mov_b32_e32 v14, 0
	v_cmp_ne_u16_sdwa s[8:9], v13, v14 src0_sel:BYTE_0 src1_sel:DWORD
	s_andn2_b64 s[4:5], s[4:5], exec
	s_and_b64 s[8:9], s[8:9], exec
	s_or_b64 s[4:5], s[4:5], s[8:9]
	s_or_b64 exec, exec, s[6:7]
	s_and_saveexec_b64 s[6:7], s[4:5]
	s_cbranch_execz .LBB2_32711
; %bb.58255:
	s_getpc_b64 s[14:15]
.Lpost_getpc32711:
	s_add_u32 s14, s14, (.LBB2_8079-.Lpost_getpc32711)&4294967295
	s_addc_u32 s15, s15, (.LBB2_8079-.Lpost_getpc32711)>>32
	s_setpc_b64 s[14:15]
.LBB2_32711:
	s_getpc_b64 s[14:15]
.Lpost_getpc19939:
	s_add_u32 s14, s14, (.LBB2_8080-.Lpost_getpc19939)&4294967295
	s_addc_u32 s15, s15, (.LBB2_8080-.Lpost_getpc19939)>>32
	s_setpc_b64 s[14:15]
.LBB2_22417:
	s_movk_i32 s4, 0x80
	v_cmp_eq_u16_e32 vcc, s4, v13
	s_mov_b64 s[4:5], -1
                                        ; implicit-def: $sgpr10
	s_and_saveexec_b64 s[8:9], vcc
; %bb.22418:
	s_mov_b32 s10, 0x7f800001
	s_xor_b64 s[4:5], exec, -1
; %bb.22419:
	s_or_b64 exec, exec, s[8:9]
	s_and_b64 s[4:5], s[4:5], exec
                                        ; implicit-def: $vgpr13
	s_or_saveexec_b64 s[6:7], s[6:7]
	v_mov_b32_e32 v12, s10
	s_xor_b64 exec, exec, s[6:7]
	s_cbranch_execnz .LBB2_22420
; %bb.58257:
	s_getpc_b64 s[14:15]
.Lpost_getpc32712:
	s_add_u32 s14, s14, (.LBB2_8082-.Lpost_getpc32712)&4294967295
	s_addc_u32 s15, s15, (.LBB2_8082-.Lpost_getpc32712)>>32
	s_setpc_b64 s[14:15]
.LBB2_22420:
	v_cmp_ne_u16_e32 vcc, 0, v13
	s_andn2_b64 s[4:5], s[4:5], exec
	s_and_b64 s[8:9], vcc, exec
	v_mov_b32_e32 v12, 0
	s_or_b64 s[4:5], s[4:5], s[8:9]
	s_or_b64 exec, exec, s[6:7]
	s_and_saveexec_b64 s[6:7], s[4:5]
	s_cbranch_execz .LBB2_32713
; %bb.58259:
	s_getpc_b64 s[14:15]
.Lpost_getpc32713:
	s_add_u32 s14, s14, (.LBB2_8083-.Lpost_getpc32713)&4294967295
	s_addc_u32 s15, s15, (.LBB2_8083-.Lpost_getpc32713)>>32
	s_setpc_b64 s[14:15]
.LBB2_32713:
	s_getpc_b64 s[14:15]
.Lpost_getpc19940:
	s_add_u32 s14, s14, (.LBB2_8084-.Lpost_getpc19940)&4294967295
	s_addc_u32 s15, s15, (.LBB2_8084-.Lpost_getpc19940)>>32
	s_setpc_b64 s[14:15]
.LBB2_22421:
	s_movk_i32 s4, 0x80
	v_cmp_eq_u16_e32 vcc, s4, v13
	s_mov_b64 s[4:5], -1
                                        ; implicit-def: $sgpr10
	s_and_saveexec_b64 s[8:9], vcc
; %bb.22422:
	s_mov_b32 s10, 0x7f800001
	s_xor_b64 s[4:5], exec, -1
; %bb.22423:
	s_or_b64 exec, exec, s[8:9]
	s_and_b64 s[4:5], s[4:5], exec
                                        ; implicit-def: $vgpr13
	s_or_saveexec_b64 s[6:7], s[6:7]
	v_mov_b32_e32 v14, s10
	s_xor_b64 exec, exec, s[6:7]
	s_cbranch_execnz .LBB2_22424
; %bb.58261:
	s_getpc_b64 s[14:15]
.Lpost_getpc32714:
	s_add_u32 s14, s14, (.LBB2_8086-.Lpost_getpc32714)&4294967295
	s_addc_u32 s15, s15, (.LBB2_8086-.Lpost_getpc32714)>>32
	s_setpc_b64 s[14:15]
.LBB2_22424:
	v_cmp_ne_u16_e32 vcc, 0, v13
	s_andn2_b64 s[4:5], s[4:5], exec
	s_and_b64 s[8:9], vcc, exec
	v_mov_b32_e32 v14, 0
	s_or_b64 s[4:5], s[4:5], s[8:9]
	s_or_b64 exec, exec, s[6:7]
	s_and_saveexec_b64 s[6:7], s[4:5]
	s_cbranch_execz .LBB2_32715
; %bb.58263:
	s_getpc_b64 s[14:15]
.Lpost_getpc32715:
	s_add_u32 s14, s14, (.LBB2_8087-.Lpost_getpc32715)&4294967295
	s_addc_u32 s15, s15, (.LBB2_8087-.Lpost_getpc32715)>>32
	s_setpc_b64 s[14:15]
.LBB2_32715:
	s_getpc_b64 s[14:15]
.Lpost_getpc19941:
	s_add_u32 s14, s14, (.LBB2_8088-.Lpost_getpc19941)&4294967295
	s_addc_u32 s15, s15, (.LBB2_8088-.Lpost_getpc19941)>>32
	s_setpc_b64 s[14:15]
.LBB2_22425:
	s_movk_i32 s4, 0x80
	v_cmp_eq_u16_sdwa s[12:13], v6, s4 src0_sel:BYTE_3 src1_sel:DWORD
	s_mov_b64 s[4:5], -1
                                        ; implicit-def: $sgpr10
	s_and_saveexec_b64 s[8:9], s[12:13]
; %bb.22426:
	s_mov_b32 s10, 0x7f800001
	s_xor_b64 s[4:5], exec, -1
; %bb.22427:
	s_or_b64 exec, exec, s[8:9]
	s_and_b64 s[4:5], s[4:5], exec
	s_or_saveexec_b64 s[6:7], s[6:7]
	v_mov_b32_e32 v12, s10
	s_xor_b64 exec, exec, s[6:7]
	s_cbranch_execnz .LBB2_22428
; %bb.58265:
	s_getpc_b64 s[14:15]
.Lpost_getpc32716:
	s_add_u32 s14, s14, (.LBB2_8090-.Lpost_getpc32716)&4294967295
	s_addc_u32 s15, s15, (.LBB2_8090-.Lpost_getpc32716)>>32
	s_setpc_b64 s[14:15]
.LBB2_22428:
	v_mov_b32_e32 v12, 0
	v_cmp_ne_u16_sdwa s[8:9], v6, v12 src0_sel:BYTE_3 src1_sel:DWORD
	s_andn2_b64 s[4:5], s[4:5], exec
	s_and_b64 s[8:9], s[8:9], exec
	s_or_b64 s[4:5], s[4:5], s[8:9]
	s_or_b64 exec, exec, s[6:7]
	s_and_saveexec_b64 s[6:7], s[4:5]
	s_cbranch_execz .LBB2_32717
; %bb.58267:
	s_getpc_b64 s[14:15]
.Lpost_getpc32717:
	s_add_u32 s14, s14, (.LBB2_8091-.Lpost_getpc32717)&4294967295
	s_addc_u32 s15, s15, (.LBB2_8091-.Lpost_getpc32717)>>32
	s_setpc_b64 s[14:15]
.LBB2_32717:
	s_getpc_b64 s[14:15]
.Lpost_getpc19942:
	s_add_u32 s14, s14, (.LBB2_8092-.Lpost_getpc19942)&4294967295
	s_addc_u32 s15, s15, (.LBB2_8092-.Lpost_getpc19942)>>32
	s_setpc_b64 s[14:15]
.LBB2_22429:
	s_movk_i32 s4, 0x80
	v_cmp_eq_u16_sdwa s[12:13], v2, s4 src0_sel:BYTE_3 src1_sel:DWORD
	s_mov_b64 s[4:5], -1
                                        ; implicit-def: $sgpr10
	s_and_saveexec_b64 s[8:9], s[12:13]
; %bb.22430:
	s_mov_b32 s10, 0x7f800001
	s_xor_b64 s[4:5], exec, -1
; %bb.22431:
	s_or_b64 exec, exec, s[8:9]
	s_and_b64 s[4:5], s[4:5], exec
	s_or_saveexec_b64 s[6:7], s[6:7]
	v_mov_b32_e32 v6, s10
	s_xor_b64 exec, exec, s[6:7]
	s_cbranch_execnz .LBB2_22432
; %bb.58269:
	s_getpc_b64 s[14:15]
.Lpost_getpc32718:
	s_add_u32 s14, s14, (.LBB2_8094-.Lpost_getpc32718)&4294967295
	s_addc_u32 s15, s15, (.LBB2_8094-.Lpost_getpc32718)>>32
	s_setpc_b64 s[14:15]
.LBB2_22432:
	v_mov_b32_e32 v6, 0
	v_cmp_ne_u16_sdwa s[8:9], v2, v6 src0_sel:BYTE_3 src1_sel:DWORD
	s_andn2_b64 s[4:5], s[4:5], exec
	s_and_b64 s[8:9], s[8:9], exec
	s_or_b64 s[4:5], s[4:5], s[8:9]
	s_or_b64 exec, exec, s[6:7]
	s_and_saveexec_b64 s[6:7], s[4:5]
	s_cbranch_execz .LBB2_32719
; %bb.58271:
	s_getpc_b64 s[14:15]
.Lpost_getpc32719:
	s_add_u32 s14, s14, (.LBB2_8095-.Lpost_getpc32719)&4294967295
	s_addc_u32 s15, s15, (.LBB2_8095-.Lpost_getpc32719)>>32
	s_setpc_b64 s[14:15]
.LBB2_32719:
	s_getpc_b64 s[14:15]
.Lpost_getpc19943:
	s_add_u32 s14, s14, (.LBB2_8096-.Lpost_getpc19943)&4294967295
	s_addc_u32 s15, s15, (.LBB2_8096-.Lpost_getpc19943)>>32
	s_setpc_b64 s[14:15]
.LBB2_22433:
	s_movk_i32 s4, 0x80
	v_cmp_eq_u16_sdwa s[12:13], v7, s4 src0_sel:BYTE_0 src1_sel:DWORD
	s_mov_b64 s[4:5], -1
                                        ; implicit-def: $sgpr10
	s_and_saveexec_b64 s[8:9], s[12:13]
; %bb.22434:
	s_mov_b32 s10, 0x7f800001
	s_xor_b64 s[4:5], exec, -1
; %bb.22435:
	s_or_b64 exec, exec, s[8:9]
	s_and_b64 s[4:5], s[4:5], exec
	s_or_saveexec_b64 s[6:7], s[6:7]
	v_mov_b32_e32 v2, s10
	s_xor_b64 exec, exec, s[6:7]
	s_cbranch_execnz .LBB2_22436
; %bb.58273:
	s_getpc_b64 s[14:15]
.Lpost_getpc32720:
	s_add_u32 s14, s14, (.LBB2_8098-.Lpost_getpc32720)&4294967295
	s_addc_u32 s15, s15, (.LBB2_8098-.Lpost_getpc32720)>>32
	s_setpc_b64 s[14:15]
.LBB2_22436:
	v_mov_b32_e32 v2, 0
	v_cmp_ne_u16_sdwa s[8:9], v7, v2 src0_sel:BYTE_0 src1_sel:DWORD
	s_andn2_b64 s[4:5], s[4:5], exec
	s_and_b64 s[8:9], s[8:9], exec
	s_or_b64 s[4:5], s[4:5], s[8:9]
	s_or_b64 exec, exec, s[6:7]
	s_and_saveexec_b64 s[6:7], s[4:5]
	s_cbranch_execz .LBB2_32721
; %bb.58275:
	s_getpc_b64 s[14:15]
.Lpost_getpc32721:
	s_add_u32 s14, s14, (.LBB2_8099-.Lpost_getpc32721)&4294967295
	s_addc_u32 s15, s15, (.LBB2_8099-.Lpost_getpc32721)>>32
	s_setpc_b64 s[14:15]
.LBB2_32721:
	s_getpc_b64 s[14:15]
.Lpost_getpc19944:
	s_add_u32 s14, s14, (.LBB2_8100-.Lpost_getpc19944)&4294967295
	s_addc_u32 s15, s15, (.LBB2_8100-.Lpost_getpc19944)>>32
	s_setpc_b64 s[14:15]
.LBB2_22437:
	s_movk_i32 s4, 0x80
	v_cmp_eq_u16_sdwa s[12:13], v3, s4 src0_sel:BYTE_0 src1_sel:DWORD
	s_mov_b64 s[4:5], -1
                                        ; implicit-def: $sgpr10
	s_and_saveexec_b64 s[8:9], s[12:13]
; %bb.22438:
	s_mov_b32 s10, 0x7f800001
	s_xor_b64 s[4:5], exec, -1
; %bb.22439:
	s_or_b64 exec, exec, s[8:9]
	s_and_b64 s[4:5], s[4:5], exec
	s_or_saveexec_b64 s[6:7], s[6:7]
	v_mov_b32_e32 v6, s10
	s_xor_b64 exec, exec, s[6:7]
	s_cbranch_execnz .LBB2_22440
; %bb.58277:
	s_getpc_b64 s[14:15]
.Lpost_getpc32722:
	s_add_u32 s14, s14, (.LBB2_8102-.Lpost_getpc32722)&4294967295
	s_addc_u32 s15, s15, (.LBB2_8102-.Lpost_getpc32722)>>32
	s_setpc_b64 s[14:15]
.LBB2_22440:
	v_mov_b32_e32 v6, 0
	v_cmp_ne_u16_sdwa s[8:9], v3, v6 src0_sel:BYTE_0 src1_sel:DWORD
	s_andn2_b64 s[4:5], s[4:5], exec
	s_and_b64 s[8:9], s[8:9], exec
	s_or_b64 s[4:5], s[4:5], s[8:9]
	s_or_b64 exec, exec, s[6:7]
	s_and_saveexec_b64 s[6:7], s[4:5]
	s_cbranch_execz .LBB2_32723
; %bb.58279:
	s_getpc_b64 s[14:15]
.Lpost_getpc32723:
	s_add_u32 s14, s14, (.LBB2_8103-.Lpost_getpc32723)&4294967295
	s_addc_u32 s15, s15, (.LBB2_8103-.Lpost_getpc32723)>>32
	s_setpc_b64 s[14:15]
.LBB2_32723:
	s_getpc_b64 s[14:15]
.Lpost_getpc19945:
	s_add_u32 s14, s14, (.LBB2_8104-.Lpost_getpc19945)&4294967295
	s_addc_u32 s15, s15, (.LBB2_8104-.Lpost_getpc19945)>>32
	s_setpc_b64 s[14:15]
.LBB2_22441:
	s_movk_i32 s4, 0x80
	v_cmp_eq_u16_sdwa s[12:13], v6, s4 src0_sel:BYTE_0 src1_sel:DWORD
	s_mov_b64 s[4:5], -1
                                        ; implicit-def: $sgpr10
	s_and_saveexec_b64 s[8:9], s[12:13]
; %bb.22442:
	s_mov_b32 s10, 0x7f800001
	s_xor_b64 s[4:5], exec, -1
; %bb.22443:
	s_or_b64 exec, exec, s[8:9]
	s_and_b64 s[4:5], s[4:5], exec
	s_or_saveexec_b64 s[6:7], s[6:7]
	v_mov_b32_e32 v2, s10
	s_xor_b64 exec, exec, s[6:7]
	s_cbranch_execnz .LBB2_22444
; %bb.58281:
	s_getpc_b64 s[14:15]
.Lpost_getpc32724:
	s_add_u32 s14, s14, (.LBB2_8106-.Lpost_getpc32724)&4294967295
	s_addc_u32 s15, s15, (.LBB2_8106-.Lpost_getpc32724)>>32
	s_setpc_b64 s[14:15]
.LBB2_22444:
	v_mov_b32_e32 v2, 0
	v_cmp_ne_u16_sdwa s[8:9], v6, v2 src0_sel:BYTE_0 src1_sel:DWORD
	s_andn2_b64 s[4:5], s[4:5], exec
	s_and_b64 s[8:9], s[8:9], exec
	s_or_b64 s[4:5], s[4:5], s[8:9]
	s_or_b64 exec, exec, s[6:7]
	s_and_saveexec_b64 s[6:7], s[4:5]
	s_cbranch_execz .LBB2_32725
; %bb.58283:
	s_getpc_b64 s[14:15]
.Lpost_getpc32725:
	s_add_u32 s14, s14, (.LBB2_8107-.Lpost_getpc32725)&4294967295
	s_addc_u32 s15, s15, (.LBB2_8107-.Lpost_getpc32725)>>32
	s_setpc_b64 s[14:15]
.LBB2_32725:
	s_getpc_b64 s[14:15]
.Lpost_getpc19946:
	s_add_u32 s14, s14, (.LBB2_8108-.Lpost_getpc19946)&4294967295
	s_addc_u32 s15, s15, (.LBB2_8108-.Lpost_getpc19946)>>32
	s_setpc_b64 s[14:15]
.LBB2_22445:
	s_movk_i32 s4, 0x80
	v_cmp_eq_u16_sdwa s[12:13], v6, s4 src0_sel:BYTE_0 src1_sel:DWORD
	s_mov_b64 s[4:5], -1
                                        ; implicit-def: $sgpr10
	s_and_saveexec_b64 s[8:9], s[12:13]
; %bb.22446:
	s_mov_b32 s10, 0x7f800001
	s_xor_b64 s[4:5], exec, -1
; %bb.22447:
	s_or_b64 exec, exec, s[8:9]
	s_and_b64 s[4:5], s[4:5], exec
	s_or_saveexec_b64 s[6:7], s[6:7]
	v_mov_b32_e32 v12, s10
	s_xor_b64 exec, exec, s[6:7]
	s_cbranch_execnz .LBB2_22448
; %bb.58285:
	s_getpc_b64 s[14:15]
.Lpost_getpc32726:
	s_add_u32 s14, s14, (.LBB2_8110-.Lpost_getpc32726)&4294967295
	s_addc_u32 s15, s15, (.LBB2_8110-.Lpost_getpc32726)>>32
	s_setpc_b64 s[14:15]
.LBB2_22448:
	v_mov_b32_e32 v12, 0
	v_cmp_ne_u16_sdwa s[8:9], v6, v12 src0_sel:BYTE_0 src1_sel:DWORD
	s_andn2_b64 s[4:5], s[4:5], exec
	s_and_b64 s[8:9], s[8:9], exec
	s_or_b64 s[4:5], s[4:5], s[8:9]
	s_or_b64 exec, exec, s[6:7]
	s_and_saveexec_b64 s[6:7], s[4:5]
	s_cbranch_execz .LBB2_32727
; %bb.58287:
	s_getpc_b64 s[14:15]
.Lpost_getpc32727:
	s_add_u32 s14, s14, (.LBB2_8111-.Lpost_getpc32727)&4294967295
	s_addc_u32 s15, s15, (.LBB2_8111-.Lpost_getpc32727)>>32
	s_setpc_b64 s[14:15]
.LBB2_32727:
	s_getpc_b64 s[14:15]
.Lpost_getpc19947:
	s_add_u32 s14, s14, (.LBB2_8112-.Lpost_getpc19947)&4294967295
	s_addc_u32 s15, s15, (.LBB2_8112-.Lpost_getpc19947)>>32
	s_setpc_b64 s[14:15]
.LBB2_22449:
	s_movk_i32 s4, 0x80
	v_cmp_eq_u16_e32 vcc, s4, v6
	s_mov_b64 s[4:5], -1
                                        ; implicit-def: $sgpr10
	s_and_saveexec_b64 s[8:9], vcc
; %bb.22450:
	s_mov_b32 s10, 0x7f800001
	s_xor_b64 s[4:5], exec, -1
; %bb.22451:
	s_or_b64 exec, exec, s[8:9]
	s_and_b64 s[4:5], s[4:5], exec
                                        ; implicit-def: $vgpr6
	s_or_saveexec_b64 s[6:7], s[6:7]
	v_mov_b32_e32 v2, s10
	s_xor_b64 exec, exec, s[6:7]
	s_cbranch_execnz .LBB2_22452
; %bb.58289:
	s_getpc_b64 s[14:15]
.Lpost_getpc32728:
	s_add_u32 s14, s14, (.LBB2_8114-.Lpost_getpc32728)&4294967295
	s_addc_u32 s15, s15, (.LBB2_8114-.Lpost_getpc32728)>>32
	s_setpc_b64 s[14:15]
.LBB2_22452:
	v_cmp_ne_u16_e32 vcc, 0, v6
	s_andn2_b64 s[4:5], s[4:5], exec
	s_and_b64 s[8:9], vcc, exec
	v_mov_b32_e32 v2, 0
	s_or_b64 s[4:5], s[4:5], s[8:9]
	s_or_b64 exec, exec, s[6:7]
	s_and_saveexec_b64 s[6:7], s[4:5]
	s_cbranch_execz .LBB2_32729
; %bb.58291:
	s_getpc_b64 s[14:15]
.Lpost_getpc32729:
	s_add_u32 s14, s14, (.LBB2_8115-.Lpost_getpc32729)&4294967295
	s_addc_u32 s15, s15, (.LBB2_8115-.Lpost_getpc32729)>>32
	s_setpc_b64 s[14:15]
.LBB2_32729:
	s_getpc_b64 s[14:15]
.Lpost_getpc19948:
	s_add_u32 s14, s14, (.LBB2_8116-.Lpost_getpc19948)&4294967295
	s_addc_u32 s15, s15, (.LBB2_8116-.Lpost_getpc19948)>>32
	s_setpc_b64 s[14:15]
.LBB2_22453:
	s_movk_i32 s4, 0x80
	v_cmp_eq_u16_e32 vcc, s4, v6
	s_mov_b64 s[4:5], -1
                                        ; implicit-def: $sgpr10
	s_and_saveexec_b64 s[8:9], vcc
; %bb.22454:
	s_mov_b32 s10, 0x7f800001
	s_xor_b64 s[4:5], exec, -1
; %bb.22455:
	s_or_b64 exec, exec, s[8:9]
	s_and_b64 s[4:5], s[4:5], exec
                                        ; implicit-def: $vgpr6
	s_or_saveexec_b64 s[6:7], s[6:7]
	v_mov_b32_e32 v12, s10
	s_xor_b64 exec, exec, s[6:7]
	s_cbranch_execnz .LBB2_22456
; %bb.58293:
	s_getpc_b64 s[14:15]
.Lpost_getpc32730:
	s_add_u32 s14, s14, (.LBB2_8118-.Lpost_getpc32730)&4294967295
	s_addc_u32 s15, s15, (.LBB2_8118-.Lpost_getpc32730)>>32
	s_setpc_b64 s[14:15]
.LBB2_22456:
	v_cmp_ne_u16_e32 vcc, 0, v6
	s_andn2_b64 s[4:5], s[4:5], exec
	s_and_b64 s[8:9], vcc, exec
	v_mov_b32_e32 v12, 0
	s_or_b64 s[4:5], s[4:5], s[8:9]
	s_or_b64 exec, exec, s[6:7]
	s_and_saveexec_b64 s[6:7], s[4:5]
	s_cbranch_execz .LBB2_32731
; %bb.58295:
	s_getpc_b64 s[14:15]
.Lpost_getpc32731:
	s_add_u32 s14, s14, (.LBB2_8119-.Lpost_getpc32731)&4294967295
	s_addc_u32 s15, s15, (.LBB2_8119-.Lpost_getpc32731)>>32
	s_setpc_b64 s[14:15]
.LBB2_32731:
	s_getpc_b64 s[14:15]
.Lpost_getpc19949:
	s_add_u32 s14, s14, (.LBB2_8120-.Lpost_getpc19949)&4294967295
	s_addc_u32 s15, s15, (.LBB2_8120-.Lpost_getpc19949)>>32
	s_setpc_b64 s[14:15]
.LBB2_22457:
	s_movk_i32 s4, 0x80
	v_cmp_eq_u16_sdwa s[12:13], v7, s4 src0_sel:BYTE_3 src1_sel:DWORD
	s_mov_b64 s[4:5], -1
                                        ; implicit-def: $sgpr10
	s_and_saveexec_b64 s[8:9], s[12:13]
; %bb.22458:
	s_mov_b32 s10, 0x7f800001
	s_xor_b64 s[4:5], exec, -1
; %bb.22459:
	s_or_b64 exec, exec, s[8:9]
	s_and_b64 s[4:5], s[4:5], exec
	s_or_saveexec_b64 s[6:7], s[6:7]
	v_mov_b32_e32 v2, s10
	s_xor_b64 exec, exec, s[6:7]
	s_cbranch_execnz .LBB2_22460
; %bb.58297:
	s_getpc_b64 s[14:15]
.Lpost_getpc32732:
	s_add_u32 s14, s14, (.LBB2_8122-.Lpost_getpc32732)&4294967295
	s_addc_u32 s15, s15, (.LBB2_8122-.Lpost_getpc32732)>>32
	s_setpc_b64 s[14:15]
.LBB2_22460:
	v_mov_b32_e32 v2, 0
	v_cmp_ne_u16_sdwa s[8:9], v7, v2 src0_sel:BYTE_3 src1_sel:DWORD
	s_andn2_b64 s[4:5], s[4:5], exec
	s_and_b64 s[8:9], s[8:9], exec
	s_or_b64 s[4:5], s[4:5], s[8:9]
	s_or_b64 exec, exec, s[6:7]
	s_and_saveexec_b64 s[6:7], s[4:5]
	s_cbranch_execz .LBB2_32733
; %bb.58299:
	s_getpc_b64 s[14:15]
.Lpost_getpc32733:
	s_add_u32 s14, s14, (.LBB2_8123-.Lpost_getpc32733)&4294967295
	s_addc_u32 s15, s15, (.LBB2_8123-.Lpost_getpc32733)>>32
	s_setpc_b64 s[14:15]
.LBB2_32733:
	s_getpc_b64 s[14:15]
.Lpost_getpc19950:
	s_add_u32 s14, s14, (.LBB2_8124-.Lpost_getpc19950)&4294967295
	s_addc_u32 s15, s15, (.LBB2_8124-.Lpost_getpc19950)>>32
	s_setpc_b64 s[14:15]
.LBB2_22461:
	s_movk_i32 s4, 0x80
	v_cmp_eq_u16_sdwa s[12:13], v3, s4 src0_sel:BYTE_3 src1_sel:DWORD
	s_mov_b64 s[4:5], -1
                                        ; implicit-def: $sgpr10
	s_and_saveexec_b64 s[8:9], s[12:13]
; %bb.22462:
	s_mov_b32 s10, 0x7f800001
	s_xor_b64 s[4:5], exec, -1
; %bb.22463:
	s_or_b64 exec, exec, s[8:9]
	s_and_b64 s[4:5], s[4:5], exec
	s_or_saveexec_b64 s[6:7], s[6:7]
	v_mov_b32_e32 v6, s10
	s_xor_b64 exec, exec, s[6:7]
	s_cbranch_execnz .LBB2_22464
; %bb.58301:
	s_getpc_b64 s[14:15]
.Lpost_getpc32734:
	s_add_u32 s14, s14, (.LBB2_8126-.Lpost_getpc32734)&4294967295
	s_addc_u32 s15, s15, (.LBB2_8126-.Lpost_getpc32734)>>32
	s_setpc_b64 s[14:15]
.LBB2_22464:
	v_mov_b32_e32 v6, 0
	v_cmp_ne_u16_sdwa s[8:9], v3, v6 src0_sel:BYTE_3 src1_sel:DWORD
	s_andn2_b64 s[4:5], s[4:5], exec
	s_and_b64 s[8:9], s[8:9], exec
	s_or_b64 s[4:5], s[4:5], s[8:9]
	s_or_b64 exec, exec, s[6:7]
	s_and_saveexec_b64 s[6:7], s[4:5]
	s_cbranch_execz .LBB2_32735
; %bb.58303:
	s_getpc_b64 s[14:15]
.Lpost_getpc32735:
	s_add_u32 s14, s14, (.LBB2_8127-.Lpost_getpc32735)&4294967295
	s_addc_u32 s15, s15, (.LBB2_8127-.Lpost_getpc32735)>>32
	s_setpc_b64 s[14:15]
.LBB2_32735:
	s_getpc_b64 s[14:15]
.Lpost_getpc19951:
	s_add_u32 s14, s14, (.LBB2_8128-.Lpost_getpc19951)&4294967295
	s_addc_u32 s15, s15, (.LBB2_8128-.Lpost_getpc19951)>>32
	s_setpc_b64 s[14:15]
.LBB2_22465:
	s_movk_i32 s4, 0x80
	v_cmp_eq_u16_sdwa s[12:13], v8, s4 src0_sel:BYTE_0 src1_sel:DWORD
	s_mov_b64 s[4:5], -1
                                        ; implicit-def: $sgpr10
	s_and_saveexec_b64 s[8:9], s[12:13]
; %bb.22466:
	s_mov_b32 s10, 0x7f800001
	s_xor_b64 s[4:5], exec, -1
; %bb.22467:
	s_or_b64 exec, exec, s[8:9]
	s_and_b64 s[4:5], s[4:5], exec
	s_or_saveexec_b64 s[6:7], s[6:7]
	v_mov_b32_e32 v2, s10
	s_xor_b64 exec, exec, s[6:7]
	s_cbranch_execnz .LBB2_22468
; %bb.58305:
	s_getpc_b64 s[14:15]
.Lpost_getpc32736:
	s_add_u32 s14, s14, (.LBB2_8130-.Lpost_getpc32736)&4294967295
	s_addc_u32 s15, s15, (.LBB2_8130-.Lpost_getpc32736)>>32
	s_setpc_b64 s[14:15]
.LBB2_22468:
	v_mov_b32_e32 v2, 0
	v_cmp_ne_u16_sdwa s[8:9], v8, v2 src0_sel:BYTE_0 src1_sel:DWORD
	s_andn2_b64 s[4:5], s[4:5], exec
	s_and_b64 s[8:9], s[8:9], exec
	s_or_b64 s[4:5], s[4:5], s[8:9]
	s_or_b64 exec, exec, s[6:7]
	s_and_saveexec_b64 s[6:7], s[4:5]
	s_cbranch_execz .LBB2_32737
; %bb.58307:
	s_getpc_b64 s[14:15]
.Lpost_getpc32737:
	s_add_u32 s14, s14, (.LBB2_8131-.Lpost_getpc32737)&4294967295
	s_addc_u32 s15, s15, (.LBB2_8131-.Lpost_getpc32737)>>32
	s_setpc_b64 s[14:15]
.LBB2_32737:
	s_getpc_b64 s[14:15]
.Lpost_getpc19952:
	s_add_u32 s14, s14, (.LBB2_8132-.Lpost_getpc19952)&4294967295
	s_addc_u32 s15, s15, (.LBB2_8132-.Lpost_getpc19952)>>32
	s_setpc_b64 s[14:15]
.LBB2_22469:
	s_movk_i32 s4, 0x80
	v_cmp_eq_u16_sdwa s[12:13], v4, s4 src0_sel:BYTE_0 src1_sel:DWORD
	s_mov_b64 s[4:5], -1
                                        ; implicit-def: $sgpr10
	s_and_saveexec_b64 s[8:9], s[12:13]
; %bb.22470:
	s_mov_b32 s10, 0x7f800001
	s_xor_b64 s[4:5], exec, -1
; %bb.22471:
	s_or_b64 exec, exec, s[8:9]
	s_and_b64 s[4:5], s[4:5], exec
	s_or_saveexec_b64 s[6:7], s[6:7]
	v_mov_b32_e32 v3, s10
	s_xor_b64 exec, exec, s[6:7]
	s_cbranch_execnz .LBB2_22472
; %bb.58309:
	s_getpc_b64 s[14:15]
.Lpost_getpc32738:
	s_add_u32 s14, s14, (.LBB2_8134-.Lpost_getpc32738)&4294967295
	s_addc_u32 s15, s15, (.LBB2_8134-.Lpost_getpc32738)>>32
	s_setpc_b64 s[14:15]
.LBB2_22472:
	v_mov_b32_e32 v3, 0
	v_cmp_ne_u16_sdwa s[8:9], v4, v3 src0_sel:BYTE_0 src1_sel:DWORD
	s_andn2_b64 s[4:5], s[4:5], exec
	s_and_b64 s[8:9], s[8:9], exec
	s_or_b64 s[4:5], s[4:5], s[8:9]
	s_or_b64 exec, exec, s[6:7]
	s_and_saveexec_b64 s[6:7], s[4:5]
	s_cbranch_execz .LBB2_32739
; %bb.58311:
	s_getpc_b64 s[14:15]
.Lpost_getpc32739:
	s_add_u32 s14, s14, (.LBB2_8135-.Lpost_getpc32739)&4294967295
	s_addc_u32 s15, s15, (.LBB2_8135-.Lpost_getpc32739)>>32
	s_setpc_b64 s[14:15]
.LBB2_32739:
	s_getpc_b64 s[14:15]
.Lpost_getpc19953:
	s_add_u32 s14, s14, (.LBB2_8136-.Lpost_getpc19953)&4294967295
	s_addc_u32 s15, s15, (.LBB2_8136-.Lpost_getpc19953)>>32
	s_setpc_b64 s[14:15]
.LBB2_22473:
	s_movk_i32 s4, 0x80
	v_cmp_eq_u16_sdwa s[12:13], v3, s4 src0_sel:BYTE_0 src1_sel:DWORD
	s_mov_b64 s[4:5], -1
                                        ; implicit-def: $sgpr10
	s_and_saveexec_b64 s[8:9], s[12:13]
; %bb.22474:
	s_mov_b32 s10, 0x7f800001
	s_xor_b64 s[4:5], exec, -1
; %bb.22475:
	s_or_b64 exec, exec, s[8:9]
	s_and_b64 s[4:5], s[4:5], exec
	s_or_saveexec_b64 s[6:7], s[6:7]
	v_mov_b32_e32 v2, s10
	s_xor_b64 exec, exec, s[6:7]
	s_cbranch_execnz .LBB2_22476
; %bb.58313:
	s_getpc_b64 s[14:15]
.Lpost_getpc32740:
	s_add_u32 s14, s14, (.LBB2_8138-.Lpost_getpc32740)&4294967295
	s_addc_u32 s15, s15, (.LBB2_8138-.Lpost_getpc32740)>>32
	s_setpc_b64 s[14:15]
.LBB2_22476:
	v_mov_b32_e32 v2, 0
	v_cmp_ne_u16_sdwa s[8:9], v3, v2 src0_sel:BYTE_0 src1_sel:DWORD
	s_andn2_b64 s[4:5], s[4:5], exec
	s_and_b64 s[8:9], s[8:9], exec
	s_or_b64 s[4:5], s[4:5], s[8:9]
	s_or_b64 exec, exec, s[6:7]
	s_and_saveexec_b64 s[6:7], s[4:5]
	s_cbranch_execz .LBB2_32741
; %bb.58315:
	s_getpc_b64 s[14:15]
.Lpost_getpc32741:
	s_add_u32 s14, s14, (.LBB2_8139-.Lpost_getpc32741)&4294967295
	s_addc_u32 s15, s15, (.LBB2_8139-.Lpost_getpc32741)>>32
	s_setpc_b64 s[14:15]
.LBB2_32741:
	s_getpc_b64 s[14:15]
.Lpost_getpc19954:
	s_add_u32 s14, s14, (.LBB2_8140-.Lpost_getpc19954)&4294967295
	s_addc_u32 s15, s15, (.LBB2_8140-.Lpost_getpc19954)>>32
	s_setpc_b64 s[14:15]
.LBB2_22477:
	s_movk_i32 s4, 0x80
	v_cmp_eq_u16_sdwa s[12:13], v3, s4 src0_sel:BYTE_0 src1_sel:DWORD
	s_mov_b64 s[4:5], -1
                                        ; implicit-def: $sgpr10
	s_and_saveexec_b64 s[8:9], s[12:13]
; %bb.22478:
	s_mov_b32 s10, 0x7f800001
	s_xor_b64 s[4:5], exec, -1
; %bb.22479:
	s_or_b64 exec, exec, s[8:9]
	s_and_b64 s[4:5], s[4:5], exec
	s_or_saveexec_b64 s[6:7], s[6:7]
	v_mov_b32_e32 v6, s10
	s_xor_b64 exec, exec, s[6:7]
	s_cbranch_execnz .LBB2_22480
; %bb.58317:
	s_getpc_b64 s[14:15]
.Lpost_getpc32742:
	s_add_u32 s14, s14, (.LBB2_8142-.Lpost_getpc32742)&4294967295
	s_addc_u32 s15, s15, (.LBB2_8142-.Lpost_getpc32742)>>32
	s_setpc_b64 s[14:15]
.LBB2_22480:
	v_mov_b32_e32 v6, 0
	v_cmp_ne_u16_sdwa s[8:9], v3, v6 src0_sel:BYTE_0 src1_sel:DWORD
	s_andn2_b64 s[4:5], s[4:5], exec
	s_and_b64 s[8:9], s[8:9], exec
	s_or_b64 s[4:5], s[4:5], s[8:9]
	s_or_b64 exec, exec, s[6:7]
	s_and_saveexec_b64 s[6:7], s[4:5]
	s_cbranch_execz .LBB2_32743
; %bb.58319:
	s_getpc_b64 s[14:15]
.Lpost_getpc32743:
	s_add_u32 s14, s14, (.LBB2_8143-.Lpost_getpc32743)&4294967295
	s_addc_u32 s15, s15, (.LBB2_8143-.Lpost_getpc32743)>>32
	s_setpc_b64 s[14:15]
.LBB2_32743:
	s_getpc_b64 s[14:15]
.Lpost_getpc19955:
	s_add_u32 s14, s14, (.LBB2_8144-.Lpost_getpc19955)&4294967295
	s_addc_u32 s15, s15, (.LBB2_8144-.Lpost_getpc19955)>>32
	s_setpc_b64 s[14:15]
.LBB2_22481:
	s_movk_i32 s4, 0x80
	v_cmp_eq_u16_e32 vcc, s4, v3
	s_mov_b64 s[4:5], -1
                                        ; implicit-def: $sgpr10
	s_and_saveexec_b64 s[8:9], vcc
; %bb.22482:
	s_mov_b32 s10, 0x7f800001
	s_xor_b64 s[4:5], exec, -1
; %bb.22483:
	s_or_b64 exec, exec, s[8:9]
	s_and_b64 s[4:5], s[4:5], exec
                                        ; implicit-def: $vgpr3
	s_or_saveexec_b64 s[6:7], s[6:7]
	v_mov_b32_e32 v2, s10
	s_xor_b64 exec, exec, s[6:7]
	s_cbranch_execnz .LBB2_22484
; %bb.58321:
	s_getpc_b64 s[14:15]
.Lpost_getpc32744:
	s_add_u32 s14, s14, (.LBB2_8146-.Lpost_getpc32744)&4294967295
	s_addc_u32 s15, s15, (.LBB2_8146-.Lpost_getpc32744)>>32
	s_setpc_b64 s[14:15]
.LBB2_22484:
	v_cmp_ne_u16_e32 vcc, 0, v3
	s_andn2_b64 s[4:5], s[4:5], exec
	s_and_b64 s[8:9], vcc, exec
	v_mov_b32_e32 v2, 0
	s_or_b64 s[4:5], s[4:5], s[8:9]
	s_or_b64 exec, exec, s[6:7]
	s_and_saveexec_b64 s[6:7], s[4:5]
	s_cbranch_execz .LBB2_32745
; %bb.58323:
	s_getpc_b64 s[14:15]
.Lpost_getpc32745:
	s_add_u32 s14, s14, (.LBB2_8147-.Lpost_getpc32745)&4294967295
	s_addc_u32 s15, s15, (.LBB2_8147-.Lpost_getpc32745)>>32
	s_setpc_b64 s[14:15]
.LBB2_32745:
	s_getpc_b64 s[14:15]
.Lpost_getpc19956:
	s_add_u32 s14, s14, (.LBB2_8148-.Lpost_getpc19956)&4294967295
	s_addc_u32 s15, s15, (.LBB2_8148-.Lpost_getpc19956)>>32
	s_setpc_b64 s[14:15]
.LBB2_22485:
	s_movk_i32 s4, 0x80
	v_cmp_eq_u16_e32 vcc, s4, v3
	s_mov_b64 s[4:5], -1
                                        ; implicit-def: $sgpr10
	s_and_saveexec_b64 s[8:9], vcc
; %bb.22486:
	s_mov_b32 s10, 0x7f800001
	s_xor_b64 s[4:5], exec, -1
; %bb.22487:
	s_or_b64 exec, exec, s[8:9]
	s_and_b64 s[4:5], s[4:5], exec
                                        ; implicit-def: $vgpr3
	s_or_saveexec_b64 s[6:7], s[6:7]
	v_mov_b32_e32 v6, s10
	s_xor_b64 exec, exec, s[6:7]
	s_cbranch_execnz .LBB2_22488
; %bb.58325:
	s_getpc_b64 s[14:15]
.Lpost_getpc32746:
	s_add_u32 s14, s14, (.LBB2_8150-.Lpost_getpc32746)&4294967295
	s_addc_u32 s15, s15, (.LBB2_8150-.Lpost_getpc32746)>>32
	s_setpc_b64 s[14:15]
.LBB2_22488:
	v_cmp_ne_u16_e32 vcc, 0, v3
	s_andn2_b64 s[4:5], s[4:5], exec
	s_and_b64 s[8:9], vcc, exec
	v_mov_b32_e32 v6, 0
	s_or_b64 s[4:5], s[4:5], s[8:9]
	s_or_b64 exec, exec, s[6:7]
	s_and_saveexec_b64 s[6:7], s[4:5]
	s_cbranch_execz .LBB2_32747
; %bb.58327:
	s_getpc_b64 s[14:15]
.Lpost_getpc32747:
	s_add_u32 s14, s14, (.LBB2_8151-.Lpost_getpc32747)&4294967295
	s_addc_u32 s15, s15, (.LBB2_8151-.Lpost_getpc32747)>>32
	s_setpc_b64 s[14:15]
.LBB2_32747:
	s_getpc_b64 s[14:15]
.Lpost_getpc19957:
	s_add_u32 s14, s14, (.LBB2_8152-.Lpost_getpc19957)&4294967295
	s_addc_u32 s15, s15, (.LBB2_8152-.Lpost_getpc19957)>>32
	s_setpc_b64 s[14:15]
.LBB2_22489:
	s_movk_i32 s4, 0x80
	v_cmp_eq_u16_sdwa s[12:13], v8, s4 src0_sel:BYTE_3 src1_sel:DWORD
	s_mov_b64 s[4:5], -1
                                        ; implicit-def: $sgpr10
	s_and_saveexec_b64 s[8:9], s[12:13]
; %bb.22490:
	s_mov_b32 s10, 0x7f800001
	s_xor_b64 s[4:5], exec, -1
; %bb.22491:
	s_or_b64 exec, exec, s[8:9]
	s_and_b64 s[4:5], s[4:5], exec
	s_or_saveexec_b64 s[6:7], s[6:7]
	v_mov_b32_e32 v2, s10
	s_xor_b64 exec, exec, s[6:7]
	s_cbranch_execnz .LBB2_22492
; %bb.58329:
	s_getpc_b64 s[14:15]
.Lpost_getpc32748:
	s_add_u32 s14, s14, (.LBB2_8154-.Lpost_getpc32748)&4294967295
	s_addc_u32 s15, s15, (.LBB2_8154-.Lpost_getpc32748)>>32
	s_setpc_b64 s[14:15]
.LBB2_22492:
	v_mov_b32_e32 v2, 0
	v_cmp_ne_u16_sdwa s[8:9], v8, v2 src0_sel:BYTE_3 src1_sel:DWORD
	s_andn2_b64 s[4:5], s[4:5], exec
	s_and_b64 s[8:9], s[8:9], exec
	s_or_b64 s[4:5], s[4:5], s[8:9]
	s_or_b64 exec, exec, s[6:7]
	s_and_saveexec_b64 s[6:7], s[4:5]
	s_cbranch_execz .LBB2_32749
; %bb.58331:
	s_getpc_b64 s[14:15]
.Lpost_getpc32749:
	s_add_u32 s14, s14, (.LBB2_8155-.Lpost_getpc32749)&4294967295
	s_addc_u32 s15, s15, (.LBB2_8155-.Lpost_getpc32749)>>32
	s_setpc_b64 s[14:15]
.LBB2_32749:
	s_getpc_b64 s[14:15]
.Lpost_getpc19958:
	s_add_u32 s14, s14, (.LBB2_8156-.Lpost_getpc19958)&4294967295
	s_addc_u32 s15, s15, (.LBB2_8156-.Lpost_getpc19958)>>32
	s_setpc_b64 s[14:15]
.LBB2_22493:
	s_movk_i32 s4, 0x80
	v_cmp_eq_u16_sdwa s[12:13], v4, s4 src0_sel:BYTE_3 src1_sel:DWORD
	s_mov_b64 s[4:5], -1
                                        ; implicit-def: $sgpr10
	s_and_saveexec_b64 s[8:9], s[12:13]
; %bb.22494:
	s_mov_b32 s10, 0x7f800001
	s_xor_b64 s[4:5], exec, -1
; %bb.22495:
	s_or_b64 exec, exec, s[8:9]
	s_and_b64 s[4:5], s[4:5], exec
	s_or_saveexec_b64 s[6:7], s[6:7]
	v_mov_b32_e32 v3, s10
	s_xor_b64 exec, exec, s[6:7]
	s_cbranch_execnz .LBB2_22496
; %bb.58333:
	s_getpc_b64 s[14:15]
.Lpost_getpc32750:
	s_add_u32 s14, s14, (.LBB2_8158-.Lpost_getpc32750)&4294967295
	s_addc_u32 s15, s15, (.LBB2_8158-.Lpost_getpc32750)>>32
	s_setpc_b64 s[14:15]
.LBB2_22496:
	v_mov_b32_e32 v3, 0
	v_cmp_ne_u16_sdwa s[8:9], v4, v3 src0_sel:BYTE_3 src1_sel:DWORD
	s_andn2_b64 s[4:5], s[4:5], exec
	s_and_b64 s[8:9], s[8:9], exec
	s_or_b64 s[4:5], s[4:5], s[8:9]
	s_or_b64 exec, exec, s[6:7]
	s_and_saveexec_b64 s[6:7], s[4:5]
	s_cbranch_execz .LBB2_32751
; %bb.58335:
	s_getpc_b64 s[14:15]
.Lpost_getpc32751:
	s_add_u32 s14, s14, (.LBB2_8159-.Lpost_getpc32751)&4294967295
	s_addc_u32 s15, s15, (.LBB2_8159-.Lpost_getpc32751)>>32
	s_setpc_b64 s[14:15]
.LBB2_32751:
	s_getpc_b64 s[14:15]
.Lpost_getpc19959:
	s_add_u32 s14, s14, (.LBB2_8160-.Lpost_getpc19959)&4294967295
	s_addc_u32 s15, s15, (.LBB2_8160-.Lpost_getpc19959)>>32
	s_setpc_b64 s[14:15]
.LBB2_22497:
	s_movk_i32 s4, 0x80
	v_cmp_eq_u16_sdwa s[12:13], v9, s4 src0_sel:BYTE_0 src1_sel:DWORD
	s_mov_b64 s[4:5], -1
                                        ; implicit-def: $sgpr10
	s_and_saveexec_b64 s[8:9], s[12:13]
; %bb.22498:
	s_mov_b32 s10, 0x7f800001
	s_xor_b64 s[4:5], exec, -1
; %bb.22499:
	s_or_b64 exec, exec, s[8:9]
	s_and_b64 s[4:5], s[4:5], exec
	s_or_saveexec_b64 s[6:7], s[6:7]
	v_mov_b32_e32 v2, s10
	s_xor_b64 exec, exec, s[6:7]
	s_cbranch_execnz .LBB2_22500
; %bb.58337:
	s_getpc_b64 s[14:15]
.Lpost_getpc32752:
	s_add_u32 s14, s14, (.LBB2_8162-.Lpost_getpc32752)&4294967295
	s_addc_u32 s15, s15, (.LBB2_8162-.Lpost_getpc32752)>>32
	s_setpc_b64 s[14:15]
.LBB2_22500:
	v_mov_b32_e32 v2, 0
	v_cmp_ne_u16_sdwa s[8:9], v9, v2 src0_sel:BYTE_0 src1_sel:DWORD
	s_andn2_b64 s[4:5], s[4:5], exec
	s_and_b64 s[8:9], s[8:9], exec
	s_or_b64 s[4:5], s[4:5], s[8:9]
	s_or_b64 exec, exec, s[6:7]
	s_and_saveexec_b64 s[6:7], s[4:5]
	s_cbranch_execz .LBB2_32753
; %bb.58339:
	s_getpc_b64 s[14:15]
.Lpost_getpc32753:
	s_add_u32 s14, s14, (.LBB2_8163-.Lpost_getpc32753)&4294967295
	s_addc_u32 s15, s15, (.LBB2_8163-.Lpost_getpc32753)>>32
	s_setpc_b64 s[14:15]
.LBB2_32753:
	s_getpc_b64 s[14:15]
.Lpost_getpc19960:
	s_add_u32 s14, s14, (.LBB2_8164-.Lpost_getpc19960)&4294967295
	s_addc_u32 s15, s15, (.LBB2_8164-.Lpost_getpc19960)>>32
	s_setpc_b64 s[14:15]
.LBB2_22501:
	s_movk_i32 s4, 0x80
	v_cmp_eq_u16_sdwa s[12:13], v5, s4 src0_sel:BYTE_0 src1_sel:DWORD
	s_mov_b64 s[4:5], -1
                                        ; implicit-def: $sgpr10
	s_and_saveexec_b64 s[8:9], s[12:13]
; %bb.22502:
	s_mov_b32 s10, 0x7f800001
	s_xor_b64 s[4:5], exec, -1
; %bb.22503:
	s_or_b64 exec, exec, s[8:9]
	s_and_b64 s[4:5], s[4:5], exec
	s_or_saveexec_b64 s[6:7], s[6:7]
	v_mov_b32_e32 v3, s10
	s_xor_b64 exec, exec, s[6:7]
	s_cbranch_execnz .LBB2_22504
; %bb.58341:
	s_getpc_b64 s[14:15]
.Lpost_getpc32754:
	s_add_u32 s14, s14, (.LBB2_8166-.Lpost_getpc32754)&4294967295
	s_addc_u32 s15, s15, (.LBB2_8166-.Lpost_getpc32754)>>32
	s_setpc_b64 s[14:15]
.LBB2_22504:
	v_mov_b32_e32 v3, 0
	v_cmp_ne_u16_sdwa s[8:9], v5, v3 src0_sel:BYTE_0 src1_sel:DWORD
	s_andn2_b64 s[4:5], s[4:5], exec
	s_and_b64 s[8:9], s[8:9], exec
	s_or_b64 s[4:5], s[4:5], s[8:9]
	s_or_b64 exec, exec, s[6:7]
	s_and_saveexec_b64 s[6:7], s[4:5]
	s_cbranch_execz .LBB2_32755
; %bb.58343:
	s_getpc_b64 s[14:15]
.Lpost_getpc32755:
	s_add_u32 s14, s14, (.LBB2_8167-.Lpost_getpc32755)&4294967295
	s_addc_u32 s15, s15, (.LBB2_8167-.Lpost_getpc32755)>>32
	s_setpc_b64 s[14:15]
.LBB2_32755:
	s_getpc_b64 s[14:15]
.Lpost_getpc19961:
	s_add_u32 s14, s14, (.LBB2_8168-.Lpost_getpc19961)&4294967295
	s_addc_u32 s15, s15, (.LBB2_8168-.Lpost_getpc19961)>>32
	s_setpc_b64 s[14:15]
.LBB2_22505:
	s_movk_i32 s4, 0x80
	v_cmp_eq_u16_sdwa s[12:13], v3, s4 src0_sel:BYTE_0 src1_sel:DWORD
	s_mov_b64 s[4:5], -1
                                        ; implicit-def: $sgpr10
	s_and_saveexec_b64 s[8:9], s[12:13]
; %bb.22506:
	s_mov_b32 s10, 0x7f800001
	s_xor_b64 s[4:5], exec, -1
; %bb.22507:
	s_or_b64 exec, exec, s[8:9]
	s_and_b64 s[4:5], s[4:5], exec
	s_or_saveexec_b64 s[6:7], s[6:7]
	v_mov_b32_e32 v2, s10
	s_xor_b64 exec, exec, s[6:7]
	s_cbranch_execnz .LBB2_22508
; %bb.58345:
	s_getpc_b64 s[14:15]
.Lpost_getpc32756:
	s_add_u32 s14, s14, (.LBB2_8170-.Lpost_getpc32756)&4294967295
	s_addc_u32 s15, s15, (.LBB2_8170-.Lpost_getpc32756)>>32
	s_setpc_b64 s[14:15]
.LBB2_22508:
	v_mov_b32_e32 v2, 0
	v_cmp_ne_u16_sdwa s[8:9], v3, v2 src0_sel:BYTE_0 src1_sel:DWORD
	s_andn2_b64 s[4:5], s[4:5], exec
	s_and_b64 s[8:9], s[8:9], exec
	s_or_b64 s[4:5], s[4:5], s[8:9]
	s_or_b64 exec, exec, s[6:7]
	s_and_saveexec_b64 s[6:7], s[4:5]
	s_cbranch_execz .LBB2_32757
; %bb.58347:
	s_getpc_b64 s[14:15]
.Lpost_getpc32757:
	s_add_u32 s14, s14, (.LBB2_8171-.Lpost_getpc32757)&4294967295
	s_addc_u32 s15, s15, (.LBB2_8171-.Lpost_getpc32757)>>32
	s_setpc_b64 s[14:15]
.LBB2_32757:
	s_getpc_b64 s[14:15]
.Lpost_getpc19962:
	s_add_u32 s14, s14, (.LBB2_8172-.Lpost_getpc19962)&4294967295
	s_addc_u32 s15, s15, (.LBB2_8172-.Lpost_getpc19962)>>32
	s_setpc_b64 s[14:15]
.LBB2_22509:
	s_movk_i32 s4, 0x80
	v_cmp_eq_u16_sdwa s[12:13], v3, s4 src0_sel:BYTE_0 src1_sel:DWORD
	s_mov_b64 s[4:5], -1
                                        ; implicit-def: $sgpr10
	s_and_saveexec_b64 s[8:9], s[12:13]
; %bb.22510:
	s_mov_b32 s10, 0x7f800001
	s_xor_b64 s[4:5], exec, -1
; %bb.22511:
	s_or_b64 exec, exec, s[8:9]
	s_and_b64 s[4:5], s[4:5], exec
	s_or_saveexec_b64 s[6:7], s[6:7]
	v_mov_b32_e32 v4, s10
	s_xor_b64 exec, exec, s[6:7]
	s_cbranch_execnz .LBB2_22512
; %bb.58349:
	s_getpc_b64 s[14:15]
.Lpost_getpc32758:
	s_add_u32 s14, s14, (.LBB2_8174-.Lpost_getpc32758)&4294967295
	s_addc_u32 s15, s15, (.LBB2_8174-.Lpost_getpc32758)>>32
	s_setpc_b64 s[14:15]
.LBB2_22512:
	v_mov_b32_e32 v4, 0
	v_cmp_ne_u16_sdwa s[8:9], v3, v4 src0_sel:BYTE_0 src1_sel:DWORD
	s_andn2_b64 s[4:5], s[4:5], exec
	s_and_b64 s[8:9], s[8:9], exec
	s_or_b64 s[4:5], s[4:5], s[8:9]
	s_or_b64 exec, exec, s[6:7]
	s_and_saveexec_b64 s[6:7], s[4:5]
	s_cbranch_execz .LBB2_32759
; %bb.58351:
	s_getpc_b64 s[14:15]
.Lpost_getpc32759:
	s_add_u32 s14, s14, (.LBB2_8175-.Lpost_getpc32759)&4294967295
	s_addc_u32 s15, s15, (.LBB2_8175-.Lpost_getpc32759)>>32
	s_setpc_b64 s[14:15]
.LBB2_32759:
	s_getpc_b64 s[14:15]
.Lpost_getpc19963:
	s_add_u32 s14, s14, (.LBB2_8176-.Lpost_getpc19963)&4294967295
	s_addc_u32 s15, s15, (.LBB2_8176-.Lpost_getpc19963)>>32
	s_setpc_b64 s[14:15]
.LBB2_22513:
	s_movk_i32 s4, 0x80
	v_cmp_eq_u16_e32 vcc, s4, v3
	s_mov_b64 s[4:5], -1
                                        ; implicit-def: $sgpr10
	s_and_saveexec_b64 s[8:9], vcc
; %bb.22514:
	s_mov_b32 s10, 0x7f800001
	s_xor_b64 s[4:5], exec, -1
; %bb.22515:
	s_or_b64 exec, exec, s[8:9]
	s_and_b64 s[4:5], s[4:5], exec
                                        ; implicit-def: $vgpr3
	s_or_saveexec_b64 s[6:7], s[6:7]
	v_mov_b32_e32 v2, s10
	s_xor_b64 exec, exec, s[6:7]
	s_cbranch_execnz .LBB2_22516
; %bb.58353:
	s_getpc_b64 s[14:15]
.Lpost_getpc32760:
	s_add_u32 s14, s14, (.LBB2_8178-.Lpost_getpc32760)&4294967295
	s_addc_u32 s15, s15, (.LBB2_8178-.Lpost_getpc32760)>>32
	s_setpc_b64 s[14:15]
.LBB2_22516:
	v_cmp_ne_u16_e32 vcc, 0, v3
	s_andn2_b64 s[4:5], s[4:5], exec
	s_and_b64 s[8:9], vcc, exec
	v_mov_b32_e32 v2, 0
	s_or_b64 s[4:5], s[4:5], s[8:9]
	s_or_b64 exec, exec, s[6:7]
	s_and_saveexec_b64 s[6:7], s[4:5]
	s_cbranch_execz .LBB2_32761
; %bb.58355:
	s_getpc_b64 s[14:15]
.Lpost_getpc32761:
	s_add_u32 s14, s14, (.LBB2_8179-.Lpost_getpc32761)&4294967295
	s_addc_u32 s15, s15, (.LBB2_8179-.Lpost_getpc32761)>>32
	s_setpc_b64 s[14:15]
.LBB2_32761:
	s_getpc_b64 s[14:15]
.Lpost_getpc19964:
	s_add_u32 s14, s14, (.LBB2_8180-.Lpost_getpc19964)&4294967295
	s_addc_u32 s15, s15, (.LBB2_8180-.Lpost_getpc19964)>>32
	s_setpc_b64 s[14:15]
.LBB2_22517:
	s_movk_i32 s4, 0x80
	v_cmp_eq_u16_e32 vcc, s4, v3
	s_mov_b64 s[4:5], -1
                                        ; implicit-def: $sgpr10
	s_and_saveexec_b64 s[8:9], vcc
; %bb.22518:
	s_mov_b32 s10, 0x7f800001
	s_xor_b64 s[4:5], exec, -1
; %bb.22519:
	s_or_b64 exec, exec, s[8:9]
	s_and_b64 s[4:5], s[4:5], exec
                                        ; implicit-def: $vgpr3
	s_or_saveexec_b64 s[6:7], s[6:7]
	v_mov_b32_e32 v4, s10
	s_xor_b64 exec, exec, s[6:7]
	s_cbranch_execnz .LBB2_22520
; %bb.58357:
	s_getpc_b64 s[14:15]
.Lpost_getpc32762:
	s_add_u32 s14, s14, (.LBB2_8182-.Lpost_getpc32762)&4294967295
	s_addc_u32 s15, s15, (.LBB2_8182-.Lpost_getpc32762)>>32
	s_setpc_b64 s[14:15]
.LBB2_22520:
	v_cmp_ne_u16_e32 vcc, 0, v3
	s_andn2_b64 s[4:5], s[4:5], exec
	s_and_b64 s[8:9], vcc, exec
	v_mov_b32_e32 v4, 0
	s_or_b64 s[4:5], s[4:5], s[8:9]
	s_or_b64 exec, exec, s[6:7]
	s_and_saveexec_b64 s[6:7], s[4:5]
	s_cbranch_execz .LBB2_32763
; %bb.58359:
	s_getpc_b64 s[14:15]
.Lpost_getpc32763:
	s_add_u32 s14, s14, (.LBB2_8183-.Lpost_getpc32763)&4294967295
	s_addc_u32 s15, s15, (.LBB2_8183-.Lpost_getpc32763)>>32
	s_setpc_b64 s[14:15]
.LBB2_32763:
	s_getpc_b64 s[14:15]
.Lpost_getpc19965:
	s_add_u32 s14, s14, (.LBB2_8184-.Lpost_getpc19965)&4294967295
	s_addc_u32 s15, s15, (.LBB2_8184-.Lpost_getpc19965)>>32
	s_setpc_b64 s[14:15]
.LBB2_22521:
	s_movk_i32 s4, 0x80
	v_cmp_eq_u16_sdwa s[12:13], v9, s4 src0_sel:BYTE_3 src1_sel:DWORD
	s_mov_b64 s[4:5], -1
                                        ; implicit-def: $sgpr10
	s_and_saveexec_b64 s[8:9], s[12:13]
; %bb.22522:
	s_mov_b32 s10, 0x7f800001
	s_xor_b64 s[4:5], exec, -1
; %bb.22523:
	s_or_b64 exec, exec, s[8:9]
	s_and_b64 s[4:5], s[4:5], exec
	s_or_saveexec_b64 s[6:7], s[6:7]
	v_mov_b32_e32 v2, s10
	s_xor_b64 exec, exec, s[6:7]
	s_cbranch_execnz .LBB2_22524
; %bb.58361:
	s_getpc_b64 s[14:15]
.Lpost_getpc32764:
	s_add_u32 s14, s14, (.LBB2_8186-.Lpost_getpc32764)&4294967295
	s_addc_u32 s15, s15, (.LBB2_8186-.Lpost_getpc32764)>>32
	s_setpc_b64 s[14:15]
.LBB2_22524:
	v_mov_b32_e32 v2, 0
	v_cmp_ne_u16_sdwa s[8:9], v9, v2 src0_sel:BYTE_3 src1_sel:DWORD
	s_andn2_b64 s[4:5], s[4:5], exec
	s_and_b64 s[8:9], s[8:9], exec
	s_or_b64 s[4:5], s[4:5], s[8:9]
	s_or_b64 exec, exec, s[6:7]
	s_and_saveexec_b64 s[6:7], s[4:5]
	s_cbranch_execz .LBB2_32765
; %bb.58363:
	s_getpc_b64 s[14:15]
.Lpost_getpc32765:
	s_add_u32 s14, s14, (.LBB2_8187-.Lpost_getpc32765)&4294967295
	s_addc_u32 s15, s15, (.LBB2_8187-.Lpost_getpc32765)>>32
	s_setpc_b64 s[14:15]
.LBB2_32765:
	s_getpc_b64 s[14:15]
.Lpost_getpc19966:
	s_add_u32 s14, s14, (.LBB2_8188-.Lpost_getpc19966)&4294967295
	s_addc_u32 s15, s15, (.LBB2_8188-.Lpost_getpc19966)>>32
	s_setpc_b64 s[14:15]
.LBB2_22525:
	s_movk_i32 s4, 0x80
	v_cmp_eq_u16_sdwa s[12:13], v5, s4 src0_sel:BYTE_3 src1_sel:DWORD
	s_mov_b64 s[4:5], -1
                                        ; implicit-def: $sgpr10
	s_and_saveexec_b64 s[8:9], s[12:13]
; %bb.22526:
	s_mov_b32 s10, 0x7f800001
	s_xor_b64 s[4:5], exec, -1
; %bb.22527:
	s_or_b64 exec, exec, s[8:9]
	s_and_b64 s[4:5], s[4:5], exec
	s_or_saveexec_b64 s[6:7], s[6:7]
	v_mov_b32_e32 v3, s10
	s_xor_b64 exec, exec, s[6:7]
	s_cbranch_execnz .LBB2_22528
; %bb.58365:
	s_getpc_b64 s[14:15]
.Lpost_getpc32766:
	s_add_u32 s14, s14, (.LBB2_8190-.Lpost_getpc32766)&4294967295
	s_addc_u32 s15, s15, (.LBB2_8190-.Lpost_getpc32766)>>32
	s_setpc_b64 s[14:15]
.LBB2_22528:
	v_mov_b32_e32 v3, 0
	v_cmp_ne_u16_sdwa s[8:9], v5, v3 src0_sel:BYTE_3 src1_sel:DWORD
	s_andn2_b64 s[4:5], s[4:5], exec
	s_and_b64 s[8:9], s[8:9], exec
	s_or_b64 s[4:5], s[4:5], s[8:9]
	s_or_b64 exec, exec, s[6:7]
	s_and_saveexec_b64 s[6:7], s[4:5]
	s_cbranch_execz .LBB2_32767
; %bb.58367:
	s_getpc_b64 s[14:15]
.Lpost_getpc32767:
	s_add_u32 s14, s14, (.LBB2_8191-.Lpost_getpc32767)&4294967295
	s_addc_u32 s15, s15, (.LBB2_8191-.Lpost_getpc32767)>>32
	s_setpc_b64 s[14:15]
.LBB2_32767:
	s_getpc_b64 s[14:15]
.Lpost_getpc19967:
	s_add_u32 s14, s14, (.LBB2_8192-.Lpost_getpc19967)&4294967295
	s_addc_u32 s15, s15, (.LBB2_8192-.Lpost_getpc19967)>>32
	s_setpc_b64 s[14:15]
.LBB2_22529:
	s_movk_i32 s4, 0x80
	v_cmp_eq_u16_sdwa s[12:13], v6, s4 src0_sel:BYTE_0 src1_sel:DWORD
	s_mov_b64 s[4:5], -1
                                        ; implicit-def: $sgpr10
	s_and_saveexec_b64 s[8:9], s[12:13]
; %bb.22530:
	s_mov_b32 s10, 0x7f800001
	s_xor_b64 s[4:5], exec, -1
; %bb.22531:
	s_or_b64 exec, exec, s[8:9]
	s_and_b64 s[4:5], s[4:5], exec
	s_or_saveexec_b64 s[6:7], s[6:7]
	v_mov_b32_e32 v12, s10
	s_xor_b64 exec, exec, s[6:7]
	s_cbranch_execnz .LBB2_22532
; %bb.58369:
	s_getpc_b64 s[14:15]
.Lpost_getpc32768:
	s_add_u32 s14, s14, (.LBB2_8194-.Lpost_getpc32768)&4294967295
	s_addc_u32 s15, s15, (.LBB2_8194-.Lpost_getpc32768)>>32
	s_setpc_b64 s[14:15]
.LBB2_22532:
	v_mov_b32_e32 v12, 0
	v_cmp_ne_u16_sdwa s[8:9], v6, v12 src0_sel:BYTE_0 src1_sel:DWORD
	s_andn2_b64 s[4:5], s[4:5], exec
	s_and_b64 s[8:9], s[8:9], exec
	s_or_b64 s[4:5], s[4:5], s[8:9]
	s_or_b64 exec, exec, s[6:7]
	s_and_saveexec_b64 s[6:7], s[4:5]
	s_cbranch_execz .LBB2_32769
; %bb.58371:
	s_getpc_b64 s[14:15]
.Lpost_getpc32769:
	s_add_u32 s14, s14, (.LBB2_8195-.Lpost_getpc32769)&4294967295
	s_addc_u32 s15, s15, (.LBB2_8195-.Lpost_getpc32769)>>32
	s_setpc_b64 s[14:15]
.LBB2_32769:
	s_getpc_b64 s[14:15]
.Lpost_getpc19968:
	s_add_u32 s14, s14, (.LBB2_8196-.Lpost_getpc19968)&4294967295
	s_addc_u32 s15, s15, (.LBB2_8196-.Lpost_getpc19968)>>32
	s_setpc_b64 s[14:15]
.LBB2_22533:
	s_movk_i32 s4, 0x80
	v_cmp_eq_u16_sdwa s[12:13], v2, s4 src0_sel:BYTE_0 src1_sel:DWORD
	s_mov_b64 s[4:5], -1
                                        ; implicit-def: $sgpr10
	s_and_saveexec_b64 s[8:9], s[12:13]
; %bb.22534:
	s_mov_b32 s10, 0x7f800001
	s_xor_b64 s[4:5], exec, -1
; %bb.22535:
	s_or_b64 exec, exec, s[8:9]
	s_and_b64 s[4:5], s[4:5], exec
	s_or_saveexec_b64 s[6:7], s[6:7]
	v_mov_b32_e32 v13, s10
	s_xor_b64 exec, exec, s[6:7]
	s_cbranch_execnz .LBB2_22536
; %bb.58373:
	s_getpc_b64 s[14:15]
.Lpost_getpc32770:
	s_add_u32 s14, s14, (.LBB2_8198-.Lpost_getpc32770)&4294967295
	s_addc_u32 s15, s15, (.LBB2_8198-.Lpost_getpc32770)>>32
	s_setpc_b64 s[14:15]
.LBB2_22536:
	v_mov_b32_e32 v13, 0
	v_cmp_ne_u16_sdwa s[8:9], v2, v13 src0_sel:BYTE_0 src1_sel:DWORD
	s_andn2_b64 s[4:5], s[4:5], exec
	s_and_b64 s[8:9], s[8:9], exec
	s_or_b64 s[4:5], s[4:5], s[8:9]
	s_or_b64 exec, exec, s[6:7]
	s_and_saveexec_b64 s[6:7], s[4:5]
	s_cbranch_execz .LBB2_32771
; %bb.58375:
	s_getpc_b64 s[14:15]
.Lpost_getpc32771:
	s_add_u32 s14, s14, (.LBB2_8199-.Lpost_getpc32771)&4294967295
	s_addc_u32 s15, s15, (.LBB2_8199-.Lpost_getpc32771)>>32
	s_setpc_b64 s[14:15]
.LBB2_32771:
	s_getpc_b64 s[14:15]
.Lpost_getpc19969:
	s_add_u32 s14, s14, (.LBB2_8200-.Lpost_getpc19969)&4294967295
	s_addc_u32 s15, s15, (.LBB2_8200-.Lpost_getpc19969)>>32
	s_setpc_b64 s[14:15]
.LBB2_22537:
	s_movk_i32 s4, 0x80
	v_cmp_eq_u16_sdwa s[12:13], v13, s4 src0_sel:BYTE_0 src1_sel:DWORD
	s_mov_b64 s[4:5], -1
                                        ; implicit-def: $sgpr10
	s_and_saveexec_b64 s[8:9], s[12:13]
; %bb.22538:
	s_mov_b32 s10, 0x7f800001
	s_xor_b64 s[4:5], exec, -1
; %bb.22539:
	s_or_b64 exec, exec, s[8:9]
	s_and_b64 s[4:5], s[4:5], exec
	s_or_saveexec_b64 s[6:7], s[6:7]
	v_mov_b32_e32 v12, s10
	s_xor_b64 exec, exec, s[6:7]
	s_cbranch_execnz .LBB2_22540
; %bb.58377:
	s_getpc_b64 s[14:15]
.Lpost_getpc32772:
	s_add_u32 s14, s14, (.LBB2_8202-.Lpost_getpc32772)&4294967295
	s_addc_u32 s15, s15, (.LBB2_8202-.Lpost_getpc32772)>>32
	s_setpc_b64 s[14:15]
.LBB2_22540:
	v_mov_b32_e32 v12, 0
	v_cmp_ne_u16_sdwa s[8:9], v13, v12 src0_sel:BYTE_0 src1_sel:DWORD
	s_andn2_b64 s[4:5], s[4:5], exec
	s_and_b64 s[8:9], s[8:9], exec
	s_or_b64 s[4:5], s[4:5], s[8:9]
	s_or_b64 exec, exec, s[6:7]
	s_and_saveexec_b64 s[6:7], s[4:5]
	s_cbranch_execz .LBB2_32773
; %bb.58379:
	s_getpc_b64 s[14:15]
.Lpost_getpc32773:
	s_add_u32 s14, s14, (.LBB2_8203-.Lpost_getpc32773)&4294967295
	s_addc_u32 s15, s15, (.LBB2_8203-.Lpost_getpc32773)>>32
	s_setpc_b64 s[14:15]
.LBB2_32773:
	s_getpc_b64 s[14:15]
.Lpost_getpc19970:
	s_add_u32 s14, s14, (.LBB2_8204-.Lpost_getpc19970)&4294967295
	s_addc_u32 s15, s15, (.LBB2_8204-.Lpost_getpc19970)>>32
	s_setpc_b64 s[14:15]
.LBB2_22541:
	s_movk_i32 s4, 0x80
	v_cmp_eq_u16_sdwa s[12:13], v13, s4 src0_sel:BYTE_0 src1_sel:DWORD
	s_mov_b64 s[4:5], -1
                                        ; implicit-def: $sgpr10
	s_and_saveexec_b64 s[8:9], s[12:13]
; %bb.22542:
	s_mov_b32 s10, 0x7f800001
	s_xor_b64 s[4:5], exec, -1
; %bb.22543:
	s_or_b64 exec, exec, s[8:9]
	s_and_b64 s[4:5], s[4:5], exec
	s_or_saveexec_b64 s[6:7], s[6:7]
	v_mov_b32_e32 v14, s10
	s_xor_b64 exec, exec, s[6:7]
	s_cbranch_execnz .LBB2_22544
; %bb.58381:
	s_getpc_b64 s[14:15]
.Lpost_getpc32774:
	s_add_u32 s14, s14, (.LBB2_8206-.Lpost_getpc32774)&4294967295
	s_addc_u32 s15, s15, (.LBB2_8206-.Lpost_getpc32774)>>32
	s_setpc_b64 s[14:15]
.LBB2_22544:
	v_mov_b32_e32 v14, 0
	v_cmp_ne_u16_sdwa s[8:9], v13, v14 src0_sel:BYTE_0 src1_sel:DWORD
	s_andn2_b64 s[4:5], s[4:5], exec
	s_and_b64 s[8:9], s[8:9], exec
	s_or_b64 s[4:5], s[4:5], s[8:9]
	s_or_b64 exec, exec, s[6:7]
	s_and_saveexec_b64 s[6:7], s[4:5]
	s_cbranch_execz .LBB2_32775
; %bb.58383:
	s_getpc_b64 s[14:15]
.Lpost_getpc32775:
	s_add_u32 s14, s14, (.LBB2_8207-.Lpost_getpc32775)&4294967295
	s_addc_u32 s15, s15, (.LBB2_8207-.Lpost_getpc32775)>>32
	s_setpc_b64 s[14:15]
.LBB2_32775:
	s_getpc_b64 s[14:15]
.Lpost_getpc19971:
	s_add_u32 s14, s14, (.LBB2_8208-.Lpost_getpc19971)&4294967295
	s_addc_u32 s15, s15, (.LBB2_8208-.Lpost_getpc19971)>>32
	s_setpc_b64 s[14:15]
.LBB2_22545:
	s_movk_i32 s4, 0x80
	v_cmp_eq_u16_e32 vcc, s4, v13
	s_mov_b64 s[4:5], -1
                                        ; implicit-def: $sgpr10
	s_and_saveexec_b64 s[8:9], vcc
; %bb.22546:
	s_mov_b32 s10, 0x7f800001
	s_xor_b64 s[4:5], exec, -1
; %bb.22547:
	s_or_b64 exec, exec, s[8:9]
	s_and_b64 s[4:5], s[4:5], exec
                                        ; implicit-def: $vgpr13
	s_or_saveexec_b64 s[6:7], s[6:7]
	v_mov_b32_e32 v12, s10
	s_xor_b64 exec, exec, s[6:7]
	s_cbranch_execnz .LBB2_22548
; %bb.58385:
	s_getpc_b64 s[14:15]
.Lpost_getpc32776:
	s_add_u32 s14, s14, (.LBB2_8210-.Lpost_getpc32776)&4294967295
	s_addc_u32 s15, s15, (.LBB2_8210-.Lpost_getpc32776)>>32
	s_setpc_b64 s[14:15]
.LBB2_22548:
	v_cmp_ne_u16_e32 vcc, 0, v13
	s_andn2_b64 s[4:5], s[4:5], exec
	s_and_b64 s[8:9], vcc, exec
	v_mov_b32_e32 v12, 0
	s_or_b64 s[4:5], s[4:5], s[8:9]
	s_or_b64 exec, exec, s[6:7]
	s_and_saveexec_b64 s[6:7], s[4:5]
	s_cbranch_execz .LBB2_32777
; %bb.58387:
	s_getpc_b64 s[14:15]
.Lpost_getpc32777:
	s_add_u32 s14, s14, (.LBB2_8211-.Lpost_getpc32777)&4294967295
	s_addc_u32 s15, s15, (.LBB2_8211-.Lpost_getpc32777)>>32
	s_setpc_b64 s[14:15]
.LBB2_32777:
	s_getpc_b64 s[14:15]
.Lpost_getpc19972:
	s_add_u32 s14, s14, (.LBB2_8212-.Lpost_getpc19972)&4294967295
	s_addc_u32 s15, s15, (.LBB2_8212-.Lpost_getpc19972)>>32
	s_setpc_b64 s[14:15]
.LBB2_22549:
	s_movk_i32 s4, 0x80
	v_cmp_eq_u16_e32 vcc, s4, v13
	s_mov_b64 s[4:5], -1
                                        ; implicit-def: $sgpr10
	s_and_saveexec_b64 s[8:9], vcc
; %bb.22550:
	s_mov_b32 s10, 0x7f800001
	s_xor_b64 s[4:5], exec, -1
; %bb.22551:
	s_or_b64 exec, exec, s[8:9]
	s_and_b64 s[4:5], s[4:5], exec
                                        ; implicit-def: $vgpr13
	s_or_saveexec_b64 s[6:7], s[6:7]
	v_mov_b32_e32 v14, s10
	s_xor_b64 exec, exec, s[6:7]
	s_cbranch_execnz .LBB2_22552
; %bb.58389:
	s_getpc_b64 s[14:15]
.Lpost_getpc32778:
	s_add_u32 s14, s14, (.LBB2_8214-.Lpost_getpc32778)&4294967295
	s_addc_u32 s15, s15, (.LBB2_8214-.Lpost_getpc32778)>>32
	s_setpc_b64 s[14:15]
.LBB2_22552:
	v_cmp_ne_u16_e32 vcc, 0, v13
	s_andn2_b64 s[4:5], s[4:5], exec
	s_and_b64 s[8:9], vcc, exec
	v_mov_b32_e32 v14, 0
	s_or_b64 s[4:5], s[4:5], s[8:9]
	s_or_b64 exec, exec, s[6:7]
	s_and_saveexec_b64 s[6:7], s[4:5]
	s_cbranch_execz .LBB2_32779
; %bb.58391:
	s_getpc_b64 s[14:15]
.Lpost_getpc32779:
	s_add_u32 s14, s14, (.LBB2_8215-.Lpost_getpc32779)&4294967295
	s_addc_u32 s15, s15, (.LBB2_8215-.Lpost_getpc32779)>>32
	s_setpc_b64 s[14:15]
.LBB2_32779:
	s_getpc_b64 s[14:15]
.Lpost_getpc19973:
	s_add_u32 s14, s14, (.LBB2_8216-.Lpost_getpc19973)&4294967295
	s_addc_u32 s15, s15, (.LBB2_8216-.Lpost_getpc19973)>>32
	s_setpc_b64 s[14:15]
.LBB2_22553:
	s_movk_i32 s4, 0x80
	v_cmp_eq_u16_sdwa s[12:13], v6, s4 src0_sel:BYTE_3 src1_sel:DWORD
	s_mov_b64 s[4:5], -1
                                        ; implicit-def: $sgpr10
	s_and_saveexec_b64 s[8:9], s[12:13]
; %bb.22554:
	s_mov_b32 s10, 0x7f800001
	s_xor_b64 s[4:5], exec, -1
; %bb.22555:
	s_or_b64 exec, exec, s[8:9]
	s_and_b64 s[4:5], s[4:5], exec
	s_or_saveexec_b64 s[6:7], s[6:7]
	v_mov_b32_e32 v12, s10
	s_xor_b64 exec, exec, s[6:7]
	s_cbranch_execnz .LBB2_22556
; %bb.58393:
	s_getpc_b64 s[14:15]
.Lpost_getpc32780:
	s_add_u32 s14, s14, (.LBB2_8218-.Lpost_getpc32780)&4294967295
	s_addc_u32 s15, s15, (.LBB2_8218-.Lpost_getpc32780)>>32
	s_setpc_b64 s[14:15]
.LBB2_22556:
	v_mov_b32_e32 v12, 0
	v_cmp_ne_u16_sdwa s[8:9], v6, v12 src0_sel:BYTE_3 src1_sel:DWORD
	s_andn2_b64 s[4:5], s[4:5], exec
	s_and_b64 s[8:9], s[8:9], exec
	s_or_b64 s[4:5], s[4:5], s[8:9]
	s_or_b64 exec, exec, s[6:7]
	s_and_saveexec_b64 s[6:7], s[4:5]
	s_cbranch_execz .LBB2_32781
; %bb.58395:
	s_getpc_b64 s[14:15]
.Lpost_getpc32781:
	s_add_u32 s14, s14, (.LBB2_8219-.Lpost_getpc32781)&4294967295
	s_addc_u32 s15, s15, (.LBB2_8219-.Lpost_getpc32781)>>32
	s_setpc_b64 s[14:15]
.LBB2_32781:
	s_getpc_b64 s[14:15]
.Lpost_getpc19974:
	s_add_u32 s14, s14, (.LBB2_8220-.Lpost_getpc19974)&4294967295
	s_addc_u32 s15, s15, (.LBB2_8220-.Lpost_getpc19974)>>32
	s_setpc_b64 s[14:15]
.LBB2_22557:
	s_movk_i32 s4, 0x80
	v_cmp_eq_u16_sdwa s[12:13], v2, s4 src0_sel:BYTE_3 src1_sel:DWORD
	s_mov_b64 s[4:5], -1
                                        ; implicit-def: $sgpr10
	s_and_saveexec_b64 s[8:9], s[12:13]
; %bb.22558:
	s_mov_b32 s10, 0x7f800001
	s_xor_b64 s[4:5], exec, -1
; %bb.22559:
	s_or_b64 exec, exec, s[8:9]
	s_and_b64 s[4:5], s[4:5], exec
	s_or_saveexec_b64 s[6:7], s[6:7]
	v_mov_b32_e32 v6, s10
	s_xor_b64 exec, exec, s[6:7]
	s_cbranch_execnz .LBB2_22560
; %bb.58397:
	s_getpc_b64 s[14:15]
.Lpost_getpc32782:
	s_add_u32 s14, s14, (.LBB2_8222-.Lpost_getpc32782)&4294967295
	s_addc_u32 s15, s15, (.LBB2_8222-.Lpost_getpc32782)>>32
	s_setpc_b64 s[14:15]
.LBB2_22560:
	v_mov_b32_e32 v6, 0
	v_cmp_ne_u16_sdwa s[8:9], v2, v6 src0_sel:BYTE_3 src1_sel:DWORD
	s_andn2_b64 s[4:5], s[4:5], exec
	s_and_b64 s[8:9], s[8:9], exec
	s_or_b64 s[4:5], s[4:5], s[8:9]
	s_or_b64 exec, exec, s[6:7]
	s_and_saveexec_b64 s[6:7], s[4:5]
	s_cbranch_execz .LBB2_32783
; %bb.58399:
	s_getpc_b64 s[14:15]
.Lpost_getpc32783:
	s_add_u32 s14, s14, (.LBB2_8223-.Lpost_getpc32783)&4294967295
	s_addc_u32 s15, s15, (.LBB2_8223-.Lpost_getpc32783)>>32
	s_setpc_b64 s[14:15]
.LBB2_32783:
	s_getpc_b64 s[14:15]
.Lpost_getpc19975:
	s_add_u32 s14, s14, (.LBB2_8224-.Lpost_getpc19975)&4294967295
	s_addc_u32 s15, s15, (.LBB2_8224-.Lpost_getpc19975)>>32
	s_setpc_b64 s[14:15]
.LBB2_22561:
	s_movk_i32 s4, 0x80
	v_cmp_eq_u16_sdwa s[12:13], v7, s4 src0_sel:BYTE_0 src1_sel:DWORD
	s_mov_b64 s[4:5], -1
                                        ; implicit-def: $sgpr10
	s_and_saveexec_b64 s[8:9], s[12:13]
; %bb.22562:
	s_mov_b32 s10, 0x7f800001
	s_xor_b64 s[4:5], exec, -1
; %bb.22563:
	s_or_b64 exec, exec, s[8:9]
	s_and_b64 s[4:5], s[4:5], exec
	s_or_saveexec_b64 s[6:7], s[6:7]
	v_mov_b32_e32 v2, s10
	s_xor_b64 exec, exec, s[6:7]
	s_cbranch_execnz .LBB2_22564
; %bb.58401:
	s_getpc_b64 s[14:15]
.Lpost_getpc32784:
	s_add_u32 s14, s14, (.LBB2_8226-.Lpost_getpc32784)&4294967295
	s_addc_u32 s15, s15, (.LBB2_8226-.Lpost_getpc32784)>>32
	s_setpc_b64 s[14:15]
.LBB2_22564:
	v_mov_b32_e32 v2, 0
	v_cmp_ne_u16_sdwa s[8:9], v7, v2 src0_sel:BYTE_0 src1_sel:DWORD
	s_andn2_b64 s[4:5], s[4:5], exec
	s_and_b64 s[8:9], s[8:9], exec
	s_or_b64 s[4:5], s[4:5], s[8:9]
	s_or_b64 exec, exec, s[6:7]
	s_and_saveexec_b64 s[6:7], s[4:5]
	s_cbranch_execz .LBB2_32785
; %bb.58403:
	s_getpc_b64 s[14:15]
.Lpost_getpc32785:
	s_add_u32 s14, s14, (.LBB2_8227-.Lpost_getpc32785)&4294967295
	s_addc_u32 s15, s15, (.LBB2_8227-.Lpost_getpc32785)>>32
	s_setpc_b64 s[14:15]
.LBB2_32785:
	s_getpc_b64 s[14:15]
.Lpost_getpc19976:
	s_add_u32 s14, s14, (.LBB2_8228-.Lpost_getpc19976)&4294967295
	s_addc_u32 s15, s15, (.LBB2_8228-.Lpost_getpc19976)>>32
	s_setpc_b64 s[14:15]
.LBB2_22565:
	s_movk_i32 s4, 0x80
	v_cmp_eq_u16_sdwa s[12:13], v3, s4 src0_sel:BYTE_0 src1_sel:DWORD
	s_mov_b64 s[4:5], -1
                                        ; implicit-def: $sgpr10
	s_and_saveexec_b64 s[8:9], s[12:13]
; %bb.22566:
	s_mov_b32 s10, 0x7f800001
	s_xor_b64 s[4:5], exec, -1
; %bb.22567:
	s_or_b64 exec, exec, s[8:9]
	s_and_b64 s[4:5], s[4:5], exec
	s_or_saveexec_b64 s[6:7], s[6:7]
	v_mov_b32_e32 v6, s10
	s_xor_b64 exec, exec, s[6:7]
	s_cbranch_execnz .LBB2_22568
; %bb.58405:
	s_getpc_b64 s[14:15]
.Lpost_getpc32786:
	s_add_u32 s14, s14, (.LBB2_8230-.Lpost_getpc32786)&4294967295
	s_addc_u32 s15, s15, (.LBB2_8230-.Lpost_getpc32786)>>32
	s_setpc_b64 s[14:15]
.LBB2_22568:
	v_mov_b32_e32 v6, 0
	v_cmp_ne_u16_sdwa s[8:9], v3, v6 src0_sel:BYTE_0 src1_sel:DWORD
	s_andn2_b64 s[4:5], s[4:5], exec
	s_and_b64 s[8:9], s[8:9], exec
	s_or_b64 s[4:5], s[4:5], s[8:9]
	s_or_b64 exec, exec, s[6:7]
	s_and_saveexec_b64 s[6:7], s[4:5]
	s_cbranch_execz .LBB2_32787
; %bb.58407:
	s_getpc_b64 s[14:15]
.Lpost_getpc32787:
	s_add_u32 s14, s14, (.LBB2_8231-.Lpost_getpc32787)&4294967295
	s_addc_u32 s15, s15, (.LBB2_8231-.Lpost_getpc32787)>>32
	s_setpc_b64 s[14:15]
.LBB2_32787:
	s_getpc_b64 s[14:15]
.Lpost_getpc19977:
	s_add_u32 s14, s14, (.LBB2_8232-.Lpost_getpc19977)&4294967295
	s_addc_u32 s15, s15, (.LBB2_8232-.Lpost_getpc19977)>>32
	s_setpc_b64 s[14:15]
.LBB2_22569:
	s_movk_i32 s4, 0x80
	v_cmp_eq_u16_sdwa s[12:13], v6, s4 src0_sel:BYTE_0 src1_sel:DWORD
	s_mov_b64 s[4:5], -1
                                        ; implicit-def: $sgpr10
	s_and_saveexec_b64 s[8:9], s[12:13]
; %bb.22570:
	s_mov_b32 s10, 0x7f800001
	s_xor_b64 s[4:5], exec, -1
; %bb.22571:
	s_or_b64 exec, exec, s[8:9]
	s_and_b64 s[4:5], s[4:5], exec
	s_or_saveexec_b64 s[6:7], s[6:7]
	v_mov_b32_e32 v2, s10
	s_xor_b64 exec, exec, s[6:7]
	s_cbranch_execnz .LBB2_22572
; %bb.58409:
	s_getpc_b64 s[14:15]
.Lpost_getpc32788:
	s_add_u32 s14, s14, (.LBB2_8234-.Lpost_getpc32788)&4294967295
	s_addc_u32 s15, s15, (.LBB2_8234-.Lpost_getpc32788)>>32
	s_setpc_b64 s[14:15]
.LBB2_22572:
	v_mov_b32_e32 v2, 0
	v_cmp_ne_u16_sdwa s[8:9], v6, v2 src0_sel:BYTE_0 src1_sel:DWORD
	s_andn2_b64 s[4:5], s[4:5], exec
	s_and_b64 s[8:9], s[8:9], exec
	s_or_b64 s[4:5], s[4:5], s[8:9]
	s_or_b64 exec, exec, s[6:7]
	s_and_saveexec_b64 s[6:7], s[4:5]
	s_cbranch_execz .LBB2_32789
; %bb.58411:
	s_getpc_b64 s[14:15]
.Lpost_getpc32789:
	s_add_u32 s14, s14, (.LBB2_8235-.Lpost_getpc32789)&4294967295
	s_addc_u32 s15, s15, (.LBB2_8235-.Lpost_getpc32789)>>32
	s_setpc_b64 s[14:15]
.LBB2_32789:
	s_getpc_b64 s[14:15]
.Lpost_getpc19978:
	s_add_u32 s14, s14, (.LBB2_8236-.Lpost_getpc19978)&4294967295
	s_addc_u32 s15, s15, (.LBB2_8236-.Lpost_getpc19978)>>32
	s_setpc_b64 s[14:15]
.LBB2_22573:
	s_movk_i32 s4, 0x80
	v_cmp_eq_u16_sdwa s[12:13], v6, s4 src0_sel:BYTE_0 src1_sel:DWORD
	s_mov_b64 s[4:5], -1
                                        ; implicit-def: $sgpr10
	s_and_saveexec_b64 s[8:9], s[12:13]
; %bb.22574:
	s_mov_b32 s10, 0x7f800001
	s_xor_b64 s[4:5], exec, -1
; %bb.22575:
	s_or_b64 exec, exec, s[8:9]
	s_and_b64 s[4:5], s[4:5], exec
	s_or_saveexec_b64 s[6:7], s[6:7]
	v_mov_b32_e32 v12, s10
	s_xor_b64 exec, exec, s[6:7]
	s_cbranch_execnz .LBB2_22576
; %bb.58413:
	s_getpc_b64 s[14:15]
.Lpost_getpc32790:
	s_add_u32 s14, s14, (.LBB2_8238-.Lpost_getpc32790)&4294967295
	s_addc_u32 s15, s15, (.LBB2_8238-.Lpost_getpc32790)>>32
	s_setpc_b64 s[14:15]
.LBB2_22576:
	v_mov_b32_e32 v12, 0
	v_cmp_ne_u16_sdwa s[8:9], v6, v12 src0_sel:BYTE_0 src1_sel:DWORD
	s_andn2_b64 s[4:5], s[4:5], exec
	s_and_b64 s[8:9], s[8:9], exec
	s_or_b64 s[4:5], s[4:5], s[8:9]
	s_or_b64 exec, exec, s[6:7]
	s_and_saveexec_b64 s[6:7], s[4:5]
	s_cbranch_execz .LBB2_32791
; %bb.58415:
	s_getpc_b64 s[14:15]
.Lpost_getpc32791:
	s_add_u32 s14, s14, (.LBB2_8239-.Lpost_getpc32791)&4294967295
	s_addc_u32 s15, s15, (.LBB2_8239-.Lpost_getpc32791)>>32
	s_setpc_b64 s[14:15]
.LBB2_32791:
	s_getpc_b64 s[14:15]
.Lpost_getpc19979:
	s_add_u32 s14, s14, (.LBB2_8240-.Lpost_getpc19979)&4294967295
	s_addc_u32 s15, s15, (.LBB2_8240-.Lpost_getpc19979)>>32
	s_setpc_b64 s[14:15]
.LBB2_22577:
	s_movk_i32 s4, 0x80
	v_cmp_eq_u16_e32 vcc, s4, v6
	s_mov_b64 s[4:5], -1
                                        ; implicit-def: $sgpr10
	s_and_saveexec_b64 s[8:9], vcc
; %bb.22578:
	s_mov_b32 s10, 0x7f800001
	s_xor_b64 s[4:5], exec, -1
; %bb.22579:
	s_or_b64 exec, exec, s[8:9]
	s_and_b64 s[4:5], s[4:5], exec
                                        ; implicit-def: $vgpr6
	s_or_saveexec_b64 s[6:7], s[6:7]
	v_mov_b32_e32 v2, s10
	s_xor_b64 exec, exec, s[6:7]
	s_cbranch_execnz .LBB2_22580
; %bb.58417:
	s_getpc_b64 s[14:15]
.Lpost_getpc32792:
	s_add_u32 s14, s14, (.LBB2_8242-.Lpost_getpc32792)&4294967295
	s_addc_u32 s15, s15, (.LBB2_8242-.Lpost_getpc32792)>>32
	s_setpc_b64 s[14:15]
.LBB2_22580:
	v_cmp_ne_u16_e32 vcc, 0, v6
	s_andn2_b64 s[4:5], s[4:5], exec
	s_and_b64 s[8:9], vcc, exec
	v_mov_b32_e32 v2, 0
	s_or_b64 s[4:5], s[4:5], s[8:9]
	s_or_b64 exec, exec, s[6:7]
	s_and_saveexec_b64 s[6:7], s[4:5]
	s_cbranch_execz .LBB2_32793
; %bb.58419:
	s_getpc_b64 s[14:15]
.Lpost_getpc32793:
	s_add_u32 s14, s14, (.LBB2_8243-.Lpost_getpc32793)&4294967295
	s_addc_u32 s15, s15, (.LBB2_8243-.Lpost_getpc32793)>>32
	s_setpc_b64 s[14:15]
.LBB2_32793:
	s_getpc_b64 s[14:15]
.Lpost_getpc19980:
	s_add_u32 s14, s14, (.LBB2_8244-.Lpost_getpc19980)&4294967295
	s_addc_u32 s15, s15, (.LBB2_8244-.Lpost_getpc19980)>>32
	s_setpc_b64 s[14:15]
.LBB2_22581:
	s_movk_i32 s4, 0x80
	v_cmp_eq_u16_e32 vcc, s4, v6
	s_mov_b64 s[4:5], -1
                                        ; implicit-def: $sgpr10
	s_and_saveexec_b64 s[8:9], vcc
; %bb.22582:
	s_mov_b32 s10, 0x7f800001
	s_xor_b64 s[4:5], exec, -1
; %bb.22583:
	s_or_b64 exec, exec, s[8:9]
	s_and_b64 s[4:5], s[4:5], exec
                                        ; implicit-def: $vgpr6
	s_or_saveexec_b64 s[6:7], s[6:7]
	v_mov_b32_e32 v12, s10
	s_xor_b64 exec, exec, s[6:7]
	s_cbranch_execnz .LBB2_22584
; %bb.58421:
	s_getpc_b64 s[14:15]
.Lpost_getpc32794:
	s_add_u32 s14, s14, (.LBB2_8246-.Lpost_getpc32794)&4294967295
	s_addc_u32 s15, s15, (.LBB2_8246-.Lpost_getpc32794)>>32
	s_setpc_b64 s[14:15]
.LBB2_22584:
	v_cmp_ne_u16_e32 vcc, 0, v6
	s_andn2_b64 s[4:5], s[4:5], exec
	s_and_b64 s[8:9], vcc, exec
	v_mov_b32_e32 v12, 0
	s_or_b64 s[4:5], s[4:5], s[8:9]
	s_or_b64 exec, exec, s[6:7]
	s_and_saveexec_b64 s[6:7], s[4:5]
	s_cbranch_execz .LBB2_32795
; %bb.58423:
	s_getpc_b64 s[14:15]
.Lpost_getpc32795:
	s_add_u32 s14, s14, (.LBB2_8247-.Lpost_getpc32795)&4294967295
	s_addc_u32 s15, s15, (.LBB2_8247-.Lpost_getpc32795)>>32
	s_setpc_b64 s[14:15]
.LBB2_32795:
	s_getpc_b64 s[14:15]
.Lpost_getpc19981:
	s_add_u32 s14, s14, (.LBB2_8248-.Lpost_getpc19981)&4294967295
	s_addc_u32 s15, s15, (.LBB2_8248-.Lpost_getpc19981)>>32
	s_setpc_b64 s[14:15]
.LBB2_22585:
	s_movk_i32 s4, 0x80
	v_cmp_eq_u16_sdwa s[12:13], v7, s4 src0_sel:BYTE_3 src1_sel:DWORD
	s_mov_b64 s[4:5], -1
                                        ; implicit-def: $sgpr10
	s_and_saveexec_b64 s[8:9], s[12:13]
; %bb.22586:
	s_mov_b32 s10, 0x7f800001
	s_xor_b64 s[4:5], exec, -1
; %bb.22587:
	s_or_b64 exec, exec, s[8:9]
	s_and_b64 s[4:5], s[4:5], exec
	s_or_saveexec_b64 s[6:7], s[6:7]
	v_mov_b32_e32 v2, s10
	s_xor_b64 exec, exec, s[6:7]
	s_cbranch_execnz .LBB2_22588
; %bb.58425:
	s_getpc_b64 s[14:15]
.Lpost_getpc32796:
	s_add_u32 s14, s14, (.LBB2_8250-.Lpost_getpc32796)&4294967295
	s_addc_u32 s15, s15, (.LBB2_8250-.Lpost_getpc32796)>>32
	s_setpc_b64 s[14:15]
.LBB2_22588:
	v_mov_b32_e32 v2, 0
	v_cmp_ne_u16_sdwa s[8:9], v7, v2 src0_sel:BYTE_3 src1_sel:DWORD
	s_andn2_b64 s[4:5], s[4:5], exec
	s_and_b64 s[8:9], s[8:9], exec
	s_or_b64 s[4:5], s[4:5], s[8:9]
	s_or_b64 exec, exec, s[6:7]
	s_and_saveexec_b64 s[6:7], s[4:5]
	s_cbranch_execz .LBB2_32797
; %bb.58427:
	s_getpc_b64 s[14:15]
.Lpost_getpc32797:
	s_add_u32 s14, s14, (.LBB2_8251-.Lpost_getpc32797)&4294967295
	s_addc_u32 s15, s15, (.LBB2_8251-.Lpost_getpc32797)>>32
	s_setpc_b64 s[14:15]
.LBB2_32797:
	s_getpc_b64 s[14:15]
.Lpost_getpc19982:
	s_add_u32 s14, s14, (.LBB2_8252-.Lpost_getpc19982)&4294967295
	s_addc_u32 s15, s15, (.LBB2_8252-.Lpost_getpc19982)>>32
	s_setpc_b64 s[14:15]
.LBB2_22589:
	s_movk_i32 s4, 0x80
	v_cmp_eq_u16_sdwa s[12:13], v3, s4 src0_sel:BYTE_3 src1_sel:DWORD
	s_mov_b64 s[4:5], -1
                                        ; implicit-def: $sgpr10
	s_and_saveexec_b64 s[8:9], s[12:13]
; %bb.22590:
	s_mov_b32 s10, 0x7f800001
	s_xor_b64 s[4:5], exec, -1
; %bb.22591:
	s_or_b64 exec, exec, s[8:9]
	s_and_b64 s[4:5], s[4:5], exec
	s_or_saveexec_b64 s[6:7], s[6:7]
	v_mov_b32_e32 v6, s10
	s_xor_b64 exec, exec, s[6:7]
	s_cbranch_execnz .LBB2_22592
; %bb.58429:
	s_getpc_b64 s[14:15]
.Lpost_getpc32798:
	s_add_u32 s14, s14, (.LBB2_8254-.Lpost_getpc32798)&4294967295
	s_addc_u32 s15, s15, (.LBB2_8254-.Lpost_getpc32798)>>32
	s_setpc_b64 s[14:15]
.LBB2_22592:
	v_mov_b32_e32 v6, 0
	v_cmp_ne_u16_sdwa s[8:9], v3, v6 src0_sel:BYTE_3 src1_sel:DWORD
	s_andn2_b64 s[4:5], s[4:5], exec
	s_and_b64 s[8:9], s[8:9], exec
	s_or_b64 s[4:5], s[4:5], s[8:9]
	s_or_b64 exec, exec, s[6:7]
	s_and_saveexec_b64 s[6:7], s[4:5]
	s_cbranch_execz .LBB2_32799
; %bb.58431:
	s_getpc_b64 s[14:15]
.Lpost_getpc32799:
	s_add_u32 s14, s14, (.LBB2_8255-.Lpost_getpc32799)&4294967295
	s_addc_u32 s15, s15, (.LBB2_8255-.Lpost_getpc32799)>>32
	s_setpc_b64 s[14:15]
.LBB2_32799:
	s_getpc_b64 s[14:15]
.Lpost_getpc19983:
	s_add_u32 s14, s14, (.LBB2_8256-.Lpost_getpc19983)&4294967295
	s_addc_u32 s15, s15, (.LBB2_8256-.Lpost_getpc19983)>>32
	s_setpc_b64 s[14:15]
.LBB2_22593:
	s_movk_i32 s4, 0x80
	v_cmp_eq_u16_sdwa s[12:13], v8, s4 src0_sel:BYTE_0 src1_sel:DWORD
	s_mov_b64 s[4:5], -1
                                        ; implicit-def: $sgpr10
	s_and_saveexec_b64 s[8:9], s[12:13]
; %bb.22594:
	s_mov_b32 s10, 0x7f800001
	s_xor_b64 s[4:5], exec, -1
; %bb.22595:
	s_or_b64 exec, exec, s[8:9]
	s_and_b64 s[4:5], s[4:5], exec
	s_or_saveexec_b64 s[6:7], s[6:7]
	v_mov_b32_e32 v2, s10
	s_xor_b64 exec, exec, s[6:7]
	s_cbranch_execnz .LBB2_22596
; %bb.58433:
	s_getpc_b64 s[14:15]
.Lpost_getpc32800:
	s_add_u32 s14, s14, (.LBB2_8258-.Lpost_getpc32800)&4294967295
	s_addc_u32 s15, s15, (.LBB2_8258-.Lpost_getpc32800)>>32
	s_setpc_b64 s[14:15]
.LBB2_22596:
	v_mov_b32_e32 v2, 0
	v_cmp_ne_u16_sdwa s[8:9], v8, v2 src0_sel:BYTE_0 src1_sel:DWORD
	s_andn2_b64 s[4:5], s[4:5], exec
	s_and_b64 s[8:9], s[8:9], exec
	s_or_b64 s[4:5], s[4:5], s[8:9]
	s_or_b64 exec, exec, s[6:7]
	s_and_saveexec_b64 s[6:7], s[4:5]
	s_cbranch_execz .LBB2_32801
; %bb.58435:
	s_getpc_b64 s[14:15]
.Lpost_getpc32801:
	s_add_u32 s14, s14, (.LBB2_8259-.Lpost_getpc32801)&4294967295
	s_addc_u32 s15, s15, (.LBB2_8259-.Lpost_getpc32801)>>32
	s_setpc_b64 s[14:15]
.LBB2_32801:
	s_getpc_b64 s[14:15]
.Lpost_getpc19984:
	s_add_u32 s14, s14, (.LBB2_8260-.Lpost_getpc19984)&4294967295
	s_addc_u32 s15, s15, (.LBB2_8260-.Lpost_getpc19984)>>32
	s_setpc_b64 s[14:15]
.LBB2_22597:
	s_movk_i32 s4, 0x80
	v_cmp_eq_u16_sdwa s[12:13], v4, s4 src0_sel:BYTE_0 src1_sel:DWORD
	s_mov_b64 s[4:5], -1
                                        ; implicit-def: $sgpr10
	s_and_saveexec_b64 s[8:9], s[12:13]
; %bb.22598:
	s_mov_b32 s10, 0x7f800001
	s_xor_b64 s[4:5], exec, -1
; %bb.22599:
	s_or_b64 exec, exec, s[8:9]
	s_and_b64 s[4:5], s[4:5], exec
	s_or_saveexec_b64 s[6:7], s[6:7]
	v_mov_b32_e32 v3, s10
	s_xor_b64 exec, exec, s[6:7]
	s_cbranch_execnz .LBB2_22600
; %bb.58437:
	s_getpc_b64 s[14:15]
.Lpost_getpc32802:
	s_add_u32 s14, s14, (.LBB2_8262-.Lpost_getpc32802)&4294967295
	s_addc_u32 s15, s15, (.LBB2_8262-.Lpost_getpc32802)>>32
	s_setpc_b64 s[14:15]
.LBB2_22600:
	v_mov_b32_e32 v3, 0
	v_cmp_ne_u16_sdwa s[8:9], v4, v3 src0_sel:BYTE_0 src1_sel:DWORD
	s_andn2_b64 s[4:5], s[4:5], exec
	s_and_b64 s[8:9], s[8:9], exec
	s_or_b64 s[4:5], s[4:5], s[8:9]
	s_or_b64 exec, exec, s[6:7]
	s_and_saveexec_b64 s[6:7], s[4:5]
	s_cbranch_execz .LBB2_32803
; %bb.58439:
	s_getpc_b64 s[14:15]
.Lpost_getpc32803:
	s_add_u32 s14, s14, (.LBB2_8263-.Lpost_getpc32803)&4294967295
	s_addc_u32 s15, s15, (.LBB2_8263-.Lpost_getpc32803)>>32
	s_setpc_b64 s[14:15]
.LBB2_32803:
	s_getpc_b64 s[14:15]
.Lpost_getpc19985:
	s_add_u32 s14, s14, (.LBB2_8264-.Lpost_getpc19985)&4294967295
	s_addc_u32 s15, s15, (.LBB2_8264-.Lpost_getpc19985)>>32
	s_setpc_b64 s[14:15]
.LBB2_22601:
	s_movk_i32 s4, 0x80
	v_cmp_eq_u16_sdwa s[12:13], v3, s4 src0_sel:BYTE_0 src1_sel:DWORD
	s_mov_b64 s[4:5], -1
                                        ; implicit-def: $sgpr10
	s_and_saveexec_b64 s[8:9], s[12:13]
; %bb.22602:
	s_mov_b32 s10, 0x7f800001
	s_xor_b64 s[4:5], exec, -1
; %bb.22603:
	s_or_b64 exec, exec, s[8:9]
	s_and_b64 s[4:5], s[4:5], exec
	s_or_saveexec_b64 s[6:7], s[6:7]
	v_mov_b32_e32 v2, s10
	s_xor_b64 exec, exec, s[6:7]
	s_cbranch_execnz .LBB2_22604
; %bb.58441:
	s_getpc_b64 s[14:15]
.Lpost_getpc32804:
	s_add_u32 s14, s14, (.LBB2_8266-.Lpost_getpc32804)&4294967295
	s_addc_u32 s15, s15, (.LBB2_8266-.Lpost_getpc32804)>>32
	s_setpc_b64 s[14:15]
.LBB2_22604:
	v_mov_b32_e32 v2, 0
	v_cmp_ne_u16_sdwa s[8:9], v3, v2 src0_sel:BYTE_0 src1_sel:DWORD
	s_andn2_b64 s[4:5], s[4:5], exec
	s_and_b64 s[8:9], s[8:9], exec
	s_or_b64 s[4:5], s[4:5], s[8:9]
	s_or_b64 exec, exec, s[6:7]
	s_and_saveexec_b64 s[6:7], s[4:5]
	s_cbranch_execz .LBB2_32805
; %bb.58443:
	s_getpc_b64 s[14:15]
.Lpost_getpc32805:
	s_add_u32 s14, s14, (.LBB2_8267-.Lpost_getpc32805)&4294967295
	s_addc_u32 s15, s15, (.LBB2_8267-.Lpost_getpc32805)>>32
	s_setpc_b64 s[14:15]
.LBB2_32805:
	s_getpc_b64 s[14:15]
.Lpost_getpc19986:
	s_add_u32 s14, s14, (.LBB2_8268-.Lpost_getpc19986)&4294967295
	s_addc_u32 s15, s15, (.LBB2_8268-.Lpost_getpc19986)>>32
	s_setpc_b64 s[14:15]
.LBB2_22605:
	s_movk_i32 s4, 0x80
	v_cmp_eq_u16_sdwa s[12:13], v3, s4 src0_sel:BYTE_0 src1_sel:DWORD
	s_mov_b64 s[4:5], -1
                                        ; implicit-def: $sgpr10
	s_and_saveexec_b64 s[8:9], s[12:13]
; %bb.22606:
	s_mov_b32 s10, 0x7f800001
	s_xor_b64 s[4:5], exec, -1
; %bb.22607:
	s_or_b64 exec, exec, s[8:9]
	s_and_b64 s[4:5], s[4:5], exec
	s_or_saveexec_b64 s[6:7], s[6:7]
	v_mov_b32_e32 v6, s10
	s_xor_b64 exec, exec, s[6:7]
	s_cbranch_execnz .LBB2_22608
; %bb.58445:
	s_getpc_b64 s[14:15]
.Lpost_getpc32806:
	s_add_u32 s14, s14, (.LBB2_8270-.Lpost_getpc32806)&4294967295
	s_addc_u32 s15, s15, (.LBB2_8270-.Lpost_getpc32806)>>32
	s_setpc_b64 s[14:15]
.LBB2_22608:
	v_mov_b32_e32 v6, 0
	v_cmp_ne_u16_sdwa s[8:9], v3, v6 src0_sel:BYTE_0 src1_sel:DWORD
	s_andn2_b64 s[4:5], s[4:5], exec
	s_and_b64 s[8:9], s[8:9], exec
	s_or_b64 s[4:5], s[4:5], s[8:9]
	s_or_b64 exec, exec, s[6:7]
	s_and_saveexec_b64 s[6:7], s[4:5]
	s_cbranch_execz .LBB2_32807
; %bb.58447:
	s_getpc_b64 s[14:15]
.Lpost_getpc32807:
	s_add_u32 s14, s14, (.LBB2_8271-.Lpost_getpc32807)&4294967295
	s_addc_u32 s15, s15, (.LBB2_8271-.Lpost_getpc32807)>>32
	s_setpc_b64 s[14:15]
.LBB2_32807:
	s_getpc_b64 s[14:15]
.Lpost_getpc19987:
	s_add_u32 s14, s14, (.LBB2_8272-.Lpost_getpc19987)&4294967295
	s_addc_u32 s15, s15, (.LBB2_8272-.Lpost_getpc19987)>>32
	s_setpc_b64 s[14:15]
.LBB2_22609:
	s_movk_i32 s4, 0x80
	v_cmp_eq_u16_e32 vcc, s4, v3
	s_mov_b64 s[4:5], -1
                                        ; implicit-def: $sgpr10
	s_and_saveexec_b64 s[8:9], vcc
; %bb.22610:
	s_mov_b32 s10, 0x7f800001
	s_xor_b64 s[4:5], exec, -1
; %bb.22611:
	s_or_b64 exec, exec, s[8:9]
	s_and_b64 s[4:5], s[4:5], exec
                                        ; implicit-def: $vgpr3
	s_or_saveexec_b64 s[6:7], s[6:7]
	v_mov_b32_e32 v2, s10
	s_xor_b64 exec, exec, s[6:7]
	s_cbranch_execnz .LBB2_22612
; %bb.58449:
	s_getpc_b64 s[14:15]
.Lpost_getpc32808:
	s_add_u32 s14, s14, (.LBB2_8274-.Lpost_getpc32808)&4294967295
	s_addc_u32 s15, s15, (.LBB2_8274-.Lpost_getpc32808)>>32
	s_setpc_b64 s[14:15]
.LBB2_22612:
	v_cmp_ne_u16_e32 vcc, 0, v3
	s_andn2_b64 s[4:5], s[4:5], exec
	s_and_b64 s[8:9], vcc, exec
	v_mov_b32_e32 v2, 0
	s_or_b64 s[4:5], s[4:5], s[8:9]
	s_or_b64 exec, exec, s[6:7]
	s_and_saveexec_b64 s[6:7], s[4:5]
	s_cbranch_execz .LBB2_32809
; %bb.58451:
	s_getpc_b64 s[14:15]
.Lpost_getpc32809:
	s_add_u32 s14, s14, (.LBB2_8275-.Lpost_getpc32809)&4294967295
	s_addc_u32 s15, s15, (.LBB2_8275-.Lpost_getpc32809)>>32
	s_setpc_b64 s[14:15]
.LBB2_32809:
	s_getpc_b64 s[14:15]
.Lpost_getpc19988:
	s_add_u32 s14, s14, (.LBB2_8276-.Lpost_getpc19988)&4294967295
	s_addc_u32 s15, s15, (.LBB2_8276-.Lpost_getpc19988)>>32
	s_setpc_b64 s[14:15]
.LBB2_22613:
	s_movk_i32 s4, 0x80
	v_cmp_eq_u16_e32 vcc, s4, v3
	s_mov_b64 s[4:5], -1
                                        ; implicit-def: $sgpr10
	s_and_saveexec_b64 s[8:9], vcc
; %bb.22614:
	s_mov_b32 s10, 0x7f800001
	s_xor_b64 s[4:5], exec, -1
; %bb.22615:
	s_or_b64 exec, exec, s[8:9]
	s_and_b64 s[4:5], s[4:5], exec
                                        ; implicit-def: $vgpr3
	s_or_saveexec_b64 s[6:7], s[6:7]
	v_mov_b32_e32 v6, s10
	s_xor_b64 exec, exec, s[6:7]
	s_cbranch_execnz .LBB2_22616
; %bb.58453:
	s_getpc_b64 s[14:15]
.Lpost_getpc32810:
	s_add_u32 s14, s14, (.LBB2_8278-.Lpost_getpc32810)&4294967295
	s_addc_u32 s15, s15, (.LBB2_8278-.Lpost_getpc32810)>>32
	s_setpc_b64 s[14:15]
.LBB2_22616:
	v_cmp_ne_u16_e32 vcc, 0, v3
	s_andn2_b64 s[4:5], s[4:5], exec
	s_and_b64 s[8:9], vcc, exec
	v_mov_b32_e32 v6, 0
	s_or_b64 s[4:5], s[4:5], s[8:9]
	s_or_b64 exec, exec, s[6:7]
	s_and_saveexec_b64 s[6:7], s[4:5]
	s_cbranch_execz .LBB2_32811
; %bb.58455:
	s_getpc_b64 s[14:15]
.Lpost_getpc32811:
	s_add_u32 s14, s14, (.LBB2_8279-.Lpost_getpc32811)&4294967295
	s_addc_u32 s15, s15, (.LBB2_8279-.Lpost_getpc32811)>>32
	s_setpc_b64 s[14:15]
.LBB2_32811:
	s_getpc_b64 s[14:15]
.Lpost_getpc19989:
	s_add_u32 s14, s14, (.LBB2_8280-.Lpost_getpc19989)&4294967295
	s_addc_u32 s15, s15, (.LBB2_8280-.Lpost_getpc19989)>>32
	s_setpc_b64 s[14:15]
.LBB2_22617:
	s_movk_i32 s4, 0x80
	v_cmp_eq_u16_sdwa s[12:13], v8, s4 src0_sel:BYTE_3 src1_sel:DWORD
	s_mov_b64 s[4:5], -1
                                        ; implicit-def: $sgpr10
	s_and_saveexec_b64 s[8:9], s[12:13]
; %bb.22618:
	s_mov_b32 s10, 0x7f800001
	s_xor_b64 s[4:5], exec, -1
; %bb.22619:
	s_or_b64 exec, exec, s[8:9]
	s_and_b64 s[4:5], s[4:5], exec
	s_or_saveexec_b64 s[6:7], s[6:7]
	v_mov_b32_e32 v2, s10
	s_xor_b64 exec, exec, s[6:7]
	s_cbranch_execnz .LBB2_22620
; %bb.58457:
	s_getpc_b64 s[14:15]
.Lpost_getpc32812:
	s_add_u32 s14, s14, (.LBB2_8282-.Lpost_getpc32812)&4294967295
	s_addc_u32 s15, s15, (.LBB2_8282-.Lpost_getpc32812)>>32
	s_setpc_b64 s[14:15]
.LBB2_22620:
	v_mov_b32_e32 v2, 0
	v_cmp_ne_u16_sdwa s[8:9], v8, v2 src0_sel:BYTE_3 src1_sel:DWORD
	s_andn2_b64 s[4:5], s[4:5], exec
	s_and_b64 s[8:9], s[8:9], exec
	s_or_b64 s[4:5], s[4:5], s[8:9]
	s_or_b64 exec, exec, s[6:7]
	s_and_saveexec_b64 s[6:7], s[4:5]
	s_cbranch_execz .LBB2_32813
; %bb.58459:
	s_getpc_b64 s[14:15]
.Lpost_getpc32813:
	s_add_u32 s14, s14, (.LBB2_8283-.Lpost_getpc32813)&4294967295
	s_addc_u32 s15, s15, (.LBB2_8283-.Lpost_getpc32813)>>32
	s_setpc_b64 s[14:15]
.LBB2_32813:
	s_getpc_b64 s[14:15]
.Lpost_getpc19990:
	s_add_u32 s14, s14, (.LBB2_8284-.Lpost_getpc19990)&4294967295
	s_addc_u32 s15, s15, (.LBB2_8284-.Lpost_getpc19990)>>32
	s_setpc_b64 s[14:15]
.LBB2_22621:
	s_movk_i32 s4, 0x80
	v_cmp_eq_u16_sdwa s[12:13], v4, s4 src0_sel:BYTE_3 src1_sel:DWORD
	s_mov_b64 s[4:5], -1
                                        ; implicit-def: $sgpr10
	s_and_saveexec_b64 s[8:9], s[12:13]
; %bb.22622:
	s_mov_b32 s10, 0x7f800001
	s_xor_b64 s[4:5], exec, -1
; %bb.22623:
	s_or_b64 exec, exec, s[8:9]
	s_and_b64 s[4:5], s[4:5], exec
	s_or_saveexec_b64 s[6:7], s[6:7]
	v_mov_b32_e32 v3, s10
	s_xor_b64 exec, exec, s[6:7]
	s_cbranch_execnz .LBB2_22624
; %bb.58461:
	s_getpc_b64 s[14:15]
.Lpost_getpc32814:
	s_add_u32 s14, s14, (.LBB2_8286-.Lpost_getpc32814)&4294967295
	s_addc_u32 s15, s15, (.LBB2_8286-.Lpost_getpc32814)>>32
	s_setpc_b64 s[14:15]
.LBB2_22624:
	v_mov_b32_e32 v3, 0
	v_cmp_ne_u16_sdwa s[8:9], v4, v3 src0_sel:BYTE_3 src1_sel:DWORD
	s_andn2_b64 s[4:5], s[4:5], exec
	s_and_b64 s[8:9], s[8:9], exec
	s_or_b64 s[4:5], s[4:5], s[8:9]
	s_or_b64 exec, exec, s[6:7]
	s_and_saveexec_b64 s[6:7], s[4:5]
	s_cbranch_execz .LBB2_32815
; %bb.58463:
	s_getpc_b64 s[14:15]
.Lpost_getpc32815:
	s_add_u32 s14, s14, (.LBB2_8287-.Lpost_getpc32815)&4294967295
	s_addc_u32 s15, s15, (.LBB2_8287-.Lpost_getpc32815)>>32
	s_setpc_b64 s[14:15]
.LBB2_32815:
	s_getpc_b64 s[14:15]
.Lpost_getpc19991:
	s_add_u32 s14, s14, (.LBB2_8288-.Lpost_getpc19991)&4294967295
	s_addc_u32 s15, s15, (.LBB2_8288-.Lpost_getpc19991)>>32
	s_setpc_b64 s[14:15]
.LBB2_22625:
	s_movk_i32 s4, 0x80
	v_cmp_eq_u16_sdwa s[12:13], v9, s4 src0_sel:BYTE_0 src1_sel:DWORD
	s_mov_b64 s[4:5], -1
                                        ; implicit-def: $sgpr10
	s_and_saveexec_b64 s[8:9], s[12:13]
; %bb.22626:
	s_mov_b32 s10, 0x7f800001
	s_xor_b64 s[4:5], exec, -1
; %bb.22627:
	s_or_b64 exec, exec, s[8:9]
	s_and_b64 s[4:5], s[4:5], exec
	s_or_saveexec_b64 s[6:7], s[6:7]
	v_mov_b32_e32 v2, s10
	s_xor_b64 exec, exec, s[6:7]
	s_cbranch_execnz .LBB2_22628
; %bb.58465:
	s_getpc_b64 s[14:15]
.Lpost_getpc32816:
	s_add_u32 s14, s14, (.LBB2_8290-.Lpost_getpc32816)&4294967295
	s_addc_u32 s15, s15, (.LBB2_8290-.Lpost_getpc32816)>>32
	s_setpc_b64 s[14:15]
.LBB2_22628:
	v_mov_b32_e32 v2, 0
	v_cmp_ne_u16_sdwa s[8:9], v9, v2 src0_sel:BYTE_0 src1_sel:DWORD
	s_andn2_b64 s[4:5], s[4:5], exec
	s_and_b64 s[8:9], s[8:9], exec
	s_or_b64 s[4:5], s[4:5], s[8:9]
	s_or_b64 exec, exec, s[6:7]
	s_and_saveexec_b64 s[6:7], s[4:5]
	s_cbranch_execz .LBB2_32817
; %bb.58467:
	s_getpc_b64 s[14:15]
.Lpost_getpc32817:
	s_add_u32 s14, s14, (.LBB2_8291-.Lpost_getpc32817)&4294967295
	s_addc_u32 s15, s15, (.LBB2_8291-.Lpost_getpc32817)>>32
	s_setpc_b64 s[14:15]
.LBB2_32817:
	s_getpc_b64 s[14:15]
.Lpost_getpc19992:
	s_add_u32 s14, s14, (.LBB2_8292-.Lpost_getpc19992)&4294967295
	s_addc_u32 s15, s15, (.LBB2_8292-.Lpost_getpc19992)>>32
	s_setpc_b64 s[14:15]
.LBB2_22629:
	s_movk_i32 s4, 0x80
	v_cmp_eq_u16_sdwa s[12:13], v5, s4 src0_sel:BYTE_0 src1_sel:DWORD
	s_mov_b64 s[4:5], -1
                                        ; implicit-def: $sgpr10
	s_and_saveexec_b64 s[8:9], s[12:13]
; %bb.22630:
	s_mov_b32 s10, 0x7f800001
	s_xor_b64 s[4:5], exec, -1
; %bb.22631:
	s_or_b64 exec, exec, s[8:9]
	s_and_b64 s[4:5], s[4:5], exec
	s_or_saveexec_b64 s[6:7], s[6:7]
	v_mov_b32_e32 v3, s10
	s_xor_b64 exec, exec, s[6:7]
	s_cbranch_execnz .LBB2_22632
; %bb.58469:
	s_getpc_b64 s[14:15]
.Lpost_getpc32818:
	s_add_u32 s14, s14, (.LBB2_8294-.Lpost_getpc32818)&4294967295
	s_addc_u32 s15, s15, (.LBB2_8294-.Lpost_getpc32818)>>32
	s_setpc_b64 s[14:15]
.LBB2_22632:
	v_mov_b32_e32 v3, 0
	v_cmp_ne_u16_sdwa s[8:9], v5, v3 src0_sel:BYTE_0 src1_sel:DWORD
	s_andn2_b64 s[4:5], s[4:5], exec
	s_and_b64 s[8:9], s[8:9], exec
	s_or_b64 s[4:5], s[4:5], s[8:9]
	s_or_b64 exec, exec, s[6:7]
	s_and_saveexec_b64 s[6:7], s[4:5]
	s_cbranch_execz .LBB2_32819
; %bb.58471:
	s_getpc_b64 s[14:15]
.Lpost_getpc32819:
	s_add_u32 s14, s14, (.LBB2_8295-.Lpost_getpc32819)&4294967295
	s_addc_u32 s15, s15, (.LBB2_8295-.Lpost_getpc32819)>>32
	s_setpc_b64 s[14:15]
.LBB2_32819:
	s_getpc_b64 s[14:15]
.Lpost_getpc19993:
	s_add_u32 s14, s14, (.LBB2_8296-.Lpost_getpc19993)&4294967295
	s_addc_u32 s15, s15, (.LBB2_8296-.Lpost_getpc19993)>>32
	s_setpc_b64 s[14:15]
.LBB2_22633:
	s_movk_i32 s4, 0x80
	v_cmp_eq_u16_sdwa s[12:13], v3, s4 src0_sel:BYTE_0 src1_sel:DWORD
	s_mov_b64 s[4:5], -1
                                        ; implicit-def: $sgpr10
	s_and_saveexec_b64 s[8:9], s[12:13]
; %bb.22634:
	s_mov_b32 s10, 0x7f800001
	s_xor_b64 s[4:5], exec, -1
; %bb.22635:
	s_or_b64 exec, exec, s[8:9]
	s_and_b64 s[4:5], s[4:5], exec
	s_or_saveexec_b64 s[6:7], s[6:7]
	v_mov_b32_e32 v2, s10
	s_xor_b64 exec, exec, s[6:7]
	s_cbranch_execnz .LBB2_22636
; %bb.58473:
	s_getpc_b64 s[14:15]
.Lpost_getpc32820:
	s_add_u32 s14, s14, (.LBB2_8298-.Lpost_getpc32820)&4294967295
	s_addc_u32 s15, s15, (.LBB2_8298-.Lpost_getpc32820)>>32
	s_setpc_b64 s[14:15]
.LBB2_22636:
	v_mov_b32_e32 v2, 0
	v_cmp_ne_u16_sdwa s[8:9], v3, v2 src0_sel:BYTE_0 src1_sel:DWORD
	s_andn2_b64 s[4:5], s[4:5], exec
	s_and_b64 s[8:9], s[8:9], exec
	s_or_b64 s[4:5], s[4:5], s[8:9]
	s_or_b64 exec, exec, s[6:7]
	s_and_saveexec_b64 s[6:7], s[4:5]
	s_cbranch_execz .LBB2_32821
; %bb.58475:
	s_getpc_b64 s[14:15]
.Lpost_getpc32821:
	s_add_u32 s14, s14, (.LBB2_8299-.Lpost_getpc32821)&4294967295
	s_addc_u32 s15, s15, (.LBB2_8299-.Lpost_getpc32821)>>32
	s_setpc_b64 s[14:15]
.LBB2_32821:
	s_getpc_b64 s[14:15]
.Lpost_getpc19994:
	s_add_u32 s14, s14, (.LBB2_8300-.Lpost_getpc19994)&4294967295
	s_addc_u32 s15, s15, (.LBB2_8300-.Lpost_getpc19994)>>32
	s_setpc_b64 s[14:15]
.LBB2_22637:
	s_movk_i32 s4, 0x80
	v_cmp_eq_u16_sdwa s[12:13], v3, s4 src0_sel:BYTE_0 src1_sel:DWORD
	s_mov_b64 s[4:5], -1
                                        ; implicit-def: $sgpr10
	s_and_saveexec_b64 s[8:9], s[12:13]
; %bb.22638:
	s_mov_b32 s10, 0x7f800001
	s_xor_b64 s[4:5], exec, -1
; %bb.22639:
	s_or_b64 exec, exec, s[8:9]
	s_and_b64 s[4:5], s[4:5], exec
	s_or_saveexec_b64 s[6:7], s[6:7]
	v_mov_b32_e32 v4, s10
	s_xor_b64 exec, exec, s[6:7]
	s_cbranch_execnz .LBB2_22640
; %bb.58477:
	s_getpc_b64 s[14:15]
.Lpost_getpc32822:
	s_add_u32 s14, s14, (.LBB2_8302-.Lpost_getpc32822)&4294967295
	s_addc_u32 s15, s15, (.LBB2_8302-.Lpost_getpc32822)>>32
	s_setpc_b64 s[14:15]
.LBB2_22640:
	v_mov_b32_e32 v4, 0
	v_cmp_ne_u16_sdwa s[8:9], v3, v4 src0_sel:BYTE_0 src1_sel:DWORD
	s_andn2_b64 s[4:5], s[4:5], exec
	s_and_b64 s[8:9], s[8:9], exec
	s_or_b64 s[4:5], s[4:5], s[8:9]
	s_or_b64 exec, exec, s[6:7]
	s_and_saveexec_b64 s[6:7], s[4:5]
	s_cbranch_execz .LBB2_32823
; %bb.58479:
	s_getpc_b64 s[14:15]
.Lpost_getpc32823:
	s_add_u32 s14, s14, (.LBB2_8303-.Lpost_getpc32823)&4294967295
	s_addc_u32 s15, s15, (.LBB2_8303-.Lpost_getpc32823)>>32
	s_setpc_b64 s[14:15]
.LBB2_32823:
	s_getpc_b64 s[14:15]
.Lpost_getpc19995:
	s_add_u32 s14, s14, (.LBB2_8304-.Lpost_getpc19995)&4294967295
	s_addc_u32 s15, s15, (.LBB2_8304-.Lpost_getpc19995)>>32
	s_setpc_b64 s[14:15]
.LBB2_22641:
	s_movk_i32 s4, 0x80
	v_cmp_eq_u16_e32 vcc, s4, v3
	s_mov_b64 s[4:5], -1
                                        ; implicit-def: $sgpr10
	s_and_saveexec_b64 s[8:9], vcc
; %bb.22642:
	s_mov_b32 s10, 0x7f800001
	s_xor_b64 s[4:5], exec, -1
; %bb.22643:
	s_or_b64 exec, exec, s[8:9]
	s_and_b64 s[4:5], s[4:5], exec
                                        ; implicit-def: $vgpr3
	s_or_saveexec_b64 s[6:7], s[6:7]
	v_mov_b32_e32 v2, s10
	s_xor_b64 exec, exec, s[6:7]
	s_cbranch_execnz .LBB2_22644
; %bb.58481:
	s_getpc_b64 s[14:15]
.Lpost_getpc32824:
	s_add_u32 s14, s14, (.LBB2_8306-.Lpost_getpc32824)&4294967295
	s_addc_u32 s15, s15, (.LBB2_8306-.Lpost_getpc32824)>>32
	s_setpc_b64 s[14:15]
.LBB2_22644:
	v_cmp_ne_u16_e32 vcc, 0, v3
	s_andn2_b64 s[4:5], s[4:5], exec
	s_and_b64 s[8:9], vcc, exec
	v_mov_b32_e32 v2, 0
	s_or_b64 s[4:5], s[4:5], s[8:9]
	s_or_b64 exec, exec, s[6:7]
	s_and_saveexec_b64 s[6:7], s[4:5]
	s_cbranch_execz .LBB2_32825
; %bb.58483:
	s_getpc_b64 s[14:15]
.Lpost_getpc32825:
	s_add_u32 s14, s14, (.LBB2_8307-.Lpost_getpc32825)&4294967295
	s_addc_u32 s15, s15, (.LBB2_8307-.Lpost_getpc32825)>>32
	s_setpc_b64 s[14:15]
.LBB2_32825:
	s_getpc_b64 s[14:15]
.Lpost_getpc19996:
	s_add_u32 s14, s14, (.LBB2_8308-.Lpost_getpc19996)&4294967295
	s_addc_u32 s15, s15, (.LBB2_8308-.Lpost_getpc19996)>>32
	s_setpc_b64 s[14:15]
.LBB2_22645:
	s_movk_i32 s4, 0x80
	v_cmp_eq_u16_e32 vcc, s4, v3
	s_mov_b64 s[4:5], -1
                                        ; implicit-def: $sgpr10
	s_and_saveexec_b64 s[8:9], vcc
; %bb.22646:
	s_mov_b32 s10, 0x7f800001
	s_xor_b64 s[4:5], exec, -1
; %bb.22647:
	s_or_b64 exec, exec, s[8:9]
	s_and_b64 s[4:5], s[4:5], exec
                                        ; implicit-def: $vgpr3
	s_or_saveexec_b64 s[6:7], s[6:7]
	v_mov_b32_e32 v4, s10
	s_xor_b64 exec, exec, s[6:7]
	s_cbranch_execnz .LBB2_22648
; %bb.58485:
	s_getpc_b64 s[14:15]
.Lpost_getpc32826:
	s_add_u32 s14, s14, (.LBB2_8310-.Lpost_getpc32826)&4294967295
	s_addc_u32 s15, s15, (.LBB2_8310-.Lpost_getpc32826)>>32
	s_setpc_b64 s[14:15]
.LBB2_22648:
	v_cmp_ne_u16_e32 vcc, 0, v3
	s_andn2_b64 s[4:5], s[4:5], exec
	s_and_b64 s[8:9], vcc, exec
	v_mov_b32_e32 v4, 0
	s_or_b64 s[4:5], s[4:5], s[8:9]
	s_or_b64 exec, exec, s[6:7]
	s_and_saveexec_b64 s[6:7], s[4:5]
	s_cbranch_execz .LBB2_32827
; %bb.58487:
	s_getpc_b64 s[14:15]
.Lpost_getpc32827:
	s_add_u32 s14, s14, (.LBB2_8311-.Lpost_getpc32827)&4294967295
	s_addc_u32 s15, s15, (.LBB2_8311-.Lpost_getpc32827)>>32
	s_setpc_b64 s[14:15]
.LBB2_32827:
	s_getpc_b64 s[14:15]
.Lpost_getpc19997:
	s_add_u32 s14, s14, (.LBB2_8312-.Lpost_getpc19997)&4294967295
	s_addc_u32 s15, s15, (.LBB2_8312-.Lpost_getpc19997)>>32
	s_setpc_b64 s[14:15]
.LBB2_22649:
	s_movk_i32 s4, 0x80
	v_cmp_eq_u16_sdwa s[12:13], v9, s4 src0_sel:BYTE_3 src1_sel:DWORD
	s_mov_b64 s[4:5], -1
                                        ; implicit-def: $sgpr10
	s_and_saveexec_b64 s[8:9], s[12:13]
; %bb.22650:
	s_mov_b32 s10, 0x7f800001
	s_xor_b64 s[4:5], exec, -1
; %bb.22651:
	s_or_b64 exec, exec, s[8:9]
	s_and_b64 s[4:5], s[4:5], exec
	s_or_saveexec_b64 s[6:7], s[6:7]
	v_mov_b32_e32 v2, s10
	s_xor_b64 exec, exec, s[6:7]
	s_cbranch_execnz .LBB2_22652
; %bb.58489:
	s_getpc_b64 s[14:15]
.Lpost_getpc32828:
	s_add_u32 s14, s14, (.LBB2_8314-.Lpost_getpc32828)&4294967295
	s_addc_u32 s15, s15, (.LBB2_8314-.Lpost_getpc32828)>>32
	s_setpc_b64 s[14:15]
.LBB2_22652:
	v_mov_b32_e32 v2, 0
	v_cmp_ne_u16_sdwa s[8:9], v9, v2 src0_sel:BYTE_3 src1_sel:DWORD
	s_andn2_b64 s[4:5], s[4:5], exec
	s_and_b64 s[8:9], s[8:9], exec
	s_or_b64 s[4:5], s[4:5], s[8:9]
	s_or_b64 exec, exec, s[6:7]
	s_and_saveexec_b64 s[6:7], s[4:5]
	s_cbranch_execz .LBB2_32829
; %bb.58491:
	s_getpc_b64 s[14:15]
.Lpost_getpc32829:
	s_add_u32 s14, s14, (.LBB2_8315-.Lpost_getpc32829)&4294967295
	s_addc_u32 s15, s15, (.LBB2_8315-.Lpost_getpc32829)>>32
	s_setpc_b64 s[14:15]
.LBB2_32829:
	s_getpc_b64 s[14:15]
.Lpost_getpc19998:
	s_add_u32 s14, s14, (.LBB2_8316-.Lpost_getpc19998)&4294967295
	s_addc_u32 s15, s15, (.LBB2_8316-.Lpost_getpc19998)>>32
	s_setpc_b64 s[14:15]
.LBB2_22653:
	s_movk_i32 s4, 0x80
	v_cmp_eq_u16_sdwa s[12:13], v5, s4 src0_sel:BYTE_3 src1_sel:DWORD
	s_mov_b64 s[4:5], -1
                                        ; implicit-def: $sgpr10
	s_and_saveexec_b64 s[8:9], s[12:13]
; %bb.22654:
	s_mov_b32 s10, 0x7f800001
	s_xor_b64 s[4:5], exec, -1
; %bb.22655:
	s_or_b64 exec, exec, s[8:9]
	s_and_b64 s[4:5], s[4:5], exec
	s_or_saveexec_b64 s[6:7], s[6:7]
	v_mov_b32_e32 v3, s10
	s_xor_b64 exec, exec, s[6:7]
	s_cbranch_execnz .LBB2_22656
; %bb.58493:
	s_getpc_b64 s[14:15]
.Lpost_getpc32830:
	s_add_u32 s14, s14, (.LBB2_8318-.Lpost_getpc32830)&4294967295
	s_addc_u32 s15, s15, (.LBB2_8318-.Lpost_getpc32830)>>32
	s_setpc_b64 s[14:15]
.LBB2_22656:
	v_mov_b32_e32 v3, 0
	v_cmp_ne_u16_sdwa s[8:9], v5, v3 src0_sel:BYTE_3 src1_sel:DWORD
	s_andn2_b64 s[4:5], s[4:5], exec
	s_and_b64 s[8:9], s[8:9], exec
	s_or_b64 s[4:5], s[4:5], s[8:9]
	s_or_b64 exec, exec, s[6:7]
	s_and_saveexec_b64 s[6:7], s[4:5]
	s_cbranch_execz .LBB2_32831
; %bb.58495:
	s_getpc_b64 s[14:15]
.Lpost_getpc32831:
	s_add_u32 s14, s14, (.LBB2_8319-.Lpost_getpc32831)&4294967295
	s_addc_u32 s15, s15, (.LBB2_8319-.Lpost_getpc32831)>>32
	s_setpc_b64 s[14:15]
.LBB2_32831:
	s_getpc_b64 s[14:15]
.Lpost_getpc19999:
	s_add_u32 s14, s14, (.LBB2_8320-.Lpost_getpc19999)&4294967295
	s_addc_u32 s15, s15, (.LBB2_8320-.Lpost_getpc19999)>>32
	s_setpc_b64 s[14:15]
.LBB2_22657:
	s_movk_i32 s4, 0x80
	v_cmp_eq_u16_sdwa s[12:13], v6, s4 src0_sel:BYTE_0 src1_sel:DWORD
	s_mov_b64 s[4:5], -1
                                        ; implicit-def: $sgpr10
	s_and_saveexec_b64 s[8:9], s[12:13]
; %bb.22658:
	s_mov_b32 s10, 0x7f800001
	s_xor_b64 s[4:5], exec, -1
; %bb.22659:
	s_or_b64 exec, exec, s[8:9]
	s_and_b64 s[4:5], s[4:5], exec
	s_or_saveexec_b64 s[6:7], s[6:7]
	v_mov_b32_e32 v12, s10
	s_xor_b64 exec, exec, s[6:7]
	s_cbranch_execnz .LBB2_22660
; %bb.58497:
	s_getpc_b64 s[14:15]
.Lpost_getpc32832:
	s_add_u32 s14, s14, (.LBB2_8322-.Lpost_getpc32832)&4294967295
	s_addc_u32 s15, s15, (.LBB2_8322-.Lpost_getpc32832)>>32
	s_setpc_b64 s[14:15]
.LBB2_22660:
	v_mov_b32_e32 v12, 0
	v_cmp_ne_u16_sdwa s[8:9], v6, v12 src0_sel:BYTE_0 src1_sel:DWORD
	s_andn2_b64 s[4:5], s[4:5], exec
	s_and_b64 s[8:9], s[8:9], exec
	s_or_b64 s[4:5], s[4:5], s[8:9]
	s_or_b64 exec, exec, s[6:7]
	s_and_saveexec_b64 s[6:7], s[4:5]
	s_cbranch_execz .LBB2_32833
; %bb.58499:
	s_getpc_b64 s[14:15]
.Lpost_getpc32833:
	s_add_u32 s14, s14, (.LBB2_8323-.Lpost_getpc32833)&4294967295
	s_addc_u32 s15, s15, (.LBB2_8323-.Lpost_getpc32833)>>32
	s_setpc_b64 s[14:15]
.LBB2_32833:
	s_getpc_b64 s[14:15]
.Lpost_getpc20000:
	s_add_u32 s14, s14, (.LBB2_8324-.Lpost_getpc20000)&4294967295
	s_addc_u32 s15, s15, (.LBB2_8324-.Lpost_getpc20000)>>32
	s_setpc_b64 s[14:15]
.LBB2_22661:
	s_movk_i32 s4, 0x80
	v_cmp_eq_u16_sdwa s[12:13], v2, s4 src0_sel:BYTE_0 src1_sel:DWORD
	s_mov_b64 s[4:5], -1
                                        ; implicit-def: $sgpr10
	s_and_saveexec_b64 s[8:9], s[12:13]
; %bb.22662:
	s_mov_b32 s10, 0x7f800001
	s_xor_b64 s[4:5], exec, -1
; %bb.22663:
	s_or_b64 exec, exec, s[8:9]
	s_and_b64 s[4:5], s[4:5], exec
	s_or_saveexec_b64 s[6:7], s[6:7]
	v_mov_b32_e32 v13, s10
	s_xor_b64 exec, exec, s[6:7]
	s_cbranch_execnz .LBB2_22664
; %bb.58501:
	s_getpc_b64 s[14:15]
.Lpost_getpc32834:
	s_add_u32 s14, s14, (.LBB2_8326-.Lpost_getpc32834)&4294967295
	s_addc_u32 s15, s15, (.LBB2_8326-.Lpost_getpc32834)>>32
	s_setpc_b64 s[14:15]
.LBB2_22664:
	v_mov_b32_e32 v13, 0
	v_cmp_ne_u16_sdwa s[8:9], v2, v13 src0_sel:BYTE_0 src1_sel:DWORD
	s_andn2_b64 s[4:5], s[4:5], exec
	s_and_b64 s[8:9], s[8:9], exec
	s_or_b64 s[4:5], s[4:5], s[8:9]
	s_or_b64 exec, exec, s[6:7]
	s_and_saveexec_b64 s[6:7], s[4:5]
	s_cbranch_execz .LBB2_32835
; %bb.58503:
	s_getpc_b64 s[14:15]
.Lpost_getpc32835:
	s_add_u32 s14, s14, (.LBB2_8327-.Lpost_getpc32835)&4294967295
	s_addc_u32 s15, s15, (.LBB2_8327-.Lpost_getpc32835)>>32
	s_setpc_b64 s[14:15]
.LBB2_32835:
	s_getpc_b64 s[14:15]
.Lpost_getpc20001:
	s_add_u32 s14, s14, (.LBB2_8328-.Lpost_getpc20001)&4294967295
	s_addc_u32 s15, s15, (.LBB2_8328-.Lpost_getpc20001)>>32
	s_setpc_b64 s[14:15]
.LBB2_22665:
	s_movk_i32 s4, 0x80
	v_cmp_eq_u16_sdwa s[12:13], v13, s4 src0_sel:BYTE_0 src1_sel:DWORD
	s_mov_b64 s[4:5], -1
                                        ; implicit-def: $sgpr10
	s_and_saveexec_b64 s[8:9], s[12:13]
; %bb.22666:
	s_mov_b32 s10, 0x7f800001
	s_xor_b64 s[4:5], exec, -1
; %bb.22667:
	s_or_b64 exec, exec, s[8:9]
	s_and_b64 s[4:5], s[4:5], exec
	s_or_saveexec_b64 s[6:7], s[6:7]
	v_mov_b32_e32 v12, s10
	s_xor_b64 exec, exec, s[6:7]
	s_cbranch_execnz .LBB2_22668
; %bb.58505:
	s_getpc_b64 s[14:15]
.Lpost_getpc32836:
	s_add_u32 s14, s14, (.LBB2_8330-.Lpost_getpc32836)&4294967295
	s_addc_u32 s15, s15, (.LBB2_8330-.Lpost_getpc32836)>>32
	s_setpc_b64 s[14:15]
.LBB2_22668:
	v_mov_b32_e32 v12, 0
	v_cmp_ne_u16_sdwa s[8:9], v13, v12 src0_sel:BYTE_0 src1_sel:DWORD
	s_andn2_b64 s[4:5], s[4:5], exec
	s_and_b64 s[8:9], s[8:9], exec
	s_or_b64 s[4:5], s[4:5], s[8:9]
	s_or_b64 exec, exec, s[6:7]
	s_and_saveexec_b64 s[6:7], s[4:5]
	s_cbranch_execz .LBB2_32837
; %bb.58507:
	s_getpc_b64 s[14:15]
.Lpost_getpc32837:
	s_add_u32 s14, s14, (.LBB2_8331-.Lpost_getpc32837)&4294967295
	s_addc_u32 s15, s15, (.LBB2_8331-.Lpost_getpc32837)>>32
	s_setpc_b64 s[14:15]
.LBB2_32837:
	s_getpc_b64 s[14:15]
.Lpost_getpc20002:
	s_add_u32 s14, s14, (.LBB2_8332-.Lpost_getpc20002)&4294967295
	s_addc_u32 s15, s15, (.LBB2_8332-.Lpost_getpc20002)>>32
	s_setpc_b64 s[14:15]
.LBB2_22669:
	s_movk_i32 s4, 0x80
	v_cmp_eq_u16_sdwa s[12:13], v13, s4 src0_sel:BYTE_0 src1_sel:DWORD
	s_mov_b64 s[4:5], -1
                                        ; implicit-def: $sgpr10
	s_and_saveexec_b64 s[8:9], s[12:13]
; %bb.22670:
	s_mov_b32 s10, 0x7f800001
	s_xor_b64 s[4:5], exec, -1
; %bb.22671:
	s_or_b64 exec, exec, s[8:9]
	s_and_b64 s[4:5], s[4:5], exec
	s_or_saveexec_b64 s[6:7], s[6:7]
	v_mov_b32_e32 v14, s10
	s_xor_b64 exec, exec, s[6:7]
	s_cbranch_execnz .LBB2_22672
; %bb.58509:
	s_getpc_b64 s[14:15]
.Lpost_getpc32838:
	s_add_u32 s14, s14, (.LBB2_8334-.Lpost_getpc32838)&4294967295
	s_addc_u32 s15, s15, (.LBB2_8334-.Lpost_getpc32838)>>32
	s_setpc_b64 s[14:15]
.LBB2_22672:
	v_mov_b32_e32 v14, 0
	v_cmp_ne_u16_sdwa s[8:9], v13, v14 src0_sel:BYTE_0 src1_sel:DWORD
	s_andn2_b64 s[4:5], s[4:5], exec
	s_and_b64 s[8:9], s[8:9], exec
	s_or_b64 s[4:5], s[4:5], s[8:9]
	s_or_b64 exec, exec, s[6:7]
	s_and_saveexec_b64 s[6:7], s[4:5]
	s_cbranch_execz .LBB2_32839
; %bb.58511:
	s_getpc_b64 s[14:15]
.Lpost_getpc32839:
	s_add_u32 s14, s14, (.LBB2_8335-.Lpost_getpc32839)&4294967295
	s_addc_u32 s15, s15, (.LBB2_8335-.Lpost_getpc32839)>>32
	s_setpc_b64 s[14:15]
.LBB2_32839:
	s_getpc_b64 s[14:15]
.Lpost_getpc20003:
	s_add_u32 s14, s14, (.LBB2_8336-.Lpost_getpc20003)&4294967295
	s_addc_u32 s15, s15, (.LBB2_8336-.Lpost_getpc20003)>>32
	s_setpc_b64 s[14:15]
.LBB2_22673:
	s_movk_i32 s4, 0x80
	v_cmp_eq_u16_e32 vcc, s4, v13
	s_mov_b64 s[4:5], -1
                                        ; implicit-def: $sgpr10
	s_and_saveexec_b64 s[8:9], vcc
; %bb.22674:
	s_mov_b32 s10, 0x7f800001
	s_xor_b64 s[4:5], exec, -1
; %bb.22675:
	s_or_b64 exec, exec, s[8:9]
	s_and_b64 s[4:5], s[4:5], exec
                                        ; implicit-def: $vgpr13
	s_or_saveexec_b64 s[6:7], s[6:7]
	v_mov_b32_e32 v12, s10
	s_xor_b64 exec, exec, s[6:7]
	s_cbranch_execnz .LBB2_22676
; %bb.58513:
	s_getpc_b64 s[14:15]
.Lpost_getpc32840:
	s_add_u32 s14, s14, (.LBB2_8338-.Lpost_getpc32840)&4294967295
	s_addc_u32 s15, s15, (.LBB2_8338-.Lpost_getpc32840)>>32
	s_setpc_b64 s[14:15]
.LBB2_22676:
	v_cmp_ne_u16_e32 vcc, 0, v13
	s_andn2_b64 s[4:5], s[4:5], exec
	s_and_b64 s[8:9], vcc, exec
	v_mov_b32_e32 v12, 0
	s_or_b64 s[4:5], s[4:5], s[8:9]
	s_or_b64 exec, exec, s[6:7]
	s_and_saveexec_b64 s[6:7], s[4:5]
	s_cbranch_execz .LBB2_32841
; %bb.58515:
	s_getpc_b64 s[14:15]
.Lpost_getpc32841:
	s_add_u32 s14, s14, (.LBB2_8339-.Lpost_getpc32841)&4294967295
	s_addc_u32 s15, s15, (.LBB2_8339-.Lpost_getpc32841)>>32
	s_setpc_b64 s[14:15]
.LBB2_32841:
	s_getpc_b64 s[14:15]
.Lpost_getpc20004:
	s_add_u32 s14, s14, (.LBB2_8340-.Lpost_getpc20004)&4294967295
	s_addc_u32 s15, s15, (.LBB2_8340-.Lpost_getpc20004)>>32
	s_setpc_b64 s[14:15]
.LBB2_22677:
	s_movk_i32 s4, 0x80
	v_cmp_eq_u16_e32 vcc, s4, v13
	s_mov_b64 s[4:5], -1
                                        ; implicit-def: $sgpr10
	s_and_saveexec_b64 s[8:9], vcc
; %bb.22678:
	s_mov_b32 s10, 0x7f800001
	s_xor_b64 s[4:5], exec, -1
; %bb.22679:
	s_or_b64 exec, exec, s[8:9]
	s_and_b64 s[4:5], s[4:5], exec
                                        ; implicit-def: $vgpr13
	s_or_saveexec_b64 s[6:7], s[6:7]
	v_mov_b32_e32 v14, s10
	s_xor_b64 exec, exec, s[6:7]
	s_cbranch_execnz .LBB2_22680
; %bb.58517:
	s_getpc_b64 s[14:15]
.Lpost_getpc32842:
	s_add_u32 s14, s14, (.LBB2_8342-.Lpost_getpc32842)&4294967295
	s_addc_u32 s15, s15, (.LBB2_8342-.Lpost_getpc32842)>>32
	s_setpc_b64 s[14:15]
.LBB2_22680:
	v_cmp_ne_u16_e32 vcc, 0, v13
	s_andn2_b64 s[4:5], s[4:5], exec
	s_and_b64 s[8:9], vcc, exec
	v_mov_b32_e32 v14, 0
	s_or_b64 s[4:5], s[4:5], s[8:9]
	s_or_b64 exec, exec, s[6:7]
	s_and_saveexec_b64 s[6:7], s[4:5]
	s_cbranch_execz .LBB2_32843
; %bb.58519:
	s_getpc_b64 s[14:15]
.Lpost_getpc32843:
	s_add_u32 s14, s14, (.LBB2_8343-.Lpost_getpc32843)&4294967295
	s_addc_u32 s15, s15, (.LBB2_8343-.Lpost_getpc32843)>>32
	s_setpc_b64 s[14:15]
.LBB2_32843:
	s_getpc_b64 s[14:15]
.Lpost_getpc20005:
	s_add_u32 s14, s14, (.LBB2_8344-.Lpost_getpc20005)&4294967295
	s_addc_u32 s15, s15, (.LBB2_8344-.Lpost_getpc20005)>>32
	s_setpc_b64 s[14:15]
.LBB2_22681:
	s_movk_i32 s4, 0x80
	v_cmp_eq_u16_sdwa s[12:13], v6, s4 src0_sel:BYTE_3 src1_sel:DWORD
	s_mov_b64 s[4:5], -1
                                        ; implicit-def: $sgpr10
	s_and_saveexec_b64 s[8:9], s[12:13]
; %bb.22682:
	s_mov_b32 s10, 0x7f800001
	s_xor_b64 s[4:5], exec, -1
; %bb.22683:
	s_or_b64 exec, exec, s[8:9]
	s_and_b64 s[4:5], s[4:5], exec
	s_or_saveexec_b64 s[6:7], s[6:7]
	v_mov_b32_e32 v12, s10
	s_xor_b64 exec, exec, s[6:7]
	s_cbranch_execnz .LBB2_22684
; %bb.58521:
	s_getpc_b64 s[14:15]
.Lpost_getpc32844:
	s_add_u32 s14, s14, (.LBB2_8346-.Lpost_getpc32844)&4294967295
	s_addc_u32 s15, s15, (.LBB2_8346-.Lpost_getpc32844)>>32
	s_setpc_b64 s[14:15]
.LBB2_22684:
	v_mov_b32_e32 v12, 0
	v_cmp_ne_u16_sdwa s[8:9], v6, v12 src0_sel:BYTE_3 src1_sel:DWORD
	s_andn2_b64 s[4:5], s[4:5], exec
	s_and_b64 s[8:9], s[8:9], exec
	s_or_b64 s[4:5], s[4:5], s[8:9]
	s_or_b64 exec, exec, s[6:7]
	s_and_saveexec_b64 s[6:7], s[4:5]
	s_cbranch_execz .LBB2_32845
; %bb.58523:
	s_getpc_b64 s[14:15]
.Lpost_getpc32845:
	s_add_u32 s14, s14, (.LBB2_8347-.Lpost_getpc32845)&4294967295
	s_addc_u32 s15, s15, (.LBB2_8347-.Lpost_getpc32845)>>32
	s_setpc_b64 s[14:15]
.LBB2_32845:
	s_getpc_b64 s[14:15]
.Lpost_getpc20006:
	s_add_u32 s14, s14, (.LBB2_8348-.Lpost_getpc20006)&4294967295
	s_addc_u32 s15, s15, (.LBB2_8348-.Lpost_getpc20006)>>32
	s_setpc_b64 s[14:15]
.LBB2_22685:
	s_movk_i32 s4, 0x80
	v_cmp_eq_u16_sdwa s[12:13], v2, s4 src0_sel:BYTE_3 src1_sel:DWORD
	s_mov_b64 s[4:5], -1
                                        ; implicit-def: $sgpr10
	s_and_saveexec_b64 s[8:9], s[12:13]
; %bb.22686:
	s_mov_b32 s10, 0x7f800001
	s_xor_b64 s[4:5], exec, -1
; %bb.22687:
	s_or_b64 exec, exec, s[8:9]
	s_and_b64 s[4:5], s[4:5], exec
	s_or_saveexec_b64 s[6:7], s[6:7]
	v_mov_b32_e32 v6, s10
	s_xor_b64 exec, exec, s[6:7]
	s_cbranch_execnz .LBB2_22688
; %bb.58525:
	s_getpc_b64 s[14:15]
.Lpost_getpc32846:
	s_add_u32 s14, s14, (.LBB2_8350-.Lpost_getpc32846)&4294967295
	s_addc_u32 s15, s15, (.LBB2_8350-.Lpost_getpc32846)>>32
	s_setpc_b64 s[14:15]
.LBB2_22688:
	v_mov_b32_e32 v6, 0
	v_cmp_ne_u16_sdwa s[8:9], v2, v6 src0_sel:BYTE_3 src1_sel:DWORD
	s_andn2_b64 s[4:5], s[4:5], exec
	s_and_b64 s[8:9], s[8:9], exec
	s_or_b64 s[4:5], s[4:5], s[8:9]
	s_or_b64 exec, exec, s[6:7]
	s_and_saveexec_b64 s[6:7], s[4:5]
	s_cbranch_execz .LBB2_32847
; %bb.58527:
	s_getpc_b64 s[14:15]
.Lpost_getpc32847:
	s_add_u32 s14, s14, (.LBB2_8351-.Lpost_getpc32847)&4294967295
	s_addc_u32 s15, s15, (.LBB2_8351-.Lpost_getpc32847)>>32
	s_setpc_b64 s[14:15]
.LBB2_32847:
	s_getpc_b64 s[14:15]
.Lpost_getpc20007:
	s_add_u32 s14, s14, (.LBB2_8352-.Lpost_getpc20007)&4294967295
	s_addc_u32 s15, s15, (.LBB2_8352-.Lpost_getpc20007)>>32
	s_setpc_b64 s[14:15]
.LBB2_22689:
	s_movk_i32 s4, 0x80
	v_cmp_eq_u16_sdwa s[12:13], v7, s4 src0_sel:BYTE_0 src1_sel:DWORD
	s_mov_b64 s[4:5], -1
                                        ; implicit-def: $sgpr10
	s_and_saveexec_b64 s[8:9], s[12:13]
; %bb.22690:
	s_mov_b32 s10, 0x7f800001
	s_xor_b64 s[4:5], exec, -1
; %bb.22691:
	s_or_b64 exec, exec, s[8:9]
	s_and_b64 s[4:5], s[4:5], exec
	s_or_saveexec_b64 s[6:7], s[6:7]
	v_mov_b32_e32 v2, s10
	s_xor_b64 exec, exec, s[6:7]
	s_cbranch_execnz .LBB2_22692
; %bb.58529:
	s_getpc_b64 s[14:15]
.Lpost_getpc32848:
	s_add_u32 s14, s14, (.LBB2_8354-.Lpost_getpc32848)&4294967295
	s_addc_u32 s15, s15, (.LBB2_8354-.Lpost_getpc32848)>>32
	s_setpc_b64 s[14:15]
.LBB2_22692:
	v_mov_b32_e32 v2, 0
	v_cmp_ne_u16_sdwa s[8:9], v7, v2 src0_sel:BYTE_0 src1_sel:DWORD
	s_andn2_b64 s[4:5], s[4:5], exec
	s_and_b64 s[8:9], s[8:9], exec
	s_or_b64 s[4:5], s[4:5], s[8:9]
	s_or_b64 exec, exec, s[6:7]
	s_and_saveexec_b64 s[6:7], s[4:5]
	s_cbranch_execz .LBB2_32849
; %bb.58531:
	s_getpc_b64 s[14:15]
.Lpost_getpc32849:
	s_add_u32 s14, s14, (.LBB2_8355-.Lpost_getpc32849)&4294967295
	s_addc_u32 s15, s15, (.LBB2_8355-.Lpost_getpc32849)>>32
	s_setpc_b64 s[14:15]
.LBB2_32849:
	s_getpc_b64 s[14:15]
.Lpost_getpc20008:
	s_add_u32 s14, s14, (.LBB2_8356-.Lpost_getpc20008)&4294967295
	s_addc_u32 s15, s15, (.LBB2_8356-.Lpost_getpc20008)>>32
	s_setpc_b64 s[14:15]
.LBB2_22693:
	s_movk_i32 s4, 0x80
	v_cmp_eq_u16_sdwa s[12:13], v3, s4 src0_sel:BYTE_0 src1_sel:DWORD
	s_mov_b64 s[4:5], -1
                                        ; implicit-def: $sgpr10
	s_and_saveexec_b64 s[8:9], s[12:13]
; %bb.22694:
	s_mov_b32 s10, 0x7f800001
	s_xor_b64 s[4:5], exec, -1
; %bb.22695:
	s_or_b64 exec, exec, s[8:9]
	s_and_b64 s[4:5], s[4:5], exec
	s_or_saveexec_b64 s[6:7], s[6:7]
	v_mov_b32_e32 v6, s10
	s_xor_b64 exec, exec, s[6:7]
	s_cbranch_execnz .LBB2_22696
; %bb.58533:
	s_getpc_b64 s[14:15]
.Lpost_getpc32850:
	s_add_u32 s14, s14, (.LBB2_8358-.Lpost_getpc32850)&4294967295
	s_addc_u32 s15, s15, (.LBB2_8358-.Lpost_getpc32850)>>32
	s_setpc_b64 s[14:15]
.LBB2_22696:
	v_mov_b32_e32 v6, 0
	v_cmp_ne_u16_sdwa s[8:9], v3, v6 src0_sel:BYTE_0 src1_sel:DWORD
	s_andn2_b64 s[4:5], s[4:5], exec
	s_and_b64 s[8:9], s[8:9], exec
	s_or_b64 s[4:5], s[4:5], s[8:9]
	s_or_b64 exec, exec, s[6:7]
	s_and_saveexec_b64 s[6:7], s[4:5]
	s_cbranch_execz .LBB2_32851
; %bb.58535:
	s_getpc_b64 s[14:15]
.Lpost_getpc32851:
	s_add_u32 s14, s14, (.LBB2_8359-.Lpost_getpc32851)&4294967295
	s_addc_u32 s15, s15, (.LBB2_8359-.Lpost_getpc32851)>>32
	s_setpc_b64 s[14:15]
.LBB2_32851:
	s_getpc_b64 s[14:15]
.Lpost_getpc20009:
	s_add_u32 s14, s14, (.LBB2_8360-.Lpost_getpc20009)&4294967295
	s_addc_u32 s15, s15, (.LBB2_8360-.Lpost_getpc20009)>>32
	s_setpc_b64 s[14:15]
.LBB2_22697:
	s_movk_i32 s4, 0x80
	v_cmp_eq_u16_sdwa s[12:13], v6, s4 src0_sel:BYTE_0 src1_sel:DWORD
	s_mov_b64 s[4:5], -1
                                        ; implicit-def: $sgpr10
	s_and_saveexec_b64 s[8:9], s[12:13]
; %bb.22698:
	s_mov_b32 s10, 0x7f800001
	s_xor_b64 s[4:5], exec, -1
; %bb.22699:
	s_or_b64 exec, exec, s[8:9]
	s_and_b64 s[4:5], s[4:5], exec
	s_or_saveexec_b64 s[6:7], s[6:7]
	v_mov_b32_e32 v2, s10
	s_xor_b64 exec, exec, s[6:7]
	s_cbranch_execnz .LBB2_22700
; %bb.58537:
	s_getpc_b64 s[14:15]
.Lpost_getpc32852:
	s_add_u32 s14, s14, (.LBB2_8362-.Lpost_getpc32852)&4294967295
	s_addc_u32 s15, s15, (.LBB2_8362-.Lpost_getpc32852)>>32
	s_setpc_b64 s[14:15]
.LBB2_22700:
	v_mov_b32_e32 v2, 0
	v_cmp_ne_u16_sdwa s[8:9], v6, v2 src0_sel:BYTE_0 src1_sel:DWORD
	s_andn2_b64 s[4:5], s[4:5], exec
	s_and_b64 s[8:9], s[8:9], exec
	s_or_b64 s[4:5], s[4:5], s[8:9]
	s_or_b64 exec, exec, s[6:7]
	s_and_saveexec_b64 s[6:7], s[4:5]
	s_cbranch_execz .LBB2_32853
; %bb.58539:
	s_getpc_b64 s[14:15]
.Lpost_getpc32853:
	s_add_u32 s14, s14, (.LBB2_8363-.Lpost_getpc32853)&4294967295
	s_addc_u32 s15, s15, (.LBB2_8363-.Lpost_getpc32853)>>32
	s_setpc_b64 s[14:15]
.LBB2_32853:
	s_getpc_b64 s[14:15]
.Lpost_getpc20010:
	s_add_u32 s14, s14, (.LBB2_8364-.Lpost_getpc20010)&4294967295
	s_addc_u32 s15, s15, (.LBB2_8364-.Lpost_getpc20010)>>32
	s_setpc_b64 s[14:15]
.LBB2_22701:
	s_movk_i32 s4, 0x80
	v_cmp_eq_u16_sdwa s[12:13], v6, s4 src0_sel:BYTE_0 src1_sel:DWORD
	s_mov_b64 s[4:5], -1
                                        ; implicit-def: $sgpr10
	s_and_saveexec_b64 s[8:9], s[12:13]
; %bb.22702:
	s_mov_b32 s10, 0x7f800001
	s_xor_b64 s[4:5], exec, -1
; %bb.22703:
	s_or_b64 exec, exec, s[8:9]
	s_and_b64 s[4:5], s[4:5], exec
	s_or_saveexec_b64 s[6:7], s[6:7]
	v_mov_b32_e32 v12, s10
	s_xor_b64 exec, exec, s[6:7]
	s_cbranch_execnz .LBB2_22704
; %bb.58541:
	s_getpc_b64 s[14:15]
.Lpost_getpc32854:
	s_add_u32 s14, s14, (.LBB2_8366-.Lpost_getpc32854)&4294967295
	s_addc_u32 s15, s15, (.LBB2_8366-.Lpost_getpc32854)>>32
	s_setpc_b64 s[14:15]
.LBB2_22704:
	v_mov_b32_e32 v12, 0
	v_cmp_ne_u16_sdwa s[8:9], v6, v12 src0_sel:BYTE_0 src1_sel:DWORD
	s_andn2_b64 s[4:5], s[4:5], exec
	s_and_b64 s[8:9], s[8:9], exec
	s_or_b64 s[4:5], s[4:5], s[8:9]
	s_or_b64 exec, exec, s[6:7]
	s_and_saveexec_b64 s[6:7], s[4:5]
	s_cbranch_execz .LBB2_32855
; %bb.58543:
	s_getpc_b64 s[14:15]
.Lpost_getpc32855:
	s_add_u32 s14, s14, (.LBB2_8367-.Lpost_getpc32855)&4294967295
	s_addc_u32 s15, s15, (.LBB2_8367-.Lpost_getpc32855)>>32
	s_setpc_b64 s[14:15]
.LBB2_32855:
	s_getpc_b64 s[14:15]
.Lpost_getpc20011:
	s_add_u32 s14, s14, (.LBB2_8368-.Lpost_getpc20011)&4294967295
	s_addc_u32 s15, s15, (.LBB2_8368-.Lpost_getpc20011)>>32
	s_setpc_b64 s[14:15]
.LBB2_22705:
	s_movk_i32 s4, 0x80
	v_cmp_eq_u16_e32 vcc, s4, v6
	s_mov_b64 s[4:5], -1
                                        ; implicit-def: $sgpr10
	s_and_saveexec_b64 s[8:9], vcc
; %bb.22706:
	s_mov_b32 s10, 0x7f800001
	s_xor_b64 s[4:5], exec, -1
; %bb.22707:
	s_or_b64 exec, exec, s[8:9]
	s_and_b64 s[4:5], s[4:5], exec
                                        ; implicit-def: $vgpr6
	s_or_saveexec_b64 s[6:7], s[6:7]
	v_mov_b32_e32 v2, s10
	s_xor_b64 exec, exec, s[6:7]
	s_cbranch_execnz .LBB2_22708
; %bb.58545:
	s_getpc_b64 s[14:15]
.Lpost_getpc32856:
	s_add_u32 s14, s14, (.LBB2_8370-.Lpost_getpc32856)&4294967295
	s_addc_u32 s15, s15, (.LBB2_8370-.Lpost_getpc32856)>>32
	s_setpc_b64 s[14:15]
.LBB2_22708:
	v_cmp_ne_u16_e32 vcc, 0, v6
	s_andn2_b64 s[4:5], s[4:5], exec
	s_and_b64 s[8:9], vcc, exec
	v_mov_b32_e32 v2, 0
	s_or_b64 s[4:5], s[4:5], s[8:9]
	s_or_b64 exec, exec, s[6:7]
	s_and_saveexec_b64 s[6:7], s[4:5]
	s_cbranch_execz .LBB2_32857
; %bb.58547:
	s_getpc_b64 s[14:15]
.Lpost_getpc32857:
	s_add_u32 s14, s14, (.LBB2_8371-.Lpost_getpc32857)&4294967295
	s_addc_u32 s15, s15, (.LBB2_8371-.Lpost_getpc32857)>>32
	s_setpc_b64 s[14:15]
.LBB2_32857:
	s_getpc_b64 s[14:15]
.Lpost_getpc20012:
	s_add_u32 s14, s14, (.LBB2_8372-.Lpost_getpc20012)&4294967295
	s_addc_u32 s15, s15, (.LBB2_8372-.Lpost_getpc20012)>>32
	s_setpc_b64 s[14:15]
.LBB2_22709:
	s_movk_i32 s4, 0x80
	v_cmp_eq_u16_e32 vcc, s4, v6
	s_mov_b64 s[4:5], -1
                                        ; implicit-def: $sgpr10
	s_and_saveexec_b64 s[8:9], vcc
; %bb.22710:
	s_mov_b32 s10, 0x7f800001
	s_xor_b64 s[4:5], exec, -1
; %bb.22711:
	s_or_b64 exec, exec, s[8:9]
	s_and_b64 s[4:5], s[4:5], exec
                                        ; implicit-def: $vgpr6
	s_or_saveexec_b64 s[6:7], s[6:7]
	v_mov_b32_e32 v12, s10
	s_xor_b64 exec, exec, s[6:7]
	s_cbranch_execnz .LBB2_22712
; %bb.58549:
	s_getpc_b64 s[14:15]
.Lpost_getpc32858:
	s_add_u32 s14, s14, (.LBB2_8374-.Lpost_getpc32858)&4294967295
	s_addc_u32 s15, s15, (.LBB2_8374-.Lpost_getpc32858)>>32
	s_setpc_b64 s[14:15]
.LBB2_22712:
	v_cmp_ne_u16_e32 vcc, 0, v6
	s_andn2_b64 s[4:5], s[4:5], exec
	s_and_b64 s[8:9], vcc, exec
	v_mov_b32_e32 v12, 0
	s_or_b64 s[4:5], s[4:5], s[8:9]
	s_or_b64 exec, exec, s[6:7]
	s_and_saveexec_b64 s[6:7], s[4:5]
	s_cbranch_execz .LBB2_32859
; %bb.58551:
	s_getpc_b64 s[14:15]
.Lpost_getpc32859:
	s_add_u32 s14, s14, (.LBB2_8375-.Lpost_getpc32859)&4294967295
	s_addc_u32 s15, s15, (.LBB2_8375-.Lpost_getpc32859)>>32
	s_setpc_b64 s[14:15]
.LBB2_32859:
	s_getpc_b64 s[14:15]
.Lpost_getpc20013:
	s_add_u32 s14, s14, (.LBB2_8376-.Lpost_getpc20013)&4294967295
	s_addc_u32 s15, s15, (.LBB2_8376-.Lpost_getpc20013)>>32
	s_setpc_b64 s[14:15]
.LBB2_22713:
	s_movk_i32 s4, 0x80
	v_cmp_eq_u16_sdwa s[12:13], v7, s4 src0_sel:BYTE_3 src1_sel:DWORD
	s_mov_b64 s[4:5], -1
                                        ; implicit-def: $sgpr10
	s_and_saveexec_b64 s[8:9], s[12:13]
; %bb.22714:
	s_mov_b32 s10, 0x7f800001
	s_xor_b64 s[4:5], exec, -1
; %bb.22715:
	s_or_b64 exec, exec, s[8:9]
	s_and_b64 s[4:5], s[4:5], exec
	s_or_saveexec_b64 s[6:7], s[6:7]
	v_mov_b32_e32 v2, s10
	s_xor_b64 exec, exec, s[6:7]
	s_cbranch_execnz .LBB2_22716
; %bb.58553:
	s_getpc_b64 s[14:15]
.Lpost_getpc32860:
	s_add_u32 s14, s14, (.LBB2_8378-.Lpost_getpc32860)&4294967295
	s_addc_u32 s15, s15, (.LBB2_8378-.Lpost_getpc32860)>>32
	s_setpc_b64 s[14:15]
.LBB2_22716:
	v_mov_b32_e32 v2, 0
	v_cmp_ne_u16_sdwa s[8:9], v7, v2 src0_sel:BYTE_3 src1_sel:DWORD
	s_andn2_b64 s[4:5], s[4:5], exec
	s_and_b64 s[8:9], s[8:9], exec
	s_or_b64 s[4:5], s[4:5], s[8:9]
	s_or_b64 exec, exec, s[6:7]
	s_and_saveexec_b64 s[6:7], s[4:5]
	s_cbranch_execz .LBB2_32861
; %bb.58555:
	s_getpc_b64 s[14:15]
.Lpost_getpc32861:
	s_add_u32 s14, s14, (.LBB2_8379-.Lpost_getpc32861)&4294967295
	s_addc_u32 s15, s15, (.LBB2_8379-.Lpost_getpc32861)>>32
	s_setpc_b64 s[14:15]
.LBB2_32861:
	s_getpc_b64 s[14:15]
.Lpost_getpc20014:
	s_add_u32 s14, s14, (.LBB2_8380-.Lpost_getpc20014)&4294967295
	s_addc_u32 s15, s15, (.LBB2_8380-.Lpost_getpc20014)>>32
	s_setpc_b64 s[14:15]
.LBB2_22717:
	s_movk_i32 s4, 0x80
	v_cmp_eq_u16_sdwa s[12:13], v3, s4 src0_sel:BYTE_3 src1_sel:DWORD
	s_mov_b64 s[4:5], -1
                                        ; implicit-def: $sgpr10
	s_and_saveexec_b64 s[8:9], s[12:13]
; %bb.22718:
	s_mov_b32 s10, 0x7f800001
	s_xor_b64 s[4:5], exec, -1
; %bb.22719:
	s_or_b64 exec, exec, s[8:9]
	s_and_b64 s[4:5], s[4:5], exec
	s_or_saveexec_b64 s[6:7], s[6:7]
	v_mov_b32_e32 v6, s10
	s_xor_b64 exec, exec, s[6:7]
	s_cbranch_execnz .LBB2_22720
; %bb.58557:
	s_getpc_b64 s[14:15]
.Lpost_getpc32862:
	s_add_u32 s14, s14, (.LBB2_8382-.Lpost_getpc32862)&4294967295
	s_addc_u32 s15, s15, (.LBB2_8382-.Lpost_getpc32862)>>32
	s_setpc_b64 s[14:15]
.LBB2_22720:
	v_mov_b32_e32 v6, 0
	v_cmp_ne_u16_sdwa s[8:9], v3, v6 src0_sel:BYTE_3 src1_sel:DWORD
	s_andn2_b64 s[4:5], s[4:5], exec
	s_and_b64 s[8:9], s[8:9], exec
	s_or_b64 s[4:5], s[4:5], s[8:9]
	s_or_b64 exec, exec, s[6:7]
	s_and_saveexec_b64 s[6:7], s[4:5]
	s_cbranch_execz .LBB2_32863
; %bb.58559:
	s_getpc_b64 s[14:15]
.Lpost_getpc32863:
	s_add_u32 s14, s14, (.LBB2_8383-.Lpost_getpc32863)&4294967295
	s_addc_u32 s15, s15, (.LBB2_8383-.Lpost_getpc32863)>>32
	s_setpc_b64 s[14:15]
.LBB2_32863:
	s_getpc_b64 s[14:15]
.Lpost_getpc20015:
	s_add_u32 s14, s14, (.LBB2_8384-.Lpost_getpc20015)&4294967295
	s_addc_u32 s15, s15, (.LBB2_8384-.Lpost_getpc20015)>>32
	s_setpc_b64 s[14:15]
.LBB2_22721:
	s_movk_i32 s4, 0x80
	v_cmp_eq_u16_sdwa s[12:13], v8, s4 src0_sel:BYTE_0 src1_sel:DWORD
	s_mov_b64 s[4:5], -1
                                        ; implicit-def: $sgpr10
	s_and_saveexec_b64 s[8:9], s[12:13]
; %bb.22722:
	s_mov_b32 s10, 0x7f800001
	s_xor_b64 s[4:5], exec, -1
; %bb.22723:
	s_or_b64 exec, exec, s[8:9]
	s_and_b64 s[4:5], s[4:5], exec
	s_or_saveexec_b64 s[6:7], s[6:7]
	v_mov_b32_e32 v2, s10
	s_xor_b64 exec, exec, s[6:7]
	s_cbranch_execnz .LBB2_22724
; %bb.58561:
	s_getpc_b64 s[14:15]
.Lpost_getpc32864:
	s_add_u32 s14, s14, (.LBB2_8386-.Lpost_getpc32864)&4294967295
	s_addc_u32 s15, s15, (.LBB2_8386-.Lpost_getpc32864)>>32
	s_setpc_b64 s[14:15]
.LBB2_22724:
	v_mov_b32_e32 v2, 0
	v_cmp_ne_u16_sdwa s[8:9], v8, v2 src0_sel:BYTE_0 src1_sel:DWORD
	s_andn2_b64 s[4:5], s[4:5], exec
	s_and_b64 s[8:9], s[8:9], exec
	s_or_b64 s[4:5], s[4:5], s[8:9]
	s_or_b64 exec, exec, s[6:7]
	s_and_saveexec_b64 s[6:7], s[4:5]
	s_cbranch_execz .LBB2_32865
; %bb.58563:
	s_getpc_b64 s[14:15]
.Lpost_getpc32865:
	s_add_u32 s14, s14, (.LBB2_8387-.Lpost_getpc32865)&4294967295
	s_addc_u32 s15, s15, (.LBB2_8387-.Lpost_getpc32865)>>32
	s_setpc_b64 s[14:15]
.LBB2_32865:
	s_getpc_b64 s[14:15]
.Lpost_getpc20016:
	s_add_u32 s14, s14, (.LBB2_8388-.Lpost_getpc20016)&4294967295
	s_addc_u32 s15, s15, (.LBB2_8388-.Lpost_getpc20016)>>32
	s_setpc_b64 s[14:15]
.LBB2_22725:
	s_movk_i32 s4, 0x80
	v_cmp_eq_u16_sdwa s[12:13], v4, s4 src0_sel:BYTE_0 src1_sel:DWORD
	s_mov_b64 s[4:5], -1
                                        ; implicit-def: $sgpr10
	s_and_saveexec_b64 s[8:9], s[12:13]
; %bb.22726:
	s_mov_b32 s10, 0x7f800001
	s_xor_b64 s[4:5], exec, -1
; %bb.22727:
	s_or_b64 exec, exec, s[8:9]
	s_and_b64 s[4:5], s[4:5], exec
	s_or_saveexec_b64 s[6:7], s[6:7]
	v_mov_b32_e32 v3, s10
	s_xor_b64 exec, exec, s[6:7]
	s_cbranch_execnz .LBB2_22728
; %bb.58565:
	s_getpc_b64 s[14:15]
.Lpost_getpc32866:
	s_add_u32 s14, s14, (.LBB2_8390-.Lpost_getpc32866)&4294967295
	s_addc_u32 s15, s15, (.LBB2_8390-.Lpost_getpc32866)>>32
	s_setpc_b64 s[14:15]
.LBB2_22728:
	v_mov_b32_e32 v3, 0
	v_cmp_ne_u16_sdwa s[8:9], v4, v3 src0_sel:BYTE_0 src1_sel:DWORD
	s_andn2_b64 s[4:5], s[4:5], exec
	s_and_b64 s[8:9], s[8:9], exec
	s_or_b64 s[4:5], s[4:5], s[8:9]
	s_or_b64 exec, exec, s[6:7]
	s_and_saveexec_b64 s[6:7], s[4:5]
	s_cbranch_execz .LBB2_32867
; %bb.58567:
	s_getpc_b64 s[14:15]
.Lpost_getpc32867:
	s_add_u32 s14, s14, (.LBB2_8391-.Lpost_getpc32867)&4294967295
	s_addc_u32 s15, s15, (.LBB2_8391-.Lpost_getpc32867)>>32
	s_setpc_b64 s[14:15]
.LBB2_32867:
	s_getpc_b64 s[14:15]
.Lpost_getpc20017:
	s_add_u32 s14, s14, (.LBB2_8392-.Lpost_getpc20017)&4294967295
	s_addc_u32 s15, s15, (.LBB2_8392-.Lpost_getpc20017)>>32
	s_setpc_b64 s[14:15]
.LBB2_22729:
	s_movk_i32 s4, 0x80
	v_cmp_eq_u16_sdwa s[12:13], v3, s4 src0_sel:BYTE_0 src1_sel:DWORD
	s_mov_b64 s[4:5], -1
                                        ; implicit-def: $sgpr10
	s_and_saveexec_b64 s[8:9], s[12:13]
; %bb.22730:
	s_mov_b32 s10, 0x7f800001
	s_xor_b64 s[4:5], exec, -1
; %bb.22731:
	s_or_b64 exec, exec, s[8:9]
	s_and_b64 s[4:5], s[4:5], exec
	s_or_saveexec_b64 s[6:7], s[6:7]
	v_mov_b32_e32 v2, s10
	s_xor_b64 exec, exec, s[6:7]
	s_cbranch_execnz .LBB2_22732
; %bb.58569:
	s_getpc_b64 s[14:15]
.Lpost_getpc32868:
	s_add_u32 s14, s14, (.LBB2_8394-.Lpost_getpc32868)&4294967295
	s_addc_u32 s15, s15, (.LBB2_8394-.Lpost_getpc32868)>>32
	s_setpc_b64 s[14:15]
.LBB2_22732:
	v_mov_b32_e32 v2, 0
	v_cmp_ne_u16_sdwa s[8:9], v3, v2 src0_sel:BYTE_0 src1_sel:DWORD
	s_andn2_b64 s[4:5], s[4:5], exec
	s_and_b64 s[8:9], s[8:9], exec
	s_or_b64 s[4:5], s[4:5], s[8:9]
	s_or_b64 exec, exec, s[6:7]
	s_and_saveexec_b64 s[6:7], s[4:5]
	s_cbranch_execz .LBB2_32869
; %bb.58571:
	s_getpc_b64 s[14:15]
.Lpost_getpc32869:
	s_add_u32 s14, s14, (.LBB2_8395-.Lpost_getpc32869)&4294967295
	s_addc_u32 s15, s15, (.LBB2_8395-.Lpost_getpc32869)>>32
	s_setpc_b64 s[14:15]
.LBB2_32869:
	s_getpc_b64 s[14:15]
.Lpost_getpc20018:
	s_add_u32 s14, s14, (.LBB2_8396-.Lpost_getpc20018)&4294967295
	s_addc_u32 s15, s15, (.LBB2_8396-.Lpost_getpc20018)>>32
	s_setpc_b64 s[14:15]
.LBB2_22733:
	s_movk_i32 s4, 0x80
	v_cmp_eq_u16_sdwa s[12:13], v3, s4 src0_sel:BYTE_0 src1_sel:DWORD
	s_mov_b64 s[4:5], -1
                                        ; implicit-def: $sgpr10
	s_and_saveexec_b64 s[8:9], s[12:13]
; %bb.22734:
	s_mov_b32 s10, 0x7f800001
	s_xor_b64 s[4:5], exec, -1
; %bb.22735:
	s_or_b64 exec, exec, s[8:9]
	s_and_b64 s[4:5], s[4:5], exec
	s_or_saveexec_b64 s[6:7], s[6:7]
	v_mov_b32_e32 v6, s10
	s_xor_b64 exec, exec, s[6:7]
	s_cbranch_execnz .LBB2_22736
; %bb.58573:
	s_getpc_b64 s[14:15]
.Lpost_getpc32870:
	s_add_u32 s14, s14, (.LBB2_8398-.Lpost_getpc32870)&4294967295
	s_addc_u32 s15, s15, (.LBB2_8398-.Lpost_getpc32870)>>32
	s_setpc_b64 s[14:15]
.LBB2_22736:
	v_mov_b32_e32 v6, 0
	v_cmp_ne_u16_sdwa s[8:9], v3, v6 src0_sel:BYTE_0 src1_sel:DWORD
	s_andn2_b64 s[4:5], s[4:5], exec
	s_and_b64 s[8:9], s[8:9], exec
	s_or_b64 s[4:5], s[4:5], s[8:9]
	s_or_b64 exec, exec, s[6:7]
	s_and_saveexec_b64 s[6:7], s[4:5]
	s_cbranch_execz .LBB2_32871
; %bb.58575:
	s_getpc_b64 s[14:15]
.Lpost_getpc32871:
	s_add_u32 s14, s14, (.LBB2_8399-.Lpost_getpc32871)&4294967295
	s_addc_u32 s15, s15, (.LBB2_8399-.Lpost_getpc32871)>>32
	s_setpc_b64 s[14:15]
.LBB2_32871:
	s_getpc_b64 s[14:15]
.Lpost_getpc20019:
	s_add_u32 s14, s14, (.LBB2_8400-.Lpost_getpc20019)&4294967295
	s_addc_u32 s15, s15, (.LBB2_8400-.Lpost_getpc20019)>>32
	s_setpc_b64 s[14:15]
.LBB2_22737:
	s_movk_i32 s4, 0x80
	v_cmp_eq_u16_e32 vcc, s4, v3
	s_mov_b64 s[4:5], -1
                                        ; implicit-def: $sgpr10
	s_and_saveexec_b64 s[8:9], vcc
; %bb.22738:
	s_mov_b32 s10, 0x7f800001
	s_xor_b64 s[4:5], exec, -1
; %bb.22739:
	s_or_b64 exec, exec, s[8:9]
	s_and_b64 s[4:5], s[4:5], exec
                                        ; implicit-def: $vgpr3
	s_or_saveexec_b64 s[6:7], s[6:7]
	v_mov_b32_e32 v2, s10
	s_xor_b64 exec, exec, s[6:7]
	s_cbranch_execnz .LBB2_22740
; %bb.58577:
	s_getpc_b64 s[14:15]
.Lpost_getpc32872:
	s_add_u32 s14, s14, (.LBB2_8402-.Lpost_getpc32872)&4294967295
	s_addc_u32 s15, s15, (.LBB2_8402-.Lpost_getpc32872)>>32
	s_setpc_b64 s[14:15]
.LBB2_22740:
	v_cmp_ne_u16_e32 vcc, 0, v3
	s_andn2_b64 s[4:5], s[4:5], exec
	s_and_b64 s[8:9], vcc, exec
	v_mov_b32_e32 v2, 0
	s_or_b64 s[4:5], s[4:5], s[8:9]
	s_or_b64 exec, exec, s[6:7]
	s_and_saveexec_b64 s[6:7], s[4:5]
	s_cbranch_execz .LBB2_32873
; %bb.58579:
	s_getpc_b64 s[14:15]
.Lpost_getpc32873:
	s_add_u32 s14, s14, (.LBB2_8403-.Lpost_getpc32873)&4294967295
	s_addc_u32 s15, s15, (.LBB2_8403-.Lpost_getpc32873)>>32
	s_setpc_b64 s[14:15]
.LBB2_32873:
	s_getpc_b64 s[14:15]
.Lpost_getpc20020:
	s_add_u32 s14, s14, (.LBB2_8404-.Lpost_getpc20020)&4294967295
	s_addc_u32 s15, s15, (.LBB2_8404-.Lpost_getpc20020)>>32
	s_setpc_b64 s[14:15]
.LBB2_22741:
	s_movk_i32 s4, 0x80
	v_cmp_eq_u16_e32 vcc, s4, v3
	s_mov_b64 s[4:5], -1
                                        ; implicit-def: $sgpr10
	s_and_saveexec_b64 s[8:9], vcc
; %bb.22742:
	s_mov_b32 s10, 0x7f800001
	s_xor_b64 s[4:5], exec, -1
; %bb.22743:
	s_or_b64 exec, exec, s[8:9]
	s_and_b64 s[4:5], s[4:5], exec
                                        ; implicit-def: $vgpr3
	s_or_saveexec_b64 s[6:7], s[6:7]
	v_mov_b32_e32 v6, s10
	s_xor_b64 exec, exec, s[6:7]
	s_cbranch_execnz .LBB2_22744
; %bb.58581:
	s_getpc_b64 s[14:15]
.Lpost_getpc32874:
	s_add_u32 s14, s14, (.LBB2_8406-.Lpost_getpc32874)&4294967295
	s_addc_u32 s15, s15, (.LBB2_8406-.Lpost_getpc32874)>>32
	s_setpc_b64 s[14:15]
.LBB2_22744:
	v_cmp_ne_u16_e32 vcc, 0, v3
	s_andn2_b64 s[4:5], s[4:5], exec
	s_and_b64 s[8:9], vcc, exec
	v_mov_b32_e32 v6, 0
	s_or_b64 s[4:5], s[4:5], s[8:9]
	s_or_b64 exec, exec, s[6:7]
	s_and_saveexec_b64 s[6:7], s[4:5]
	s_cbranch_execz .LBB2_32875
; %bb.58583:
	s_getpc_b64 s[14:15]
.Lpost_getpc32875:
	s_add_u32 s14, s14, (.LBB2_8407-.Lpost_getpc32875)&4294967295
	s_addc_u32 s15, s15, (.LBB2_8407-.Lpost_getpc32875)>>32
	s_setpc_b64 s[14:15]
.LBB2_32875:
	s_getpc_b64 s[14:15]
.Lpost_getpc20021:
	s_add_u32 s14, s14, (.LBB2_8408-.Lpost_getpc20021)&4294967295
	s_addc_u32 s15, s15, (.LBB2_8408-.Lpost_getpc20021)>>32
	s_setpc_b64 s[14:15]
.LBB2_22745:
	s_movk_i32 s4, 0x80
	v_cmp_eq_u16_sdwa s[12:13], v8, s4 src0_sel:BYTE_3 src1_sel:DWORD
	s_mov_b64 s[4:5], -1
                                        ; implicit-def: $sgpr10
	s_and_saveexec_b64 s[8:9], s[12:13]
; %bb.22746:
	s_mov_b32 s10, 0x7f800001
	s_xor_b64 s[4:5], exec, -1
; %bb.22747:
	s_or_b64 exec, exec, s[8:9]
	s_and_b64 s[4:5], s[4:5], exec
	s_or_saveexec_b64 s[6:7], s[6:7]
	v_mov_b32_e32 v2, s10
	s_xor_b64 exec, exec, s[6:7]
	s_cbranch_execnz .LBB2_22748
; %bb.58585:
	s_getpc_b64 s[14:15]
.Lpost_getpc32876:
	s_add_u32 s14, s14, (.LBB2_8410-.Lpost_getpc32876)&4294967295
	s_addc_u32 s15, s15, (.LBB2_8410-.Lpost_getpc32876)>>32
	s_setpc_b64 s[14:15]
.LBB2_22748:
	v_mov_b32_e32 v2, 0
	v_cmp_ne_u16_sdwa s[8:9], v8, v2 src0_sel:BYTE_3 src1_sel:DWORD
	s_andn2_b64 s[4:5], s[4:5], exec
	s_and_b64 s[8:9], s[8:9], exec
	s_or_b64 s[4:5], s[4:5], s[8:9]
	s_or_b64 exec, exec, s[6:7]
	s_and_saveexec_b64 s[6:7], s[4:5]
	s_cbranch_execz .LBB2_32877
; %bb.58587:
	s_getpc_b64 s[14:15]
.Lpost_getpc32877:
	s_add_u32 s14, s14, (.LBB2_8411-.Lpost_getpc32877)&4294967295
	s_addc_u32 s15, s15, (.LBB2_8411-.Lpost_getpc32877)>>32
	s_setpc_b64 s[14:15]
.LBB2_32877:
	s_getpc_b64 s[14:15]
.Lpost_getpc20022:
	s_add_u32 s14, s14, (.LBB2_8412-.Lpost_getpc20022)&4294967295
	s_addc_u32 s15, s15, (.LBB2_8412-.Lpost_getpc20022)>>32
	s_setpc_b64 s[14:15]
.LBB2_22749:
	s_movk_i32 s4, 0x80
	v_cmp_eq_u16_sdwa s[12:13], v4, s4 src0_sel:BYTE_3 src1_sel:DWORD
	s_mov_b64 s[4:5], -1
                                        ; implicit-def: $sgpr10
	s_and_saveexec_b64 s[8:9], s[12:13]
; %bb.22750:
	s_mov_b32 s10, 0x7f800001
	s_xor_b64 s[4:5], exec, -1
; %bb.22751:
	s_or_b64 exec, exec, s[8:9]
	s_and_b64 s[4:5], s[4:5], exec
	s_or_saveexec_b64 s[6:7], s[6:7]
	v_mov_b32_e32 v3, s10
	s_xor_b64 exec, exec, s[6:7]
	s_cbranch_execnz .LBB2_22752
; %bb.58589:
	s_getpc_b64 s[14:15]
.Lpost_getpc32878:
	s_add_u32 s14, s14, (.LBB2_8414-.Lpost_getpc32878)&4294967295
	s_addc_u32 s15, s15, (.LBB2_8414-.Lpost_getpc32878)>>32
	s_setpc_b64 s[14:15]
.LBB2_22752:
	v_mov_b32_e32 v3, 0
	v_cmp_ne_u16_sdwa s[8:9], v4, v3 src0_sel:BYTE_3 src1_sel:DWORD
	s_andn2_b64 s[4:5], s[4:5], exec
	s_and_b64 s[8:9], s[8:9], exec
	s_or_b64 s[4:5], s[4:5], s[8:9]
	s_or_b64 exec, exec, s[6:7]
	s_and_saveexec_b64 s[6:7], s[4:5]
	s_cbranch_execz .LBB2_32879
; %bb.58591:
	s_getpc_b64 s[14:15]
.Lpost_getpc32879:
	s_add_u32 s14, s14, (.LBB2_8415-.Lpost_getpc32879)&4294967295
	s_addc_u32 s15, s15, (.LBB2_8415-.Lpost_getpc32879)>>32
	s_setpc_b64 s[14:15]
.LBB2_32879:
	s_getpc_b64 s[14:15]
.Lpost_getpc20023:
	s_add_u32 s14, s14, (.LBB2_8416-.Lpost_getpc20023)&4294967295
	s_addc_u32 s15, s15, (.LBB2_8416-.Lpost_getpc20023)>>32
	s_setpc_b64 s[14:15]
.LBB2_22753:
	s_movk_i32 s4, 0x80
	v_cmp_eq_u16_sdwa s[12:13], v9, s4 src0_sel:BYTE_0 src1_sel:DWORD
	s_mov_b64 s[4:5], -1
                                        ; implicit-def: $sgpr10
	s_and_saveexec_b64 s[8:9], s[12:13]
; %bb.22754:
	s_mov_b32 s10, 0x7f800001
	s_xor_b64 s[4:5], exec, -1
; %bb.22755:
	s_or_b64 exec, exec, s[8:9]
	s_and_b64 s[4:5], s[4:5], exec
	s_or_saveexec_b64 s[6:7], s[6:7]
	v_mov_b32_e32 v2, s10
	s_xor_b64 exec, exec, s[6:7]
	s_cbranch_execnz .LBB2_22756
; %bb.58593:
	s_getpc_b64 s[14:15]
.Lpost_getpc32880:
	s_add_u32 s14, s14, (.LBB2_8418-.Lpost_getpc32880)&4294967295
	s_addc_u32 s15, s15, (.LBB2_8418-.Lpost_getpc32880)>>32
	s_setpc_b64 s[14:15]
.LBB2_22756:
	v_mov_b32_e32 v2, 0
	v_cmp_ne_u16_sdwa s[8:9], v9, v2 src0_sel:BYTE_0 src1_sel:DWORD
	s_andn2_b64 s[4:5], s[4:5], exec
	s_and_b64 s[8:9], s[8:9], exec
	s_or_b64 s[4:5], s[4:5], s[8:9]
	s_or_b64 exec, exec, s[6:7]
	s_and_saveexec_b64 s[6:7], s[4:5]
	s_cbranch_execz .LBB2_32881
; %bb.58595:
	s_getpc_b64 s[14:15]
.Lpost_getpc32881:
	s_add_u32 s14, s14, (.LBB2_8419-.Lpost_getpc32881)&4294967295
	s_addc_u32 s15, s15, (.LBB2_8419-.Lpost_getpc32881)>>32
	s_setpc_b64 s[14:15]
.LBB2_32881:
	s_getpc_b64 s[14:15]
.Lpost_getpc20024:
	s_add_u32 s14, s14, (.LBB2_8420-.Lpost_getpc20024)&4294967295
	s_addc_u32 s15, s15, (.LBB2_8420-.Lpost_getpc20024)>>32
	s_setpc_b64 s[14:15]
.LBB2_22757:
	s_movk_i32 s4, 0x80
	v_cmp_eq_u16_sdwa s[12:13], v5, s4 src0_sel:BYTE_0 src1_sel:DWORD
	s_mov_b64 s[4:5], -1
                                        ; implicit-def: $sgpr10
	s_and_saveexec_b64 s[8:9], s[12:13]
; %bb.22758:
	s_mov_b32 s10, 0x7f800001
	s_xor_b64 s[4:5], exec, -1
; %bb.22759:
	s_or_b64 exec, exec, s[8:9]
	s_and_b64 s[4:5], s[4:5], exec
	s_or_saveexec_b64 s[6:7], s[6:7]
	v_mov_b32_e32 v3, s10
	s_xor_b64 exec, exec, s[6:7]
	s_cbranch_execnz .LBB2_22760
; %bb.58597:
	s_getpc_b64 s[14:15]
.Lpost_getpc32882:
	s_add_u32 s14, s14, (.LBB2_8422-.Lpost_getpc32882)&4294967295
	s_addc_u32 s15, s15, (.LBB2_8422-.Lpost_getpc32882)>>32
	s_setpc_b64 s[14:15]
.LBB2_22760:
	v_mov_b32_e32 v3, 0
	v_cmp_ne_u16_sdwa s[8:9], v5, v3 src0_sel:BYTE_0 src1_sel:DWORD
	s_andn2_b64 s[4:5], s[4:5], exec
	s_and_b64 s[8:9], s[8:9], exec
	s_or_b64 s[4:5], s[4:5], s[8:9]
	s_or_b64 exec, exec, s[6:7]
	s_and_saveexec_b64 s[6:7], s[4:5]
	s_cbranch_execz .LBB2_32883
; %bb.58599:
	s_getpc_b64 s[14:15]
.Lpost_getpc32883:
	s_add_u32 s14, s14, (.LBB2_8423-.Lpost_getpc32883)&4294967295
	s_addc_u32 s15, s15, (.LBB2_8423-.Lpost_getpc32883)>>32
	s_setpc_b64 s[14:15]
.LBB2_32883:
	s_getpc_b64 s[14:15]
.Lpost_getpc20025:
	s_add_u32 s14, s14, (.LBB2_8424-.Lpost_getpc20025)&4294967295
	s_addc_u32 s15, s15, (.LBB2_8424-.Lpost_getpc20025)>>32
	s_setpc_b64 s[14:15]
.LBB2_22761:
	s_movk_i32 s4, 0x80
	v_cmp_eq_u16_sdwa s[12:13], v3, s4 src0_sel:BYTE_0 src1_sel:DWORD
	s_mov_b64 s[4:5], -1
                                        ; implicit-def: $sgpr10
	s_and_saveexec_b64 s[8:9], s[12:13]
; %bb.22762:
	s_mov_b32 s10, 0x7f800001
	s_xor_b64 s[4:5], exec, -1
; %bb.22763:
	s_or_b64 exec, exec, s[8:9]
	s_and_b64 s[4:5], s[4:5], exec
	s_or_saveexec_b64 s[6:7], s[6:7]
	v_mov_b32_e32 v2, s10
	s_xor_b64 exec, exec, s[6:7]
	s_cbranch_execnz .LBB2_22764
; %bb.58601:
	s_getpc_b64 s[14:15]
.Lpost_getpc32884:
	s_add_u32 s14, s14, (.LBB2_8426-.Lpost_getpc32884)&4294967295
	s_addc_u32 s15, s15, (.LBB2_8426-.Lpost_getpc32884)>>32
	s_setpc_b64 s[14:15]
.LBB2_22764:
	v_mov_b32_e32 v2, 0
	v_cmp_ne_u16_sdwa s[8:9], v3, v2 src0_sel:BYTE_0 src1_sel:DWORD
	s_andn2_b64 s[4:5], s[4:5], exec
	s_and_b64 s[8:9], s[8:9], exec
	s_or_b64 s[4:5], s[4:5], s[8:9]
	s_or_b64 exec, exec, s[6:7]
	s_and_saveexec_b64 s[6:7], s[4:5]
	s_cbranch_execz .LBB2_32885
; %bb.58603:
	s_getpc_b64 s[14:15]
.Lpost_getpc32885:
	s_add_u32 s14, s14, (.LBB2_8427-.Lpost_getpc32885)&4294967295
	s_addc_u32 s15, s15, (.LBB2_8427-.Lpost_getpc32885)>>32
	s_setpc_b64 s[14:15]
.LBB2_32885:
	s_getpc_b64 s[14:15]
.Lpost_getpc20026:
	s_add_u32 s14, s14, (.LBB2_8428-.Lpost_getpc20026)&4294967295
	s_addc_u32 s15, s15, (.LBB2_8428-.Lpost_getpc20026)>>32
	s_setpc_b64 s[14:15]
.LBB2_22765:
	s_movk_i32 s4, 0x80
	v_cmp_eq_u16_sdwa s[12:13], v3, s4 src0_sel:BYTE_0 src1_sel:DWORD
	s_mov_b64 s[4:5], -1
                                        ; implicit-def: $sgpr10
	s_and_saveexec_b64 s[8:9], s[12:13]
; %bb.22766:
	s_mov_b32 s10, 0x7f800001
	s_xor_b64 s[4:5], exec, -1
; %bb.22767:
	s_or_b64 exec, exec, s[8:9]
	s_and_b64 s[4:5], s[4:5], exec
	s_or_saveexec_b64 s[6:7], s[6:7]
	v_mov_b32_e32 v4, s10
	s_xor_b64 exec, exec, s[6:7]
	s_cbranch_execnz .LBB2_22768
; %bb.58605:
	s_getpc_b64 s[14:15]
.Lpost_getpc32886:
	s_add_u32 s14, s14, (.LBB2_8430-.Lpost_getpc32886)&4294967295
	s_addc_u32 s15, s15, (.LBB2_8430-.Lpost_getpc32886)>>32
	s_setpc_b64 s[14:15]
.LBB2_22768:
	v_mov_b32_e32 v4, 0
	v_cmp_ne_u16_sdwa s[8:9], v3, v4 src0_sel:BYTE_0 src1_sel:DWORD
	s_andn2_b64 s[4:5], s[4:5], exec
	s_and_b64 s[8:9], s[8:9], exec
	s_or_b64 s[4:5], s[4:5], s[8:9]
	s_or_b64 exec, exec, s[6:7]
	s_and_saveexec_b64 s[6:7], s[4:5]
	s_cbranch_execz .LBB2_32887
; %bb.58607:
	s_getpc_b64 s[14:15]
.Lpost_getpc32887:
	s_add_u32 s14, s14, (.LBB2_8431-.Lpost_getpc32887)&4294967295
	s_addc_u32 s15, s15, (.LBB2_8431-.Lpost_getpc32887)>>32
	s_setpc_b64 s[14:15]
.LBB2_32887:
	s_getpc_b64 s[14:15]
.Lpost_getpc20027:
	s_add_u32 s14, s14, (.LBB2_8432-.Lpost_getpc20027)&4294967295
	s_addc_u32 s15, s15, (.LBB2_8432-.Lpost_getpc20027)>>32
	s_setpc_b64 s[14:15]
.LBB2_22769:
	s_movk_i32 s4, 0x80
	v_cmp_eq_u16_e32 vcc, s4, v3
	s_mov_b64 s[4:5], -1
                                        ; implicit-def: $sgpr10
	s_and_saveexec_b64 s[8:9], vcc
; %bb.22770:
	s_mov_b32 s10, 0x7f800001
	s_xor_b64 s[4:5], exec, -1
; %bb.22771:
	s_or_b64 exec, exec, s[8:9]
	s_and_b64 s[4:5], s[4:5], exec
                                        ; implicit-def: $vgpr3
	s_or_saveexec_b64 s[6:7], s[6:7]
	v_mov_b32_e32 v2, s10
	s_xor_b64 exec, exec, s[6:7]
	s_cbranch_execnz .LBB2_22772
; %bb.58609:
	s_getpc_b64 s[14:15]
.Lpost_getpc32888:
	s_add_u32 s14, s14, (.LBB2_8434-.Lpost_getpc32888)&4294967295
	s_addc_u32 s15, s15, (.LBB2_8434-.Lpost_getpc32888)>>32
	s_setpc_b64 s[14:15]
.LBB2_22772:
	v_cmp_ne_u16_e32 vcc, 0, v3
	s_andn2_b64 s[4:5], s[4:5], exec
	s_and_b64 s[8:9], vcc, exec
	v_mov_b32_e32 v2, 0
	s_or_b64 s[4:5], s[4:5], s[8:9]
	s_or_b64 exec, exec, s[6:7]
	s_and_saveexec_b64 s[6:7], s[4:5]
	s_cbranch_execz .LBB2_32889
; %bb.58611:
	s_getpc_b64 s[14:15]
.Lpost_getpc32889:
	s_add_u32 s14, s14, (.LBB2_8435-.Lpost_getpc32889)&4294967295
	s_addc_u32 s15, s15, (.LBB2_8435-.Lpost_getpc32889)>>32
	s_setpc_b64 s[14:15]
.LBB2_32889:
	s_getpc_b64 s[14:15]
.Lpost_getpc20028:
	s_add_u32 s14, s14, (.LBB2_8436-.Lpost_getpc20028)&4294967295
	s_addc_u32 s15, s15, (.LBB2_8436-.Lpost_getpc20028)>>32
	s_setpc_b64 s[14:15]
.LBB2_22773:
	s_movk_i32 s4, 0x80
	v_cmp_eq_u16_e32 vcc, s4, v3
	s_mov_b64 s[4:5], -1
                                        ; implicit-def: $sgpr10
	s_and_saveexec_b64 s[8:9], vcc
; %bb.22774:
	s_mov_b32 s10, 0x7f800001
	s_xor_b64 s[4:5], exec, -1
; %bb.22775:
	s_or_b64 exec, exec, s[8:9]
	s_and_b64 s[4:5], s[4:5], exec
                                        ; implicit-def: $vgpr3
	s_or_saveexec_b64 s[6:7], s[6:7]
	v_mov_b32_e32 v4, s10
	s_xor_b64 exec, exec, s[6:7]
	s_cbranch_execnz .LBB2_22776
; %bb.58613:
	s_getpc_b64 s[14:15]
.Lpost_getpc32890:
	s_add_u32 s14, s14, (.LBB2_8438-.Lpost_getpc32890)&4294967295
	s_addc_u32 s15, s15, (.LBB2_8438-.Lpost_getpc32890)>>32
	s_setpc_b64 s[14:15]
.LBB2_22776:
	v_cmp_ne_u16_e32 vcc, 0, v3
	s_andn2_b64 s[4:5], s[4:5], exec
	s_and_b64 s[8:9], vcc, exec
	v_mov_b32_e32 v4, 0
	s_or_b64 s[4:5], s[4:5], s[8:9]
	s_or_b64 exec, exec, s[6:7]
	s_and_saveexec_b64 s[6:7], s[4:5]
	s_cbranch_execz .LBB2_32891
; %bb.58615:
	s_getpc_b64 s[14:15]
.Lpost_getpc32891:
	s_add_u32 s14, s14, (.LBB2_8439-.Lpost_getpc32891)&4294967295
	s_addc_u32 s15, s15, (.LBB2_8439-.Lpost_getpc32891)>>32
	s_setpc_b64 s[14:15]
.LBB2_32891:
	s_getpc_b64 s[14:15]
.Lpost_getpc20029:
	s_add_u32 s14, s14, (.LBB2_8440-.Lpost_getpc20029)&4294967295
	s_addc_u32 s15, s15, (.LBB2_8440-.Lpost_getpc20029)>>32
	s_setpc_b64 s[14:15]
.LBB2_22777:
	s_movk_i32 s4, 0x80
	v_cmp_eq_u16_sdwa s[12:13], v9, s4 src0_sel:BYTE_3 src1_sel:DWORD
	s_mov_b64 s[4:5], -1
                                        ; implicit-def: $sgpr10
	s_and_saveexec_b64 s[8:9], s[12:13]
; %bb.22778:
	s_mov_b32 s10, 0x7f800001
	s_xor_b64 s[4:5], exec, -1
; %bb.22779:
	s_or_b64 exec, exec, s[8:9]
	s_and_b64 s[4:5], s[4:5], exec
	s_or_saveexec_b64 s[6:7], s[6:7]
	v_mov_b32_e32 v2, s10
	s_xor_b64 exec, exec, s[6:7]
	s_cbranch_execnz .LBB2_22780
; %bb.58617:
	s_getpc_b64 s[14:15]
.Lpost_getpc32892:
	s_add_u32 s14, s14, (.LBB2_8442-.Lpost_getpc32892)&4294967295
	s_addc_u32 s15, s15, (.LBB2_8442-.Lpost_getpc32892)>>32
	s_setpc_b64 s[14:15]
.LBB2_22780:
	v_mov_b32_e32 v2, 0
	v_cmp_ne_u16_sdwa s[8:9], v9, v2 src0_sel:BYTE_3 src1_sel:DWORD
	s_andn2_b64 s[4:5], s[4:5], exec
	s_and_b64 s[8:9], s[8:9], exec
	s_or_b64 s[4:5], s[4:5], s[8:9]
	s_or_b64 exec, exec, s[6:7]
	s_and_saveexec_b64 s[6:7], s[4:5]
	s_cbranch_execz .LBB2_32893
; %bb.58619:
	s_getpc_b64 s[14:15]
.Lpost_getpc32893:
	s_add_u32 s14, s14, (.LBB2_8443-.Lpost_getpc32893)&4294967295
	s_addc_u32 s15, s15, (.LBB2_8443-.Lpost_getpc32893)>>32
	s_setpc_b64 s[14:15]
.LBB2_32893:
	s_getpc_b64 s[14:15]
.Lpost_getpc20030:
	s_add_u32 s14, s14, (.LBB2_8444-.Lpost_getpc20030)&4294967295
	s_addc_u32 s15, s15, (.LBB2_8444-.Lpost_getpc20030)>>32
	s_setpc_b64 s[14:15]
.LBB2_22781:
	s_movk_i32 s4, 0x80
	v_cmp_eq_u16_sdwa s[12:13], v5, s4 src0_sel:BYTE_3 src1_sel:DWORD
	s_mov_b64 s[4:5], -1
                                        ; implicit-def: $sgpr10
	s_and_saveexec_b64 s[8:9], s[12:13]
; %bb.22782:
	s_mov_b32 s10, 0x7f800001
	s_xor_b64 s[4:5], exec, -1
; %bb.22783:
	s_or_b64 exec, exec, s[8:9]
	s_and_b64 s[4:5], s[4:5], exec
	s_or_saveexec_b64 s[6:7], s[6:7]
	v_mov_b32_e32 v3, s10
	s_xor_b64 exec, exec, s[6:7]
	s_cbranch_execnz .LBB2_22784
; %bb.58621:
	s_getpc_b64 s[14:15]
.Lpost_getpc32894:
	s_add_u32 s14, s14, (.LBB2_8446-.Lpost_getpc32894)&4294967295
	s_addc_u32 s15, s15, (.LBB2_8446-.Lpost_getpc32894)>>32
	s_setpc_b64 s[14:15]
.LBB2_22784:
	v_mov_b32_e32 v3, 0
	v_cmp_ne_u16_sdwa s[8:9], v5, v3 src0_sel:BYTE_3 src1_sel:DWORD
	s_andn2_b64 s[4:5], s[4:5], exec
	s_and_b64 s[8:9], s[8:9], exec
	s_or_b64 s[4:5], s[4:5], s[8:9]
	s_or_b64 exec, exec, s[6:7]
	s_and_saveexec_b64 s[6:7], s[4:5]
	s_cbranch_execz .LBB2_32895
; %bb.58623:
	s_getpc_b64 s[14:15]
.Lpost_getpc32895:
	s_add_u32 s14, s14, (.LBB2_8447-.Lpost_getpc32895)&4294967295
	s_addc_u32 s15, s15, (.LBB2_8447-.Lpost_getpc32895)>>32
	s_setpc_b64 s[14:15]
.LBB2_32895:
	s_getpc_b64 s[14:15]
.Lpost_getpc20031:
	s_add_u32 s14, s14, (.LBB2_8448-.Lpost_getpc20031)&4294967295
	s_addc_u32 s15, s15, (.LBB2_8448-.Lpost_getpc20031)>>32
	s_setpc_b64 s[14:15]
.LBB2_22785:
	s_movk_i32 s4, 0x80
	v_cmp_eq_u16_sdwa s[12:13], v6, s4 src0_sel:BYTE_0 src1_sel:DWORD
	s_mov_b64 s[4:5], -1
                                        ; implicit-def: $sgpr10
	s_and_saveexec_b64 s[8:9], s[12:13]
; %bb.22786:
	s_mov_b32 s10, 0x7f800001
	s_xor_b64 s[4:5], exec, -1
; %bb.22787:
	s_or_b64 exec, exec, s[8:9]
	s_and_b64 s[4:5], s[4:5], exec
	s_or_saveexec_b64 s[6:7], s[6:7]
	v_mov_b32_e32 v12, s10
	s_xor_b64 exec, exec, s[6:7]
	s_cbranch_execnz .LBB2_22788
; %bb.58625:
	s_getpc_b64 s[14:15]
.Lpost_getpc32896:
	s_add_u32 s14, s14, (.LBB2_8450-.Lpost_getpc32896)&4294967295
	s_addc_u32 s15, s15, (.LBB2_8450-.Lpost_getpc32896)>>32
	s_setpc_b64 s[14:15]
.LBB2_22788:
	v_mov_b32_e32 v12, 0
	v_cmp_ne_u16_sdwa s[8:9], v6, v12 src0_sel:BYTE_0 src1_sel:DWORD
	s_andn2_b64 s[4:5], s[4:5], exec
	s_and_b64 s[8:9], s[8:9], exec
	s_or_b64 s[4:5], s[4:5], s[8:9]
	s_or_b64 exec, exec, s[6:7]
	s_and_saveexec_b64 s[6:7], s[4:5]
	s_cbranch_execz .LBB2_32897
; %bb.58627:
	s_getpc_b64 s[14:15]
.Lpost_getpc32897:
	s_add_u32 s14, s14, (.LBB2_8451-.Lpost_getpc32897)&4294967295
	s_addc_u32 s15, s15, (.LBB2_8451-.Lpost_getpc32897)>>32
	s_setpc_b64 s[14:15]
.LBB2_32897:
	s_getpc_b64 s[14:15]
.Lpost_getpc20032:
	s_add_u32 s14, s14, (.LBB2_8452-.Lpost_getpc20032)&4294967295
	s_addc_u32 s15, s15, (.LBB2_8452-.Lpost_getpc20032)>>32
	s_setpc_b64 s[14:15]
.LBB2_22789:
	s_movk_i32 s4, 0x80
	v_cmp_eq_u16_sdwa s[12:13], v2, s4 src0_sel:BYTE_0 src1_sel:DWORD
	s_mov_b64 s[4:5], -1
                                        ; implicit-def: $sgpr10
	s_and_saveexec_b64 s[8:9], s[12:13]
; %bb.22790:
	s_mov_b32 s10, 0x7f800001
	s_xor_b64 s[4:5], exec, -1
; %bb.22791:
	s_or_b64 exec, exec, s[8:9]
	s_and_b64 s[4:5], s[4:5], exec
	s_or_saveexec_b64 s[6:7], s[6:7]
	v_mov_b32_e32 v13, s10
	s_xor_b64 exec, exec, s[6:7]
	s_cbranch_execnz .LBB2_22792
; %bb.58629:
	s_getpc_b64 s[14:15]
.Lpost_getpc32898:
	s_add_u32 s14, s14, (.LBB2_8454-.Lpost_getpc32898)&4294967295
	s_addc_u32 s15, s15, (.LBB2_8454-.Lpost_getpc32898)>>32
	s_setpc_b64 s[14:15]
.LBB2_22792:
	v_mov_b32_e32 v13, 0
	v_cmp_ne_u16_sdwa s[8:9], v2, v13 src0_sel:BYTE_0 src1_sel:DWORD
	s_andn2_b64 s[4:5], s[4:5], exec
	s_and_b64 s[8:9], s[8:9], exec
	s_or_b64 s[4:5], s[4:5], s[8:9]
	s_or_b64 exec, exec, s[6:7]
	s_and_saveexec_b64 s[6:7], s[4:5]
	s_cbranch_execz .LBB2_32899
; %bb.58631:
	s_getpc_b64 s[14:15]
.Lpost_getpc32899:
	s_add_u32 s14, s14, (.LBB2_8455-.Lpost_getpc32899)&4294967295
	s_addc_u32 s15, s15, (.LBB2_8455-.Lpost_getpc32899)>>32
	s_setpc_b64 s[14:15]
.LBB2_32899:
	s_getpc_b64 s[14:15]
.Lpost_getpc20033:
	s_add_u32 s14, s14, (.LBB2_8456-.Lpost_getpc20033)&4294967295
	s_addc_u32 s15, s15, (.LBB2_8456-.Lpost_getpc20033)>>32
	s_setpc_b64 s[14:15]
.LBB2_22793:
	s_movk_i32 s4, 0x80
	v_cmp_eq_u16_sdwa s[12:13], v13, s4 src0_sel:BYTE_0 src1_sel:DWORD
	s_mov_b64 s[4:5], -1
                                        ; implicit-def: $sgpr10
	s_and_saveexec_b64 s[8:9], s[12:13]
; %bb.22794:
	s_mov_b32 s10, 0x7f800001
	s_xor_b64 s[4:5], exec, -1
; %bb.22795:
	s_or_b64 exec, exec, s[8:9]
	s_and_b64 s[4:5], s[4:5], exec
	s_or_saveexec_b64 s[6:7], s[6:7]
	v_mov_b32_e32 v12, s10
	s_xor_b64 exec, exec, s[6:7]
	s_cbranch_execnz .LBB2_22796
; %bb.58633:
	s_getpc_b64 s[14:15]
.Lpost_getpc32900:
	s_add_u32 s14, s14, (.LBB2_8458-.Lpost_getpc32900)&4294967295
	s_addc_u32 s15, s15, (.LBB2_8458-.Lpost_getpc32900)>>32
	s_setpc_b64 s[14:15]
.LBB2_22796:
	v_mov_b32_e32 v12, 0
	v_cmp_ne_u16_sdwa s[8:9], v13, v12 src0_sel:BYTE_0 src1_sel:DWORD
	s_andn2_b64 s[4:5], s[4:5], exec
	s_and_b64 s[8:9], s[8:9], exec
	s_or_b64 s[4:5], s[4:5], s[8:9]
	s_or_b64 exec, exec, s[6:7]
	s_and_saveexec_b64 s[6:7], s[4:5]
	s_cbranch_execz .LBB2_32901
; %bb.58635:
	s_getpc_b64 s[14:15]
.Lpost_getpc32901:
	s_add_u32 s14, s14, (.LBB2_8459-.Lpost_getpc32901)&4294967295
	s_addc_u32 s15, s15, (.LBB2_8459-.Lpost_getpc32901)>>32
	s_setpc_b64 s[14:15]
.LBB2_32901:
	s_getpc_b64 s[14:15]
.Lpost_getpc20034:
	s_add_u32 s14, s14, (.LBB2_8460-.Lpost_getpc20034)&4294967295
	s_addc_u32 s15, s15, (.LBB2_8460-.Lpost_getpc20034)>>32
	s_setpc_b64 s[14:15]
.LBB2_22797:
	s_movk_i32 s4, 0x80
	v_cmp_eq_u16_sdwa s[12:13], v13, s4 src0_sel:BYTE_0 src1_sel:DWORD
	s_mov_b64 s[4:5], -1
                                        ; implicit-def: $sgpr10
	s_and_saveexec_b64 s[8:9], s[12:13]
; %bb.22798:
	s_mov_b32 s10, 0x7f800001
	s_xor_b64 s[4:5], exec, -1
; %bb.22799:
	s_or_b64 exec, exec, s[8:9]
	s_and_b64 s[4:5], s[4:5], exec
	s_or_saveexec_b64 s[6:7], s[6:7]
	v_mov_b32_e32 v14, s10
	s_xor_b64 exec, exec, s[6:7]
	s_cbranch_execnz .LBB2_22800
; %bb.58637:
	s_getpc_b64 s[14:15]
.Lpost_getpc32902:
	s_add_u32 s14, s14, (.LBB2_8462-.Lpost_getpc32902)&4294967295
	s_addc_u32 s15, s15, (.LBB2_8462-.Lpost_getpc32902)>>32
	s_setpc_b64 s[14:15]
.LBB2_22800:
	v_mov_b32_e32 v14, 0
	v_cmp_ne_u16_sdwa s[8:9], v13, v14 src0_sel:BYTE_0 src1_sel:DWORD
	s_andn2_b64 s[4:5], s[4:5], exec
	s_and_b64 s[8:9], s[8:9], exec
	s_or_b64 s[4:5], s[4:5], s[8:9]
	s_or_b64 exec, exec, s[6:7]
	s_and_saveexec_b64 s[6:7], s[4:5]
	s_cbranch_execz .LBB2_32903
; %bb.58639:
	s_getpc_b64 s[14:15]
.Lpost_getpc32903:
	s_add_u32 s14, s14, (.LBB2_8463-.Lpost_getpc32903)&4294967295
	s_addc_u32 s15, s15, (.LBB2_8463-.Lpost_getpc32903)>>32
	s_setpc_b64 s[14:15]
.LBB2_32903:
	s_getpc_b64 s[14:15]
.Lpost_getpc20035:
	s_add_u32 s14, s14, (.LBB2_8464-.Lpost_getpc20035)&4294967295
	s_addc_u32 s15, s15, (.LBB2_8464-.Lpost_getpc20035)>>32
	s_setpc_b64 s[14:15]
.LBB2_22801:
	s_movk_i32 s4, 0x80
	v_cmp_eq_u16_e32 vcc, s4, v13
	s_mov_b64 s[4:5], -1
                                        ; implicit-def: $sgpr10
	s_and_saveexec_b64 s[8:9], vcc
; %bb.22802:
	s_mov_b32 s10, 0x7f800001
	s_xor_b64 s[4:5], exec, -1
; %bb.22803:
	s_or_b64 exec, exec, s[8:9]
	s_and_b64 s[4:5], s[4:5], exec
                                        ; implicit-def: $vgpr13
	s_or_saveexec_b64 s[6:7], s[6:7]
	v_mov_b32_e32 v12, s10
	s_xor_b64 exec, exec, s[6:7]
	s_cbranch_execnz .LBB2_22804
; %bb.58641:
	s_getpc_b64 s[14:15]
.Lpost_getpc32904:
	s_add_u32 s14, s14, (.LBB2_8466-.Lpost_getpc32904)&4294967295
	s_addc_u32 s15, s15, (.LBB2_8466-.Lpost_getpc32904)>>32
	s_setpc_b64 s[14:15]
.LBB2_22804:
	v_cmp_ne_u16_e32 vcc, 0, v13
	s_andn2_b64 s[4:5], s[4:5], exec
	s_and_b64 s[8:9], vcc, exec
	v_mov_b32_e32 v12, 0
	s_or_b64 s[4:5], s[4:5], s[8:9]
	s_or_b64 exec, exec, s[6:7]
	s_and_saveexec_b64 s[6:7], s[4:5]
	s_cbranch_execz .LBB2_32905
; %bb.58643:
	s_getpc_b64 s[14:15]
.Lpost_getpc32905:
	s_add_u32 s14, s14, (.LBB2_8467-.Lpost_getpc32905)&4294967295
	s_addc_u32 s15, s15, (.LBB2_8467-.Lpost_getpc32905)>>32
	s_setpc_b64 s[14:15]
.LBB2_32905:
	s_getpc_b64 s[14:15]
.Lpost_getpc20036:
	s_add_u32 s14, s14, (.LBB2_8468-.Lpost_getpc20036)&4294967295
	s_addc_u32 s15, s15, (.LBB2_8468-.Lpost_getpc20036)>>32
	s_setpc_b64 s[14:15]
.LBB2_22805:
	s_movk_i32 s4, 0x80
	v_cmp_eq_u16_e32 vcc, s4, v13
	s_mov_b64 s[4:5], -1
                                        ; implicit-def: $sgpr10
	s_and_saveexec_b64 s[8:9], vcc
; %bb.22806:
	s_mov_b32 s10, 0x7f800001
	s_xor_b64 s[4:5], exec, -1
; %bb.22807:
	s_or_b64 exec, exec, s[8:9]
	s_and_b64 s[4:5], s[4:5], exec
                                        ; implicit-def: $vgpr13
	s_or_saveexec_b64 s[6:7], s[6:7]
	v_mov_b32_e32 v14, s10
	s_xor_b64 exec, exec, s[6:7]
	s_cbranch_execnz .LBB2_22808
; %bb.58645:
	s_getpc_b64 s[14:15]
.Lpost_getpc32906:
	s_add_u32 s14, s14, (.LBB2_8470-.Lpost_getpc32906)&4294967295
	s_addc_u32 s15, s15, (.LBB2_8470-.Lpost_getpc32906)>>32
	s_setpc_b64 s[14:15]
.LBB2_22808:
	v_cmp_ne_u16_e32 vcc, 0, v13
	s_andn2_b64 s[4:5], s[4:5], exec
	s_and_b64 s[8:9], vcc, exec
	v_mov_b32_e32 v14, 0
	s_or_b64 s[4:5], s[4:5], s[8:9]
	s_or_b64 exec, exec, s[6:7]
	s_and_saveexec_b64 s[6:7], s[4:5]
	s_cbranch_execz .LBB2_32907
; %bb.58647:
	s_getpc_b64 s[14:15]
.Lpost_getpc32907:
	s_add_u32 s14, s14, (.LBB2_8471-.Lpost_getpc32907)&4294967295
	s_addc_u32 s15, s15, (.LBB2_8471-.Lpost_getpc32907)>>32
	s_setpc_b64 s[14:15]
.LBB2_32907:
	s_getpc_b64 s[14:15]
.Lpost_getpc20037:
	s_add_u32 s14, s14, (.LBB2_8472-.Lpost_getpc20037)&4294967295
	s_addc_u32 s15, s15, (.LBB2_8472-.Lpost_getpc20037)>>32
	s_setpc_b64 s[14:15]
.LBB2_22809:
	s_movk_i32 s4, 0x80
	v_cmp_eq_u16_sdwa s[12:13], v6, s4 src0_sel:BYTE_3 src1_sel:DWORD
	s_mov_b64 s[4:5], -1
                                        ; implicit-def: $sgpr10
	s_and_saveexec_b64 s[8:9], s[12:13]
; %bb.22810:
	s_mov_b32 s10, 0x7f800001
	s_xor_b64 s[4:5], exec, -1
; %bb.22811:
	s_or_b64 exec, exec, s[8:9]
	s_and_b64 s[4:5], s[4:5], exec
	s_or_saveexec_b64 s[6:7], s[6:7]
	v_mov_b32_e32 v12, s10
	s_xor_b64 exec, exec, s[6:7]
	s_cbranch_execnz .LBB2_22812
; %bb.58649:
	s_getpc_b64 s[14:15]
.Lpost_getpc32908:
	s_add_u32 s14, s14, (.LBB2_8474-.Lpost_getpc32908)&4294967295
	s_addc_u32 s15, s15, (.LBB2_8474-.Lpost_getpc32908)>>32
	s_setpc_b64 s[14:15]
.LBB2_22812:
	v_mov_b32_e32 v12, 0
	v_cmp_ne_u16_sdwa s[8:9], v6, v12 src0_sel:BYTE_3 src1_sel:DWORD
	s_andn2_b64 s[4:5], s[4:5], exec
	s_and_b64 s[8:9], s[8:9], exec
	s_or_b64 s[4:5], s[4:5], s[8:9]
	s_or_b64 exec, exec, s[6:7]
	s_and_saveexec_b64 s[6:7], s[4:5]
	s_cbranch_execz .LBB2_32909
; %bb.58651:
	s_getpc_b64 s[14:15]
.Lpost_getpc32909:
	s_add_u32 s14, s14, (.LBB2_8475-.Lpost_getpc32909)&4294967295
	s_addc_u32 s15, s15, (.LBB2_8475-.Lpost_getpc32909)>>32
	s_setpc_b64 s[14:15]
.LBB2_32909:
	s_getpc_b64 s[14:15]
.Lpost_getpc20038:
	s_add_u32 s14, s14, (.LBB2_8476-.Lpost_getpc20038)&4294967295
	s_addc_u32 s15, s15, (.LBB2_8476-.Lpost_getpc20038)>>32
	s_setpc_b64 s[14:15]
.LBB2_22813:
	s_movk_i32 s4, 0x80
	v_cmp_eq_u16_sdwa s[12:13], v2, s4 src0_sel:BYTE_3 src1_sel:DWORD
	s_mov_b64 s[4:5], -1
                                        ; implicit-def: $sgpr10
	s_and_saveexec_b64 s[8:9], s[12:13]
; %bb.22814:
	s_mov_b32 s10, 0x7f800001
	s_xor_b64 s[4:5], exec, -1
; %bb.22815:
	s_or_b64 exec, exec, s[8:9]
	s_and_b64 s[4:5], s[4:5], exec
	s_or_saveexec_b64 s[6:7], s[6:7]
	v_mov_b32_e32 v6, s10
	s_xor_b64 exec, exec, s[6:7]
	s_cbranch_execnz .LBB2_22816
; %bb.58653:
	s_getpc_b64 s[14:15]
.Lpost_getpc32910:
	s_add_u32 s14, s14, (.LBB2_8478-.Lpost_getpc32910)&4294967295
	s_addc_u32 s15, s15, (.LBB2_8478-.Lpost_getpc32910)>>32
	s_setpc_b64 s[14:15]
.LBB2_22816:
	v_mov_b32_e32 v6, 0
	v_cmp_ne_u16_sdwa s[8:9], v2, v6 src0_sel:BYTE_3 src1_sel:DWORD
	s_andn2_b64 s[4:5], s[4:5], exec
	s_and_b64 s[8:9], s[8:9], exec
	s_or_b64 s[4:5], s[4:5], s[8:9]
	s_or_b64 exec, exec, s[6:7]
	s_and_saveexec_b64 s[6:7], s[4:5]
	s_cbranch_execz .LBB2_32911
; %bb.58655:
	s_getpc_b64 s[14:15]
.Lpost_getpc32911:
	s_add_u32 s14, s14, (.LBB2_8479-.Lpost_getpc32911)&4294967295
	s_addc_u32 s15, s15, (.LBB2_8479-.Lpost_getpc32911)>>32
	s_setpc_b64 s[14:15]
.LBB2_32911:
	s_getpc_b64 s[14:15]
.Lpost_getpc20039:
	s_add_u32 s14, s14, (.LBB2_8480-.Lpost_getpc20039)&4294967295
	s_addc_u32 s15, s15, (.LBB2_8480-.Lpost_getpc20039)>>32
	s_setpc_b64 s[14:15]
.LBB2_22817:
	s_movk_i32 s4, 0x80
	v_cmp_eq_u16_sdwa s[12:13], v7, s4 src0_sel:BYTE_0 src1_sel:DWORD
	s_mov_b64 s[4:5], -1
                                        ; implicit-def: $sgpr10
	s_and_saveexec_b64 s[8:9], s[12:13]
; %bb.22818:
	s_mov_b32 s10, 0x7f800001
	s_xor_b64 s[4:5], exec, -1
; %bb.22819:
	s_or_b64 exec, exec, s[8:9]
	s_and_b64 s[4:5], s[4:5], exec
	s_or_saveexec_b64 s[6:7], s[6:7]
	v_mov_b32_e32 v2, s10
	s_xor_b64 exec, exec, s[6:7]
	s_cbranch_execnz .LBB2_22820
; %bb.58657:
	s_getpc_b64 s[14:15]
.Lpost_getpc32912:
	s_add_u32 s14, s14, (.LBB2_8482-.Lpost_getpc32912)&4294967295
	s_addc_u32 s15, s15, (.LBB2_8482-.Lpost_getpc32912)>>32
	s_setpc_b64 s[14:15]
.LBB2_22820:
	v_mov_b32_e32 v2, 0
	v_cmp_ne_u16_sdwa s[8:9], v7, v2 src0_sel:BYTE_0 src1_sel:DWORD
	s_andn2_b64 s[4:5], s[4:5], exec
	s_and_b64 s[8:9], s[8:9], exec
	s_or_b64 s[4:5], s[4:5], s[8:9]
	s_or_b64 exec, exec, s[6:7]
	s_and_saveexec_b64 s[6:7], s[4:5]
	s_cbranch_execz .LBB2_32913
; %bb.58659:
	s_getpc_b64 s[14:15]
.Lpost_getpc32913:
	s_add_u32 s14, s14, (.LBB2_8483-.Lpost_getpc32913)&4294967295
	s_addc_u32 s15, s15, (.LBB2_8483-.Lpost_getpc32913)>>32
	s_setpc_b64 s[14:15]
.LBB2_32913:
	s_getpc_b64 s[14:15]
.Lpost_getpc20040:
	s_add_u32 s14, s14, (.LBB2_8484-.Lpost_getpc20040)&4294967295
	s_addc_u32 s15, s15, (.LBB2_8484-.Lpost_getpc20040)>>32
	s_setpc_b64 s[14:15]
.LBB2_22821:
	s_movk_i32 s4, 0x80
	v_cmp_eq_u16_sdwa s[12:13], v3, s4 src0_sel:BYTE_0 src1_sel:DWORD
	s_mov_b64 s[4:5], -1
                                        ; implicit-def: $sgpr10
	s_and_saveexec_b64 s[8:9], s[12:13]
; %bb.22822:
	s_mov_b32 s10, 0x7f800001
	s_xor_b64 s[4:5], exec, -1
; %bb.22823:
	s_or_b64 exec, exec, s[8:9]
	s_and_b64 s[4:5], s[4:5], exec
	s_or_saveexec_b64 s[6:7], s[6:7]
	v_mov_b32_e32 v6, s10
	s_xor_b64 exec, exec, s[6:7]
	s_cbranch_execnz .LBB2_22824
; %bb.58661:
	s_getpc_b64 s[14:15]
.Lpost_getpc32914:
	s_add_u32 s14, s14, (.LBB2_8486-.Lpost_getpc32914)&4294967295
	s_addc_u32 s15, s15, (.LBB2_8486-.Lpost_getpc32914)>>32
	s_setpc_b64 s[14:15]
.LBB2_22824:
	v_mov_b32_e32 v6, 0
	v_cmp_ne_u16_sdwa s[8:9], v3, v6 src0_sel:BYTE_0 src1_sel:DWORD
	s_andn2_b64 s[4:5], s[4:5], exec
	s_and_b64 s[8:9], s[8:9], exec
	s_or_b64 s[4:5], s[4:5], s[8:9]
	s_or_b64 exec, exec, s[6:7]
	s_and_saveexec_b64 s[6:7], s[4:5]
	s_cbranch_execz .LBB2_32915
; %bb.58663:
	s_getpc_b64 s[14:15]
.Lpost_getpc32915:
	s_add_u32 s14, s14, (.LBB2_8487-.Lpost_getpc32915)&4294967295
	s_addc_u32 s15, s15, (.LBB2_8487-.Lpost_getpc32915)>>32
	s_setpc_b64 s[14:15]
.LBB2_32915:
	s_getpc_b64 s[14:15]
.Lpost_getpc20041:
	s_add_u32 s14, s14, (.LBB2_8488-.Lpost_getpc20041)&4294967295
	s_addc_u32 s15, s15, (.LBB2_8488-.Lpost_getpc20041)>>32
	s_setpc_b64 s[14:15]
.LBB2_22825:
	s_movk_i32 s4, 0x80
	v_cmp_eq_u16_sdwa s[12:13], v6, s4 src0_sel:BYTE_0 src1_sel:DWORD
	s_mov_b64 s[4:5], -1
                                        ; implicit-def: $sgpr10
	s_and_saveexec_b64 s[8:9], s[12:13]
; %bb.22826:
	s_mov_b32 s10, 0x7f800001
	s_xor_b64 s[4:5], exec, -1
; %bb.22827:
	s_or_b64 exec, exec, s[8:9]
	s_and_b64 s[4:5], s[4:5], exec
	s_or_saveexec_b64 s[6:7], s[6:7]
	v_mov_b32_e32 v2, s10
	s_xor_b64 exec, exec, s[6:7]
	s_cbranch_execnz .LBB2_22828
; %bb.58665:
	s_getpc_b64 s[14:15]
.Lpost_getpc32916:
	s_add_u32 s14, s14, (.LBB2_8490-.Lpost_getpc32916)&4294967295
	s_addc_u32 s15, s15, (.LBB2_8490-.Lpost_getpc32916)>>32
	s_setpc_b64 s[14:15]
.LBB2_22828:
	v_mov_b32_e32 v2, 0
	v_cmp_ne_u16_sdwa s[8:9], v6, v2 src0_sel:BYTE_0 src1_sel:DWORD
	s_andn2_b64 s[4:5], s[4:5], exec
	s_and_b64 s[8:9], s[8:9], exec
	s_or_b64 s[4:5], s[4:5], s[8:9]
	s_or_b64 exec, exec, s[6:7]
	s_and_saveexec_b64 s[6:7], s[4:5]
	s_cbranch_execz .LBB2_32917
; %bb.58667:
	s_getpc_b64 s[14:15]
.Lpost_getpc32917:
	s_add_u32 s14, s14, (.LBB2_8491-.Lpost_getpc32917)&4294967295
	s_addc_u32 s15, s15, (.LBB2_8491-.Lpost_getpc32917)>>32
	s_setpc_b64 s[14:15]
.LBB2_32917:
	s_getpc_b64 s[14:15]
.Lpost_getpc20042:
	s_add_u32 s14, s14, (.LBB2_8492-.Lpost_getpc20042)&4294967295
	s_addc_u32 s15, s15, (.LBB2_8492-.Lpost_getpc20042)>>32
	s_setpc_b64 s[14:15]
.LBB2_22829:
	s_movk_i32 s4, 0x80
	v_cmp_eq_u16_sdwa s[12:13], v6, s4 src0_sel:BYTE_0 src1_sel:DWORD
	s_mov_b64 s[4:5], -1
                                        ; implicit-def: $sgpr10
	s_and_saveexec_b64 s[8:9], s[12:13]
; %bb.22830:
	s_mov_b32 s10, 0x7f800001
	s_xor_b64 s[4:5], exec, -1
; %bb.22831:
	s_or_b64 exec, exec, s[8:9]
	s_and_b64 s[4:5], s[4:5], exec
	s_or_saveexec_b64 s[6:7], s[6:7]
	v_mov_b32_e32 v12, s10
	s_xor_b64 exec, exec, s[6:7]
	s_cbranch_execnz .LBB2_22832
; %bb.58669:
	s_getpc_b64 s[14:15]
.Lpost_getpc32918:
	s_add_u32 s14, s14, (.LBB2_8494-.Lpost_getpc32918)&4294967295
	s_addc_u32 s15, s15, (.LBB2_8494-.Lpost_getpc32918)>>32
	s_setpc_b64 s[14:15]
.LBB2_22832:
	v_mov_b32_e32 v12, 0
	v_cmp_ne_u16_sdwa s[8:9], v6, v12 src0_sel:BYTE_0 src1_sel:DWORD
	s_andn2_b64 s[4:5], s[4:5], exec
	s_and_b64 s[8:9], s[8:9], exec
	s_or_b64 s[4:5], s[4:5], s[8:9]
	s_or_b64 exec, exec, s[6:7]
	s_and_saveexec_b64 s[6:7], s[4:5]
	s_cbranch_execz .LBB2_32919
; %bb.58671:
	s_getpc_b64 s[14:15]
.Lpost_getpc32919:
	s_add_u32 s14, s14, (.LBB2_8495-.Lpost_getpc32919)&4294967295
	s_addc_u32 s15, s15, (.LBB2_8495-.Lpost_getpc32919)>>32
	s_setpc_b64 s[14:15]
.LBB2_32919:
	s_getpc_b64 s[14:15]
.Lpost_getpc20043:
	s_add_u32 s14, s14, (.LBB2_8496-.Lpost_getpc20043)&4294967295
	s_addc_u32 s15, s15, (.LBB2_8496-.Lpost_getpc20043)>>32
	s_setpc_b64 s[14:15]
.LBB2_22833:
	s_movk_i32 s4, 0x80
	v_cmp_eq_u16_e32 vcc, s4, v6
	s_mov_b64 s[4:5], -1
                                        ; implicit-def: $sgpr10
	s_and_saveexec_b64 s[8:9], vcc
; %bb.22834:
	s_mov_b32 s10, 0x7f800001
	s_xor_b64 s[4:5], exec, -1
; %bb.22835:
	s_or_b64 exec, exec, s[8:9]
	s_and_b64 s[4:5], s[4:5], exec
                                        ; implicit-def: $vgpr6
	s_or_saveexec_b64 s[6:7], s[6:7]
	v_mov_b32_e32 v2, s10
	s_xor_b64 exec, exec, s[6:7]
	s_cbranch_execnz .LBB2_22836
; %bb.58673:
	s_getpc_b64 s[14:15]
.Lpost_getpc32920:
	s_add_u32 s14, s14, (.LBB2_8498-.Lpost_getpc32920)&4294967295
	s_addc_u32 s15, s15, (.LBB2_8498-.Lpost_getpc32920)>>32
	s_setpc_b64 s[14:15]
.LBB2_22836:
	v_cmp_ne_u16_e32 vcc, 0, v6
	s_andn2_b64 s[4:5], s[4:5], exec
	s_and_b64 s[8:9], vcc, exec
	v_mov_b32_e32 v2, 0
	s_or_b64 s[4:5], s[4:5], s[8:9]
	s_or_b64 exec, exec, s[6:7]
	s_and_saveexec_b64 s[6:7], s[4:5]
	s_cbranch_execz .LBB2_32921
; %bb.58675:
	s_getpc_b64 s[14:15]
.Lpost_getpc32921:
	s_add_u32 s14, s14, (.LBB2_8499-.Lpost_getpc32921)&4294967295
	s_addc_u32 s15, s15, (.LBB2_8499-.Lpost_getpc32921)>>32
	s_setpc_b64 s[14:15]
.LBB2_32921:
	s_getpc_b64 s[14:15]
.Lpost_getpc20044:
	s_add_u32 s14, s14, (.LBB2_8500-.Lpost_getpc20044)&4294967295
	s_addc_u32 s15, s15, (.LBB2_8500-.Lpost_getpc20044)>>32
	s_setpc_b64 s[14:15]
.LBB2_22837:
	s_movk_i32 s4, 0x80
	v_cmp_eq_u16_e32 vcc, s4, v6
	s_mov_b64 s[4:5], -1
                                        ; implicit-def: $sgpr10
	s_and_saveexec_b64 s[8:9], vcc
; %bb.22838:
	s_mov_b32 s10, 0x7f800001
	s_xor_b64 s[4:5], exec, -1
; %bb.22839:
	s_or_b64 exec, exec, s[8:9]
	s_and_b64 s[4:5], s[4:5], exec
                                        ; implicit-def: $vgpr6
	s_or_saveexec_b64 s[6:7], s[6:7]
	v_mov_b32_e32 v12, s10
	s_xor_b64 exec, exec, s[6:7]
	s_cbranch_execnz .LBB2_22840
; %bb.58677:
	s_getpc_b64 s[14:15]
.Lpost_getpc32922:
	s_add_u32 s14, s14, (.LBB2_8502-.Lpost_getpc32922)&4294967295
	s_addc_u32 s15, s15, (.LBB2_8502-.Lpost_getpc32922)>>32
	s_setpc_b64 s[14:15]
.LBB2_22840:
	v_cmp_ne_u16_e32 vcc, 0, v6
	s_andn2_b64 s[4:5], s[4:5], exec
	s_and_b64 s[8:9], vcc, exec
	v_mov_b32_e32 v12, 0
	s_or_b64 s[4:5], s[4:5], s[8:9]
	s_or_b64 exec, exec, s[6:7]
	s_and_saveexec_b64 s[6:7], s[4:5]
	s_cbranch_execz .LBB2_32923
; %bb.58679:
	s_getpc_b64 s[14:15]
.Lpost_getpc32923:
	s_add_u32 s14, s14, (.LBB2_8503-.Lpost_getpc32923)&4294967295
	s_addc_u32 s15, s15, (.LBB2_8503-.Lpost_getpc32923)>>32
	s_setpc_b64 s[14:15]
.LBB2_32923:
	s_getpc_b64 s[14:15]
.Lpost_getpc20045:
	s_add_u32 s14, s14, (.LBB2_8504-.Lpost_getpc20045)&4294967295
	s_addc_u32 s15, s15, (.LBB2_8504-.Lpost_getpc20045)>>32
	s_setpc_b64 s[14:15]
.LBB2_22841:
	s_movk_i32 s4, 0x80
	v_cmp_eq_u16_sdwa s[12:13], v7, s4 src0_sel:BYTE_3 src1_sel:DWORD
	s_mov_b64 s[4:5], -1
                                        ; implicit-def: $sgpr10
	s_and_saveexec_b64 s[8:9], s[12:13]
; %bb.22842:
	s_mov_b32 s10, 0x7f800001
	s_xor_b64 s[4:5], exec, -1
; %bb.22843:
	s_or_b64 exec, exec, s[8:9]
	s_and_b64 s[4:5], s[4:5], exec
	s_or_saveexec_b64 s[6:7], s[6:7]
	v_mov_b32_e32 v2, s10
	s_xor_b64 exec, exec, s[6:7]
	s_cbranch_execnz .LBB2_22844
; %bb.58681:
	s_getpc_b64 s[14:15]
.Lpost_getpc32924:
	s_add_u32 s14, s14, (.LBB2_8506-.Lpost_getpc32924)&4294967295
	s_addc_u32 s15, s15, (.LBB2_8506-.Lpost_getpc32924)>>32
	s_setpc_b64 s[14:15]
.LBB2_22844:
	v_mov_b32_e32 v2, 0
	v_cmp_ne_u16_sdwa s[8:9], v7, v2 src0_sel:BYTE_3 src1_sel:DWORD
	s_andn2_b64 s[4:5], s[4:5], exec
	s_and_b64 s[8:9], s[8:9], exec
	s_or_b64 s[4:5], s[4:5], s[8:9]
	s_or_b64 exec, exec, s[6:7]
	s_and_saveexec_b64 s[6:7], s[4:5]
	s_cbranch_execz .LBB2_32925
; %bb.58683:
	s_getpc_b64 s[14:15]
.Lpost_getpc32925:
	s_add_u32 s14, s14, (.LBB2_8507-.Lpost_getpc32925)&4294967295
	s_addc_u32 s15, s15, (.LBB2_8507-.Lpost_getpc32925)>>32
	s_setpc_b64 s[14:15]
.LBB2_32925:
	s_getpc_b64 s[14:15]
.Lpost_getpc20046:
	s_add_u32 s14, s14, (.LBB2_8508-.Lpost_getpc20046)&4294967295
	s_addc_u32 s15, s15, (.LBB2_8508-.Lpost_getpc20046)>>32
	s_setpc_b64 s[14:15]
.LBB2_22845:
	s_movk_i32 s4, 0x80
	v_cmp_eq_u16_sdwa s[12:13], v3, s4 src0_sel:BYTE_3 src1_sel:DWORD
	s_mov_b64 s[4:5], -1
                                        ; implicit-def: $sgpr10
	s_and_saveexec_b64 s[8:9], s[12:13]
; %bb.22846:
	s_mov_b32 s10, 0x7f800001
	s_xor_b64 s[4:5], exec, -1
; %bb.22847:
	s_or_b64 exec, exec, s[8:9]
	s_and_b64 s[4:5], s[4:5], exec
	s_or_saveexec_b64 s[6:7], s[6:7]
	v_mov_b32_e32 v6, s10
	s_xor_b64 exec, exec, s[6:7]
	s_cbranch_execnz .LBB2_22848
; %bb.58685:
	s_getpc_b64 s[14:15]
.Lpost_getpc32926:
	s_add_u32 s14, s14, (.LBB2_8510-.Lpost_getpc32926)&4294967295
	s_addc_u32 s15, s15, (.LBB2_8510-.Lpost_getpc32926)>>32
	s_setpc_b64 s[14:15]
.LBB2_22848:
	v_mov_b32_e32 v6, 0
	v_cmp_ne_u16_sdwa s[8:9], v3, v6 src0_sel:BYTE_3 src1_sel:DWORD
	s_andn2_b64 s[4:5], s[4:5], exec
	s_and_b64 s[8:9], s[8:9], exec
	s_or_b64 s[4:5], s[4:5], s[8:9]
	s_or_b64 exec, exec, s[6:7]
	s_and_saveexec_b64 s[6:7], s[4:5]
	s_cbranch_execz .LBB2_32927
; %bb.58687:
	s_getpc_b64 s[14:15]
.Lpost_getpc32927:
	s_add_u32 s14, s14, (.LBB2_8511-.Lpost_getpc32927)&4294967295
	s_addc_u32 s15, s15, (.LBB2_8511-.Lpost_getpc32927)>>32
	s_setpc_b64 s[14:15]
.LBB2_32927:
	s_getpc_b64 s[14:15]
.Lpost_getpc20047:
	s_add_u32 s14, s14, (.LBB2_8512-.Lpost_getpc20047)&4294967295
	s_addc_u32 s15, s15, (.LBB2_8512-.Lpost_getpc20047)>>32
	s_setpc_b64 s[14:15]
.LBB2_22849:
	s_movk_i32 s4, 0x80
	v_cmp_eq_u16_sdwa s[12:13], v8, s4 src0_sel:BYTE_0 src1_sel:DWORD
	s_mov_b64 s[4:5], -1
                                        ; implicit-def: $sgpr10
	s_and_saveexec_b64 s[8:9], s[12:13]
; %bb.22850:
	s_mov_b32 s10, 0x7f800001
	s_xor_b64 s[4:5], exec, -1
; %bb.22851:
	s_or_b64 exec, exec, s[8:9]
	s_and_b64 s[4:5], s[4:5], exec
	s_or_saveexec_b64 s[6:7], s[6:7]
	v_mov_b32_e32 v2, s10
	s_xor_b64 exec, exec, s[6:7]
	s_cbranch_execnz .LBB2_22852
; %bb.58689:
	s_getpc_b64 s[14:15]
.Lpost_getpc32928:
	s_add_u32 s14, s14, (.LBB2_8514-.Lpost_getpc32928)&4294967295
	s_addc_u32 s15, s15, (.LBB2_8514-.Lpost_getpc32928)>>32
	s_setpc_b64 s[14:15]
.LBB2_22852:
	v_mov_b32_e32 v2, 0
	v_cmp_ne_u16_sdwa s[8:9], v8, v2 src0_sel:BYTE_0 src1_sel:DWORD
	s_andn2_b64 s[4:5], s[4:5], exec
	s_and_b64 s[8:9], s[8:9], exec
	s_or_b64 s[4:5], s[4:5], s[8:9]
	s_or_b64 exec, exec, s[6:7]
	s_and_saveexec_b64 s[6:7], s[4:5]
	s_cbranch_execz .LBB2_32929
; %bb.58691:
	s_getpc_b64 s[14:15]
.Lpost_getpc32929:
	s_add_u32 s14, s14, (.LBB2_8515-.Lpost_getpc32929)&4294967295
	s_addc_u32 s15, s15, (.LBB2_8515-.Lpost_getpc32929)>>32
	s_setpc_b64 s[14:15]
.LBB2_32929:
	s_getpc_b64 s[14:15]
.Lpost_getpc20048:
	s_add_u32 s14, s14, (.LBB2_8516-.Lpost_getpc20048)&4294967295
	s_addc_u32 s15, s15, (.LBB2_8516-.Lpost_getpc20048)>>32
	s_setpc_b64 s[14:15]
.LBB2_22853:
	s_movk_i32 s4, 0x80
	v_cmp_eq_u16_sdwa s[12:13], v4, s4 src0_sel:BYTE_0 src1_sel:DWORD
	s_mov_b64 s[4:5], -1
                                        ; implicit-def: $sgpr10
	s_and_saveexec_b64 s[8:9], s[12:13]
; %bb.22854:
	s_mov_b32 s10, 0x7f800001
	s_xor_b64 s[4:5], exec, -1
; %bb.22855:
	s_or_b64 exec, exec, s[8:9]
	s_and_b64 s[4:5], s[4:5], exec
	s_or_saveexec_b64 s[6:7], s[6:7]
	v_mov_b32_e32 v3, s10
	s_xor_b64 exec, exec, s[6:7]
	s_cbranch_execnz .LBB2_22856
; %bb.58693:
	s_getpc_b64 s[14:15]
.Lpost_getpc32930:
	s_add_u32 s14, s14, (.LBB2_8518-.Lpost_getpc32930)&4294967295
	s_addc_u32 s15, s15, (.LBB2_8518-.Lpost_getpc32930)>>32
	s_setpc_b64 s[14:15]
.LBB2_22856:
	v_mov_b32_e32 v3, 0
	v_cmp_ne_u16_sdwa s[8:9], v4, v3 src0_sel:BYTE_0 src1_sel:DWORD
	s_andn2_b64 s[4:5], s[4:5], exec
	s_and_b64 s[8:9], s[8:9], exec
	s_or_b64 s[4:5], s[4:5], s[8:9]
	s_or_b64 exec, exec, s[6:7]
	s_and_saveexec_b64 s[6:7], s[4:5]
	s_cbranch_execz .LBB2_32931
; %bb.58695:
	s_getpc_b64 s[14:15]
.Lpost_getpc32931:
	s_add_u32 s14, s14, (.LBB2_8519-.Lpost_getpc32931)&4294967295
	s_addc_u32 s15, s15, (.LBB2_8519-.Lpost_getpc32931)>>32
	s_setpc_b64 s[14:15]
.LBB2_32931:
	s_getpc_b64 s[14:15]
.Lpost_getpc20049:
	s_add_u32 s14, s14, (.LBB2_8520-.Lpost_getpc20049)&4294967295
	s_addc_u32 s15, s15, (.LBB2_8520-.Lpost_getpc20049)>>32
	s_setpc_b64 s[14:15]
.LBB2_22857:
	s_movk_i32 s4, 0x80
	v_cmp_eq_u16_sdwa s[12:13], v3, s4 src0_sel:BYTE_0 src1_sel:DWORD
	s_mov_b64 s[4:5], -1
                                        ; implicit-def: $sgpr10
	s_and_saveexec_b64 s[8:9], s[12:13]
; %bb.22858:
	s_mov_b32 s10, 0x7f800001
	s_xor_b64 s[4:5], exec, -1
; %bb.22859:
	s_or_b64 exec, exec, s[8:9]
	s_and_b64 s[4:5], s[4:5], exec
	s_or_saveexec_b64 s[6:7], s[6:7]
	v_mov_b32_e32 v2, s10
	s_xor_b64 exec, exec, s[6:7]
	s_cbranch_execnz .LBB2_22860
; %bb.58697:
	s_getpc_b64 s[14:15]
.Lpost_getpc32932:
	s_add_u32 s14, s14, (.LBB2_8522-.Lpost_getpc32932)&4294967295
	s_addc_u32 s15, s15, (.LBB2_8522-.Lpost_getpc32932)>>32
	s_setpc_b64 s[14:15]
.LBB2_22860:
	v_mov_b32_e32 v2, 0
	v_cmp_ne_u16_sdwa s[8:9], v3, v2 src0_sel:BYTE_0 src1_sel:DWORD
	s_andn2_b64 s[4:5], s[4:5], exec
	s_and_b64 s[8:9], s[8:9], exec
	s_or_b64 s[4:5], s[4:5], s[8:9]
	s_or_b64 exec, exec, s[6:7]
	s_and_saveexec_b64 s[6:7], s[4:5]
	s_cbranch_execz .LBB2_32933
; %bb.58699:
	s_getpc_b64 s[14:15]
.Lpost_getpc32933:
	s_add_u32 s14, s14, (.LBB2_8523-.Lpost_getpc32933)&4294967295
	s_addc_u32 s15, s15, (.LBB2_8523-.Lpost_getpc32933)>>32
	s_setpc_b64 s[14:15]
.LBB2_32933:
	s_getpc_b64 s[14:15]
.Lpost_getpc20050:
	s_add_u32 s14, s14, (.LBB2_8524-.Lpost_getpc20050)&4294967295
	s_addc_u32 s15, s15, (.LBB2_8524-.Lpost_getpc20050)>>32
	s_setpc_b64 s[14:15]
.LBB2_22861:
	s_movk_i32 s4, 0x80
	v_cmp_eq_u16_sdwa s[12:13], v3, s4 src0_sel:BYTE_0 src1_sel:DWORD
	s_mov_b64 s[4:5], -1
                                        ; implicit-def: $sgpr10
	s_and_saveexec_b64 s[8:9], s[12:13]
; %bb.22862:
	s_mov_b32 s10, 0x7f800001
	s_xor_b64 s[4:5], exec, -1
; %bb.22863:
	s_or_b64 exec, exec, s[8:9]
	s_and_b64 s[4:5], s[4:5], exec
	s_or_saveexec_b64 s[6:7], s[6:7]
	v_mov_b32_e32 v6, s10
	s_xor_b64 exec, exec, s[6:7]
	s_cbranch_execnz .LBB2_22864
; %bb.58701:
	s_getpc_b64 s[14:15]
.Lpost_getpc32934:
	s_add_u32 s14, s14, (.LBB2_8526-.Lpost_getpc32934)&4294967295
	s_addc_u32 s15, s15, (.LBB2_8526-.Lpost_getpc32934)>>32
	s_setpc_b64 s[14:15]
.LBB2_22864:
	v_mov_b32_e32 v6, 0
	v_cmp_ne_u16_sdwa s[8:9], v3, v6 src0_sel:BYTE_0 src1_sel:DWORD
	s_andn2_b64 s[4:5], s[4:5], exec
	s_and_b64 s[8:9], s[8:9], exec
	s_or_b64 s[4:5], s[4:5], s[8:9]
	s_or_b64 exec, exec, s[6:7]
	s_and_saveexec_b64 s[6:7], s[4:5]
	s_cbranch_execz .LBB2_32935
; %bb.58703:
	s_getpc_b64 s[14:15]
.Lpost_getpc32935:
	s_add_u32 s14, s14, (.LBB2_8527-.Lpost_getpc32935)&4294967295
	s_addc_u32 s15, s15, (.LBB2_8527-.Lpost_getpc32935)>>32
	s_setpc_b64 s[14:15]
.LBB2_32935:
	s_getpc_b64 s[14:15]
.Lpost_getpc20051:
	s_add_u32 s14, s14, (.LBB2_8528-.Lpost_getpc20051)&4294967295
	s_addc_u32 s15, s15, (.LBB2_8528-.Lpost_getpc20051)>>32
	s_setpc_b64 s[14:15]
.LBB2_22865:
	s_movk_i32 s4, 0x80
	v_cmp_eq_u16_e32 vcc, s4, v3
	s_mov_b64 s[4:5], -1
                                        ; implicit-def: $sgpr10
	s_and_saveexec_b64 s[8:9], vcc
; %bb.22866:
	s_mov_b32 s10, 0x7f800001
	s_xor_b64 s[4:5], exec, -1
; %bb.22867:
	s_or_b64 exec, exec, s[8:9]
	s_and_b64 s[4:5], s[4:5], exec
                                        ; implicit-def: $vgpr3
	s_or_saveexec_b64 s[6:7], s[6:7]
	v_mov_b32_e32 v2, s10
	s_xor_b64 exec, exec, s[6:7]
	s_cbranch_execnz .LBB2_22868
; %bb.58705:
	s_getpc_b64 s[14:15]
.Lpost_getpc32936:
	s_add_u32 s14, s14, (.LBB2_8530-.Lpost_getpc32936)&4294967295
	s_addc_u32 s15, s15, (.LBB2_8530-.Lpost_getpc32936)>>32
	s_setpc_b64 s[14:15]
.LBB2_22868:
	v_cmp_ne_u16_e32 vcc, 0, v3
	s_andn2_b64 s[4:5], s[4:5], exec
	s_and_b64 s[8:9], vcc, exec
	v_mov_b32_e32 v2, 0
	s_or_b64 s[4:5], s[4:5], s[8:9]
	s_or_b64 exec, exec, s[6:7]
	s_and_saveexec_b64 s[6:7], s[4:5]
	s_cbranch_execz .LBB2_32937
; %bb.58707:
	s_getpc_b64 s[14:15]
.Lpost_getpc32937:
	s_add_u32 s14, s14, (.LBB2_8531-.Lpost_getpc32937)&4294967295
	s_addc_u32 s15, s15, (.LBB2_8531-.Lpost_getpc32937)>>32
	s_setpc_b64 s[14:15]
.LBB2_32937:
	s_getpc_b64 s[14:15]
.Lpost_getpc20052:
	s_add_u32 s14, s14, (.LBB2_8532-.Lpost_getpc20052)&4294967295
	s_addc_u32 s15, s15, (.LBB2_8532-.Lpost_getpc20052)>>32
	s_setpc_b64 s[14:15]
.LBB2_22869:
	s_movk_i32 s4, 0x80
	v_cmp_eq_u16_e32 vcc, s4, v3
	s_mov_b64 s[4:5], -1
                                        ; implicit-def: $sgpr10
	s_and_saveexec_b64 s[8:9], vcc
; %bb.22870:
	s_mov_b32 s10, 0x7f800001
	s_xor_b64 s[4:5], exec, -1
; %bb.22871:
	s_or_b64 exec, exec, s[8:9]
	s_and_b64 s[4:5], s[4:5], exec
                                        ; implicit-def: $vgpr3
	s_or_saveexec_b64 s[6:7], s[6:7]
	v_mov_b32_e32 v6, s10
	s_xor_b64 exec, exec, s[6:7]
	s_cbranch_execnz .LBB2_22872
; %bb.58709:
	s_getpc_b64 s[14:15]
.Lpost_getpc32938:
	s_add_u32 s14, s14, (.LBB2_8534-.Lpost_getpc32938)&4294967295
	s_addc_u32 s15, s15, (.LBB2_8534-.Lpost_getpc32938)>>32
	s_setpc_b64 s[14:15]
.LBB2_22872:
	v_cmp_ne_u16_e32 vcc, 0, v3
	s_andn2_b64 s[4:5], s[4:5], exec
	s_and_b64 s[8:9], vcc, exec
	v_mov_b32_e32 v6, 0
	s_or_b64 s[4:5], s[4:5], s[8:9]
	s_or_b64 exec, exec, s[6:7]
	s_and_saveexec_b64 s[6:7], s[4:5]
	s_cbranch_execz .LBB2_32939
; %bb.58711:
	s_getpc_b64 s[14:15]
.Lpost_getpc32939:
	s_add_u32 s14, s14, (.LBB2_8535-.Lpost_getpc32939)&4294967295
	s_addc_u32 s15, s15, (.LBB2_8535-.Lpost_getpc32939)>>32
	s_setpc_b64 s[14:15]
.LBB2_32939:
	s_getpc_b64 s[14:15]
.Lpost_getpc20053:
	s_add_u32 s14, s14, (.LBB2_8536-.Lpost_getpc20053)&4294967295
	s_addc_u32 s15, s15, (.LBB2_8536-.Lpost_getpc20053)>>32
	s_setpc_b64 s[14:15]
.LBB2_22873:
	s_movk_i32 s4, 0x80
	v_cmp_eq_u16_sdwa s[12:13], v8, s4 src0_sel:BYTE_3 src1_sel:DWORD
	s_mov_b64 s[4:5], -1
                                        ; implicit-def: $sgpr10
	s_and_saveexec_b64 s[8:9], s[12:13]
; %bb.22874:
	s_mov_b32 s10, 0x7f800001
	s_xor_b64 s[4:5], exec, -1
; %bb.22875:
	s_or_b64 exec, exec, s[8:9]
	s_and_b64 s[4:5], s[4:5], exec
	s_or_saveexec_b64 s[6:7], s[6:7]
	v_mov_b32_e32 v2, s10
	s_xor_b64 exec, exec, s[6:7]
	s_cbranch_execnz .LBB2_22876
; %bb.58713:
	s_getpc_b64 s[14:15]
.Lpost_getpc32940:
	s_add_u32 s14, s14, (.LBB2_8538-.Lpost_getpc32940)&4294967295
	s_addc_u32 s15, s15, (.LBB2_8538-.Lpost_getpc32940)>>32
	s_setpc_b64 s[14:15]
.LBB2_22876:
	v_mov_b32_e32 v2, 0
	v_cmp_ne_u16_sdwa s[8:9], v8, v2 src0_sel:BYTE_3 src1_sel:DWORD
	s_andn2_b64 s[4:5], s[4:5], exec
	s_and_b64 s[8:9], s[8:9], exec
	s_or_b64 s[4:5], s[4:5], s[8:9]
	s_or_b64 exec, exec, s[6:7]
	s_and_saveexec_b64 s[6:7], s[4:5]
	s_cbranch_execz .LBB2_32941
; %bb.58715:
	s_getpc_b64 s[14:15]
.Lpost_getpc32941:
	s_add_u32 s14, s14, (.LBB2_8539-.Lpost_getpc32941)&4294967295
	s_addc_u32 s15, s15, (.LBB2_8539-.Lpost_getpc32941)>>32
	s_setpc_b64 s[14:15]
.LBB2_32941:
	s_getpc_b64 s[14:15]
.Lpost_getpc20054:
	s_add_u32 s14, s14, (.LBB2_8540-.Lpost_getpc20054)&4294967295
	s_addc_u32 s15, s15, (.LBB2_8540-.Lpost_getpc20054)>>32
	s_setpc_b64 s[14:15]
.LBB2_22877:
	s_movk_i32 s4, 0x80
	v_cmp_eq_u16_sdwa s[12:13], v4, s4 src0_sel:BYTE_3 src1_sel:DWORD
	s_mov_b64 s[4:5], -1
                                        ; implicit-def: $sgpr10
	s_and_saveexec_b64 s[8:9], s[12:13]
; %bb.22878:
	s_mov_b32 s10, 0x7f800001
	s_xor_b64 s[4:5], exec, -1
; %bb.22879:
	s_or_b64 exec, exec, s[8:9]
	s_and_b64 s[4:5], s[4:5], exec
	s_or_saveexec_b64 s[6:7], s[6:7]
	v_mov_b32_e32 v3, s10
	s_xor_b64 exec, exec, s[6:7]
	s_cbranch_execnz .LBB2_22880
; %bb.58717:
	s_getpc_b64 s[14:15]
.Lpost_getpc32942:
	s_add_u32 s14, s14, (.LBB2_8542-.Lpost_getpc32942)&4294967295
	s_addc_u32 s15, s15, (.LBB2_8542-.Lpost_getpc32942)>>32
	s_setpc_b64 s[14:15]
.LBB2_22880:
	v_mov_b32_e32 v3, 0
	v_cmp_ne_u16_sdwa s[8:9], v4, v3 src0_sel:BYTE_3 src1_sel:DWORD
	s_andn2_b64 s[4:5], s[4:5], exec
	s_and_b64 s[8:9], s[8:9], exec
	s_or_b64 s[4:5], s[4:5], s[8:9]
	s_or_b64 exec, exec, s[6:7]
	s_and_saveexec_b64 s[6:7], s[4:5]
	s_cbranch_execz .LBB2_32943
; %bb.58719:
	s_getpc_b64 s[14:15]
.Lpost_getpc32943:
	s_add_u32 s14, s14, (.LBB2_8543-.Lpost_getpc32943)&4294967295
	s_addc_u32 s15, s15, (.LBB2_8543-.Lpost_getpc32943)>>32
	s_setpc_b64 s[14:15]
.LBB2_32943:
	s_getpc_b64 s[14:15]
.Lpost_getpc20055:
	s_add_u32 s14, s14, (.LBB2_8544-.Lpost_getpc20055)&4294967295
	s_addc_u32 s15, s15, (.LBB2_8544-.Lpost_getpc20055)>>32
	s_setpc_b64 s[14:15]
.LBB2_22881:
	s_movk_i32 s4, 0x80
	v_cmp_eq_u16_sdwa s[12:13], v9, s4 src0_sel:BYTE_0 src1_sel:DWORD
	s_mov_b64 s[4:5], -1
                                        ; implicit-def: $sgpr10
	s_and_saveexec_b64 s[8:9], s[12:13]
; %bb.22882:
	s_mov_b32 s10, 0x7f800001
	s_xor_b64 s[4:5], exec, -1
; %bb.22883:
	s_or_b64 exec, exec, s[8:9]
	s_and_b64 s[4:5], s[4:5], exec
	s_or_saveexec_b64 s[6:7], s[6:7]
	v_mov_b32_e32 v2, s10
	s_xor_b64 exec, exec, s[6:7]
	s_cbranch_execnz .LBB2_22884
; %bb.58721:
	s_getpc_b64 s[14:15]
.Lpost_getpc32944:
	s_add_u32 s14, s14, (.LBB2_8546-.Lpost_getpc32944)&4294967295
	s_addc_u32 s15, s15, (.LBB2_8546-.Lpost_getpc32944)>>32
	s_setpc_b64 s[14:15]
.LBB2_22884:
	v_mov_b32_e32 v2, 0
	v_cmp_ne_u16_sdwa s[8:9], v9, v2 src0_sel:BYTE_0 src1_sel:DWORD
	s_andn2_b64 s[4:5], s[4:5], exec
	s_and_b64 s[8:9], s[8:9], exec
	s_or_b64 s[4:5], s[4:5], s[8:9]
	s_or_b64 exec, exec, s[6:7]
	s_and_saveexec_b64 s[6:7], s[4:5]
	s_cbranch_execz .LBB2_32945
; %bb.58723:
	s_getpc_b64 s[14:15]
.Lpost_getpc32945:
	s_add_u32 s14, s14, (.LBB2_8547-.Lpost_getpc32945)&4294967295
	s_addc_u32 s15, s15, (.LBB2_8547-.Lpost_getpc32945)>>32
	s_setpc_b64 s[14:15]
.LBB2_32945:
	s_getpc_b64 s[14:15]
.Lpost_getpc20056:
	s_add_u32 s14, s14, (.LBB2_8548-.Lpost_getpc20056)&4294967295
	s_addc_u32 s15, s15, (.LBB2_8548-.Lpost_getpc20056)>>32
	s_setpc_b64 s[14:15]
.LBB2_22885:
	s_movk_i32 s4, 0x80
	v_cmp_eq_u16_sdwa s[12:13], v5, s4 src0_sel:BYTE_0 src1_sel:DWORD
	s_mov_b64 s[4:5], -1
                                        ; implicit-def: $sgpr10
	s_and_saveexec_b64 s[8:9], s[12:13]
; %bb.22886:
	s_mov_b32 s10, 0x7f800001
	s_xor_b64 s[4:5], exec, -1
; %bb.22887:
	s_or_b64 exec, exec, s[8:9]
	s_and_b64 s[4:5], s[4:5], exec
	s_or_saveexec_b64 s[6:7], s[6:7]
	v_mov_b32_e32 v3, s10
	s_xor_b64 exec, exec, s[6:7]
	s_cbranch_execnz .LBB2_22888
; %bb.58725:
	s_getpc_b64 s[14:15]
.Lpost_getpc32946:
	s_add_u32 s14, s14, (.LBB2_8550-.Lpost_getpc32946)&4294967295
	s_addc_u32 s15, s15, (.LBB2_8550-.Lpost_getpc32946)>>32
	s_setpc_b64 s[14:15]
.LBB2_22888:
	v_mov_b32_e32 v3, 0
	v_cmp_ne_u16_sdwa s[8:9], v5, v3 src0_sel:BYTE_0 src1_sel:DWORD
	s_andn2_b64 s[4:5], s[4:5], exec
	s_and_b64 s[8:9], s[8:9], exec
	s_or_b64 s[4:5], s[4:5], s[8:9]
	s_or_b64 exec, exec, s[6:7]
	s_and_saveexec_b64 s[6:7], s[4:5]
	s_cbranch_execz .LBB2_32947
; %bb.58727:
	s_getpc_b64 s[14:15]
.Lpost_getpc32947:
	s_add_u32 s14, s14, (.LBB2_8551-.Lpost_getpc32947)&4294967295
	s_addc_u32 s15, s15, (.LBB2_8551-.Lpost_getpc32947)>>32
	s_setpc_b64 s[14:15]
.LBB2_32947:
	s_getpc_b64 s[14:15]
.Lpost_getpc20057:
	s_add_u32 s14, s14, (.LBB2_8552-.Lpost_getpc20057)&4294967295
	s_addc_u32 s15, s15, (.LBB2_8552-.Lpost_getpc20057)>>32
	s_setpc_b64 s[14:15]
.LBB2_22889:
	s_movk_i32 s4, 0x80
	v_cmp_eq_u16_sdwa s[12:13], v3, s4 src0_sel:BYTE_0 src1_sel:DWORD
	s_mov_b64 s[4:5], -1
                                        ; implicit-def: $sgpr10
	s_and_saveexec_b64 s[8:9], s[12:13]
; %bb.22890:
	s_mov_b32 s10, 0x7f800001
	s_xor_b64 s[4:5], exec, -1
; %bb.22891:
	s_or_b64 exec, exec, s[8:9]
	s_and_b64 s[4:5], s[4:5], exec
	s_or_saveexec_b64 s[6:7], s[6:7]
	v_mov_b32_e32 v2, s10
	s_xor_b64 exec, exec, s[6:7]
	s_cbranch_execnz .LBB2_22892
; %bb.58729:
	s_getpc_b64 s[14:15]
.Lpost_getpc32948:
	s_add_u32 s14, s14, (.LBB2_8554-.Lpost_getpc32948)&4294967295
	s_addc_u32 s15, s15, (.LBB2_8554-.Lpost_getpc32948)>>32
	s_setpc_b64 s[14:15]
.LBB2_22892:
	v_mov_b32_e32 v2, 0
	v_cmp_ne_u16_sdwa s[8:9], v3, v2 src0_sel:BYTE_0 src1_sel:DWORD
	s_andn2_b64 s[4:5], s[4:5], exec
	s_and_b64 s[8:9], s[8:9], exec
	s_or_b64 s[4:5], s[4:5], s[8:9]
	s_or_b64 exec, exec, s[6:7]
	s_and_saveexec_b64 s[6:7], s[4:5]
	s_cbranch_execz .LBB2_32949
; %bb.58731:
	s_getpc_b64 s[14:15]
.Lpost_getpc32949:
	s_add_u32 s14, s14, (.LBB2_8555-.Lpost_getpc32949)&4294967295
	s_addc_u32 s15, s15, (.LBB2_8555-.Lpost_getpc32949)>>32
	s_setpc_b64 s[14:15]
.LBB2_32949:
	s_getpc_b64 s[14:15]
.Lpost_getpc20058:
	s_add_u32 s14, s14, (.LBB2_8556-.Lpost_getpc20058)&4294967295
	s_addc_u32 s15, s15, (.LBB2_8556-.Lpost_getpc20058)>>32
	s_setpc_b64 s[14:15]
.LBB2_22893:
	s_movk_i32 s4, 0x80
	v_cmp_eq_u16_sdwa s[12:13], v3, s4 src0_sel:BYTE_0 src1_sel:DWORD
	s_mov_b64 s[4:5], -1
                                        ; implicit-def: $sgpr10
	s_and_saveexec_b64 s[8:9], s[12:13]
; %bb.22894:
	s_mov_b32 s10, 0x7f800001
	s_xor_b64 s[4:5], exec, -1
; %bb.22895:
	s_or_b64 exec, exec, s[8:9]
	s_and_b64 s[4:5], s[4:5], exec
	s_or_saveexec_b64 s[6:7], s[6:7]
	v_mov_b32_e32 v4, s10
	s_xor_b64 exec, exec, s[6:7]
	s_cbranch_execnz .LBB2_22896
; %bb.58733:
	s_getpc_b64 s[14:15]
.Lpost_getpc32950:
	s_add_u32 s14, s14, (.LBB2_8558-.Lpost_getpc32950)&4294967295
	s_addc_u32 s15, s15, (.LBB2_8558-.Lpost_getpc32950)>>32
	s_setpc_b64 s[14:15]
.LBB2_22896:
	v_mov_b32_e32 v4, 0
	v_cmp_ne_u16_sdwa s[8:9], v3, v4 src0_sel:BYTE_0 src1_sel:DWORD
	s_andn2_b64 s[4:5], s[4:5], exec
	s_and_b64 s[8:9], s[8:9], exec
	s_or_b64 s[4:5], s[4:5], s[8:9]
	s_or_b64 exec, exec, s[6:7]
	s_and_saveexec_b64 s[6:7], s[4:5]
	s_cbranch_execz .LBB2_32951
; %bb.58735:
	s_getpc_b64 s[14:15]
.Lpost_getpc32951:
	s_add_u32 s14, s14, (.LBB2_8559-.Lpost_getpc32951)&4294967295
	s_addc_u32 s15, s15, (.LBB2_8559-.Lpost_getpc32951)>>32
	s_setpc_b64 s[14:15]
.LBB2_32951:
	s_getpc_b64 s[14:15]
.Lpost_getpc20059:
	s_add_u32 s14, s14, (.LBB2_8560-.Lpost_getpc20059)&4294967295
	s_addc_u32 s15, s15, (.LBB2_8560-.Lpost_getpc20059)>>32
	s_setpc_b64 s[14:15]
.LBB2_22897:
	s_movk_i32 s4, 0x80
	v_cmp_eq_u16_e32 vcc, s4, v3
	s_mov_b64 s[4:5], -1
                                        ; implicit-def: $sgpr10
	s_and_saveexec_b64 s[8:9], vcc
; %bb.22898:
	s_mov_b32 s10, 0x7f800001
	s_xor_b64 s[4:5], exec, -1
; %bb.22899:
	s_or_b64 exec, exec, s[8:9]
	s_and_b64 s[4:5], s[4:5], exec
                                        ; implicit-def: $vgpr3
	s_or_saveexec_b64 s[6:7], s[6:7]
	v_mov_b32_e32 v2, s10
	s_xor_b64 exec, exec, s[6:7]
	s_cbranch_execnz .LBB2_22900
; %bb.58737:
	s_getpc_b64 s[14:15]
.Lpost_getpc32952:
	s_add_u32 s14, s14, (.LBB2_8562-.Lpost_getpc32952)&4294967295
	s_addc_u32 s15, s15, (.LBB2_8562-.Lpost_getpc32952)>>32
	s_setpc_b64 s[14:15]
.LBB2_22900:
	v_cmp_ne_u16_e32 vcc, 0, v3
	s_andn2_b64 s[4:5], s[4:5], exec
	s_and_b64 s[8:9], vcc, exec
	v_mov_b32_e32 v2, 0
	s_or_b64 s[4:5], s[4:5], s[8:9]
	s_or_b64 exec, exec, s[6:7]
	s_and_saveexec_b64 s[6:7], s[4:5]
	s_cbranch_execz .LBB2_32953
; %bb.58739:
	s_getpc_b64 s[14:15]
.Lpost_getpc32953:
	s_add_u32 s14, s14, (.LBB2_8563-.Lpost_getpc32953)&4294967295
	s_addc_u32 s15, s15, (.LBB2_8563-.Lpost_getpc32953)>>32
	s_setpc_b64 s[14:15]
.LBB2_32953:
	s_getpc_b64 s[14:15]
.Lpost_getpc20060:
	s_add_u32 s14, s14, (.LBB2_8564-.Lpost_getpc20060)&4294967295
	s_addc_u32 s15, s15, (.LBB2_8564-.Lpost_getpc20060)>>32
	s_setpc_b64 s[14:15]
.LBB2_22901:
	s_movk_i32 s4, 0x80
	v_cmp_eq_u16_e32 vcc, s4, v3
	s_mov_b64 s[4:5], -1
                                        ; implicit-def: $sgpr10
	s_and_saveexec_b64 s[8:9], vcc
; %bb.22902:
	s_mov_b32 s10, 0x7f800001
	s_xor_b64 s[4:5], exec, -1
; %bb.22903:
	s_or_b64 exec, exec, s[8:9]
	s_and_b64 s[4:5], s[4:5], exec
                                        ; implicit-def: $vgpr3
	s_or_saveexec_b64 s[6:7], s[6:7]
	v_mov_b32_e32 v4, s10
	s_xor_b64 exec, exec, s[6:7]
	s_cbranch_execnz .LBB2_22904
; %bb.58741:
	s_getpc_b64 s[14:15]
.Lpost_getpc32954:
	s_add_u32 s14, s14, (.LBB2_8566-.Lpost_getpc32954)&4294967295
	s_addc_u32 s15, s15, (.LBB2_8566-.Lpost_getpc32954)>>32
	s_setpc_b64 s[14:15]
.LBB2_22904:
	v_cmp_ne_u16_e32 vcc, 0, v3
	s_andn2_b64 s[4:5], s[4:5], exec
	s_and_b64 s[8:9], vcc, exec
	v_mov_b32_e32 v4, 0
	s_or_b64 s[4:5], s[4:5], s[8:9]
	s_or_b64 exec, exec, s[6:7]
	s_and_saveexec_b64 s[6:7], s[4:5]
	s_cbranch_execz .LBB2_32955
; %bb.58743:
	s_getpc_b64 s[14:15]
.Lpost_getpc32955:
	s_add_u32 s14, s14, (.LBB2_8567-.Lpost_getpc32955)&4294967295
	s_addc_u32 s15, s15, (.LBB2_8567-.Lpost_getpc32955)>>32
	s_setpc_b64 s[14:15]
.LBB2_32955:
	s_getpc_b64 s[14:15]
.Lpost_getpc20061:
	s_add_u32 s14, s14, (.LBB2_8568-.Lpost_getpc20061)&4294967295
	s_addc_u32 s15, s15, (.LBB2_8568-.Lpost_getpc20061)>>32
	s_setpc_b64 s[14:15]
.LBB2_22905:
	s_movk_i32 s4, 0x80
	v_cmp_eq_u16_sdwa s[12:13], v9, s4 src0_sel:BYTE_3 src1_sel:DWORD
	s_mov_b64 s[4:5], -1
                                        ; implicit-def: $sgpr10
	s_and_saveexec_b64 s[8:9], s[12:13]
; %bb.22906:
	s_mov_b32 s10, 0x7f800001
	s_xor_b64 s[4:5], exec, -1
; %bb.22907:
	s_or_b64 exec, exec, s[8:9]
	s_and_b64 s[4:5], s[4:5], exec
	s_or_saveexec_b64 s[6:7], s[6:7]
	v_mov_b32_e32 v2, s10
	s_xor_b64 exec, exec, s[6:7]
	s_cbranch_execnz .LBB2_22908
; %bb.58745:
	s_getpc_b64 s[14:15]
.Lpost_getpc32956:
	s_add_u32 s14, s14, (.LBB2_8570-.Lpost_getpc32956)&4294967295
	s_addc_u32 s15, s15, (.LBB2_8570-.Lpost_getpc32956)>>32
	s_setpc_b64 s[14:15]
.LBB2_22908:
	v_mov_b32_e32 v2, 0
	v_cmp_ne_u16_sdwa s[8:9], v9, v2 src0_sel:BYTE_3 src1_sel:DWORD
	s_andn2_b64 s[4:5], s[4:5], exec
	s_and_b64 s[8:9], s[8:9], exec
	s_or_b64 s[4:5], s[4:5], s[8:9]
	s_or_b64 exec, exec, s[6:7]
	s_and_saveexec_b64 s[6:7], s[4:5]
	s_cbranch_execz .LBB2_32957
; %bb.58747:
	s_getpc_b64 s[14:15]
.Lpost_getpc32957:
	s_add_u32 s14, s14, (.LBB2_8571-.Lpost_getpc32957)&4294967295
	s_addc_u32 s15, s15, (.LBB2_8571-.Lpost_getpc32957)>>32
	s_setpc_b64 s[14:15]
.LBB2_32957:
	s_getpc_b64 s[14:15]
.Lpost_getpc20062:
	s_add_u32 s14, s14, (.LBB2_8572-.Lpost_getpc20062)&4294967295
	s_addc_u32 s15, s15, (.LBB2_8572-.Lpost_getpc20062)>>32
	s_setpc_b64 s[14:15]
.LBB2_22909:
	s_movk_i32 s4, 0x80
	v_cmp_eq_u16_sdwa s[12:13], v5, s4 src0_sel:BYTE_3 src1_sel:DWORD
	s_mov_b64 s[4:5], -1
                                        ; implicit-def: $sgpr10
	s_and_saveexec_b64 s[8:9], s[12:13]
; %bb.22910:
	s_mov_b32 s10, 0x7f800001
	s_xor_b64 s[4:5], exec, -1
; %bb.22911:
	s_or_b64 exec, exec, s[8:9]
	s_and_b64 s[4:5], s[4:5], exec
	s_or_saveexec_b64 s[6:7], s[6:7]
	v_mov_b32_e32 v3, s10
	s_xor_b64 exec, exec, s[6:7]
	s_cbranch_execnz .LBB2_22912
; %bb.58749:
	s_getpc_b64 s[14:15]
.Lpost_getpc32958:
	s_add_u32 s14, s14, (.LBB2_8574-.Lpost_getpc32958)&4294967295
	s_addc_u32 s15, s15, (.LBB2_8574-.Lpost_getpc32958)>>32
	s_setpc_b64 s[14:15]
.LBB2_22912:
	v_mov_b32_e32 v3, 0
	v_cmp_ne_u16_sdwa s[8:9], v5, v3 src0_sel:BYTE_3 src1_sel:DWORD
	s_andn2_b64 s[4:5], s[4:5], exec
	s_and_b64 s[8:9], s[8:9], exec
	s_or_b64 s[4:5], s[4:5], s[8:9]
	s_or_b64 exec, exec, s[6:7]
	s_and_saveexec_b64 s[6:7], s[4:5]
	s_cbranch_execz .LBB2_32959
; %bb.58751:
	s_getpc_b64 s[14:15]
.Lpost_getpc32959:
	s_add_u32 s14, s14, (.LBB2_8575-.Lpost_getpc32959)&4294967295
	s_addc_u32 s15, s15, (.LBB2_8575-.Lpost_getpc32959)>>32
	s_setpc_b64 s[14:15]
.LBB2_32959:
	s_getpc_b64 s[14:15]
.Lpost_getpc20063:
	s_add_u32 s14, s14, (.LBB2_8576-.Lpost_getpc20063)&4294967295
	s_addc_u32 s15, s15, (.LBB2_8576-.Lpost_getpc20063)>>32
	s_setpc_b64 s[14:15]
.LBB2_22913:
	s_movk_i32 s4, 0x80
	v_cmp_eq_u16_sdwa s[12:13], v6, s4 src0_sel:BYTE_0 src1_sel:DWORD
	s_mov_b64 s[4:5], -1
                                        ; implicit-def: $sgpr10
	s_and_saveexec_b64 s[8:9], s[12:13]
; %bb.22914:
	s_mov_b32 s10, 0x7f800001
	s_xor_b64 s[4:5], exec, -1
; %bb.22915:
	s_or_b64 exec, exec, s[8:9]
	s_and_b64 s[4:5], s[4:5], exec
	s_or_saveexec_b64 s[6:7], s[6:7]
	v_mov_b32_e32 v12, s10
	s_xor_b64 exec, exec, s[6:7]
	s_cbranch_execnz .LBB2_22916
; %bb.58753:
	s_getpc_b64 s[14:15]
.Lpost_getpc32960:
	s_add_u32 s14, s14, (.LBB2_8578-.Lpost_getpc32960)&4294967295
	s_addc_u32 s15, s15, (.LBB2_8578-.Lpost_getpc32960)>>32
	s_setpc_b64 s[14:15]
.LBB2_22916:
	v_mov_b32_e32 v12, 0
	v_cmp_ne_u16_sdwa s[8:9], v6, v12 src0_sel:BYTE_0 src1_sel:DWORD
	s_andn2_b64 s[4:5], s[4:5], exec
	s_and_b64 s[8:9], s[8:9], exec
	s_or_b64 s[4:5], s[4:5], s[8:9]
	s_or_b64 exec, exec, s[6:7]
	s_and_saveexec_b64 s[6:7], s[4:5]
	s_cbranch_execz .LBB2_32961
; %bb.58755:
	s_getpc_b64 s[14:15]
.Lpost_getpc32961:
	s_add_u32 s14, s14, (.LBB2_8579-.Lpost_getpc32961)&4294967295
	s_addc_u32 s15, s15, (.LBB2_8579-.Lpost_getpc32961)>>32
	s_setpc_b64 s[14:15]
.LBB2_32961:
	s_getpc_b64 s[14:15]
.Lpost_getpc20064:
	s_add_u32 s14, s14, (.LBB2_8580-.Lpost_getpc20064)&4294967295
	s_addc_u32 s15, s15, (.LBB2_8580-.Lpost_getpc20064)>>32
	s_setpc_b64 s[14:15]
.LBB2_22917:
	s_movk_i32 s4, 0x80
	v_cmp_eq_u16_sdwa s[12:13], v2, s4 src0_sel:BYTE_0 src1_sel:DWORD
	s_mov_b64 s[4:5], -1
                                        ; implicit-def: $sgpr10
	s_and_saveexec_b64 s[8:9], s[12:13]
; %bb.22918:
	s_mov_b32 s10, 0x7f800001
	s_xor_b64 s[4:5], exec, -1
; %bb.22919:
	s_or_b64 exec, exec, s[8:9]
	s_and_b64 s[4:5], s[4:5], exec
	s_or_saveexec_b64 s[6:7], s[6:7]
	v_mov_b32_e32 v13, s10
	s_xor_b64 exec, exec, s[6:7]
	s_cbranch_execnz .LBB2_22920
; %bb.58757:
	s_getpc_b64 s[14:15]
.Lpost_getpc32962:
	s_add_u32 s14, s14, (.LBB2_8582-.Lpost_getpc32962)&4294967295
	s_addc_u32 s15, s15, (.LBB2_8582-.Lpost_getpc32962)>>32
	s_setpc_b64 s[14:15]
.LBB2_22920:
	v_mov_b32_e32 v13, 0
	v_cmp_ne_u16_sdwa s[8:9], v2, v13 src0_sel:BYTE_0 src1_sel:DWORD
	s_andn2_b64 s[4:5], s[4:5], exec
	s_and_b64 s[8:9], s[8:9], exec
	s_or_b64 s[4:5], s[4:5], s[8:9]
	s_or_b64 exec, exec, s[6:7]
	s_and_saveexec_b64 s[6:7], s[4:5]
	s_cbranch_execz .LBB2_32963
; %bb.58759:
	s_getpc_b64 s[14:15]
.Lpost_getpc32963:
	s_add_u32 s14, s14, (.LBB2_8583-.Lpost_getpc32963)&4294967295
	s_addc_u32 s15, s15, (.LBB2_8583-.Lpost_getpc32963)>>32
	s_setpc_b64 s[14:15]
.LBB2_32963:
	s_getpc_b64 s[14:15]
.Lpost_getpc20065:
	s_add_u32 s14, s14, (.LBB2_8584-.Lpost_getpc20065)&4294967295
	s_addc_u32 s15, s15, (.LBB2_8584-.Lpost_getpc20065)>>32
	s_setpc_b64 s[14:15]
.LBB2_22921:
	s_movk_i32 s4, 0x80
	v_cmp_eq_u16_sdwa s[12:13], v13, s4 src0_sel:BYTE_0 src1_sel:DWORD
	s_mov_b64 s[4:5], -1
                                        ; implicit-def: $sgpr10
	s_and_saveexec_b64 s[8:9], s[12:13]
; %bb.22922:
	s_mov_b32 s10, 0x7f800001
	s_xor_b64 s[4:5], exec, -1
; %bb.22923:
	s_or_b64 exec, exec, s[8:9]
	s_and_b64 s[4:5], s[4:5], exec
	s_or_saveexec_b64 s[6:7], s[6:7]
	v_mov_b32_e32 v12, s10
	s_xor_b64 exec, exec, s[6:7]
	s_cbranch_execnz .LBB2_22924
; %bb.58761:
	s_getpc_b64 s[14:15]
.Lpost_getpc32964:
	s_add_u32 s14, s14, (.LBB2_8586-.Lpost_getpc32964)&4294967295
	s_addc_u32 s15, s15, (.LBB2_8586-.Lpost_getpc32964)>>32
	s_setpc_b64 s[14:15]
.LBB2_22924:
	v_mov_b32_e32 v12, 0
	v_cmp_ne_u16_sdwa s[8:9], v13, v12 src0_sel:BYTE_0 src1_sel:DWORD
	s_andn2_b64 s[4:5], s[4:5], exec
	s_and_b64 s[8:9], s[8:9], exec
	s_or_b64 s[4:5], s[4:5], s[8:9]
	s_or_b64 exec, exec, s[6:7]
	s_and_saveexec_b64 s[6:7], s[4:5]
	s_cbranch_execz .LBB2_32965
; %bb.58763:
	s_getpc_b64 s[14:15]
.Lpost_getpc32965:
	s_add_u32 s14, s14, (.LBB2_8587-.Lpost_getpc32965)&4294967295
	s_addc_u32 s15, s15, (.LBB2_8587-.Lpost_getpc32965)>>32
	s_setpc_b64 s[14:15]
.LBB2_32965:
	s_getpc_b64 s[14:15]
.Lpost_getpc20066:
	s_add_u32 s14, s14, (.LBB2_8588-.Lpost_getpc20066)&4294967295
	s_addc_u32 s15, s15, (.LBB2_8588-.Lpost_getpc20066)>>32
	s_setpc_b64 s[14:15]
.LBB2_22925:
	s_movk_i32 s4, 0x80
	v_cmp_eq_u16_sdwa s[12:13], v13, s4 src0_sel:BYTE_0 src1_sel:DWORD
	s_mov_b64 s[4:5], -1
                                        ; implicit-def: $sgpr10
	s_and_saveexec_b64 s[8:9], s[12:13]
; %bb.22926:
	s_mov_b32 s10, 0x7f800001
	s_xor_b64 s[4:5], exec, -1
; %bb.22927:
	s_or_b64 exec, exec, s[8:9]
	s_and_b64 s[4:5], s[4:5], exec
	s_or_saveexec_b64 s[6:7], s[6:7]
	v_mov_b32_e32 v14, s10
	s_xor_b64 exec, exec, s[6:7]
	s_cbranch_execnz .LBB2_22928
; %bb.58765:
	s_getpc_b64 s[14:15]
.Lpost_getpc32966:
	s_add_u32 s14, s14, (.LBB2_8590-.Lpost_getpc32966)&4294967295
	s_addc_u32 s15, s15, (.LBB2_8590-.Lpost_getpc32966)>>32
	s_setpc_b64 s[14:15]
.LBB2_22928:
	v_mov_b32_e32 v14, 0
	v_cmp_ne_u16_sdwa s[8:9], v13, v14 src0_sel:BYTE_0 src1_sel:DWORD
	s_andn2_b64 s[4:5], s[4:5], exec
	s_and_b64 s[8:9], s[8:9], exec
	s_or_b64 s[4:5], s[4:5], s[8:9]
	s_or_b64 exec, exec, s[6:7]
	s_and_saveexec_b64 s[6:7], s[4:5]
	s_cbranch_execz .LBB2_32967
; %bb.58767:
	s_getpc_b64 s[14:15]
.Lpost_getpc32967:
	s_add_u32 s14, s14, (.LBB2_8591-.Lpost_getpc32967)&4294967295
	s_addc_u32 s15, s15, (.LBB2_8591-.Lpost_getpc32967)>>32
	s_setpc_b64 s[14:15]
.LBB2_32967:
	s_getpc_b64 s[14:15]
.Lpost_getpc20067:
	s_add_u32 s14, s14, (.LBB2_8592-.Lpost_getpc20067)&4294967295
	s_addc_u32 s15, s15, (.LBB2_8592-.Lpost_getpc20067)>>32
	s_setpc_b64 s[14:15]
.LBB2_22929:
	s_movk_i32 s4, 0x80
	v_cmp_eq_u16_e32 vcc, s4, v13
	s_mov_b64 s[4:5], -1
                                        ; implicit-def: $sgpr10
	s_and_saveexec_b64 s[8:9], vcc
; %bb.22930:
	s_mov_b32 s10, 0x7f800001
	s_xor_b64 s[4:5], exec, -1
; %bb.22931:
	s_or_b64 exec, exec, s[8:9]
	s_and_b64 s[4:5], s[4:5], exec
                                        ; implicit-def: $vgpr13
	s_or_saveexec_b64 s[6:7], s[6:7]
	v_mov_b32_e32 v12, s10
	s_xor_b64 exec, exec, s[6:7]
	s_cbranch_execnz .LBB2_22932
; %bb.58769:
	s_getpc_b64 s[14:15]
.Lpost_getpc32968:
	s_add_u32 s14, s14, (.LBB2_8594-.Lpost_getpc32968)&4294967295
	s_addc_u32 s15, s15, (.LBB2_8594-.Lpost_getpc32968)>>32
	s_setpc_b64 s[14:15]
.LBB2_22932:
	v_cmp_ne_u16_e32 vcc, 0, v13
	s_andn2_b64 s[4:5], s[4:5], exec
	s_and_b64 s[8:9], vcc, exec
	v_mov_b32_e32 v12, 0
	s_or_b64 s[4:5], s[4:5], s[8:9]
	s_or_b64 exec, exec, s[6:7]
	s_and_saveexec_b64 s[6:7], s[4:5]
	s_cbranch_execz .LBB2_32969
; %bb.58771:
	s_getpc_b64 s[14:15]
.Lpost_getpc32969:
	s_add_u32 s14, s14, (.LBB2_8595-.Lpost_getpc32969)&4294967295
	s_addc_u32 s15, s15, (.LBB2_8595-.Lpost_getpc32969)>>32
	s_setpc_b64 s[14:15]
.LBB2_32969:
	s_getpc_b64 s[14:15]
.Lpost_getpc20068:
	s_add_u32 s14, s14, (.LBB2_8596-.Lpost_getpc20068)&4294967295
	s_addc_u32 s15, s15, (.LBB2_8596-.Lpost_getpc20068)>>32
	s_setpc_b64 s[14:15]
.LBB2_22933:
	s_movk_i32 s4, 0x80
	v_cmp_eq_u16_e32 vcc, s4, v13
	s_mov_b64 s[4:5], -1
                                        ; implicit-def: $sgpr10
	s_and_saveexec_b64 s[8:9], vcc
; %bb.22934:
	s_mov_b32 s10, 0x7f800001
	s_xor_b64 s[4:5], exec, -1
; %bb.22935:
	s_or_b64 exec, exec, s[8:9]
	s_and_b64 s[4:5], s[4:5], exec
                                        ; implicit-def: $vgpr13
	s_or_saveexec_b64 s[6:7], s[6:7]
	v_mov_b32_e32 v14, s10
	s_xor_b64 exec, exec, s[6:7]
	s_cbranch_execnz .LBB2_22936
; %bb.58773:
	s_getpc_b64 s[14:15]
.Lpost_getpc32970:
	s_add_u32 s14, s14, (.LBB2_8598-.Lpost_getpc32970)&4294967295
	s_addc_u32 s15, s15, (.LBB2_8598-.Lpost_getpc32970)>>32
	s_setpc_b64 s[14:15]
.LBB2_22936:
	v_cmp_ne_u16_e32 vcc, 0, v13
	s_andn2_b64 s[4:5], s[4:5], exec
	s_and_b64 s[8:9], vcc, exec
	v_mov_b32_e32 v14, 0
	s_or_b64 s[4:5], s[4:5], s[8:9]
	s_or_b64 exec, exec, s[6:7]
	s_and_saveexec_b64 s[6:7], s[4:5]
	s_cbranch_execz .LBB2_32971
; %bb.58775:
	s_getpc_b64 s[14:15]
.Lpost_getpc32971:
	s_add_u32 s14, s14, (.LBB2_8599-.Lpost_getpc32971)&4294967295
	s_addc_u32 s15, s15, (.LBB2_8599-.Lpost_getpc32971)>>32
	s_setpc_b64 s[14:15]
.LBB2_32971:
	s_getpc_b64 s[14:15]
.Lpost_getpc20069:
	s_add_u32 s14, s14, (.LBB2_8600-.Lpost_getpc20069)&4294967295
	s_addc_u32 s15, s15, (.LBB2_8600-.Lpost_getpc20069)>>32
	s_setpc_b64 s[14:15]
.LBB2_22937:
	s_movk_i32 s4, 0x80
	v_cmp_eq_u16_sdwa s[12:13], v6, s4 src0_sel:BYTE_3 src1_sel:DWORD
	s_mov_b64 s[4:5], -1
                                        ; implicit-def: $sgpr10
	s_and_saveexec_b64 s[8:9], s[12:13]
; %bb.22938:
	s_mov_b32 s10, 0x7f800001
	s_xor_b64 s[4:5], exec, -1
; %bb.22939:
	s_or_b64 exec, exec, s[8:9]
	s_and_b64 s[4:5], s[4:5], exec
	s_or_saveexec_b64 s[6:7], s[6:7]
	v_mov_b32_e32 v12, s10
	s_xor_b64 exec, exec, s[6:7]
	s_cbranch_execnz .LBB2_22940
; %bb.58777:
	s_getpc_b64 s[14:15]
.Lpost_getpc32972:
	s_add_u32 s14, s14, (.LBB2_8602-.Lpost_getpc32972)&4294967295
	s_addc_u32 s15, s15, (.LBB2_8602-.Lpost_getpc32972)>>32
	s_setpc_b64 s[14:15]
.LBB2_22940:
	v_mov_b32_e32 v12, 0
	v_cmp_ne_u16_sdwa s[8:9], v6, v12 src0_sel:BYTE_3 src1_sel:DWORD
	s_andn2_b64 s[4:5], s[4:5], exec
	s_and_b64 s[8:9], s[8:9], exec
	s_or_b64 s[4:5], s[4:5], s[8:9]
	s_or_b64 exec, exec, s[6:7]
	s_and_saveexec_b64 s[6:7], s[4:5]
	s_cbranch_execz .LBB2_32973
; %bb.58779:
	s_getpc_b64 s[14:15]
.Lpost_getpc32973:
	s_add_u32 s14, s14, (.LBB2_8603-.Lpost_getpc32973)&4294967295
	s_addc_u32 s15, s15, (.LBB2_8603-.Lpost_getpc32973)>>32
	s_setpc_b64 s[14:15]
.LBB2_32973:
	s_getpc_b64 s[14:15]
.Lpost_getpc20070:
	s_add_u32 s14, s14, (.LBB2_8604-.Lpost_getpc20070)&4294967295
	s_addc_u32 s15, s15, (.LBB2_8604-.Lpost_getpc20070)>>32
	s_setpc_b64 s[14:15]
.LBB2_22941:
	s_movk_i32 s4, 0x80
	v_cmp_eq_u16_sdwa s[12:13], v2, s4 src0_sel:BYTE_3 src1_sel:DWORD
	s_mov_b64 s[4:5], -1
                                        ; implicit-def: $sgpr10
	s_and_saveexec_b64 s[8:9], s[12:13]
; %bb.22942:
	s_mov_b32 s10, 0x7f800001
	s_xor_b64 s[4:5], exec, -1
; %bb.22943:
	s_or_b64 exec, exec, s[8:9]
	s_and_b64 s[4:5], s[4:5], exec
	s_or_saveexec_b64 s[6:7], s[6:7]
	v_mov_b32_e32 v6, s10
	s_xor_b64 exec, exec, s[6:7]
	s_cbranch_execnz .LBB2_22944
; %bb.58781:
	s_getpc_b64 s[14:15]
.Lpost_getpc32974:
	s_add_u32 s14, s14, (.LBB2_8606-.Lpost_getpc32974)&4294967295
	s_addc_u32 s15, s15, (.LBB2_8606-.Lpost_getpc32974)>>32
	s_setpc_b64 s[14:15]
.LBB2_22944:
	v_mov_b32_e32 v6, 0
	v_cmp_ne_u16_sdwa s[8:9], v2, v6 src0_sel:BYTE_3 src1_sel:DWORD
	s_andn2_b64 s[4:5], s[4:5], exec
	s_and_b64 s[8:9], s[8:9], exec
	s_or_b64 s[4:5], s[4:5], s[8:9]
	s_or_b64 exec, exec, s[6:7]
	s_and_saveexec_b64 s[6:7], s[4:5]
	s_cbranch_execz .LBB2_32975
; %bb.58783:
	s_getpc_b64 s[14:15]
.Lpost_getpc32975:
	s_add_u32 s14, s14, (.LBB2_8607-.Lpost_getpc32975)&4294967295
	s_addc_u32 s15, s15, (.LBB2_8607-.Lpost_getpc32975)>>32
	s_setpc_b64 s[14:15]
.LBB2_32975:
	s_getpc_b64 s[14:15]
.Lpost_getpc20071:
	s_add_u32 s14, s14, (.LBB2_8608-.Lpost_getpc20071)&4294967295
	s_addc_u32 s15, s15, (.LBB2_8608-.Lpost_getpc20071)>>32
	s_setpc_b64 s[14:15]
.LBB2_22945:
	s_movk_i32 s4, 0x80
	v_cmp_eq_u16_sdwa s[12:13], v7, s4 src0_sel:BYTE_0 src1_sel:DWORD
	s_mov_b64 s[4:5], -1
                                        ; implicit-def: $sgpr10
	s_and_saveexec_b64 s[8:9], s[12:13]
; %bb.22946:
	s_mov_b32 s10, 0x7f800001
	s_xor_b64 s[4:5], exec, -1
; %bb.22947:
	s_or_b64 exec, exec, s[8:9]
	s_and_b64 s[4:5], s[4:5], exec
	s_or_saveexec_b64 s[6:7], s[6:7]
	v_mov_b32_e32 v2, s10
	s_xor_b64 exec, exec, s[6:7]
	s_cbranch_execnz .LBB2_22948
; %bb.58785:
	s_getpc_b64 s[14:15]
.Lpost_getpc32976:
	s_add_u32 s14, s14, (.LBB2_8610-.Lpost_getpc32976)&4294967295
	s_addc_u32 s15, s15, (.LBB2_8610-.Lpost_getpc32976)>>32
	s_setpc_b64 s[14:15]
.LBB2_22948:
	v_mov_b32_e32 v2, 0
	v_cmp_ne_u16_sdwa s[8:9], v7, v2 src0_sel:BYTE_0 src1_sel:DWORD
	s_andn2_b64 s[4:5], s[4:5], exec
	s_and_b64 s[8:9], s[8:9], exec
	s_or_b64 s[4:5], s[4:5], s[8:9]
	s_or_b64 exec, exec, s[6:7]
	s_and_saveexec_b64 s[6:7], s[4:5]
	s_cbranch_execz .LBB2_32977
; %bb.58787:
	s_getpc_b64 s[14:15]
.Lpost_getpc32977:
	s_add_u32 s14, s14, (.LBB2_8611-.Lpost_getpc32977)&4294967295
	s_addc_u32 s15, s15, (.LBB2_8611-.Lpost_getpc32977)>>32
	s_setpc_b64 s[14:15]
.LBB2_32977:
	s_getpc_b64 s[14:15]
.Lpost_getpc20072:
	s_add_u32 s14, s14, (.LBB2_8612-.Lpost_getpc20072)&4294967295
	s_addc_u32 s15, s15, (.LBB2_8612-.Lpost_getpc20072)>>32
	s_setpc_b64 s[14:15]
.LBB2_22949:
	s_movk_i32 s4, 0x80
	v_cmp_eq_u16_sdwa s[12:13], v3, s4 src0_sel:BYTE_0 src1_sel:DWORD
	s_mov_b64 s[4:5], -1
                                        ; implicit-def: $sgpr10
	s_and_saveexec_b64 s[8:9], s[12:13]
; %bb.22950:
	s_mov_b32 s10, 0x7f800001
	s_xor_b64 s[4:5], exec, -1
; %bb.22951:
	s_or_b64 exec, exec, s[8:9]
	s_and_b64 s[4:5], s[4:5], exec
	s_or_saveexec_b64 s[6:7], s[6:7]
	v_mov_b32_e32 v6, s10
	s_xor_b64 exec, exec, s[6:7]
	s_cbranch_execnz .LBB2_22952
; %bb.58789:
	s_getpc_b64 s[14:15]
.Lpost_getpc32978:
	s_add_u32 s14, s14, (.LBB2_8614-.Lpost_getpc32978)&4294967295
	s_addc_u32 s15, s15, (.LBB2_8614-.Lpost_getpc32978)>>32
	s_setpc_b64 s[14:15]
.LBB2_22952:
	v_mov_b32_e32 v6, 0
	v_cmp_ne_u16_sdwa s[8:9], v3, v6 src0_sel:BYTE_0 src1_sel:DWORD
	s_andn2_b64 s[4:5], s[4:5], exec
	s_and_b64 s[8:9], s[8:9], exec
	s_or_b64 s[4:5], s[4:5], s[8:9]
	s_or_b64 exec, exec, s[6:7]
	s_and_saveexec_b64 s[6:7], s[4:5]
	s_cbranch_execz .LBB2_32979
; %bb.58791:
	s_getpc_b64 s[14:15]
.Lpost_getpc32979:
	s_add_u32 s14, s14, (.LBB2_8615-.Lpost_getpc32979)&4294967295
	s_addc_u32 s15, s15, (.LBB2_8615-.Lpost_getpc32979)>>32
	s_setpc_b64 s[14:15]
.LBB2_32979:
	s_getpc_b64 s[14:15]
.Lpost_getpc20073:
	s_add_u32 s14, s14, (.LBB2_8616-.Lpost_getpc20073)&4294967295
	s_addc_u32 s15, s15, (.LBB2_8616-.Lpost_getpc20073)>>32
	s_setpc_b64 s[14:15]
.LBB2_22953:
	s_movk_i32 s4, 0x80
	v_cmp_eq_u16_sdwa s[12:13], v6, s4 src0_sel:BYTE_0 src1_sel:DWORD
	s_mov_b64 s[4:5], -1
                                        ; implicit-def: $sgpr10
	s_and_saveexec_b64 s[8:9], s[12:13]
; %bb.22954:
	s_mov_b32 s10, 0x7f800001
	s_xor_b64 s[4:5], exec, -1
; %bb.22955:
	s_or_b64 exec, exec, s[8:9]
	s_and_b64 s[4:5], s[4:5], exec
	s_or_saveexec_b64 s[6:7], s[6:7]
	v_mov_b32_e32 v2, s10
	s_xor_b64 exec, exec, s[6:7]
	s_cbranch_execnz .LBB2_22956
; %bb.58793:
	s_getpc_b64 s[14:15]
.Lpost_getpc32980:
	s_add_u32 s14, s14, (.LBB2_8618-.Lpost_getpc32980)&4294967295
	s_addc_u32 s15, s15, (.LBB2_8618-.Lpost_getpc32980)>>32
	s_setpc_b64 s[14:15]
.LBB2_22956:
	v_mov_b32_e32 v2, 0
	v_cmp_ne_u16_sdwa s[8:9], v6, v2 src0_sel:BYTE_0 src1_sel:DWORD
	s_andn2_b64 s[4:5], s[4:5], exec
	s_and_b64 s[8:9], s[8:9], exec
	s_or_b64 s[4:5], s[4:5], s[8:9]
	s_or_b64 exec, exec, s[6:7]
	s_and_saveexec_b64 s[6:7], s[4:5]
	s_cbranch_execz .LBB2_32981
; %bb.58795:
	s_getpc_b64 s[14:15]
.Lpost_getpc32981:
	s_add_u32 s14, s14, (.LBB2_8619-.Lpost_getpc32981)&4294967295
	s_addc_u32 s15, s15, (.LBB2_8619-.Lpost_getpc32981)>>32
	s_setpc_b64 s[14:15]
.LBB2_32981:
	s_getpc_b64 s[14:15]
.Lpost_getpc20074:
	s_add_u32 s14, s14, (.LBB2_8620-.Lpost_getpc20074)&4294967295
	s_addc_u32 s15, s15, (.LBB2_8620-.Lpost_getpc20074)>>32
	s_setpc_b64 s[14:15]
.LBB2_22957:
	s_movk_i32 s4, 0x80
	v_cmp_eq_u16_sdwa s[12:13], v6, s4 src0_sel:BYTE_0 src1_sel:DWORD
	s_mov_b64 s[4:5], -1
                                        ; implicit-def: $sgpr10
	s_and_saveexec_b64 s[8:9], s[12:13]
; %bb.22958:
	s_mov_b32 s10, 0x7f800001
	s_xor_b64 s[4:5], exec, -1
; %bb.22959:
	s_or_b64 exec, exec, s[8:9]
	s_and_b64 s[4:5], s[4:5], exec
	s_or_saveexec_b64 s[6:7], s[6:7]
	v_mov_b32_e32 v12, s10
	s_xor_b64 exec, exec, s[6:7]
	s_cbranch_execnz .LBB2_22960
; %bb.58797:
	s_getpc_b64 s[14:15]
.Lpost_getpc32982:
	s_add_u32 s14, s14, (.LBB2_8622-.Lpost_getpc32982)&4294967295
	s_addc_u32 s15, s15, (.LBB2_8622-.Lpost_getpc32982)>>32
	s_setpc_b64 s[14:15]
.LBB2_22960:
	v_mov_b32_e32 v12, 0
	v_cmp_ne_u16_sdwa s[8:9], v6, v12 src0_sel:BYTE_0 src1_sel:DWORD
	s_andn2_b64 s[4:5], s[4:5], exec
	s_and_b64 s[8:9], s[8:9], exec
	s_or_b64 s[4:5], s[4:5], s[8:9]
	s_or_b64 exec, exec, s[6:7]
	s_and_saveexec_b64 s[6:7], s[4:5]
	s_cbranch_execz .LBB2_32983
; %bb.58799:
	s_getpc_b64 s[14:15]
.Lpost_getpc32983:
	s_add_u32 s14, s14, (.LBB2_8623-.Lpost_getpc32983)&4294967295
	s_addc_u32 s15, s15, (.LBB2_8623-.Lpost_getpc32983)>>32
	s_setpc_b64 s[14:15]
.LBB2_32983:
	s_getpc_b64 s[14:15]
.Lpost_getpc20075:
	s_add_u32 s14, s14, (.LBB2_8624-.Lpost_getpc20075)&4294967295
	s_addc_u32 s15, s15, (.LBB2_8624-.Lpost_getpc20075)>>32
	s_setpc_b64 s[14:15]
.LBB2_22961:
	s_movk_i32 s4, 0x80
	v_cmp_eq_u16_e32 vcc, s4, v6
	s_mov_b64 s[4:5], -1
                                        ; implicit-def: $sgpr10
	s_and_saveexec_b64 s[8:9], vcc
; %bb.22962:
	s_mov_b32 s10, 0x7f800001
	s_xor_b64 s[4:5], exec, -1
; %bb.22963:
	s_or_b64 exec, exec, s[8:9]
	s_and_b64 s[4:5], s[4:5], exec
                                        ; implicit-def: $vgpr6
	s_or_saveexec_b64 s[6:7], s[6:7]
	v_mov_b32_e32 v2, s10
	s_xor_b64 exec, exec, s[6:7]
	s_cbranch_execnz .LBB2_22964
; %bb.58801:
	s_getpc_b64 s[14:15]
.Lpost_getpc32984:
	s_add_u32 s14, s14, (.LBB2_8626-.Lpost_getpc32984)&4294967295
	s_addc_u32 s15, s15, (.LBB2_8626-.Lpost_getpc32984)>>32
	s_setpc_b64 s[14:15]
.LBB2_22964:
	v_cmp_ne_u16_e32 vcc, 0, v6
	s_andn2_b64 s[4:5], s[4:5], exec
	s_and_b64 s[8:9], vcc, exec
	v_mov_b32_e32 v2, 0
	s_or_b64 s[4:5], s[4:5], s[8:9]
	s_or_b64 exec, exec, s[6:7]
	s_and_saveexec_b64 s[6:7], s[4:5]
	s_cbranch_execz .LBB2_32985
; %bb.58803:
	s_getpc_b64 s[14:15]
.Lpost_getpc32985:
	s_add_u32 s14, s14, (.LBB2_8627-.Lpost_getpc32985)&4294967295
	s_addc_u32 s15, s15, (.LBB2_8627-.Lpost_getpc32985)>>32
	s_setpc_b64 s[14:15]
.LBB2_32985:
	s_getpc_b64 s[14:15]
.Lpost_getpc20076:
	s_add_u32 s14, s14, (.LBB2_8628-.Lpost_getpc20076)&4294967295
	s_addc_u32 s15, s15, (.LBB2_8628-.Lpost_getpc20076)>>32
	s_setpc_b64 s[14:15]
.LBB2_22965:
	s_movk_i32 s4, 0x80
	v_cmp_eq_u16_e32 vcc, s4, v6
	s_mov_b64 s[4:5], -1
                                        ; implicit-def: $sgpr10
	s_and_saveexec_b64 s[8:9], vcc
; %bb.22966:
	s_mov_b32 s10, 0x7f800001
	s_xor_b64 s[4:5], exec, -1
; %bb.22967:
	s_or_b64 exec, exec, s[8:9]
	s_and_b64 s[4:5], s[4:5], exec
                                        ; implicit-def: $vgpr6
	s_or_saveexec_b64 s[6:7], s[6:7]
	v_mov_b32_e32 v12, s10
	s_xor_b64 exec, exec, s[6:7]
	s_cbranch_execnz .LBB2_22968
; %bb.58805:
	s_getpc_b64 s[14:15]
.Lpost_getpc32986:
	s_add_u32 s14, s14, (.LBB2_8630-.Lpost_getpc32986)&4294967295
	s_addc_u32 s15, s15, (.LBB2_8630-.Lpost_getpc32986)>>32
	s_setpc_b64 s[14:15]
.LBB2_22968:
	v_cmp_ne_u16_e32 vcc, 0, v6
	s_andn2_b64 s[4:5], s[4:5], exec
	s_and_b64 s[8:9], vcc, exec
	v_mov_b32_e32 v12, 0
	s_or_b64 s[4:5], s[4:5], s[8:9]
	s_or_b64 exec, exec, s[6:7]
	s_and_saveexec_b64 s[6:7], s[4:5]
	s_cbranch_execz .LBB2_32987
; %bb.58807:
	s_getpc_b64 s[14:15]
.Lpost_getpc32987:
	s_add_u32 s14, s14, (.LBB2_8631-.Lpost_getpc32987)&4294967295
	s_addc_u32 s15, s15, (.LBB2_8631-.Lpost_getpc32987)>>32
	s_setpc_b64 s[14:15]
.LBB2_32987:
	s_getpc_b64 s[14:15]
.Lpost_getpc20077:
	s_add_u32 s14, s14, (.LBB2_8632-.Lpost_getpc20077)&4294967295
	s_addc_u32 s15, s15, (.LBB2_8632-.Lpost_getpc20077)>>32
	s_setpc_b64 s[14:15]
.LBB2_22969:
	s_movk_i32 s4, 0x80
	v_cmp_eq_u16_sdwa s[12:13], v7, s4 src0_sel:BYTE_3 src1_sel:DWORD
	s_mov_b64 s[4:5], -1
                                        ; implicit-def: $sgpr10
	s_and_saveexec_b64 s[8:9], s[12:13]
; %bb.22970:
	s_mov_b32 s10, 0x7f800001
	s_xor_b64 s[4:5], exec, -1
; %bb.22971:
	s_or_b64 exec, exec, s[8:9]
	s_and_b64 s[4:5], s[4:5], exec
	s_or_saveexec_b64 s[6:7], s[6:7]
	v_mov_b32_e32 v2, s10
	s_xor_b64 exec, exec, s[6:7]
	s_cbranch_execnz .LBB2_22972
; %bb.58809:
	s_getpc_b64 s[14:15]
.Lpost_getpc32988:
	s_add_u32 s14, s14, (.LBB2_8634-.Lpost_getpc32988)&4294967295
	s_addc_u32 s15, s15, (.LBB2_8634-.Lpost_getpc32988)>>32
	s_setpc_b64 s[14:15]
.LBB2_22972:
	v_mov_b32_e32 v2, 0
	v_cmp_ne_u16_sdwa s[8:9], v7, v2 src0_sel:BYTE_3 src1_sel:DWORD
	s_andn2_b64 s[4:5], s[4:5], exec
	s_and_b64 s[8:9], s[8:9], exec
	s_or_b64 s[4:5], s[4:5], s[8:9]
	s_or_b64 exec, exec, s[6:7]
	s_and_saveexec_b64 s[6:7], s[4:5]
	s_cbranch_execz .LBB2_32989
; %bb.58811:
	s_getpc_b64 s[14:15]
.Lpost_getpc32989:
	s_add_u32 s14, s14, (.LBB2_8635-.Lpost_getpc32989)&4294967295
	s_addc_u32 s15, s15, (.LBB2_8635-.Lpost_getpc32989)>>32
	s_setpc_b64 s[14:15]
.LBB2_32989:
	s_getpc_b64 s[14:15]
.Lpost_getpc20078:
	s_add_u32 s14, s14, (.LBB2_8636-.Lpost_getpc20078)&4294967295
	s_addc_u32 s15, s15, (.LBB2_8636-.Lpost_getpc20078)>>32
	s_setpc_b64 s[14:15]
.LBB2_22973:
	s_movk_i32 s4, 0x80
	v_cmp_eq_u16_sdwa s[12:13], v3, s4 src0_sel:BYTE_3 src1_sel:DWORD
	s_mov_b64 s[4:5], -1
                                        ; implicit-def: $sgpr10
	s_and_saveexec_b64 s[8:9], s[12:13]
; %bb.22974:
	s_mov_b32 s10, 0x7f800001
	s_xor_b64 s[4:5], exec, -1
; %bb.22975:
	s_or_b64 exec, exec, s[8:9]
	s_and_b64 s[4:5], s[4:5], exec
	s_or_saveexec_b64 s[6:7], s[6:7]
	v_mov_b32_e32 v6, s10
	s_xor_b64 exec, exec, s[6:7]
	s_cbranch_execnz .LBB2_22976
; %bb.58813:
	s_getpc_b64 s[14:15]
.Lpost_getpc32990:
	s_add_u32 s14, s14, (.LBB2_8638-.Lpost_getpc32990)&4294967295
	s_addc_u32 s15, s15, (.LBB2_8638-.Lpost_getpc32990)>>32
	s_setpc_b64 s[14:15]
.LBB2_22976:
	v_mov_b32_e32 v6, 0
	v_cmp_ne_u16_sdwa s[8:9], v3, v6 src0_sel:BYTE_3 src1_sel:DWORD
	s_andn2_b64 s[4:5], s[4:5], exec
	s_and_b64 s[8:9], s[8:9], exec
	s_or_b64 s[4:5], s[4:5], s[8:9]
	s_or_b64 exec, exec, s[6:7]
	s_and_saveexec_b64 s[6:7], s[4:5]
	s_cbranch_execz .LBB2_32991
; %bb.58815:
	s_getpc_b64 s[14:15]
.Lpost_getpc32991:
	s_add_u32 s14, s14, (.LBB2_8639-.Lpost_getpc32991)&4294967295
	s_addc_u32 s15, s15, (.LBB2_8639-.Lpost_getpc32991)>>32
	s_setpc_b64 s[14:15]
.LBB2_32991:
	s_getpc_b64 s[14:15]
.Lpost_getpc20079:
	s_add_u32 s14, s14, (.LBB2_8640-.Lpost_getpc20079)&4294967295
	s_addc_u32 s15, s15, (.LBB2_8640-.Lpost_getpc20079)>>32
	s_setpc_b64 s[14:15]
.LBB2_22977:
	s_movk_i32 s4, 0x80
	v_cmp_eq_u16_sdwa s[12:13], v8, s4 src0_sel:BYTE_0 src1_sel:DWORD
	s_mov_b64 s[4:5], -1
                                        ; implicit-def: $sgpr10
	s_and_saveexec_b64 s[8:9], s[12:13]
; %bb.22978:
	s_mov_b32 s10, 0x7f800001
	s_xor_b64 s[4:5], exec, -1
; %bb.22979:
	s_or_b64 exec, exec, s[8:9]
	s_and_b64 s[4:5], s[4:5], exec
	s_or_saveexec_b64 s[6:7], s[6:7]
	v_mov_b32_e32 v2, s10
	s_xor_b64 exec, exec, s[6:7]
	s_cbranch_execnz .LBB2_22980
; %bb.58817:
	s_getpc_b64 s[14:15]
.Lpost_getpc32992:
	s_add_u32 s14, s14, (.LBB2_8642-.Lpost_getpc32992)&4294967295
	s_addc_u32 s15, s15, (.LBB2_8642-.Lpost_getpc32992)>>32
	s_setpc_b64 s[14:15]
.LBB2_22980:
	v_mov_b32_e32 v2, 0
	v_cmp_ne_u16_sdwa s[8:9], v8, v2 src0_sel:BYTE_0 src1_sel:DWORD
	s_andn2_b64 s[4:5], s[4:5], exec
	s_and_b64 s[8:9], s[8:9], exec
	s_or_b64 s[4:5], s[4:5], s[8:9]
	s_or_b64 exec, exec, s[6:7]
	s_and_saveexec_b64 s[6:7], s[4:5]
	s_cbranch_execz .LBB2_32993
; %bb.58819:
	s_getpc_b64 s[14:15]
.Lpost_getpc32993:
	s_add_u32 s14, s14, (.LBB2_8643-.Lpost_getpc32993)&4294967295
	s_addc_u32 s15, s15, (.LBB2_8643-.Lpost_getpc32993)>>32
	s_setpc_b64 s[14:15]
.LBB2_32993:
	s_getpc_b64 s[14:15]
.Lpost_getpc20080:
	s_add_u32 s14, s14, (.LBB2_8644-.Lpost_getpc20080)&4294967295
	s_addc_u32 s15, s15, (.LBB2_8644-.Lpost_getpc20080)>>32
	s_setpc_b64 s[14:15]
.LBB2_22981:
	s_movk_i32 s4, 0x80
	v_cmp_eq_u16_sdwa s[12:13], v4, s4 src0_sel:BYTE_0 src1_sel:DWORD
	s_mov_b64 s[4:5], -1
                                        ; implicit-def: $sgpr10
	s_and_saveexec_b64 s[8:9], s[12:13]
; %bb.22982:
	s_mov_b32 s10, 0x7f800001
	s_xor_b64 s[4:5], exec, -1
; %bb.22983:
	s_or_b64 exec, exec, s[8:9]
	s_and_b64 s[4:5], s[4:5], exec
	s_or_saveexec_b64 s[6:7], s[6:7]
	v_mov_b32_e32 v3, s10
	s_xor_b64 exec, exec, s[6:7]
	s_cbranch_execnz .LBB2_22984
; %bb.58821:
	s_getpc_b64 s[14:15]
.Lpost_getpc32994:
	s_add_u32 s14, s14, (.LBB2_8646-.Lpost_getpc32994)&4294967295
	s_addc_u32 s15, s15, (.LBB2_8646-.Lpost_getpc32994)>>32
	s_setpc_b64 s[14:15]
.LBB2_22984:
	v_mov_b32_e32 v3, 0
	v_cmp_ne_u16_sdwa s[8:9], v4, v3 src0_sel:BYTE_0 src1_sel:DWORD
	s_andn2_b64 s[4:5], s[4:5], exec
	s_and_b64 s[8:9], s[8:9], exec
	s_or_b64 s[4:5], s[4:5], s[8:9]
	s_or_b64 exec, exec, s[6:7]
	s_and_saveexec_b64 s[6:7], s[4:5]
	s_cbranch_execz .LBB2_32995
; %bb.58823:
	s_getpc_b64 s[14:15]
.Lpost_getpc32995:
	s_add_u32 s14, s14, (.LBB2_8647-.Lpost_getpc32995)&4294967295
	s_addc_u32 s15, s15, (.LBB2_8647-.Lpost_getpc32995)>>32
	s_setpc_b64 s[14:15]
.LBB2_32995:
	s_getpc_b64 s[14:15]
.Lpost_getpc20081:
	s_add_u32 s14, s14, (.LBB2_8648-.Lpost_getpc20081)&4294967295
	s_addc_u32 s15, s15, (.LBB2_8648-.Lpost_getpc20081)>>32
	s_setpc_b64 s[14:15]
.LBB2_22985:
	s_movk_i32 s4, 0x80
	v_cmp_eq_u16_sdwa s[12:13], v3, s4 src0_sel:BYTE_0 src1_sel:DWORD
	s_mov_b64 s[4:5], -1
                                        ; implicit-def: $sgpr10
	s_and_saveexec_b64 s[8:9], s[12:13]
; %bb.22986:
	s_mov_b32 s10, 0x7f800001
	s_xor_b64 s[4:5], exec, -1
; %bb.22987:
	s_or_b64 exec, exec, s[8:9]
	s_and_b64 s[4:5], s[4:5], exec
	s_or_saveexec_b64 s[6:7], s[6:7]
	v_mov_b32_e32 v2, s10
	s_xor_b64 exec, exec, s[6:7]
	s_cbranch_execnz .LBB2_22988
; %bb.58825:
	s_getpc_b64 s[14:15]
.Lpost_getpc32996:
	s_add_u32 s14, s14, (.LBB2_8650-.Lpost_getpc32996)&4294967295
	s_addc_u32 s15, s15, (.LBB2_8650-.Lpost_getpc32996)>>32
	s_setpc_b64 s[14:15]
.LBB2_22988:
	v_mov_b32_e32 v2, 0
	v_cmp_ne_u16_sdwa s[8:9], v3, v2 src0_sel:BYTE_0 src1_sel:DWORD
	s_andn2_b64 s[4:5], s[4:5], exec
	s_and_b64 s[8:9], s[8:9], exec
	s_or_b64 s[4:5], s[4:5], s[8:9]
	s_or_b64 exec, exec, s[6:7]
	s_and_saveexec_b64 s[6:7], s[4:5]
	s_cbranch_execz .LBB2_32997
; %bb.58827:
	s_getpc_b64 s[14:15]
.Lpost_getpc32997:
	s_add_u32 s14, s14, (.LBB2_8651-.Lpost_getpc32997)&4294967295
	s_addc_u32 s15, s15, (.LBB2_8651-.Lpost_getpc32997)>>32
	s_setpc_b64 s[14:15]
.LBB2_32997:
	s_getpc_b64 s[14:15]
.Lpost_getpc20082:
	s_add_u32 s14, s14, (.LBB2_8652-.Lpost_getpc20082)&4294967295
	s_addc_u32 s15, s15, (.LBB2_8652-.Lpost_getpc20082)>>32
	s_setpc_b64 s[14:15]
.LBB2_22989:
	s_movk_i32 s4, 0x80
	v_cmp_eq_u16_sdwa s[12:13], v3, s4 src0_sel:BYTE_0 src1_sel:DWORD
	s_mov_b64 s[4:5], -1
                                        ; implicit-def: $sgpr10
	s_and_saveexec_b64 s[8:9], s[12:13]
; %bb.22990:
	s_mov_b32 s10, 0x7f800001
	s_xor_b64 s[4:5], exec, -1
; %bb.22991:
	s_or_b64 exec, exec, s[8:9]
	s_and_b64 s[4:5], s[4:5], exec
	s_or_saveexec_b64 s[6:7], s[6:7]
	v_mov_b32_e32 v6, s10
	s_xor_b64 exec, exec, s[6:7]
	s_cbranch_execnz .LBB2_22992
; %bb.58829:
	s_getpc_b64 s[14:15]
.Lpost_getpc32998:
	s_add_u32 s14, s14, (.LBB2_8654-.Lpost_getpc32998)&4294967295
	s_addc_u32 s15, s15, (.LBB2_8654-.Lpost_getpc32998)>>32
	s_setpc_b64 s[14:15]
.LBB2_22992:
	v_mov_b32_e32 v6, 0
	v_cmp_ne_u16_sdwa s[8:9], v3, v6 src0_sel:BYTE_0 src1_sel:DWORD
	s_andn2_b64 s[4:5], s[4:5], exec
	s_and_b64 s[8:9], s[8:9], exec
	s_or_b64 s[4:5], s[4:5], s[8:9]
	s_or_b64 exec, exec, s[6:7]
	s_and_saveexec_b64 s[6:7], s[4:5]
	s_cbranch_execz .LBB2_32999
; %bb.58831:
	s_getpc_b64 s[14:15]
.Lpost_getpc32999:
	s_add_u32 s14, s14, (.LBB2_8655-.Lpost_getpc32999)&4294967295
	s_addc_u32 s15, s15, (.LBB2_8655-.Lpost_getpc32999)>>32
	s_setpc_b64 s[14:15]
.LBB2_32999:
	s_getpc_b64 s[14:15]
.Lpost_getpc20083:
	s_add_u32 s14, s14, (.LBB2_8656-.Lpost_getpc20083)&4294967295
	s_addc_u32 s15, s15, (.LBB2_8656-.Lpost_getpc20083)>>32
	s_setpc_b64 s[14:15]
.LBB2_22993:
	s_movk_i32 s4, 0x80
	v_cmp_eq_u16_e32 vcc, s4, v3
	s_mov_b64 s[4:5], -1
                                        ; implicit-def: $sgpr10
	s_and_saveexec_b64 s[8:9], vcc
; %bb.22994:
	s_mov_b32 s10, 0x7f800001
	s_xor_b64 s[4:5], exec, -1
; %bb.22995:
	s_or_b64 exec, exec, s[8:9]
	s_and_b64 s[4:5], s[4:5], exec
                                        ; implicit-def: $vgpr3
	s_or_saveexec_b64 s[6:7], s[6:7]
	v_mov_b32_e32 v2, s10
	s_xor_b64 exec, exec, s[6:7]
	s_cbranch_execnz .LBB2_22996
; %bb.58833:
	s_getpc_b64 s[14:15]
.Lpost_getpc33000:
	s_add_u32 s14, s14, (.LBB2_8658-.Lpost_getpc33000)&4294967295
	s_addc_u32 s15, s15, (.LBB2_8658-.Lpost_getpc33000)>>32
	s_setpc_b64 s[14:15]
.LBB2_22996:
	v_cmp_ne_u16_e32 vcc, 0, v3
	s_andn2_b64 s[4:5], s[4:5], exec
	s_and_b64 s[8:9], vcc, exec
	v_mov_b32_e32 v2, 0
	s_or_b64 s[4:5], s[4:5], s[8:9]
	s_or_b64 exec, exec, s[6:7]
	s_and_saveexec_b64 s[6:7], s[4:5]
	s_cbranch_execz .LBB2_33001
; %bb.58835:
	s_getpc_b64 s[14:15]
.Lpost_getpc33001:
	s_add_u32 s14, s14, (.LBB2_8659-.Lpost_getpc33001)&4294967295
	s_addc_u32 s15, s15, (.LBB2_8659-.Lpost_getpc33001)>>32
	s_setpc_b64 s[14:15]
.LBB2_33001:
	s_getpc_b64 s[14:15]
.Lpost_getpc20084:
	s_add_u32 s14, s14, (.LBB2_8660-.Lpost_getpc20084)&4294967295
	s_addc_u32 s15, s15, (.LBB2_8660-.Lpost_getpc20084)>>32
	s_setpc_b64 s[14:15]
.LBB2_22997:
	s_movk_i32 s4, 0x80
	v_cmp_eq_u16_e32 vcc, s4, v3
	s_mov_b64 s[4:5], -1
                                        ; implicit-def: $sgpr10
	s_and_saveexec_b64 s[8:9], vcc
; %bb.22998:
	s_mov_b32 s10, 0x7f800001
	s_xor_b64 s[4:5], exec, -1
; %bb.22999:
	s_or_b64 exec, exec, s[8:9]
	s_and_b64 s[4:5], s[4:5], exec
                                        ; implicit-def: $vgpr3
	s_or_saveexec_b64 s[6:7], s[6:7]
	v_mov_b32_e32 v6, s10
	s_xor_b64 exec, exec, s[6:7]
	s_cbranch_execnz .LBB2_23000
; %bb.58837:
	s_getpc_b64 s[14:15]
.Lpost_getpc33002:
	s_add_u32 s14, s14, (.LBB2_8662-.Lpost_getpc33002)&4294967295
	s_addc_u32 s15, s15, (.LBB2_8662-.Lpost_getpc33002)>>32
	s_setpc_b64 s[14:15]
.LBB2_23000:
	v_cmp_ne_u16_e32 vcc, 0, v3
	s_andn2_b64 s[4:5], s[4:5], exec
	s_and_b64 s[8:9], vcc, exec
	v_mov_b32_e32 v6, 0
	s_or_b64 s[4:5], s[4:5], s[8:9]
	s_or_b64 exec, exec, s[6:7]
	s_and_saveexec_b64 s[6:7], s[4:5]
	s_cbranch_execz .LBB2_33003
; %bb.58839:
	s_getpc_b64 s[14:15]
.Lpost_getpc33003:
	s_add_u32 s14, s14, (.LBB2_8663-.Lpost_getpc33003)&4294967295
	s_addc_u32 s15, s15, (.LBB2_8663-.Lpost_getpc33003)>>32
	s_setpc_b64 s[14:15]
.LBB2_33003:
	s_getpc_b64 s[14:15]
.Lpost_getpc20085:
	s_add_u32 s14, s14, (.LBB2_8664-.Lpost_getpc20085)&4294967295
	s_addc_u32 s15, s15, (.LBB2_8664-.Lpost_getpc20085)>>32
	s_setpc_b64 s[14:15]
.LBB2_23001:
	s_movk_i32 s4, 0x80
	v_cmp_eq_u16_sdwa s[12:13], v8, s4 src0_sel:BYTE_3 src1_sel:DWORD
	s_mov_b64 s[4:5], -1
                                        ; implicit-def: $sgpr10
	s_and_saveexec_b64 s[8:9], s[12:13]
; %bb.23002:
	s_mov_b32 s10, 0x7f800001
	s_xor_b64 s[4:5], exec, -1
; %bb.23003:
	s_or_b64 exec, exec, s[8:9]
	s_and_b64 s[4:5], s[4:5], exec
	s_or_saveexec_b64 s[6:7], s[6:7]
	v_mov_b32_e32 v2, s10
	s_xor_b64 exec, exec, s[6:7]
	s_cbranch_execnz .LBB2_23004
; %bb.58841:
	s_getpc_b64 s[14:15]
.Lpost_getpc33004:
	s_add_u32 s14, s14, (.LBB2_8666-.Lpost_getpc33004)&4294967295
	s_addc_u32 s15, s15, (.LBB2_8666-.Lpost_getpc33004)>>32
	s_setpc_b64 s[14:15]
.LBB2_23004:
	v_mov_b32_e32 v2, 0
	v_cmp_ne_u16_sdwa s[8:9], v8, v2 src0_sel:BYTE_3 src1_sel:DWORD
	s_andn2_b64 s[4:5], s[4:5], exec
	s_and_b64 s[8:9], s[8:9], exec
	s_or_b64 s[4:5], s[4:5], s[8:9]
	s_or_b64 exec, exec, s[6:7]
	s_and_saveexec_b64 s[6:7], s[4:5]
	s_cbranch_execz .LBB2_33005
; %bb.58843:
	s_getpc_b64 s[14:15]
.Lpost_getpc33005:
	s_add_u32 s14, s14, (.LBB2_8667-.Lpost_getpc33005)&4294967295
	s_addc_u32 s15, s15, (.LBB2_8667-.Lpost_getpc33005)>>32
	s_setpc_b64 s[14:15]
.LBB2_33005:
	s_getpc_b64 s[14:15]
.Lpost_getpc20086:
	s_add_u32 s14, s14, (.LBB2_8668-.Lpost_getpc20086)&4294967295
	s_addc_u32 s15, s15, (.LBB2_8668-.Lpost_getpc20086)>>32
	s_setpc_b64 s[14:15]
.LBB2_23005:
	s_movk_i32 s4, 0x80
	v_cmp_eq_u16_sdwa s[12:13], v4, s4 src0_sel:BYTE_3 src1_sel:DWORD
	s_mov_b64 s[4:5], -1
                                        ; implicit-def: $sgpr10
	s_and_saveexec_b64 s[8:9], s[12:13]
; %bb.23006:
	s_mov_b32 s10, 0x7f800001
	s_xor_b64 s[4:5], exec, -1
; %bb.23007:
	s_or_b64 exec, exec, s[8:9]
	s_and_b64 s[4:5], s[4:5], exec
	s_or_saveexec_b64 s[6:7], s[6:7]
	v_mov_b32_e32 v3, s10
	s_xor_b64 exec, exec, s[6:7]
	s_cbranch_execnz .LBB2_23008
; %bb.58845:
	s_getpc_b64 s[14:15]
.Lpost_getpc33006:
	s_add_u32 s14, s14, (.LBB2_8670-.Lpost_getpc33006)&4294967295
	s_addc_u32 s15, s15, (.LBB2_8670-.Lpost_getpc33006)>>32
	s_setpc_b64 s[14:15]
.LBB2_23008:
	v_mov_b32_e32 v3, 0
	v_cmp_ne_u16_sdwa s[8:9], v4, v3 src0_sel:BYTE_3 src1_sel:DWORD
	s_andn2_b64 s[4:5], s[4:5], exec
	s_and_b64 s[8:9], s[8:9], exec
	s_or_b64 s[4:5], s[4:5], s[8:9]
	s_or_b64 exec, exec, s[6:7]
	s_and_saveexec_b64 s[6:7], s[4:5]
	s_cbranch_execz .LBB2_33007
; %bb.58847:
	s_getpc_b64 s[14:15]
.Lpost_getpc33007:
	s_add_u32 s14, s14, (.LBB2_8671-.Lpost_getpc33007)&4294967295
	s_addc_u32 s15, s15, (.LBB2_8671-.Lpost_getpc33007)>>32
	s_setpc_b64 s[14:15]
.LBB2_33007:
	s_getpc_b64 s[14:15]
.Lpost_getpc20087:
	s_add_u32 s14, s14, (.LBB2_8672-.Lpost_getpc20087)&4294967295
	s_addc_u32 s15, s15, (.LBB2_8672-.Lpost_getpc20087)>>32
	s_setpc_b64 s[14:15]
.LBB2_23009:
	s_movk_i32 s4, 0x80
	v_cmp_eq_u16_sdwa s[12:13], v9, s4 src0_sel:BYTE_0 src1_sel:DWORD
	s_mov_b64 s[4:5], -1
                                        ; implicit-def: $sgpr10
	s_and_saveexec_b64 s[8:9], s[12:13]
; %bb.23010:
	s_mov_b32 s10, 0x7f800001
	s_xor_b64 s[4:5], exec, -1
; %bb.23011:
	s_or_b64 exec, exec, s[8:9]
	s_and_b64 s[4:5], s[4:5], exec
	s_or_saveexec_b64 s[6:7], s[6:7]
	v_mov_b32_e32 v2, s10
	s_xor_b64 exec, exec, s[6:7]
	s_cbranch_execnz .LBB2_23012
; %bb.58849:
	s_getpc_b64 s[14:15]
.Lpost_getpc33008:
	s_add_u32 s14, s14, (.LBB2_8674-.Lpost_getpc33008)&4294967295
	s_addc_u32 s15, s15, (.LBB2_8674-.Lpost_getpc33008)>>32
	s_setpc_b64 s[14:15]
.LBB2_23012:
	v_mov_b32_e32 v2, 0
	v_cmp_ne_u16_sdwa s[8:9], v9, v2 src0_sel:BYTE_0 src1_sel:DWORD
	s_andn2_b64 s[4:5], s[4:5], exec
	s_and_b64 s[8:9], s[8:9], exec
	s_or_b64 s[4:5], s[4:5], s[8:9]
	s_or_b64 exec, exec, s[6:7]
	s_and_saveexec_b64 s[6:7], s[4:5]
	s_cbranch_execz .LBB2_33009
; %bb.58851:
	s_getpc_b64 s[14:15]
.Lpost_getpc33009:
	s_add_u32 s14, s14, (.LBB2_8675-.Lpost_getpc33009)&4294967295
	s_addc_u32 s15, s15, (.LBB2_8675-.Lpost_getpc33009)>>32
	s_setpc_b64 s[14:15]
.LBB2_33009:
	s_getpc_b64 s[14:15]
.Lpost_getpc20088:
	s_add_u32 s14, s14, (.LBB2_8676-.Lpost_getpc20088)&4294967295
	s_addc_u32 s15, s15, (.LBB2_8676-.Lpost_getpc20088)>>32
	s_setpc_b64 s[14:15]
.LBB2_23013:
	s_movk_i32 s4, 0x80
	v_cmp_eq_u16_sdwa s[12:13], v5, s4 src0_sel:BYTE_0 src1_sel:DWORD
	s_mov_b64 s[4:5], -1
                                        ; implicit-def: $sgpr10
	s_and_saveexec_b64 s[8:9], s[12:13]
; %bb.23014:
	s_mov_b32 s10, 0x7f800001
	s_xor_b64 s[4:5], exec, -1
; %bb.23015:
	s_or_b64 exec, exec, s[8:9]
	s_and_b64 s[4:5], s[4:5], exec
	s_or_saveexec_b64 s[6:7], s[6:7]
	v_mov_b32_e32 v3, s10
	s_xor_b64 exec, exec, s[6:7]
	s_cbranch_execnz .LBB2_23016
; %bb.58853:
	s_getpc_b64 s[14:15]
.Lpost_getpc33010:
	s_add_u32 s14, s14, (.LBB2_8678-.Lpost_getpc33010)&4294967295
	s_addc_u32 s15, s15, (.LBB2_8678-.Lpost_getpc33010)>>32
	s_setpc_b64 s[14:15]
.LBB2_23016:
	v_mov_b32_e32 v3, 0
	v_cmp_ne_u16_sdwa s[8:9], v5, v3 src0_sel:BYTE_0 src1_sel:DWORD
	s_andn2_b64 s[4:5], s[4:5], exec
	s_and_b64 s[8:9], s[8:9], exec
	s_or_b64 s[4:5], s[4:5], s[8:9]
	s_or_b64 exec, exec, s[6:7]
	s_and_saveexec_b64 s[6:7], s[4:5]
	s_cbranch_execz .LBB2_33011
; %bb.58855:
	s_getpc_b64 s[14:15]
.Lpost_getpc33011:
	s_add_u32 s14, s14, (.LBB2_8679-.Lpost_getpc33011)&4294967295
	s_addc_u32 s15, s15, (.LBB2_8679-.Lpost_getpc33011)>>32
	s_setpc_b64 s[14:15]
.LBB2_33011:
	s_getpc_b64 s[14:15]
.Lpost_getpc20089:
	s_add_u32 s14, s14, (.LBB2_8680-.Lpost_getpc20089)&4294967295
	s_addc_u32 s15, s15, (.LBB2_8680-.Lpost_getpc20089)>>32
	s_setpc_b64 s[14:15]
.LBB2_23017:
	s_movk_i32 s4, 0x80
	v_cmp_eq_u16_sdwa s[12:13], v3, s4 src0_sel:BYTE_0 src1_sel:DWORD
	s_mov_b64 s[4:5], -1
                                        ; implicit-def: $sgpr10
	s_and_saveexec_b64 s[8:9], s[12:13]
; %bb.23018:
	s_mov_b32 s10, 0x7f800001
	s_xor_b64 s[4:5], exec, -1
; %bb.23019:
	s_or_b64 exec, exec, s[8:9]
	s_and_b64 s[4:5], s[4:5], exec
	s_or_saveexec_b64 s[6:7], s[6:7]
	v_mov_b32_e32 v2, s10
	s_xor_b64 exec, exec, s[6:7]
	s_cbranch_execnz .LBB2_23020
; %bb.58857:
	s_getpc_b64 s[14:15]
.Lpost_getpc33012:
	s_add_u32 s14, s14, (.LBB2_8682-.Lpost_getpc33012)&4294967295
	s_addc_u32 s15, s15, (.LBB2_8682-.Lpost_getpc33012)>>32
	s_setpc_b64 s[14:15]
.LBB2_23020:
	v_mov_b32_e32 v2, 0
	v_cmp_ne_u16_sdwa s[8:9], v3, v2 src0_sel:BYTE_0 src1_sel:DWORD
	s_andn2_b64 s[4:5], s[4:5], exec
	s_and_b64 s[8:9], s[8:9], exec
	s_or_b64 s[4:5], s[4:5], s[8:9]
	s_or_b64 exec, exec, s[6:7]
	s_and_saveexec_b64 s[6:7], s[4:5]
	s_cbranch_execz .LBB2_33013
; %bb.58859:
	s_getpc_b64 s[14:15]
.Lpost_getpc33013:
	s_add_u32 s14, s14, (.LBB2_8683-.Lpost_getpc33013)&4294967295
	s_addc_u32 s15, s15, (.LBB2_8683-.Lpost_getpc33013)>>32
	s_setpc_b64 s[14:15]
.LBB2_33013:
	s_getpc_b64 s[14:15]
.Lpost_getpc20090:
	s_add_u32 s14, s14, (.LBB2_8684-.Lpost_getpc20090)&4294967295
	s_addc_u32 s15, s15, (.LBB2_8684-.Lpost_getpc20090)>>32
	s_setpc_b64 s[14:15]
.LBB2_23021:
	s_movk_i32 s4, 0x80
	v_cmp_eq_u16_sdwa s[12:13], v3, s4 src0_sel:BYTE_0 src1_sel:DWORD
	s_mov_b64 s[4:5], -1
                                        ; implicit-def: $sgpr10
	s_and_saveexec_b64 s[8:9], s[12:13]
; %bb.23022:
	s_mov_b32 s10, 0x7f800001
	s_xor_b64 s[4:5], exec, -1
; %bb.23023:
	s_or_b64 exec, exec, s[8:9]
	s_and_b64 s[4:5], s[4:5], exec
	s_or_saveexec_b64 s[6:7], s[6:7]
	v_mov_b32_e32 v4, s10
	s_xor_b64 exec, exec, s[6:7]
	s_cbranch_execnz .LBB2_23024
; %bb.58861:
	s_getpc_b64 s[14:15]
.Lpost_getpc33014:
	s_add_u32 s14, s14, (.LBB2_8686-.Lpost_getpc33014)&4294967295
	s_addc_u32 s15, s15, (.LBB2_8686-.Lpost_getpc33014)>>32
	s_setpc_b64 s[14:15]
.LBB2_23024:
	v_mov_b32_e32 v4, 0
	v_cmp_ne_u16_sdwa s[8:9], v3, v4 src0_sel:BYTE_0 src1_sel:DWORD
	s_andn2_b64 s[4:5], s[4:5], exec
	s_and_b64 s[8:9], s[8:9], exec
	s_or_b64 s[4:5], s[4:5], s[8:9]
	s_or_b64 exec, exec, s[6:7]
	s_and_saveexec_b64 s[6:7], s[4:5]
	s_cbranch_execz .LBB2_33015
; %bb.58863:
	s_getpc_b64 s[14:15]
.Lpost_getpc33015:
	s_add_u32 s14, s14, (.LBB2_8687-.Lpost_getpc33015)&4294967295
	s_addc_u32 s15, s15, (.LBB2_8687-.Lpost_getpc33015)>>32
	s_setpc_b64 s[14:15]
.LBB2_33015:
	s_getpc_b64 s[14:15]
.Lpost_getpc20091:
	s_add_u32 s14, s14, (.LBB2_8688-.Lpost_getpc20091)&4294967295
	s_addc_u32 s15, s15, (.LBB2_8688-.Lpost_getpc20091)>>32
	s_setpc_b64 s[14:15]
.LBB2_23025:
	s_movk_i32 s4, 0x80
	v_cmp_eq_u16_e32 vcc, s4, v3
	s_mov_b64 s[4:5], -1
                                        ; implicit-def: $sgpr10
	s_and_saveexec_b64 s[8:9], vcc
; %bb.23026:
	s_mov_b32 s10, 0x7f800001
	s_xor_b64 s[4:5], exec, -1
; %bb.23027:
	s_or_b64 exec, exec, s[8:9]
	s_and_b64 s[4:5], s[4:5], exec
                                        ; implicit-def: $vgpr3
	s_or_saveexec_b64 s[6:7], s[6:7]
	v_mov_b32_e32 v2, s10
	s_xor_b64 exec, exec, s[6:7]
	s_cbranch_execnz .LBB2_23028
; %bb.58865:
	s_getpc_b64 s[14:15]
.Lpost_getpc33016:
	s_add_u32 s14, s14, (.LBB2_8690-.Lpost_getpc33016)&4294967295
	s_addc_u32 s15, s15, (.LBB2_8690-.Lpost_getpc33016)>>32
	s_setpc_b64 s[14:15]
.LBB2_23028:
	v_cmp_ne_u16_e32 vcc, 0, v3
	s_andn2_b64 s[4:5], s[4:5], exec
	s_and_b64 s[8:9], vcc, exec
	v_mov_b32_e32 v2, 0
	s_or_b64 s[4:5], s[4:5], s[8:9]
	s_or_b64 exec, exec, s[6:7]
	s_and_saveexec_b64 s[6:7], s[4:5]
	s_cbranch_execz .LBB2_33017
; %bb.58867:
	s_getpc_b64 s[14:15]
.Lpost_getpc33017:
	s_add_u32 s14, s14, (.LBB2_8691-.Lpost_getpc33017)&4294967295
	s_addc_u32 s15, s15, (.LBB2_8691-.Lpost_getpc33017)>>32
	s_setpc_b64 s[14:15]
.LBB2_33017:
	s_getpc_b64 s[14:15]
.Lpost_getpc20092:
	s_add_u32 s14, s14, (.LBB2_8692-.Lpost_getpc20092)&4294967295
	s_addc_u32 s15, s15, (.LBB2_8692-.Lpost_getpc20092)>>32
	s_setpc_b64 s[14:15]
.LBB2_23029:
	s_movk_i32 s4, 0x80
	v_cmp_eq_u16_e32 vcc, s4, v3
	s_mov_b64 s[4:5], -1
                                        ; implicit-def: $sgpr10
	s_and_saveexec_b64 s[8:9], vcc
; %bb.23030:
	s_mov_b32 s10, 0x7f800001
	s_xor_b64 s[4:5], exec, -1
; %bb.23031:
	s_or_b64 exec, exec, s[8:9]
	s_and_b64 s[4:5], s[4:5], exec
                                        ; implicit-def: $vgpr3
	s_or_saveexec_b64 s[6:7], s[6:7]
	v_mov_b32_e32 v4, s10
	s_xor_b64 exec, exec, s[6:7]
	s_cbranch_execnz .LBB2_23032
; %bb.58869:
	s_getpc_b64 s[14:15]
.Lpost_getpc33018:
	s_add_u32 s14, s14, (.LBB2_8694-.Lpost_getpc33018)&4294967295
	s_addc_u32 s15, s15, (.LBB2_8694-.Lpost_getpc33018)>>32
	s_setpc_b64 s[14:15]
.LBB2_23032:
	v_cmp_ne_u16_e32 vcc, 0, v3
	s_andn2_b64 s[4:5], s[4:5], exec
	s_and_b64 s[8:9], vcc, exec
	v_mov_b32_e32 v4, 0
	s_or_b64 s[4:5], s[4:5], s[8:9]
	s_or_b64 exec, exec, s[6:7]
	s_and_saveexec_b64 s[6:7], s[4:5]
	s_cbranch_execz .LBB2_33019
; %bb.58871:
	s_getpc_b64 s[14:15]
.Lpost_getpc33019:
	s_add_u32 s14, s14, (.LBB2_8695-.Lpost_getpc33019)&4294967295
	s_addc_u32 s15, s15, (.LBB2_8695-.Lpost_getpc33019)>>32
	s_setpc_b64 s[14:15]
.LBB2_33019:
	s_getpc_b64 s[14:15]
.Lpost_getpc20093:
	s_add_u32 s14, s14, (.LBB2_8696-.Lpost_getpc20093)&4294967295
	s_addc_u32 s15, s15, (.LBB2_8696-.Lpost_getpc20093)>>32
	s_setpc_b64 s[14:15]
.LBB2_23033:
	s_movk_i32 s4, 0x80
	v_cmp_eq_u16_sdwa s[12:13], v9, s4 src0_sel:BYTE_3 src1_sel:DWORD
	s_mov_b64 s[4:5], -1
                                        ; implicit-def: $sgpr10
	s_and_saveexec_b64 s[8:9], s[12:13]
; %bb.23034:
	s_mov_b32 s10, 0x7f800001
	s_xor_b64 s[4:5], exec, -1
; %bb.23035:
	s_or_b64 exec, exec, s[8:9]
	s_and_b64 s[4:5], s[4:5], exec
	s_or_saveexec_b64 s[6:7], s[6:7]
	v_mov_b32_e32 v2, s10
	s_xor_b64 exec, exec, s[6:7]
	s_cbranch_execnz .LBB2_23036
; %bb.58873:
	s_getpc_b64 s[14:15]
.Lpost_getpc33020:
	s_add_u32 s14, s14, (.LBB2_8698-.Lpost_getpc33020)&4294967295
	s_addc_u32 s15, s15, (.LBB2_8698-.Lpost_getpc33020)>>32
	s_setpc_b64 s[14:15]
.LBB2_23036:
	v_mov_b32_e32 v2, 0
	v_cmp_ne_u16_sdwa s[8:9], v9, v2 src0_sel:BYTE_3 src1_sel:DWORD
	s_andn2_b64 s[4:5], s[4:5], exec
	s_and_b64 s[8:9], s[8:9], exec
	s_or_b64 s[4:5], s[4:5], s[8:9]
	s_or_b64 exec, exec, s[6:7]
	s_and_saveexec_b64 s[6:7], s[4:5]
	s_cbranch_execz .LBB2_33021
; %bb.58875:
	s_getpc_b64 s[14:15]
.Lpost_getpc33021:
	s_add_u32 s14, s14, (.LBB2_8699-.Lpost_getpc33021)&4294967295
	s_addc_u32 s15, s15, (.LBB2_8699-.Lpost_getpc33021)>>32
	s_setpc_b64 s[14:15]
.LBB2_33021:
	s_getpc_b64 s[14:15]
.Lpost_getpc20094:
	s_add_u32 s14, s14, (.LBB2_8700-.Lpost_getpc20094)&4294967295
	s_addc_u32 s15, s15, (.LBB2_8700-.Lpost_getpc20094)>>32
	s_setpc_b64 s[14:15]
.LBB2_23037:
	s_movk_i32 s4, 0x80
	v_cmp_eq_u16_sdwa s[12:13], v5, s4 src0_sel:BYTE_3 src1_sel:DWORD
	s_mov_b64 s[4:5], -1
                                        ; implicit-def: $sgpr10
	s_and_saveexec_b64 s[8:9], s[12:13]
; %bb.23038:
	s_mov_b32 s10, 0x7f800001
	s_xor_b64 s[4:5], exec, -1
; %bb.23039:
	s_or_b64 exec, exec, s[8:9]
	s_and_b64 s[4:5], s[4:5], exec
	s_or_saveexec_b64 s[6:7], s[6:7]
	v_mov_b32_e32 v3, s10
	s_xor_b64 exec, exec, s[6:7]
	s_cbranch_execnz .LBB2_23040
; %bb.58877:
	s_getpc_b64 s[14:15]
.Lpost_getpc33022:
	s_add_u32 s14, s14, (.LBB2_8702-.Lpost_getpc33022)&4294967295
	s_addc_u32 s15, s15, (.LBB2_8702-.Lpost_getpc33022)>>32
	s_setpc_b64 s[14:15]
.LBB2_23040:
	v_mov_b32_e32 v3, 0
	v_cmp_ne_u16_sdwa s[8:9], v5, v3 src0_sel:BYTE_3 src1_sel:DWORD
	s_andn2_b64 s[4:5], s[4:5], exec
	s_and_b64 s[8:9], s[8:9], exec
	s_or_b64 s[4:5], s[4:5], s[8:9]
	s_or_b64 exec, exec, s[6:7]
	s_and_saveexec_b64 s[6:7], s[4:5]
	s_cbranch_execz .LBB2_33023
; %bb.58879:
	s_getpc_b64 s[14:15]
.Lpost_getpc33023:
	s_add_u32 s14, s14, (.LBB2_8703-.Lpost_getpc33023)&4294967295
	s_addc_u32 s15, s15, (.LBB2_8703-.Lpost_getpc33023)>>32
	s_setpc_b64 s[14:15]
.LBB2_33023:
	s_getpc_b64 s[14:15]
.Lpost_getpc20095:
	s_add_u32 s14, s14, (.LBB2_8704-.Lpost_getpc20095)&4294967295
	s_addc_u32 s15, s15, (.LBB2_8704-.Lpost_getpc20095)>>32
	s_setpc_b64 s[14:15]
.LBB2_23041:
	s_movk_i32 s4, 0x80
	v_cmp_eq_u16_sdwa s[12:13], v6, s4 src0_sel:BYTE_0 src1_sel:DWORD
	s_mov_b64 s[4:5], -1
                                        ; implicit-def: $sgpr10
	s_and_saveexec_b64 s[8:9], s[12:13]
; %bb.23042:
	s_mov_b32 s10, 0x7f800001
	s_xor_b64 s[4:5], exec, -1
; %bb.23043:
	s_or_b64 exec, exec, s[8:9]
	s_and_b64 s[4:5], s[4:5], exec
	s_or_saveexec_b64 s[6:7], s[6:7]
	v_mov_b32_e32 v12, s10
	s_xor_b64 exec, exec, s[6:7]
	s_cbranch_execnz .LBB2_23044
; %bb.58881:
	s_getpc_b64 s[14:15]
.Lpost_getpc33024:
	s_add_u32 s14, s14, (.LBB2_8706-.Lpost_getpc33024)&4294967295
	s_addc_u32 s15, s15, (.LBB2_8706-.Lpost_getpc33024)>>32
	s_setpc_b64 s[14:15]
.LBB2_23044:
	v_mov_b32_e32 v12, 0
	v_cmp_ne_u16_sdwa s[8:9], v6, v12 src0_sel:BYTE_0 src1_sel:DWORD
	s_andn2_b64 s[4:5], s[4:5], exec
	s_and_b64 s[8:9], s[8:9], exec
	s_or_b64 s[4:5], s[4:5], s[8:9]
	s_or_b64 exec, exec, s[6:7]
	s_and_saveexec_b64 s[6:7], s[4:5]
	s_cbranch_execz .LBB2_33025
; %bb.58883:
	s_getpc_b64 s[14:15]
.Lpost_getpc33025:
	s_add_u32 s14, s14, (.LBB2_8707-.Lpost_getpc33025)&4294967295
	s_addc_u32 s15, s15, (.LBB2_8707-.Lpost_getpc33025)>>32
	s_setpc_b64 s[14:15]
.LBB2_33025:
	s_getpc_b64 s[14:15]
.Lpost_getpc20096:
	s_add_u32 s14, s14, (.LBB2_8708-.Lpost_getpc20096)&4294967295
	s_addc_u32 s15, s15, (.LBB2_8708-.Lpost_getpc20096)>>32
	s_setpc_b64 s[14:15]
.LBB2_23045:
	s_movk_i32 s4, 0x80
	v_cmp_eq_u16_sdwa s[12:13], v2, s4 src0_sel:BYTE_0 src1_sel:DWORD
	s_mov_b64 s[4:5], -1
                                        ; implicit-def: $sgpr10
	s_and_saveexec_b64 s[8:9], s[12:13]
; %bb.23046:
	s_mov_b32 s10, 0x7f800001
	s_xor_b64 s[4:5], exec, -1
; %bb.23047:
	s_or_b64 exec, exec, s[8:9]
	s_and_b64 s[4:5], s[4:5], exec
	s_or_saveexec_b64 s[6:7], s[6:7]
	v_mov_b32_e32 v13, s10
	s_xor_b64 exec, exec, s[6:7]
	s_cbranch_execnz .LBB2_23048
; %bb.58885:
	s_getpc_b64 s[14:15]
.Lpost_getpc33026:
	s_add_u32 s14, s14, (.LBB2_8710-.Lpost_getpc33026)&4294967295
	s_addc_u32 s15, s15, (.LBB2_8710-.Lpost_getpc33026)>>32
	s_setpc_b64 s[14:15]
.LBB2_23048:
	v_mov_b32_e32 v13, 0
	v_cmp_ne_u16_sdwa s[8:9], v2, v13 src0_sel:BYTE_0 src1_sel:DWORD
	s_andn2_b64 s[4:5], s[4:5], exec
	s_and_b64 s[8:9], s[8:9], exec
	s_or_b64 s[4:5], s[4:5], s[8:9]
	s_or_b64 exec, exec, s[6:7]
	s_and_saveexec_b64 s[6:7], s[4:5]
	s_cbranch_execz .LBB2_33027
; %bb.58887:
	s_getpc_b64 s[14:15]
.Lpost_getpc33027:
	s_add_u32 s14, s14, (.LBB2_8711-.Lpost_getpc33027)&4294967295
	s_addc_u32 s15, s15, (.LBB2_8711-.Lpost_getpc33027)>>32
	s_setpc_b64 s[14:15]
.LBB2_33027:
	s_getpc_b64 s[14:15]
.Lpost_getpc20097:
	s_add_u32 s14, s14, (.LBB2_8712-.Lpost_getpc20097)&4294967295
	s_addc_u32 s15, s15, (.LBB2_8712-.Lpost_getpc20097)>>32
	s_setpc_b64 s[14:15]
.LBB2_23049:
	s_movk_i32 s4, 0x80
	v_cmp_eq_u16_sdwa s[12:13], v13, s4 src0_sel:BYTE_0 src1_sel:DWORD
	s_mov_b64 s[4:5], -1
                                        ; implicit-def: $sgpr10
	s_and_saveexec_b64 s[8:9], s[12:13]
; %bb.23050:
	s_mov_b32 s10, 0x7f800001
	s_xor_b64 s[4:5], exec, -1
; %bb.23051:
	s_or_b64 exec, exec, s[8:9]
	s_and_b64 s[4:5], s[4:5], exec
	s_or_saveexec_b64 s[6:7], s[6:7]
	v_mov_b32_e32 v12, s10
	s_xor_b64 exec, exec, s[6:7]
	s_cbranch_execnz .LBB2_23052
; %bb.58889:
	s_getpc_b64 s[14:15]
.Lpost_getpc33028:
	s_add_u32 s14, s14, (.LBB2_8714-.Lpost_getpc33028)&4294967295
	s_addc_u32 s15, s15, (.LBB2_8714-.Lpost_getpc33028)>>32
	s_setpc_b64 s[14:15]
.LBB2_23052:
	v_mov_b32_e32 v12, 0
	v_cmp_ne_u16_sdwa s[8:9], v13, v12 src0_sel:BYTE_0 src1_sel:DWORD
	s_andn2_b64 s[4:5], s[4:5], exec
	s_and_b64 s[8:9], s[8:9], exec
	s_or_b64 s[4:5], s[4:5], s[8:9]
	s_or_b64 exec, exec, s[6:7]
	s_and_saveexec_b64 s[6:7], s[4:5]
	s_cbranch_execz .LBB2_33029
; %bb.58891:
	s_getpc_b64 s[14:15]
.Lpost_getpc33029:
	s_add_u32 s14, s14, (.LBB2_8715-.Lpost_getpc33029)&4294967295
	s_addc_u32 s15, s15, (.LBB2_8715-.Lpost_getpc33029)>>32
	s_setpc_b64 s[14:15]
.LBB2_33029:
	s_getpc_b64 s[14:15]
.Lpost_getpc20098:
	s_add_u32 s14, s14, (.LBB2_8716-.Lpost_getpc20098)&4294967295
	s_addc_u32 s15, s15, (.LBB2_8716-.Lpost_getpc20098)>>32
	s_setpc_b64 s[14:15]
.LBB2_23053:
	s_movk_i32 s4, 0x80
	v_cmp_eq_u16_sdwa s[12:13], v13, s4 src0_sel:BYTE_0 src1_sel:DWORD
	s_mov_b64 s[4:5], -1
                                        ; implicit-def: $sgpr10
	s_and_saveexec_b64 s[8:9], s[12:13]
; %bb.23054:
	s_mov_b32 s10, 0x7f800001
	s_xor_b64 s[4:5], exec, -1
; %bb.23055:
	s_or_b64 exec, exec, s[8:9]
	s_and_b64 s[4:5], s[4:5], exec
	s_or_saveexec_b64 s[6:7], s[6:7]
	v_mov_b32_e32 v14, s10
	s_xor_b64 exec, exec, s[6:7]
	s_cbranch_execnz .LBB2_23056
; %bb.58893:
	s_getpc_b64 s[14:15]
.Lpost_getpc33030:
	s_add_u32 s14, s14, (.LBB2_8718-.Lpost_getpc33030)&4294967295
	s_addc_u32 s15, s15, (.LBB2_8718-.Lpost_getpc33030)>>32
	s_setpc_b64 s[14:15]
.LBB2_23056:
	v_mov_b32_e32 v14, 0
	v_cmp_ne_u16_sdwa s[8:9], v13, v14 src0_sel:BYTE_0 src1_sel:DWORD
	s_andn2_b64 s[4:5], s[4:5], exec
	s_and_b64 s[8:9], s[8:9], exec
	s_or_b64 s[4:5], s[4:5], s[8:9]
	s_or_b64 exec, exec, s[6:7]
	s_and_saveexec_b64 s[6:7], s[4:5]
	s_cbranch_execz .LBB2_33031
; %bb.58895:
	s_getpc_b64 s[14:15]
.Lpost_getpc33031:
	s_add_u32 s14, s14, (.LBB2_8719-.Lpost_getpc33031)&4294967295
	s_addc_u32 s15, s15, (.LBB2_8719-.Lpost_getpc33031)>>32
	s_setpc_b64 s[14:15]
.LBB2_33031:
	s_getpc_b64 s[14:15]
.Lpost_getpc20099:
	s_add_u32 s14, s14, (.LBB2_8720-.Lpost_getpc20099)&4294967295
	s_addc_u32 s15, s15, (.LBB2_8720-.Lpost_getpc20099)>>32
	s_setpc_b64 s[14:15]
.LBB2_23057:
	s_movk_i32 s4, 0x80
	v_cmp_eq_u16_e32 vcc, s4, v13
	s_mov_b64 s[4:5], -1
                                        ; implicit-def: $sgpr10
	s_and_saveexec_b64 s[8:9], vcc
; %bb.23058:
	s_mov_b32 s10, 0x7f800001
	s_xor_b64 s[4:5], exec, -1
; %bb.23059:
	s_or_b64 exec, exec, s[8:9]
	s_and_b64 s[4:5], s[4:5], exec
                                        ; implicit-def: $vgpr13
	s_or_saveexec_b64 s[6:7], s[6:7]
	v_mov_b32_e32 v12, s10
	s_xor_b64 exec, exec, s[6:7]
	s_cbranch_execnz .LBB2_23060
; %bb.58897:
	s_getpc_b64 s[14:15]
.Lpost_getpc33032:
	s_add_u32 s14, s14, (.LBB2_8722-.Lpost_getpc33032)&4294967295
	s_addc_u32 s15, s15, (.LBB2_8722-.Lpost_getpc33032)>>32
	s_setpc_b64 s[14:15]
.LBB2_23060:
	v_cmp_ne_u16_e32 vcc, 0, v13
	s_andn2_b64 s[4:5], s[4:5], exec
	s_and_b64 s[8:9], vcc, exec
	v_mov_b32_e32 v12, 0
	s_or_b64 s[4:5], s[4:5], s[8:9]
	s_or_b64 exec, exec, s[6:7]
	s_and_saveexec_b64 s[6:7], s[4:5]
	s_cbranch_execz .LBB2_33033
; %bb.58899:
	s_getpc_b64 s[14:15]
.Lpost_getpc33033:
	s_add_u32 s14, s14, (.LBB2_8723-.Lpost_getpc33033)&4294967295
	s_addc_u32 s15, s15, (.LBB2_8723-.Lpost_getpc33033)>>32
	s_setpc_b64 s[14:15]
.LBB2_33033:
	s_getpc_b64 s[14:15]
.Lpost_getpc20100:
	s_add_u32 s14, s14, (.LBB2_8724-.Lpost_getpc20100)&4294967295
	s_addc_u32 s15, s15, (.LBB2_8724-.Lpost_getpc20100)>>32
	s_setpc_b64 s[14:15]
.LBB2_23061:
	s_movk_i32 s4, 0x80
	v_cmp_eq_u16_e32 vcc, s4, v13
	s_mov_b64 s[4:5], -1
                                        ; implicit-def: $sgpr10
	s_and_saveexec_b64 s[8:9], vcc
; %bb.23062:
	s_mov_b32 s10, 0x7f800001
	s_xor_b64 s[4:5], exec, -1
; %bb.23063:
	s_or_b64 exec, exec, s[8:9]
	s_and_b64 s[4:5], s[4:5], exec
                                        ; implicit-def: $vgpr13
	s_or_saveexec_b64 s[6:7], s[6:7]
	v_mov_b32_e32 v14, s10
	s_xor_b64 exec, exec, s[6:7]
	s_cbranch_execnz .LBB2_23064
; %bb.58901:
	s_getpc_b64 s[14:15]
.Lpost_getpc33034:
	s_add_u32 s14, s14, (.LBB2_8726-.Lpost_getpc33034)&4294967295
	s_addc_u32 s15, s15, (.LBB2_8726-.Lpost_getpc33034)>>32
	s_setpc_b64 s[14:15]
.LBB2_23064:
	v_cmp_ne_u16_e32 vcc, 0, v13
	s_andn2_b64 s[4:5], s[4:5], exec
	s_and_b64 s[8:9], vcc, exec
	v_mov_b32_e32 v14, 0
	s_or_b64 s[4:5], s[4:5], s[8:9]
	s_or_b64 exec, exec, s[6:7]
	s_and_saveexec_b64 s[6:7], s[4:5]
	s_cbranch_execz .LBB2_33035
; %bb.58903:
	s_getpc_b64 s[14:15]
.Lpost_getpc33035:
	s_add_u32 s14, s14, (.LBB2_8727-.Lpost_getpc33035)&4294967295
	s_addc_u32 s15, s15, (.LBB2_8727-.Lpost_getpc33035)>>32
	s_setpc_b64 s[14:15]
.LBB2_33035:
	s_getpc_b64 s[14:15]
.Lpost_getpc20101:
	s_add_u32 s14, s14, (.LBB2_8728-.Lpost_getpc20101)&4294967295
	s_addc_u32 s15, s15, (.LBB2_8728-.Lpost_getpc20101)>>32
	s_setpc_b64 s[14:15]
.LBB2_23065:
	s_movk_i32 s4, 0x80
	v_cmp_eq_u16_sdwa s[12:13], v6, s4 src0_sel:BYTE_3 src1_sel:DWORD
	s_mov_b64 s[4:5], -1
                                        ; implicit-def: $sgpr10
	s_and_saveexec_b64 s[8:9], s[12:13]
; %bb.23066:
	s_mov_b32 s10, 0x7f800001
	s_xor_b64 s[4:5], exec, -1
; %bb.23067:
	s_or_b64 exec, exec, s[8:9]
	s_and_b64 s[4:5], s[4:5], exec
	s_or_saveexec_b64 s[6:7], s[6:7]
	v_mov_b32_e32 v12, s10
	s_xor_b64 exec, exec, s[6:7]
	s_cbranch_execnz .LBB2_23068
; %bb.58905:
	s_getpc_b64 s[14:15]
.Lpost_getpc33036:
	s_add_u32 s14, s14, (.LBB2_8730-.Lpost_getpc33036)&4294967295
	s_addc_u32 s15, s15, (.LBB2_8730-.Lpost_getpc33036)>>32
	s_setpc_b64 s[14:15]
.LBB2_23068:
	v_mov_b32_e32 v12, 0
	v_cmp_ne_u16_sdwa s[8:9], v6, v12 src0_sel:BYTE_3 src1_sel:DWORD
	s_andn2_b64 s[4:5], s[4:5], exec
	s_and_b64 s[8:9], s[8:9], exec
	s_or_b64 s[4:5], s[4:5], s[8:9]
	s_or_b64 exec, exec, s[6:7]
	s_and_saveexec_b64 s[6:7], s[4:5]
	s_cbranch_execz .LBB2_33037
; %bb.58907:
	s_getpc_b64 s[14:15]
.Lpost_getpc33037:
	s_add_u32 s14, s14, (.LBB2_8731-.Lpost_getpc33037)&4294967295
	s_addc_u32 s15, s15, (.LBB2_8731-.Lpost_getpc33037)>>32
	s_setpc_b64 s[14:15]
.LBB2_33037:
	s_getpc_b64 s[14:15]
.Lpost_getpc20102:
	s_add_u32 s14, s14, (.LBB2_8732-.Lpost_getpc20102)&4294967295
	s_addc_u32 s15, s15, (.LBB2_8732-.Lpost_getpc20102)>>32
	s_setpc_b64 s[14:15]
.LBB2_23069:
	s_movk_i32 s4, 0x80
	v_cmp_eq_u16_sdwa s[12:13], v2, s4 src0_sel:BYTE_3 src1_sel:DWORD
	s_mov_b64 s[4:5], -1
                                        ; implicit-def: $sgpr10
	s_and_saveexec_b64 s[8:9], s[12:13]
; %bb.23070:
	s_mov_b32 s10, 0x7f800001
	s_xor_b64 s[4:5], exec, -1
; %bb.23071:
	s_or_b64 exec, exec, s[8:9]
	s_and_b64 s[4:5], s[4:5], exec
	s_or_saveexec_b64 s[6:7], s[6:7]
	v_mov_b32_e32 v6, s10
	s_xor_b64 exec, exec, s[6:7]
	s_cbranch_execnz .LBB2_23072
; %bb.58909:
	s_getpc_b64 s[14:15]
.Lpost_getpc33038:
	s_add_u32 s14, s14, (.LBB2_8734-.Lpost_getpc33038)&4294967295
	s_addc_u32 s15, s15, (.LBB2_8734-.Lpost_getpc33038)>>32
	s_setpc_b64 s[14:15]
.LBB2_23072:
	v_mov_b32_e32 v6, 0
	v_cmp_ne_u16_sdwa s[8:9], v2, v6 src0_sel:BYTE_3 src1_sel:DWORD
	s_andn2_b64 s[4:5], s[4:5], exec
	s_and_b64 s[8:9], s[8:9], exec
	s_or_b64 s[4:5], s[4:5], s[8:9]
	s_or_b64 exec, exec, s[6:7]
	s_and_saveexec_b64 s[6:7], s[4:5]
	s_cbranch_execz .LBB2_33039
; %bb.58911:
	s_getpc_b64 s[14:15]
.Lpost_getpc33039:
	s_add_u32 s14, s14, (.LBB2_8735-.Lpost_getpc33039)&4294967295
	s_addc_u32 s15, s15, (.LBB2_8735-.Lpost_getpc33039)>>32
	s_setpc_b64 s[14:15]
.LBB2_33039:
	s_getpc_b64 s[14:15]
.Lpost_getpc20103:
	s_add_u32 s14, s14, (.LBB2_8736-.Lpost_getpc20103)&4294967295
	s_addc_u32 s15, s15, (.LBB2_8736-.Lpost_getpc20103)>>32
	s_setpc_b64 s[14:15]
.LBB2_23073:
	s_movk_i32 s4, 0x80
	v_cmp_eq_u16_sdwa s[12:13], v7, s4 src0_sel:BYTE_0 src1_sel:DWORD
	s_mov_b64 s[4:5], -1
                                        ; implicit-def: $sgpr10
	s_and_saveexec_b64 s[8:9], s[12:13]
; %bb.23074:
	s_mov_b32 s10, 0x7f800001
	s_xor_b64 s[4:5], exec, -1
; %bb.23075:
	s_or_b64 exec, exec, s[8:9]
	s_and_b64 s[4:5], s[4:5], exec
	s_or_saveexec_b64 s[6:7], s[6:7]
	v_mov_b32_e32 v2, s10
	s_xor_b64 exec, exec, s[6:7]
	s_cbranch_execnz .LBB2_23076
; %bb.58913:
	s_getpc_b64 s[14:15]
.Lpost_getpc33040:
	s_add_u32 s14, s14, (.LBB2_8738-.Lpost_getpc33040)&4294967295
	s_addc_u32 s15, s15, (.LBB2_8738-.Lpost_getpc33040)>>32
	s_setpc_b64 s[14:15]
.LBB2_23076:
	v_mov_b32_e32 v2, 0
	v_cmp_ne_u16_sdwa s[8:9], v7, v2 src0_sel:BYTE_0 src1_sel:DWORD
	s_andn2_b64 s[4:5], s[4:5], exec
	s_and_b64 s[8:9], s[8:9], exec
	s_or_b64 s[4:5], s[4:5], s[8:9]
	s_or_b64 exec, exec, s[6:7]
	s_and_saveexec_b64 s[6:7], s[4:5]
	s_cbranch_execz .LBB2_33041
; %bb.58915:
	s_getpc_b64 s[14:15]
.Lpost_getpc33041:
	s_add_u32 s14, s14, (.LBB2_8739-.Lpost_getpc33041)&4294967295
	s_addc_u32 s15, s15, (.LBB2_8739-.Lpost_getpc33041)>>32
	s_setpc_b64 s[14:15]
.LBB2_33041:
	s_getpc_b64 s[14:15]
.Lpost_getpc20104:
	s_add_u32 s14, s14, (.LBB2_8740-.Lpost_getpc20104)&4294967295
	s_addc_u32 s15, s15, (.LBB2_8740-.Lpost_getpc20104)>>32
	s_setpc_b64 s[14:15]
.LBB2_23077:
	s_movk_i32 s4, 0x80
	v_cmp_eq_u16_sdwa s[12:13], v3, s4 src0_sel:BYTE_0 src1_sel:DWORD
	s_mov_b64 s[4:5], -1
                                        ; implicit-def: $sgpr10
	s_and_saveexec_b64 s[8:9], s[12:13]
; %bb.23078:
	s_mov_b32 s10, 0x7f800001
	s_xor_b64 s[4:5], exec, -1
; %bb.23079:
	s_or_b64 exec, exec, s[8:9]
	s_and_b64 s[4:5], s[4:5], exec
	s_or_saveexec_b64 s[6:7], s[6:7]
	v_mov_b32_e32 v6, s10
	s_xor_b64 exec, exec, s[6:7]
	s_cbranch_execnz .LBB2_23080
; %bb.58917:
	s_getpc_b64 s[14:15]
.Lpost_getpc33042:
	s_add_u32 s14, s14, (.LBB2_8742-.Lpost_getpc33042)&4294967295
	s_addc_u32 s15, s15, (.LBB2_8742-.Lpost_getpc33042)>>32
	s_setpc_b64 s[14:15]
.LBB2_23080:
	v_mov_b32_e32 v6, 0
	v_cmp_ne_u16_sdwa s[8:9], v3, v6 src0_sel:BYTE_0 src1_sel:DWORD
	s_andn2_b64 s[4:5], s[4:5], exec
	s_and_b64 s[8:9], s[8:9], exec
	s_or_b64 s[4:5], s[4:5], s[8:9]
	s_or_b64 exec, exec, s[6:7]
	s_and_saveexec_b64 s[6:7], s[4:5]
	s_cbranch_execz .LBB2_33043
; %bb.58919:
	s_getpc_b64 s[14:15]
.Lpost_getpc33043:
	s_add_u32 s14, s14, (.LBB2_8743-.Lpost_getpc33043)&4294967295
	s_addc_u32 s15, s15, (.LBB2_8743-.Lpost_getpc33043)>>32
	s_setpc_b64 s[14:15]
.LBB2_33043:
	s_getpc_b64 s[14:15]
.Lpost_getpc20105:
	s_add_u32 s14, s14, (.LBB2_8744-.Lpost_getpc20105)&4294967295
	s_addc_u32 s15, s15, (.LBB2_8744-.Lpost_getpc20105)>>32
	s_setpc_b64 s[14:15]
.LBB2_23081:
	s_movk_i32 s4, 0x80
	v_cmp_eq_u16_sdwa s[12:13], v6, s4 src0_sel:BYTE_0 src1_sel:DWORD
	s_mov_b64 s[4:5], -1
                                        ; implicit-def: $sgpr10
	s_and_saveexec_b64 s[8:9], s[12:13]
; %bb.23082:
	s_mov_b32 s10, 0x7f800001
	s_xor_b64 s[4:5], exec, -1
; %bb.23083:
	s_or_b64 exec, exec, s[8:9]
	s_and_b64 s[4:5], s[4:5], exec
	s_or_saveexec_b64 s[6:7], s[6:7]
	v_mov_b32_e32 v2, s10
	s_xor_b64 exec, exec, s[6:7]
	s_cbranch_execnz .LBB2_23084
; %bb.58921:
	s_getpc_b64 s[14:15]
.Lpost_getpc33044:
	s_add_u32 s14, s14, (.LBB2_8746-.Lpost_getpc33044)&4294967295
	s_addc_u32 s15, s15, (.LBB2_8746-.Lpost_getpc33044)>>32
	s_setpc_b64 s[14:15]
.LBB2_23084:
	v_mov_b32_e32 v2, 0
	v_cmp_ne_u16_sdwa s[8:9], v6, v2 src0_sel:BYTE_0 src1_sel:DWORD
	s_andn2_b64 s[4:5], s[4:5], exec
	s_and_b64 s[8:9], s[8:9], exec
	s_or_b64 s[4:5], s[4:5], s[8:9]
	s_or_b64 exec, exec, s[6:7]
	s_and_saveexec_b64 s[6:7], s[4:5]
	s_cbranch_execz .LBB2_33045
; %bb.58923:
	s_getpc_b64 s[14:15]
.Lpost_getpc33045:
	s_add_u32 s14, s14, (.LBB2_8747-.Lpost_getpc33045)&4294967295
	s_addc_u32 s15, s15, (.LBB2_8747-.Lpost_getpc33045)>>32
	s_setpc_b64 s[14:15]
.LBB2_33045:
	s_getpc_b64 s[14:15]
.Lpost_getpc20106:
	s_add_u32 s14, s14, (.LBB2_8748-.Lpost_getpc20106)&4294967295
	s_addc_u32 s15, s15, (.LBB2_8748-.Lpost_getpc20106)>>32
	s_setpc_b64 s[14:15]
.LBB2_23085:
	s_movk_i32 s4, 0x80
	v_cmp_eq_u16_sdwa s[12:13], v6, s4 src0_sel:BYTE_0 src1_sel:DWORD
	s_mov_b64 s[4:5], -1
                                        ; implicit-def: $sgpr10
	s_and_saveexec_b64 s[8:9], s[12:13]
; %bb.23086:
	s_mov_b32 s10, 0x7f800001
	s_xor_b64 s[4:5], exec, -1
; %bb.23087:
	s_or_b64 exec, exec, s[8:9]
	s_and_b64 s[4:5], s[4:5], exec
	s_or_saveexec_b64 s[6:7], s[6:7]
	v_mov_b32_e32 v12, s10
	s_xor_b64 exec, exec, s[6:7]
	s_cbranch_execnz .LBB2_23088
; %bb.58925:
	s_getpc_b64 s[14:15]
.Lpost_getpc33046:
	s_add_u32 s14, s14, (.LBB2_8750-.Lpost_getpc33046)&4294967295
	s_addc_u32 s15, s15, (.LBB2_8750-.Lpost_getpc33046)>>32
	s_setpc_b64 s[14:15]
.LBB2_23088:
	v_mov_b32_e32 v12, 0
	v_cmp_ne_u16_sdwa s[8:9], v6, v12 src0_sel:BYTE_0 src1_sel:DWORD
	s_andn2_b64 s[4:5], s[4:5], exec
	s_and_b64 s[8:9], s[8:9], exec
	s_or_b64 s[4:5], s[4:5], s[8:9]
	s_or_b64 exec, exec, s[6:7]
	s_and_saveexec_b64 s[6:7], s[4:5]
	s_cbranch_execz .LBB2_33047
; %bb.58927:
	s_getpc_b64 s[14:15]
.Lpost_getpc33047:
	s_add_u32 s14, s14, (.LBB2_8751-.Lpost_getpc33047)&4294967295
	s_addc_u32 s15, s15, (.LBB2_8751-.Lpost_getpc33047)>>32
	s_setpc_b64 s[14:15]
.LBB2_33047:
	s_getpc_b64 s[14:15]
.Lpost_getpc20107:
	s_add_u32 s14, s14, (.LBB2_8752-.Lpost_getpc20107)&4294967295
	s_addc_u32 s15, s15, (.LBB2_8752-.Lpost_getpc20107)>>32
	s_setpc_b64 s[14:15]
.LBB2_23089:
	s_movk_i32 s4, 0x80
	v_cmp_eq_u16_e32 vcc, s4, v6
	s_mov_b64 s[4:5], -1
                                        ; implicit-def: $sgpr10
	s_and_saveexec_b64 s[8:9], vcc
; %bb.23090:
	s_mov_b32 s10, 0x7f800001
	s_xor_b64 s[4:5], exec, -1
; %bb.23091:
	s_or_b64 exec, exec, s[8:9]
	s_and_b64 s[4:5], s[4:5], exec
                                        ; implicit-def: $vgpr6
	s_or_saveexec_b64 s[6:7], s[6:7]
	v_mov_b32_e32 v2, s10
	s_xor_b64 exec, exec, s[6:7]
	s_cbranch_execnz .LBB2_23092
; %bb.58929:
	s_getpc_b64 s[14:15]
.Lpost_getpc33048:
	s_add_u32 s14, s14, (.LBB2_8754-.Lpost_getpc33048)&4294967295
	s_addc_u32 s15, s15, (.LBB2_8754-.Lpost_getpc33048)>>32
	s_setpc_b64 s[14:15]
.LBB2_23092:
	v_cmp_ne_u16_e32 vcc, 0, v6
	s_andn2_b64 s[4:5], s[4:5], exec
	s_and_b64 s[8:9], vcc, exec
	v_mov_b32_e32 v2, 0
	s_or_b64 s[4:5], s[4:5], s[8:9]
	s_or_b64 exec, exec, s[6:7]
	s_and_saveexec_b64 s[6:7], s[4:5]
	s_cbranch_execz .LBB2_33049
; %bb.58931:
	s_getpc_b64 s[14:15]
.Lpost_getpc33049:
	s_add_u32 s14, s14, (.LBB2_8755-.Lpost_getpc33049)&4294967295
	s_addc_u32 s15, s15, (.LBB2_8755-.Lpost_getpc33049)>>32
	s_setpc_b64 s[14:15]
.LBB2_33049:
	s_getpc_b64 s[14:15]
.Lpost_getpc20108:
	s_add_u32 s14, s14, (.LBB2_8756-.Lpost_getpc20108)&4294967295
	s_addc_u32 s15, s15, (.LBB2_8756-.Lpost_getpc20108)>>32
	s_setpc_b64 s[14:15]
.LBB2_23093:
	s_movk_i32 s4, 0x80
	v_cmp_eq_u16_e32 vcc, s4, v6
	s_mov_b64 s[4:5], -1
                                        ; implicit-def: $sgpr10
	s_and_saveexec_b64 s[8:9], vcc
; %bb.23094:
	s_mov_b32 s10, 0x7f800001
	s_xor_b64 s[4:5], exec, -1
; %bb.23095:
	s_or_b64 exec, exec, s[8:9]
	s_and_b64 s[4:5], s[4:5], exec
                                        ; implicit-def: $vgpr6
	s_or_saveexec_b64 s[6:7], s[6:7]
	v_mov_b32_e32 v12, s10
	s_xor_b64 exec, exec, s[6:7]
	s_cbranch_execnz .LBB2_23096
; %bb.58933:
	s_getpc_b64 s[14:15]
.Lpost_getpc33050:
	s_add_u32 s14, s14, (.LBB2_8758-.Lpost_getpc33050)&4294967295
	s_addc_u32 s15, s15, (.LBB2_8758-.Lpost_getpc33050)>>32
	s_setpc_b64 s[14:15]
.LBB2_23096:
	v_cmp_ne_u16_e32 vcc, 0, v6
	s_andn2_b64 s[4:5], s[4:5], exec
	s_and_b64 s[8:9], vcc, exec
	v_mov_b32_e32 v12, 0
	s_or_b64 s[4:5], s[4:5], s[8:9]
	s_or_b64 exec, exec, s[6:7]
	s_and_saveexec_b64 s[6:7], s[4:5]
	s_cbranch_execz .LBB2_33051
; %bb.58935:
	s_getpc_b64 s[14:15]
.Lpost_getpc33051:
	s_add_u32 s14, s14, (.LBB2_8759-.Lpost_getpc33051)&4294967295
	s_addc_u32 s15, s15, (.LBB2_8759-.Lpost_getpc33051)>>32
	s_setpc_b64 s[14:15]
.LBB2_33051:
	s_getpc_b64 s[14:15]
.Lpost_getpc20109:
	s_add_u32 s14, s14, (.LBB2_8760-.Lpost_getpc20109)&4294967295
	s_addc_u32 s15, s15, (.LBB2_8760-.Lpost_getpc20109)>>32
	s_setpc_b64 s[14:15]
.LBB2_23097:
	s_movk_i32 s4, 0x80
	v_cmp_eq_u16_sdwa s[12:13], v7, s4 src0_sel:BYTE_3 src1_sel:DWORD
	s_mov_b64 s[4:5], -1
                                        ; implicit-def: $sgpr10
	s_and_saveexec_b64 s[8:9], s[12:13]
; %bb.23098:
	s_mov_b32 s10, 0x7f800001
	s_xor_b64 s[4:5], exec, -1
; %bb.23099:
	s_or_b64 exec, exec, s[8:9]
	s_and_b64 s[4:5], s[4:5], exec
	s_or_saveexec_b64 s[6:7], s[6:7]
	v_mov_b32_e32 v2, s10
	s_xor_b64 exec, exec, s[6:7]
	s_cbranch_execnz .LBB2_23100
; %bb.58937:
	s_getpc_b64 s[14:15]
.Lpost_getpc33052:
	s_add_u32 s14, s14, (.LBB2_8762-.Lpost_getpc33052)&4294967295
	s_addc_u32 s15, s15, (.LBB2_8762-.Lpost_getpc33052)>>32
	s_setpc_b64 s[14:15]
.LBB2_23100:
	v_mov_b32_e32 v2, 0
	v_cmp_ne_u16_sdwa s[8:9], v7, v2 src0_sel:BYTE_3 src1_sel:DWORD
	s_andn2_b64 s[4:5], s[4:5], exec
	s_and_b64 s[8:9], s[8:9], exec
	s_or_b64 s[4:5], s[4:5], s[8:9]
	s_or_b64 exec, exec, s[6:7]
	s_and_saveexec_b64 s[6:7], s[4:5]
	s_cbranch_execz .LBB2_33053
; %bb.58939:
	s_getpc_b64 s[14:15]
.Lpost_getpc33053:
	s_add_u32 s14, s14, (.LBB2_8763-.Lpost_getpc33053)&4294967295
	s_addc_u32 s15, s15, (.LBB2_8763-.Lpost_getpc33053)>>32
	s_setpc_b64 s[14:15]
.LBB2_33053:
	s_getpc_b64 s[14:15]
.Lpost_getpc20110:
	s_add_u32 s14, s14, (.LBB2_8764-.Lpost_getpc20110)&4294967295
	s_addc_u32 s15, s15, (.LBB2_8764-.Lpost_getpc20110)>>32
	s_setpc_b64 s[14:15]
.LBB2_23101:
	s_movk_i32 s4, 0x80
	v_cmp_eq_u16_sdwa s[12:13], v3, s4 src0_sel:BYTE_3 src1_sel:DWORD
	s_mov_b64 s[4:5], -1
                                        ; implicit-def: $sgpr10
	s_and_saveexec_b64 s[8:9], s[12:13]
; %bb.23102:
	s_mov_b32 s10, 0x7f800001
	s_xor_b64 s[4:5], exec, -1
; %bb.23103:
	s_or_b64 exec, exec, s[8:9]
	s_and_b64 s[4:5], s[4:5], exec
	s_or_saveexec_b64 s[6:7], s[6:7]
	v_mov_b32_e32 v6, s10
	s_xor_b64 exec, exec, s[6:7]
	s_cbranch_execnz .LBB2_23104
; %bb.58941:
	s_getpc_b64 s[14:15]
.Lpost_getpc33054:
	s_add_u32 s14, s14, (.LBB2_8766-.Lpost_getpc33054)&4294967295
	s_addc_u32 s15, s15, (.LBB2_8766-.Lpost_getpc33054)>>32
	s_setpc_b64 s[14:15]
.LBB2_23104:
	v_mov_b32_e32 v6, 0
	v_cmp_ne_u16_sdwa s[8:9], v3, v6 src0_sel:BYTE_3 src1_sel:DWORD
	s_andn2_b64 s[4:5], s[4:5], exec
	s_and_b64 s[8:9], s[8:9], exec
	s_or_b64 s[4:5], s[4:5], s[8:9]
	s_or_b64 exec, exec, s[6:7]
	s_and_saveexec_b64 s[6:7], s[4:5]
	s_cbranch_execz .LBB2_33055
; %bb.58943:
	s_getpc_b64 s[14:15]
.Lpost_getpc33055:
	s_add_u32 s14, s14, (.LBB2_8767-.Lpost_getpc33055)&4294967295
	s_addc_u32 s15, s15, (.LBB2_8767-.Lpost_getpc33055)>>32
	s_setpc_b64 s[14:15]
.LBB2_33055:
	s_getpc_b64 s[14:15]
.Lpost_getpc20111:
	s_add_u32 s14, s14, (.LBB2_8768-.Lpost_getpc20111)&4294967295
	s_addc_u32 s15, s15, (.LBB2_8768-.Lpost_getpc20111)>>32
	s_setpc_b64 s[14:15]
.LBB2_23105:
	s_movk_i32 s4, 0x80
	v_cmp_eq_u16_sdwa s[12:13], v8, s4 src0_sel:BYTE_0 src1_sel:DWORD
	s_mov_b64 s[4:5], -1
                                        ; implicit-def: $sgpr10
	s_and_saveexec_b64 s[8:9], s[12:13]
; %bb.23106:
	s_mov_b32 s10, 0x7f800001
	s_xor_b64 s[4:5], exec, -1
; %bb.23107:
	s_or_b64 exec, exec, s[8:9]
	s_and_b64 s[4:5], s[4:5], exec
	s_or_saveexec_b64 s[6:7], s[6:7]
	v_mov_b32_e32 v2, s10
	s_xor_b64 exec, exec, s[6:7]
	s_cbranch_execnz .LBB2_23108
; %bb.58945:
	s_getpc_b64 s[14:15]
.Lpost_getpc33056:
	s_add_u32 s14, s14, (.LBB2_8770-.Lpost_getpc33056)&4294967295
	s_addc_u32 s15, s15, (.LBB2_8770-.Lpost_getpc33056)>>32
	s_setpc_b64 s[14:15]
.LBB2_23108:
	v_mov_b32_e32 v2, 0
	v_cmp_ne_u16_sdwa s[8:9], v8, v2 src0_sel:BYTE_0 src1_sel:DWORD
	s_andn2_b64 s[4:5], s[4:5], exec
	s_and_b64 s[8:9], s[8:9], exec
	s_or_b64 s[4:5], s[4:5], s[8:9]
	s_or_b64 exec, exec, s[6:7]
	s_and_saveexec_b64 s[6:7], s[4:5]
	s_cbranch_execz .LBB2_33057
; %bb.58947:
	s_getpc_b64 s[14:15]
.Lpost_getpc33057:
	s_add_u32 s14, s14, (.LBB2_8771-.Lpost_getpc33057)&4294967295
	s_addc_u32 s15, s15, (.LBB2_8771-.Lpost_getpc33057)>>32
	s_setpc_b64 s[14:15]
.LBB2_33057:
	s_getpc_b64 s[14:15]
.Lpost_getpc20112:
	s_add_u32 s14, s14, (.LBB2_8772-.Lpost_getpc20112)&4294967295
	s_addc_u32 s15, s15, (.LBB2_8772-.Lpost_getpc20112)>>32
	s_setpc_b64 s[14:15]
.LBB2_23109:
	s_movk_i32 s4, 0x80
	v_cmp_eq_u16_sdwa s[12:13], v4, s4 src0_sel:BYTE_0 src1_sel:DWORD
	s_mov_b64 s[4:5], -1
                                        ; implicit-def: $sgpr10
	s_and_saveexec_b64 s[8:9], s[12:13]
; %bb.23110:
	s_mov_b32 s10, 0x7f800001
	s_xor_b64 s[4:5], exec, -1
; %bb.23111:
	s_or_b64 exec, exec, s[8:9]
	s_and_b64 s[4:5], s[4:5], exec
	s_or_saveexec_b64 s[6:7], s[6:7]
	v_mov_b32_e32 v3, s10
	s_xor_b64 exec, exec, s[6:7]
	s_cbranch_execnz .LBB2_23112
; %bb.58949:
	s_getpc_b64 s[14:15]
.Lpost_getpc33058:
	s_add_u32 s14, s14, (.LBB2_8774-.Lpost_getpc33058)&4294967295
	s_addc_u32 s15, s15, (.LBB2_8774-.Lpost_getpc33058)>>32
	s_setpc_b64 s[14:15]
.LBB2_23112:
	v_mov_b32_e32 v3, 0
	v_cmp_ne_u16_sdwa s[8:9], v4, v3 src0_sel:BYTE_0 src1_sel:DWORD
	s_andn2_b64 s[4:5], s[4:5], exec
	s_and_b64 s[8:9], s[8:9], exec
	s_or_b64 s[4:5], s[4:5], s[8:9]
	s_or_b64 exec, exec, s[6:7]
	s_and_saveexec_b64 s[6:7], s[4:5]
	s_cbranch_execz .LBB2_33059
; %bb.58951:
	s_getpc_b64 s[14:15]
.Lpost_getpc33059:
	s_add_u32 s14, s14, (.LBB2_8775-.Lpost_getpc33059)&4294967295
	s_addc_u32 s15, s15, (.LBB2_8775-.Lpost_getpc33059)>>32
	s_setpc_b64 s[14:15]
.LBB2_33059:
	s_getpc_b64 s[14:15]
.Lpost_getpc20113:
	s_add_u32 s14, s14, (.LBB2_8776-.Lpost_getpc20113)&4294967295
	s_addc_u32 s15, s15, (.LBB2_8776-.Lpost_getpc20113)>>32
	s_setpc_b64 s[14:15]
.LBB2_23113:
	s_movk_i32 s4, 0x80
	v_cmp_eq_u16_sdwa s[12:13], v3, s4 src0_sel:BYTE_0 src1_sel:DWORD
	s_mov_b64 s[4:5], -1
                                        ; implicit-def: $sgpr10
	s_and_saveexec_b64 s[8:9], s[12:13]
; %bb.23114:
	s_mov_b32 s10, 0x7f800001
	s_xor_b64 s[4:5], exec, -1
; %bb.23115:
	s_or_b64 exec, exec, s[8:9]
	s_and_b64 s[4:5], s[4:5], exec
	s_or_saveexec_b64 s[6:7], s[6:7]
	v_mov_b32_e32 v2, s10
	s_xor_b64 exec, exec, s[6:7]
	s_cbranch_execnz .LBB2_23116
; %bb.58953:
	s_getpc_b64 s[14:15]
.Lpost_getpc33060:
	s_add_u32 s14, s14, (.LBB2_8778-.Lpost_getpc33060)&4294967295
	s_addc_u32 s15, s15, (.LBB2_8778-.Lpost_getpc33060)>>32
	s_setpc_b64 s[14:15]
.LBB2_23116:
	v_mov_b32_e32 v2, 0
	v_cmp_ne_u16_sdwa s[8:9], v3, v2 src0_sel:BYTE_0 src1_sel:DWORD
	s_andn2_b64 s[4:5], s[4:5], exec
	s_and_b64 s[8:9], s[8:9], exec
	s_or_b64 s[4:5], s[4:5], s[8:9]
	s_or_b64 exec, exec, s[6:7]
	s_and_saveexec_b64 s[6:7], s[4:5]
	s_cbranch_execz .LBB2_33061
; %bb.58955:
	s_getpc_b64 s[14:15]
.Lpost_getpc33061:
	s_add_u32 s14, s14, (.LBB2_8779-.Lpost_getpc33061)&4294967295
	s_addc_u32 s15, s15, (.LBB2_8779-.Lpost_getpc33061)>>32
	s_setpc_b64 s[14:15]
.LBB2_33061:
	s_getpc_b64 s[14:15]
.Lpost_getpc20114:
	s_add_u32 s14, s14, (.LBB2_8780-.Lpost_getpc20114)&4294967295
	s_addc_u32 s15, s15, (.LBB2_8780-.Lpost_getpc20114)>>32
	s_setpc_b64 s[14:15]
.LBB2_23117:
	s_movk_i32 s4, 0x80
	v_cmp_eq_u16_sdwa s[12:13], v3, s4 src0_sel:BYTE_0 src1_sel:DWORD
	s_mov_b64 s[4:5], -1
                                        ; implicit-def: $sgpr10
	s_and_saveexec_b64 s[8:9], s[12:13]
; %bb.23118:
	s_mov_b32 s10, 0x7f800001
	s_xor_b64 s[4:5], exec, -1
; %bb.23119:
	s_or_b64 exec, exec, s[8:9]
	s_and_b64 s[4:5], s[4:5], exec
	s_or_saveexec_b64 s[6:7], s[6:7]
	v_mov_b32_e32 v6, s10
	s_xor_b64 exec, exec, s[6:7]
	s_cbranch_execnz .LBB2_23120
; %bb.58957:
	s_getpc_b64 s[14:15]
.Lpost_getpc33062:
	s_add_u32 s14, s14, (.LBB2_8782-.Lpost_getpc33062)&4294967295
	s_addc_u32 s15, s15, (.LBB2_8782-.Lpost_getpc33062)>>32
	s_setpc_b64 s[14:15]
.LBB2_23120:
	v_mov_b32_e32 v6, 0
	v_cmp_ne_u16_sdwa s[8:9], v3, v6 src0_sel:BYTE_0 src1_sel:DWORD
	s_andn2_b64 s[4:5], s[4:5], exec
	s_and_b64 s[8:9], s[8:9], exec
	s_or_b64 s[4:5], s[4:5], s[8:9]
	s_or_b64 exec, exec, s[6:7]
	s_and_saveexec_b64 s[6:7], s[4:5]
	s_cbranch_execz .LBB2_33063
; %bb.58959:
	s_getpc_b64 s[14:15]
.Lpost_getpc33063:
	s_add_u32 s14, s14, (.LBB2_8783-.Lpost_getpc33063)&4294967295
	s_addc_u32 s15, s15, (.LBB2_8783-.Lpost_getpc33063)>>32
	s_setpc_b64 s[14:15]
.LBB2_33063:
	s_getpc_b64 s[14:15]
.Lpost_getpc20115:
	s_add_u32 s14, s14, (.LBB2_8784-.Lpost_getpc20115)&4294967295
	s_addc_u32 s15, s15, (.LBB2_8784-.Lpost_getpc20115)>>32
	s_setpc_b64 s[14:15]
.LBB2_23121:
	s_movk_i32 s4, 0x80
	v_cmp_eq_u16_e32 vcc, s4, v3
	s_mov_b64 s[4:5], -1
                                        ; implicit-def: $sgpr10
	s_and_saveexec_b64 s[8:9], vcc
; %bb.23122:
	s_mov_b32 s10, 0x7f800001
	s_xor_b64 s[4:5], exec, -1
; %bb.23123:
	s_or_b64 exec, exec, s[8:9]
	s_and_b64 s[4:5], s[4:5], exec
                                        ; implicit-def: $vgpr3
	s_or_saveexec_b64 s[6:7], s[6:7]
	v_mov_b32_e32 v2, s10
	s_xor_b64 exec, exec, s[6:7]
	s_cbranch_execnz .LBB2_23124
; %bb.58961:
	s_getpc_b64 s[14:15]
.Lpost_getpc33064:
	s_add_u32 s14, s14, (.LBB2_8786-.Lpost_getpc33064)&4294967295
	s_addc_u32 s15, s15, (.LBB2_8786-.Lpost_getpc33064)>>32
	s_setpc_b64 s[14:15]
.LBB2_23124:
	v_cmp_ne_u16_e32 vcc, 0, v3
	s_andn2_b64 s[4:5], s[4:5], exec
	s_and_b64 s[8:9], vcc, exec
	v_mov_b32_e32 v2, 0
	s_or_b64 s[4:5], s[4:5], s[8:9]
	s_or_b64 exec, exec, s[6:7]
	s_and_saveexec_b64 s[6:7], s[4:5]
	s_cbranch_execz .LBB2_33065
; %bb.58963:
	s_getpc_b64 s[14:15]
.Lpost_getpc33065:
	s_add_u32 s14, s14, (.LBB2_8787-.Lpost_getpc33065)&4294967295
	s_addc_u32 s15, s15, (.LBB2_8787-.Lpost_getpc33065)>>32
	s_setpc_b64 s[14:15]
.LBB2_33065:
	s_getpc_b64 s[14:15]
.Lpost_getpc20116:
	s_add_u32 s14, s14, (.LBB2_8788-.Lpost_getpc20116)&4294967295
	s_addc_u32 s15, s15, (.LBB2_8788-.Lpost_getpc20116)>>32
	s_setpc_b64 s[14:15]
.LBB2_23125:
	s_movk_i32 s4, 0x80
	v_cmp_eq_u16_e32 vcc, s4, v3
	s_mov_b64 s[4:5], -1
                                        ; implicit-def: $sgpr10
	s_and_saveexec_b64 s[8:9], vcc
; %bb.23126:
	s_mov_b32 s10, 0x7f800001
	s_xor_b64 s[4:5], exec, -1
; %bb.23127:
	s_or_b64 exec, exec, s[8:9]
	s_and_b64 s[4:5], s[4:5], exec
                                        ; implicit-def: $vgpr3
	s_or_saveexec_b64 s[6:7], s[6:7]
	v_mov_b32_e32 v6, s10
	s_xor_b64 exec, exec, s[6:7]
	s_cbranch_execnz .LBB2_23128
; %bb.58965:
	s_getpc_b64 s[14:15]
.Lpost_getpc33066:
	s_add_u32 s14, s14, (.LBB2_8790-.Lpost_getpc33066)&4294967295
	s_addc_u32 s15, s15, (.LBB2_8790-.Lpost_getpc33066)>>32
	s_setpc_b64 s[14:15]
.LBB2_23128:
	v_cmp_ne_u16_e32 vcc, 0, v3
	s_andn2_b64 s[4:5], s[4:5], exec
	s_and_b64 s[8:9], vcc, exec
	v_mov_b32_e32 v6, 0
	s_or_b64 s[4:5], s[4:5], s[8:9]
	s_or_b64 exec, exec, s[6:7]
	s_and_saveexec_b64 s[6:7], s[4:5]
	s_cbranch_execz .LBB2_33067
; %bb.58967:
	s_getpc_b64 s[14:15]
.Lpost_getpc33067:
	s_add_u32 s14, s14, (.LBB2_8791-.Lpost_getpc33067)&4294967295
	s_addc_u32 s15, s15, (.LBB2_8791-.Lpost_getpc33067)>>32
	s_setpc_b64 s[14:15]
.LBB2_33067:
	s_getpc_b64 s[14:15]
.Lpost_getpc20117:
	s_add_u32 s14, s14, (.LBB2_8792-.Lpost_getpc20117)&4294967295
	s_addc_u32 s15, s15, (.LBB2_8792-.Lpost_getpc20117)>>32
	s_setpc_b64 s[14:15]
.LBB2_23129:
	s_movk_i32 s4, 0x80
	v_cmp_eq_u16_sdwa s[12:13], v8, s4 src0_sel:BYTE_3 src1_sel:DWORD
	s_mov_b64 s[4:5], -1
                                        ; implicit-def: $sgpr10
	s_and_saveexec_b64 s[8:9], s[12:13]
; %bb.23130:
	s_mov_b32 s10, 0x7f800001
	s_xor_b64 s[4:5], exec, -1
; %bb.23131:
	s_or_b64 exec, exec, s[8:9]
	s_and_b64 s[4:5], s[4:5], exec
	s_or_saveexec_b64 s[6:7], s[6:7]
	v_mov_b32_e32 v2, s10
	s_xor_b64 exec, exec, s[6:7]
	s_cbranch_execnz .LBB2_23132
; %bb.58969:
	s_getpc_b64 s[14:15]
.Lpost_getpc33068:
	s_add_u32 s14, s14, (.LBB2_8794-.Lpost_getpc33068)&4294967295
	s_addc_u32 s15, s15, (.LBB2_8794-.Lpost_getpc33068)>>32
	s_setpc_b64 s[14:15]
.LBB2_23132:
	v_mov_b32_e32 v2, 0
	v_cmp_ne_u16_sdwa s[8:9], v8, v2 src0_sel:BYTE_3 src1_sel:DWORD
	s_andn2_b64 s[4:5], s[4:5], exec
	s_and_b64 s[8:9], s[8:9], exec
	s_or_b64 s[4:5], s[4:5], s[8:9]
	s_or_b64 exec, exec, s[6:7]
	s_and_saveexec_b64 s[6:7], s[4:5]
	s_cbranch_execz .LBB2_33069
; %bb.58971:
	s_getpc_b64 s[14:15]
.Lpost_getpc33069:
	s_add_u32 s14, s14, (.LBB2_8795-.Lpost_getpc33069)&4294967295
	s_addc_u32 s15, s15, (.LBB2_8795-.Lpost_getpc33069)>>32
	s_setpc_b64 s[14:15]
.LBB2_33069:
	s_getpc_b64 s[14:15]
.Lpost_getpc20118:
	s_add_u32 s14, s14, (.LBB2_8796-.Lpost_getpc20118)&4294967295
	s_addc_u32 s15, s15, (.LBB2_8796-.Lpost_getpc20118)>>32
	s_setpc_b64 s[14:15]
.LBB2_23133:
	s_movk_i32 s4, 0x80
	v_cmp_eq_u16_sdwa s[12:13], v4, s4 src0_sel:BYTE_3 src1_sel:DWORD
	s_mov_b64 s[4:5], -1
                                        ; implicit-def: $sgpr10
	s_and_saveexec_b64 s[8:9], s[12:13]
; %bb.23134:
	s_mov_b32 s10, 0x7f800001
	s_xor_b64 s[4:5], exec, -1
; %bb.23135:
	s_or_b64 exec, exec, s[8:9]
	s_and_b64 s[4:5], s[4:5], exec
	s_or_saveexec_b64 s[6:7], s[6:7]
	v_mov_b32_e32 v3, s10
	s_xor_b64 exec, exec, s[6:7]
	s_cbranch_execnz .LBB2_23136
; %bb.58973:
	s_getpc_b64 s[14:15]
.Lpost_getpc33070:
	s_add_u32 s14, s14, (.LBB2_8798-.Lpost_getpc33070)&4294967295
	s_addc_u32 s15, s15, (.LBB2_8798-.Lpost_getpc33070)>>32
	s_setpc_b64 s[14:15]
.LBB2_23136:
	v_mov_b32_e32 v3, 0
	v_cmp_ne_u16_sdwa s[8:9], v4, v3 src0_sel:BYTE_3 src1_sel:DWORD
	s_andn2_b64 s[4:5], s[4:5], exec
	s_and_b64 s[8:9], s[8:9], exec
	s_or_b64 s[4:5], s[4:5], s[8:9]
	s_or_b64 exec, exec, s[6:7]
	s_and_saveexec_b64 s[6:7], s[4:5]
	s_cbranch_execz .LBB2_33071
; %bb.58975:
	s_getpc_b64 s[14:15]
.Lpost_getpc33071:
	s_add_u32 s14, s14, (.LBB2_8799-.Lpost_getpc33071)&4294967295
	s_addc_u32 s15, s15, (.LBB2_8799-.Lpost_getpc33071)>>32
	s_setpc_b64 s[14:15]
.LBB2_33071:
	s_getpc_b64 s[14:15]
.Lpost_getpc20119:
	s_add_u32 s14, s14, (.LBB2_8800-.Lpost_getpc20119)&4294967295
	s_addc_u32 s15, s15, (.LBB2_8800-.Lpost_getpc20119)>>32
	s_setpc_b64 s[14:15]
.LBB2_23137:
	s_movk_i32 s4, 0x80
	v_cmp_eq_u16_sdwa s[12:13], v9, s4 src0_sel:BYTE_0 src1_sel:DWORD
	s_mov_b64 s[4:5], -1
                                        ; implicit-def: $sgpr10
	s_and_saveexec_b64 s[8:9], s[12:13]
; %bb.23138:
	s_mov_b32 s10, 0x7f800001
	s_xor_b64 s[4:5], exec, -1
; %bb.23139:
	s_or_b64 exec, exec, s[8:9]
	s_and_b64 s[4:5], s[4:5], exec
	s_or_saveexec_b64 s[6:7], s[6:7]
	v_mov_b32_e32 v2, s10
	s_xor_b64 exec, exec, s[6:7]
	s_cbranch_execnz .LBB2_23140
; %bb.58977:
	s_getpc_b64 s[14:15]
.Lpost_getpc33072:
	s_add_u32 s14, s14, (.LBB2_8802-.Lpost_getpc33072)&4294967295
	s_addc_u32 s15, s15, (.LBB2_8802-.Lpost_getpc33072)>>32
	s_setpc_b64 s[14:15]
.LBB2_23140:
	v_mov_b32_e32 v2, 0
	v_cmp_ne_u16_sdwa s[8:9], v9, v2 src0_sel:BYTE_0 src1_sel:DWORD
	s_andn2_b64 s[4:5], s[4:5], exec
	s_and_b64 s[8:9], s[8:9], exec
	s_or_b64 s[4:5], s[4:5], s[8:9]
	s_or_b64 exec, exec, s[6:7]
	s_and_saveexec_b64 s[6:7], s[4:5]
	s_cbranch_execz .LBB2_33073
; %bb.58979:
	s_getpc_b64 s[14:15]
.Lpost_getpc33073:
	s_add_u32 s14, s14, (.LBB2_8803-.Lpost_getpc33073)&4294967295
	s_addc_u32 s15, s15, (.LBB2_8803-.Lpost_getpc33073)>>32
	s_setpc_b64 s[14:15]
.LBB2_33073:
	s_getpc_b64 s[14:15]
.Lpost_getpc20120:
	s_add_u32 s14, s14, (.LBB2_8804-.Lpost_getpc20120)&4294967295
	s_addc_u32 s15, s15, (.LBB2_8804-.Lpost_getpc20120)>>32
	s_setpc_b64 s[14:15]
.LBB2_23141:
	s_movk_i32 s4, 0x80
	v_cmp_eq_u16_sdwa s[12:13], v5, s4 src0_sel:BYTE_0 src1_sel:DWORD
	s_mov_b64 s[4:5], -1
                                        ; implicit-def: $sgpr10
	s_and_saveexec_b64 s[8:9], s[12:13]
; %bb.23142:
	s_mov_b32 s10, 0x7f800001
	s_xor_b64 s[4:5], exec, -1
; %bb.23143:
	s_or_b64 exec, exec, s[8:9]
	s_and_b64 s[4:5], s[4:5], exec
	s_or_saveexec_b64 s[6:7], s[6:7]
	v_mov_b32_e32 v3, s10
	s_xor_b64 exec, exec, s[6:7]
	s_cbranch_execnz .LBB2_23144
; %bb.58981:
	s_getpc_b64 s[14:15]
.Lpost_getpc33074:
	s_add_u32 s14, s14, (.LBB2_8806-.Lpost_getpc33074)&4294967295
	s_addc_u32 s15, s15, (.LBB2_8806-.Lpost_getpc33074)>>32
	s_setpc_b64 s[14:15]
.LBB2_23144:
	v_mov_b32_e32 v3, 0
	v_cmp_ne_u16_sdwa s[8:9], v5, v3 src0_sel:BYTE_0 src1_sel:DWORD
	s_andn2_b64 s[4:5], s[4:5], exec
	s_and_b64 s[8:9], s[8:9], exec
	s_or_b64 s[4:5], s[4:5], s[8:9]
	s_or_b64 exec, exec, s[6:7]
	s_and_saveexec_b64 s[6:7], s[4:5]
	s_cbranch_execz .LBB2_33075
; %bb.58983:
	s_getpc_b64 s[14:15]
.Lpost_getpc33075:
	s_add_u32 s14, s14, (.LBB2_8807-.Lpost_getpc33075)&4294967295
	s_addc_u32 s15, s15, (.LBB2_8807-.Lpost_getpc33075)>>32
	s_setpc_b64 s[14:15]
.LBB2_33075:
	s_getpc_b64 s[14:15]
.Lpost_getpc20121:
	s_add_u32 s14, s14, (.LBB2_8808-.Lpost_getpc20121)&4294967295
	s_addc_u32 s15, s15, (.LBB2_8808-.Lpost_getpc20121)>>32
	s_setpc_b64 s[14:15]
.LBB2_23145:
	s_movk_i32 s4, 0x80
	v_cmp_eq_u16_sdwa s[12:13], v3, s4 src0_sel:BYTE_0 src1_sel:DWORD
	s_mov_b64 s[4:5], -1
                                        ; implicit-def: $sgpr10
	s_and_saveexec_b64 s[8:9], s[12:13]
; %bb.23146:
	s_mov_b32 s10, 0x7f800001
	s_xor_b64 s[4:5], exec, -1
; %bb.23147:
	s_or_b64 exec, exec, s[8:9]
	s_and_b64 s[4:5], s[4:5], exec
	s_or_saveexec_b64 s[6:7], s[6:7]
	v_mov_b32_e32 v2, s10
	s_xor_b64 exec, exec, s[6:7]
	s_cbranch_execnz .LBB2_23148
; %bb.58985:
	s_getpc_b64 s[14:15]
.Lpost_getpc33076:
	s_add_u32 s14, s14, (.LBB2_8810-.Lpost_getpc33076)&4294967295
	s_addc_u32 s15, s15, (.LBB2_8810-.Lpost_getpc33076)>>32
	s_setpc_b64 s[14:15]
.LBB2_23148:
	v_mov_b32_e32 v2, 0
	v_cmp_ne_u16_sdwa s[8:9], v3, v2 src0_sel:BYTE_0 src1_sel:DWORD
	s_andn2_b64 s[4:5], s[4:5], exec
	s_and_b64 s[8:9], s[8:9], exec
	s_or_b64 s[4:5], s[4:5], s[8:9]
	s_or_b64 exec, exec, s[6:7]
	s_and_saveexec_b64 s[6:7], s[4:5]
	s_cbranch_execz .LBB2_33077
; %bb.58987:
	s_getpc_b64 s[14:15]
.Lpost_getpc33077:
	s_add_u32 s14, s14, (.LBB2_8811-.Lpost_getpc33077)&4294967295
	s_addc_u32 s15, s15, (.LBB2_8811-.Lpost_getpc33077)>>32
	s_setpc_b64 s[14:15]
.LBB2_33077:
	s_getpc_b64 s[14:15]
.Lpost_getpc20122:
	s_add_u32 s14, s14, (.LBB2_8812-.Lpost_getpc20122)&4294967295
	s_addc_u32 s15, s15, (.LBB2_8812-.Lpost_getpc20122)>>32
	s_setpc_b64 s[14:15]
.LBB2_23149:
	s_movk_i32 s4, 0x80
	v_cmp_eq_u16_sdwa s[12:13], v3, s4 src0_sel:BYTE_0 src1_sel:DWORD
	s_mov_b64 s[4:5], -1
                                        ; implicit-def: $sgpr10
	s_and_saveexec_b64 s[8:9], s[12:13]
; %bb.23150:
	s_mov_b32 s10, 0x7f800001
	s_xor_b64 s[4:5], exec, -1
; %bb.23151:
	s_or_b64 exec, exec, s[8:9]
	s_and_b64 s[4:5], s[4:5], exec
	s_or_saveexec_b64 s[6:7], s[6:7]
	v_mov_b32_e32 v4, s10
	s_xor_b64 exec, exec, s[6:7]
	s_cbranch_execnz .LBB2_23152
; %bb.58989:
	s_getpc_b64 s[14:15]
.Lpost_getpc33078:
	s_add_u32 s14, s14, (.LBB2_8814-.Lpost_getpc33078)&4294967295
	s_addc_u32 s15, s15, (.LBB2_8814-.Lpost_getpc33078)>>32
	s_setpc_b64 s[14:15]
.LBB2_23152:
	v_mov_b32_e32 v4, 0
	v_cmp_ne_u16_sdwa s[8:9], v3, v4 src0_sel:BYTE_0 src1_sel:DWORD
	s_andn2_b64 s[4:5], s[4:5], exec
	s_and_b64 s[8:9], s[8:9], exec
	s_or_b64 s[4:5], s[4:5], s[8:9]
	s_or_b64 exec, exec, s[6:7]
	s_and_saveexec_b64 s[6:7], s[4:5]
	s_cbranch_execz .LBB2_33079
; %bb.58991:
	s_getpc_b64 s[14:15]
.Lpost_getpc33079:
	s_add_u32 s14, s14, (.LBB2_8815-.Lpost_getpc33079)&4294967295
	s_addc_u32 s15, s15, (.LBB2_8815-.Lpost_getpc33079)>>32
	s_setpc_b64 s[14:15]
.LBB2_33079:
	s_getpc_b64 s[14:15]
.Lpost_getpc20123:
	s_add_u32 s14, s14, (.LBB2_8816-.Lpost_getpc20123)&4294967295
	s_addc_u32 s15, s15, (.LBB2_8816-.Lpost_getpc20123)>>32
	s_setpc_b64 s[14:15]
.LBB2_23153:
	s_movk_i32 s4, 0x80
	v_cmp_eq_u16_e32 vcc, s4, v3
	s_mov_b64 s[4:5], -1
                                        ; implicit-def: $sgpr10
	s_and_saveexec_b64 s[8:9], vcc
; %bb.23154:
	s_mov_b32 s10, 0x7f800001
	s_xor_b64 s[4:5], exec, -1
; %bb.23155:
	s_or_b64 exec, exec, s[8:9]
	s_and_b64 s[4:5], s[4:5], exec
                                        ; implicit-def: $vgpr3
	s_or_saveexec_b64 s[6:7], s[6:7]
	v_mov_b32_e32 v2, s10
	s_xor_b64 exec, exec, s[6:7]
	s_cbranch_execnz .LBB2_23156
; %bb.58993:
	s_getpc_b64 s[14:15]
.Lpost_getpc33080:
	s_add_u32 s14, s14, (.LBB2_8818-.Lpost_getpc33080)&4294967295
	s_addc_u32 s15, s15, (.LBB2_8818-.Lpost_getpc33080)>>32
	s_setpc_b64 s[14:15]
.LBB2_23156:
	v_cmp_ne_u16_e32 vcc, 0, v3
	s_andn2_b64 s[4:5], s[4:5], exec
	s_and_b64 s[8:9], vcc, exec
	v_mov_b32_e32 v2, 0
	s_or_b64 s[4:5], s[4:5], s[8:9]
	s_or_b64 exec, exec, s[6:7]
	s_and_saveexec_b64 s[6:7], s[4:5]
	s_cbranch_execz .LBB2_33081
; %bb.58995:
	s_getpc_b64 s[14:15]
.Lpost_getpc33081:
	s_add_u32 s14, s14, (.LBB2_8819-.Lpost_getpc33081)&4294967295
	s_addc_u32 s15, s15, (.LBB2_8819-.Lpost_getpc33081)>>32
	s_setpc_b64 s[14:15]
.LBB2_33081:
	s_getpc_b64 s[14:15]
.Lpost_getpc20124:
	s_add_u32 s14, s14, (.LBB2_8820-.Lpost_getpc20124)&4294967295
	s_addc_u32 s15, s15, (.LBB2_8820-.Lpost_getpc20124)>>32
	s_setpc_b64 s[14:15]
.LBB2_23157:
	s_movk_i32 s4, 0x80
	v_cmp_eq_u16_e32 vcc, s4, v3
	s_mov_b64 s[4:5], -1
                                        ; implicit-def: $sgpr10
	s_and_saveexec_b64 s[8:9], vcc
; %bb.23158:
	s_mov_b32 s10, 0x7f800001
	s_xor_b64 s[4:5], exec, -1
; %bb.23159:
	s_or_b64 exec, exec, s[8:9]
	s_and_b64 s[4:5], s[4:5], exec
                                        ; implicit-def: $vgpr3
	s_or_saveexec_b64 s[6:7], s[6:7]
	v_mov_b32_e32 v4, s10
	s_xor_b64 exec, exec, s[6:7]
	s_cbranch_execnz .LBB2_23160
; %bb.58997:
	s_getpc_b64 s[14:15]
.Lpost_getpc33082:
	s_add_u32 s14, s14, (.LBB2_8822-.Lpost_getpc33082)&4294967295
	s_addc_u32 s15, s15, (.LBB2_8822-.Lpost_getpc33082)>>32
	s_setpc_b64 s[14:15]
.LBB2_23160:
	v_cmp_ne_u16_e32 vcc, 0, v3
	s_andn2_b64 s[4:5], s[4:5], exec
	s_and_b64 s[8:9], vcc, exec
	v_mov_b32_e32 v4, 0
	s_or_b64 s[4:5], s[4:5], s[8:9]
	s_or_b64 exec, exec, s[6:7]
	s_and_saveexec_b64 s[6:7], s[4:5]
	s_cbranch_execz .LBB2_33083
; %bb.58999:
	s_getpc_b64 s[14:15]
.Lpost_getpc33083:
	s_add_u32 s14, s14, (.LBB2_8823-.Lpost_getpc33083)&4294967295
	s_addc_u32 s15, s15, (.LBB2_8823-.Lpost_getpc33083)>>32
	s_setpc_b64 s[14:15]
.LBB2_33083:
	s_getpc_b64 s[14:15]
.Lpost_getpc20125:
	s_add_u32 s14, s14, (.LBB2_8824-.Lpost_getpc20125)&4294967295
	s_addc_u32 s15, s15, (.LBB2_8824-.Lpost_getpc20125)>>32
	s_setpc_b64 s[14:15]
.LBB2_23161:
	s_movk_i32 s4, 0x80
	v_cmp_eq_u16_sdwa s[12:13], v9, s4 src0_sel:BYTE_3 src1_sel:DWORD
	s_mov_b64 s[4:5], -1
                                        ; implicit-def: $sgpr10
	s_and_saveexec_b64 s[8:9], s[12:13]
; %bb.23162:
	s_mov_b32 s10, 0x7f800001
	s_xor_b64 s[4:5], exec, -1
; %bb.23163:
	s_or_b64 exec, exec, s[8:9]
	s_and_b64 s[4:5], s[4:5], exec
	s_or_saveexec_b64 s[6:7], s[6:7]
	v_mov_b32_e32 v2, s10
	s_xor_b64 exec, exec, s[6:7]
	s_cbranch_execnz .LBB2_23164
; %bb.59001:
	s_getpc_b64 s[14:15]
.Lpost_getpc33084:
	s_add_u32 s14, s14, (.LBB2_8826-.Lpost_getpc33084)&4294967295
	s_addc_u32 s15, s15, (.LBB2_8826-.Lpost_getpc33084)>>32
	s_setpc_b64 s[14:15]
.LBB2_23164:
	v_mov_b32_e32 v2, 0
	v_cmp_ne_u16_sdwa s[8:9], v9, v2 src0_sel:BYTE_3 src1_sel:DWORD
	s_andn2_b64 s[4:5], s[4:5], exec
	s_and_b64 s[8:9], s[8:9], exec
	s_or_b64 s[4:5], s[4:5], s[8:9]
	s_or_b64 exec, exec, s[6:7]
	s_and_saveexec_b64 s[6:7], s[4:5]
	s_cbranch_execz .LBB2_33085
; %bb.59003:
	s_getpc_b64 s[14:15]
.Lpost_getpc33085:
	s_add_u32 s14, s14, (.LBB2_8827-.Lpost_getpc33085)&4294967295
	s_addc_u32 s15, s15, (.LBB2_8827-.Lpost_getpc33085)>>32
	s_setpc_b64 s[14:15]
.LBB2_33085:
	s_getpc_b64 s[14:15]
.Lpost_getpc20126:
	s_add_u32 s14, s14, (.LBB2_8828-.Lpost_getpc20126)&4294967295
	s_addc_u32 s15, s15, (.LBB2_8828-.Lpost_getpc20126)>>32
	s_setpc_b64 s[14:15]
.LBB2_23165:
	s_movk_i32 s4, 0x80
	v_cmp_eq_u16_sdwa s[12:13], v5, s4 src0_sel:BYTE_3 src1_sel:DWORD
	s_mov_b64 s[4:5], -1
                                        ; implicit-def: $sgpr10
	s_and_saveexec_b64 s[8:9], s[12:13]
; %bb.23166:
	s_mov_b32 s10, 0x7f800001
	s_xor_b64 s[4:5], exec, -1
; %bb.23167:
	s_or_b64 exec, exec, s[8:9]
	s_and_b64 s[4:5], s[4:5], exec
	s_or_saveexec_b64 s[6:7], s[6:7]
	v_mov_b32_e32 v3, s10
	s_xor_b64 exec, exec, s[6:7]
	s_cbranch_execnz .LBB2_23168
; %bb.59005:
	s_getpc_b64 s[14:15]
.Lpost_getpc33086:
	s_add_u32 s14, s14, (.LBB2_8830-.Lpost_getpc33086)&4294967295
	s_addc_u32 s15, s15, (.LBB2_8830-.Lpost_getpc33086)>>32
	s_setpc_b64 s[14:15]
.LBB2_23168:
	v_mov_b32_e32 v3, 0
	v_cmp_ne_u16_sdwa s[8:9], v5, v3 src0_sel:BYTE_3 src1_sel:DWORD
	s_andn2_b64 s[4:5], s[4:5], exec
	s_and_b64 s[8:9], s[8:9], exec
	s_or_b64 s[4:5], s[4:5], s[8:9]
	s_or_b64 exec, exec, s[6:7]
	s_and_saveexec_b64 s[6:7], s[4:5]
	s_cbranch_execz .LBB2_33087
; %bb.59007:
	s_getpc_b64 s[14:15]
.Lpost_getpc33087:
	s_add_u32 s14, s14, (.LBB2_8831-.Lpost_getpc33087)&4294967295
	s_addc_u32 s15, s15, (.LBB2_8831-.Lpost_getpc33087)>>32
	s_setpc_b64 s[14:15]
.LBB2_33087:
	s_getpc_b64 s[14:15]
.Lpost_getpc20127:
	s_add_u32 s14, s14, (.LBB2_8832-.Lpost_getpc20127)&4294967295
	s_addc_u32 s15, s15, (.LBB2_8832-.Lpost_getpc20127)>>32
	s_setpc_b64 s[14:15]
.LBB2_23169:
	s_movk_i32 s4, 0x80
	v_cmp_eq_u16_sdwa s[12:13], v6, s4 src0_sel:BYTE_0 src1_sel:DWORD
	s_mov_b64 s[4:5], -1
                                        ; implicit-def: $sgpr10
	s_and_saveexec_b64 s[8:9], s[12:13]
; %bb.23170:
	s_mov_b32 s10, 0x7f800001
	s_xor_b64 s[4:5], exec, -1
; %bb.23171:
	s_or_b64 exec, exec, s[8:9]
	s_and_b64 s[4:5], s[4:5], exec
	s_or_saveexec_b64 s[6:7], s[6:7]
	v_mov_b32_e32 v12, s10
	s_xor_b64 exec, exec, s[6:7]
	s_cbranch_execnz .LBB2_23172
; %bb.59009:
	s_getpc_b64 s[14:15]
.Lpost_getpc33088:
	s_add_u32 s14, s14, (.LBB2_8834-.Lpost_getpc33088)&4294967295
	s_addc_u32 s15, s15, (.LBB2_8834-.Lpost_getpc33088)>>32
	s_setpc_b64 s[14:15]
.LBB2_23172:
	v_mov_b32_e32 v12, 0
	v_cmp_ne_u16_sdwa s[8:9], v6, v12 src0_sel:BYTE_0 src1_sel:DWORD
	s_andn2_b64 s[4:5], s[4:5], exec
	s_and_b64 s[8:9], s[8:9], exec
	s_or_b64 s[4:5], s[4:5], s[8:9]
	s_or_b64 exec, exec, s[6:7]
	s_and_saveexec_b64 s[6:7], s[4:5]
	s_cbranch_execz .LBB2_33089
; %bb.59011:
	s_getpc_b64 s[14:15]
.Lpost_getpc33089:
	s_add_u32 s14, s14, (.LBB2_8835-.Lpost_getpc33089)&4294967295
	s_addc_u32 s15, s15, (.LBB2_8835-.Lpost_getpc33089)>>32
	s_setpc_b64 s[14:15]
.LBB2_33089:
	s_getpc_b64 s[14:15]
.Lpost_getpc20128:
	s_add_u32 s14, s14, (.LBB2_8836-.Lpost_getpc20128)&4294967295
	s_addc_u32 s15, s15, (.LBB2_8836-.Lpost_getpc20128)>>32
	s_setpc_b64 s[14:15]
.LBB2_23173:
	s_movk_i32 s4, 0x80
	v_cmp_eq_u16_sdwa s[12:13], v2, s4 src0_sel:BYTE_0 src1_sel:DWORD
	s_mov_b64 s[4:5], -1
                                        ; implicit-def: $sgpr10
	s_and_saveexec_b64 s[8:9], s[12:13]
; %bb.23174:
	s_mov_b32 s10, 0x7f800001
	s_xor_b64 s[4:5], exec, -1
; %bb.23175:
	s_or_b64 exec, exec, s[8:9]
	s_and_b64 s[4:5], s[4:5], exec
	s_or_saveexec_b64 s[6:7], s[6:7]
	v_mov_b32_e32 v13, s10
	s_xor_b64 exec, exec, s[6:7]
	s_cbranch_execnz .LBB2_23176
; %bb.59013:
	s_getpc_b64 s[14:15]
.Lpost_getpc33090:
	s_add_u32 s14, s14, (.LBB2_8838-.Lpost_getpc33090)&4294967295
	s_addc_u32 s15, s15, (.LBB2_8838-.Lpost_getpc33090)>>32
	s_setpc_b64 s[14:15]
.LBB2_23176:
	v_mov_b32_e32 v13, 0
	v_cmp_ne_u16_sdwa s[8:9], v2, v13 src0_sel:BYTE_0 src1_sel:DWORD
	s_andn2_b64 s[4:5], s[4:5], exec
	s_and_b64 s[8:9], s[8:9], exec
	s_or_b64 s[4:5], s[4:5], s[8:9]
	s_or_b64 exec, exec, s[6:7]
	s_and_saveexec_b64 s[6:7], s[4:5]
	s_cbranch_execz .LBB2_33091
; %bb.59015:
	s_getpc_b64 s[14:15]
.Lpost_getpc33091:
	s_add_u32 s14, s14, (.LBB2_8839-.Lpost_getpc33091)&4294967295
	s_addc_u32 s15, s15, (.LBB2_8839-.Lpost_getpc33091)>>32
	s_setpc_b64 s[14:15]
.LBB2_33091:
	s_getpc_b64 s[14:15]
.Lpost_getpc20129:
	s_add_u32 s14, s14, (.LBB2_8840-.Lpost_getpc20129)&4294967295
	s_addc_u32 s15, s15, (.LBB2_8840-.Lpost_getpc20129)>>32
	s_setpc_b64 s[14:15]
.LBB2_23177:
	s_movk_i32 s4, 0x80
	v_cmp_eq_u16_sdwa s[12:13], v13, s4 src0_sel:BYTE_0 src1_sel:DWORD
	s_mov_b64 s[4:5], -1
                                        ; implicit-def: $sgpr10
	s_and_saveexec_b64 s[8:9], s[12:13]
; %bb.23178:
	s_mov_b32 s10, 0x7f800001
	s_xor_b64 s[4:5], exec, -1
; %bb.23179:
	s_or_b64 exec, exec, s[8:9]
	s_and_b64 s[4:5], s[4:5], exec
	s_or_saveexec_b64 s[6:7], s[6:7]
	v_mov_b32_e32 v12, s10
	s_xor_b64 exec, exec, s[6:7]
	s_cbranch_execnz .LBB2_23180
; %bb.59017:
	s_getpc_b64 s[14:15]
.Lpost_getpc33092:
	s_add_u32 s14, s14, (.LBB2_8842-.Lpost_getpc33092)&4294967295
	s_addc_u32 s15, s15, (.LBB2_8842-.Lpost_getpc33092)>>32
	s_setpc_b64 s[14:15]
.LBB2_23180:
	v_mov_b32_e32 v12, 0
	v_cmp_ne_u16_sdwa s[8:9], v13, v12 src0_sel:BYTE_0 src1_sel:DWORD
	s_andn2_b64 s[4:5], s[4:5], exec
	s_and_b64 s[8:9], s[8:9], exec
	s_or_b64 s[4:5], s[4:5], s[8:9]
	s_or_b64 exec, exec, s[6:7]
	s_and_saveexec_b64 s[6:7], s[4:5]
	s_cbranch_execz .LBB2_33093
; %bb.59019:
	s_getpc_b64 s[14:15]
.Lpost_getpc33093:
	s_add_u32 s14, s14, (.LBB2_8843-.Lpost_getpc33093)&4294967295
	s_addc_u32 s15, s15, (.LBB2_8843-.Lpost_getpc33093)>>32
	s_setpc_b64 s[14:15]
.LBB2_33093:
	s_getpc_b64 s[14:15]
.Lpost_getpc20130:
	s_add_u32 s14, s14, (.LBB2_8844-.Lpost_getpc20130)&4294967295
	s_addc_u32 s15, s15, (.LBB2_8844-.Lpost_getpc20130)>>32
	s_setpc_b64 s[14:15]
.LBB2_23181:
	s_movk_i32 s4, 0x80
	v_cmp_eq_u16_sdwa s[12:13], v13, s4 src0_sel:BYTE_0 src1_sel:DWORD
	s_mov_b64 s[4:5], -1
                                        ; implicit-def: $sgpr10
	s_and_saveexec_b64 s[8:9], s[12:13]
; %bb.23182:
	s_mov_b32 s10, 0x7f800001
	s_xor_b64 s[4:5], exec, -1
; %bb.23183:
	s_or_b64 exec, exec, s[8:9]
	s_and_b64 s[4:5], s[4:5], exec
	s_or_saveexec_b64 s[6:7], s[6:7]
	v_mov_b32_e32 v14, s10
	s_xor_b64 exec, exec, s[6:7]
	s_cbranch_execnz .LBB2_23184
; %bb.59021:
	s_getpc_b64 s[14:15]
.Lpost_getpc33094:
	s_add_u32 s14, s14, (.LBB2_8846-.Lpost_getpc33094)&4294967295
	s_addc_u32 s15, s15, (.LBB2_8846-.Lpost_getpc33094)>>32
	s_setpc_b64 s[14:15]
.LBB2_23184:
	v_mov_b32_e32 v14, 0
	v_cmp_ne_u16_sdwa s[8:9], v13, v14 src0_sel:BYTE_0 src1_sel:DWORD
	s_andn2_b64 s[4:5], s[4:5], exec
	s_and_b64 s[8:9], s[8:9], exec
	s_or_b64 s[4:5], s[4:5], s[8:9]
	s_or_b64 exec, exec, s[6:7]
	s_and_saveexec_b64 s[6:7], s[4:5]
	s_cbranch_execz .LBB2_33095
; %bb.59023:
	s_getpc_b64 s[14:15]
.Lpost_getpc33095:
	s_add_u32 s14, s14, (.LBB2_8847-.Lpost_getpc33095)&4294967295
	s_addc_u32 s15, s15, (.LBB2_8847-.Lpost_getpc33095)>>32
	s_setpc_b64 s[14:15]
.LBB2_33095:
	s_getpc_b64 s[14:15]
.Lpost_getpc20131:
	s_add_u32 s14, s14, (.LBB2_8848-.Lpost_getpc20131)&4294967295
	s_addc_u32 s15, s15, (.LBB2_8848-.Lpost_getpc20131)>>32
	s_setpc_b64 s[14:15]
.LBB2_23185:
	s_movk_i32 s4, 0x80
	v_cmp_eq_u16_e32 vcc, s4, v13
	s_mov_b64 s[4:5], -1
                                        ; implicit-def: $sgpr10
	s_and_saveexec_b64 s[8:9], vcc
; %bb.23186:
	s_mov_b32 s10, 0x7f800001
	s_xor_b64 s[4:5], exec, -1
; %bb.23187:
	s_or_b64 exec, exec, s[8:9]
	s_and_b64 s[4:5], s[4:5], exec
                                        ; implicit-def: $vgpr13
	s_or_saveexec_b64 s[6:7], s[6:7]
	v_mov_b32_e32 v12, s10
	s_xor_b64 exec, exec, s[6:7]
	s_cbranch_execnz .LBB2_23188
; %bb.59025:
	s_getpc_b64 s[14:15]
.Lpost_getpc33096:
	s_add_u32 s14, s14, (.LBB2_8850-.Lpost_getpc33096)&4294967295
	s_addc_u32 s15, s15, (.LBB2_8850-.Lpost_getpc33096)>>32
	s_setpc_b64 s[14:15]
.LBB2_23188:
	v_cmp_ne_u16_e32 vcc, 0, v13
	s_andn2_b64 s[4:5], s[4:5], exec
	s_and_b64 s[8:9], vcc, exec
	v_mov_b32_e32 v12, 0
	s_or_b64 s[4:5], s[4:5], s[8:9]
	s_or_b64 exec, exec, s[6:7]
	s_and_saveexec_b64 s[6:7], s[4:5]
	s_cbranch_execz .LBB2_33097
; %bb.59027:
	s_getpc_b64 s[14:15]
.Lpost_getpc33097:
	s_add_u32 s14, s14, (.LBB2_8851-.Lpost_getpc33097)&4294967295
	s_addc_u32 s15, s15, (.LBB2_8851-.Lpost_getpc33097)>>32
	s_setpc_b64 s[14:15]
.LBB2_33097:
	s_getpc_b64 s[14:15]
.Lpost_getpc20132:
	s_add_u32 s14, s14, (.LBB2_8852-.Lpost_getpc20132)&4294967295
	s_addc_u32 s15, s15, (.LBB2_8852-.Lpost_getpc20132)>>32
	s_setpc_b64 s[14:15]
.LBB2_23189:
	s_movk_i32 s4, 0x80
	v_cmp_eq_u16_e32 vcc, s4, v13
	s_mov_b64 s[4:5], -1
                                        ; implicit-def: $sgpr10
	s_and_saveexec_b64 s[8:9], vcc
; %bb.23190:
	s_mov_b32 s10, 0x7f800001
	s_xor_b64 s[4:5], exec, -1
; %bb.23191:
	s_or_b64 exec, exec, s[8:9]
	s_and_b64 s[4:5], s[4:5], exec
                                        ; implicit-def: $vgpr13
	s_or_saveexec_b64 s[6:7], s[6:7]
	v_mov_b32_e32 v14, s10
	s_xor_b64 exec, exec, s[6:7]
	s_cbranch_execnz .LBB2_23192
; %bb.59029:
	s_getpc_b64 s[14:15]
.Lpost_getpc33098:
	s_add_u32 s14, s14, (.LBB2_8854-.Lpost_getpc33098)&4294967295
	s_addc_u32 s15, s15, (.LBB2_8854-.Lpost_getpc33098)>>32
	s_setpc_b64 s[14:15]
.LBB2_23192:
	v_cmp_ne_u16_e32 vcc, 0, v13
	s_andn2_b64 s[4:5], s[4:5], exec
	s_and_b64 s[8:9], vcc, exec
	v_mov_b32_e32 v14, 0
	s_or_b64 s[4:5], s[4:5], s[8:9]
	s_or_b64 exec, exec, s[6:7]
	s_and_saveexec_b64 s[6:7], s[4:5]
	s_cbranch_execz .LBB2_33099
; %bb.59031:
	s_getpc_b64 s[14:15]
.Lpost_getpc33099:
	s_add_u32 s14, s14, (.LBB2_8855-.Lpost_getpc33099)&4294967295
	s_addc_u32 s15, s15, (.LBB2_8855-.Lpost_getpc33099)>>32
	s_setpc_b64 s[14:15]
.LBB2_33099:
	s_getpc_b64 s[14:15]
.Lpost_getpc20133:
	s_add_u32 s14, s14, (.LBB2_8856-.Lpost_getpc20133)&4294967295
	s_addc_u32 s15, s15, (.LBB2_8856-.Lpost_getpc20133)>>32
	s_setpc_b64 s[14:15]
.LBB2_23193:
	s_movk_i32 s4, 0x80
	v_cmp_eq_u16_sdwa s[12:13], v6, s4 src0_sel:BYTE_3 src1_sel:DWORD
	s_mov_b64 s[4:5], -1
                                        ; implicit-def: $sgpr10
	s_and_saveexec_b64 s[8:9], s[12:13]
; %bb.23194:
	s_mov_b32 s10, 0x7f800001
	s_xor_b64 s[4:5], exec, -1
; %bb.23195:
	s_or_b64 exec, exec, s[8:9]
	s_and_b64 s[4:5], s[4:5], exec
	s_or_saveexec_b64 s[6:7], s[6:7]
	v_mov_b32_e32 v12, s10
	s_xor_b64 exec, exec, s[6:7]
	s_cbranch_execnz .LBB2_23196
; %bb.59033:
	s_getpc_b64 s[14:15]
.Lpost_getpc33100:
	s_add_u32 s14, s14, (.LBB2_8858-.Lpost_getpc33100)&4294967295
	s_addc_u32 s15, s15, (.LBB2_8858-.Lpost_getpc33100)>>32
	s_setpc_b64 s[14:15]
.LBB2_23196:
	v_mov_b32_e32 v12, 0
	v_cmp_ne_u16_sdwa s[8:9], v6, v12 src0_sel:BYTE_3 src1_sel:DWORD
	s_andn2_b64 s[4:5], s[4:5], exec
	s_and_b64 s[8:9], s[8:9], exec
	s_or_b64 s[4:5], s[4:5], s[8:9]
	s_or_b64 exec, exec, s[6:7]
	s_and_saveexec_b64 s[6:7], s[4:5]
	s_cbranch_execz .LBB2_33101
; %bb.59035:
	s_getpc_b64 s[14:15]
.Lpost_getpc33101:
	s_add_u32 s14, s14, (.LBB2_8859-.Lpost_getpc33101)&4294967295
	s_addc_u32 s15, s15, (.LBB2_8859-.Lpost_getpc33101)>>32
	s_setpc_b64 s[14:15]
.LBB2_33101:
	s_getpc_b64 s[14:15]
.Lpost_getpc20134:
	s_add_u32 s14, s14, (.LBB2_8860-.Lpost_getpc20134)&4294967295
	s_addc_u32 s15, s15, (.LBB2_8860-.Lpost_getpc20134)>>32
	s_setpc_b64 s[14:15]
.LBB2_23197:
	s_movk_i32 s4, 0x80
	v_cmp_eq_u16_sdwa s[12:13], v2, s4 src0_sel:BYTE_3 src1_sel:DWORD
	s_mov_b64 s[4:5], -1
                                        ; implicit-def: $sgpr10
	s_and_saveexec_b64 s[8:9], s[12:13]
; %bb.23198:
	s_mov_b32 s10, 0x7f800001
	s_xor_b64 s[4:5], exec, -1
; %bb.23199:
	s_or_b64 exec, exec, s[8:9]
	s_and_b64 s[4:5], s[4:5], exec
	s_or_saveexec_b64 s[6:7], s[6:7]
	v_mov_b32_e32 v6, s10
	s_xor_b64 exec, exec, s[6:7]
	s_cbranch_execnz .LBB2_23200
; %bb.59037:
	s_getpc_b64 s[14:15]
.Lpost_getpc33102:
	s_add_u32 s14, s14, (.LBB2_8862-.Lpost_getpc33102)&4294967295
	s_addc_u32 s15, s15, (.LBB2_8862-.Lpost_getpc33102)>>32
	s_setpc_b64 s[14:15]
.LBB2_23200:
	v_mov_b32_e32 v6, 0
	v_cmp_ne_u16_sdwa s[8:9], v2, v6 src0_sel:BYTE_3 src1_sel:DWORD
	s_andn2_b64 s[4:5], s[4:5], exec
	s_and_b64 s[8:9], s[8:9], exec
	s_or_b64 s[4:5], s[4:5], s[8:9]
	s_or_b64 exec, exec, s[6:7]
	s_and_saveexec_b64 s[6:7], s[4:5]
	s_cbranch_execz .LBB2_33103
; %bb.59039:
	s_getpc_b64 s[14:15]
.Lpost_getpc33103:
	s_add_u32 s14, s14, (.LBB2_8863-.Lpost_getpc33103)&4294967295
	s_addc_u32 s15, s15, (.LBB2_8863-.Lpost_getpc33103)>>32
	s_setpc_b64 s[14:15]
.LBB2_33103:
	s_getpc_b64 s[14:15]
.Lpost_getpc20135:
	s_add_u32 s14, s14, (.LBB2_8864-.Lpost_getpc20135)&4294967295
	s_addc_u32 s15, s15, (.LBB2_8864-.Lpost_getpc20135)>>32
	s_setpc_b64 s[14:15]
.LBB2_23201:
	s_movk_i32 s4, 0x80
	v_cmp_eq_u16_sdwa s[12:13], v7, s4 src0_sel:BYTE_0 src1_sel:DWORD
	s_mov_b64 s[4:5], -1
                                        ; implicit-def: $sgpr10
	s_and_saveexec_b64 s[8:9], s[12:13]
; %bb.23202:
	s_mov_b32 s10, 0x7f800001
	s_xor_b64 s[4:5], exec, -1
; %bb.23203:
	s_or_b64 exec, exec, s[8:9]
	s_and_b64 s[4:5], s[4:5], exec
	s_or_saveexec_b64 s[6:7], s[6:7]
	v_mov_b32_e32 v2, s10
	s_xor_b64 exec, exec, s[6:7]
	s_cbranch_execnz .LBB2_23204
; %bb.59041:
	s_getpc_b64 s[14:15]
.Lpost_getpc33104:
	s_add_u32 s14, s14, (.LBB2_8866-.Lpost_getpc33104)&4294967295
	s_addc_u32 s15, s15, (.LBB2_8866-.Lpost_getpc33104)>>32
	s_setpc_b64 s[14:15]
.LBB2_23204:
	v_mov_b32_e32 v2, 0
	v_cmp_ne_u16_sdwa s[8:9], v7, v2 src0_sel:BYTE_0 src1_sel:DWORD
	s_andn2_b64 s[4:5], s[4:5], exec
	s_and_b64 s[8:9], s[8:9], exec
	s_or_b64 s[4:5], s[4:5], s[8:9]
	s_or_b64 exec, exec, s[6:7]
	s_and_saveexec_b64 s[6:7], s[4:5]
	s_cbranch_execz .LBB2_33105
; %bb.59043:
	s_getpc_b64 s[14:15]
.Lpost_getpc33105:
	s_add_u32 s14, s14, (.LBB2_8867-.Lpost_getpc33105)&4294967295
	s_addc_u32 s15, s15, (.LBB2_8867-.Lpost_getpc33105)>>32
	s_setpc_b64 s[14:15]
.LBB2_33105:
	s_getpc_b64 s[14:15]
.Lpost_getpc20136:
	s_add_u32 s14, s14, (.LBB2_8868-.Lpost_getpc20136)&4294967295
	s_addc_u32 s15, s15, (.LBB2_8868-.Lpost_getpc20136)>>32
	s_setpc_b64 s[14:15]
.LBB2_23205:
	s_movk_i32 s4, 0x80
	v_cmp_eq_u16_sdwa s[12:13], v3, s4 src0_sel:BYTE_0 src1_sel:DWORD
	s_mov_b64 s[4:5], -1
                                        ; implicit-def: $sgpr10
	s_and_saveexec_b64 s[8:9], s[12:13]
; %bb.23206:
	s_mov_b32 s10, 0x7f800001
	s_xor_b64 s[4:5], exec, -1
; %bb.23207:
	s_or_b64 exec, exec, s[8:9]
	s_and_b64 s[4:5], s[4:5], exec
	s_or_saveexec_b64 s[6:7], s[6:7]
	v_mov_b32_e32 v6, s10
	s_xor_b64 exec, exec, s[6:7]
	s_cbranch_execnz .LBB2_23208
; %bb.59045:
	s_getpc_b64 s[14:15]
.Lpost_getpc33106:
	s_add_u32 s14, s14, (.LBB2_8870-.Lpost_getpc33106)&4294967295
	s_addc_u32 s15, s15, (.LBB2_8870-.Lpost_getpc33106)>>32
	s_setpc_b64 s[14:15]
.LBB2_23208:
	v_mov_b32_e32 v6, 0
	v_cmp_ne_u16_sdwa s[8:9], v3, v6 src0_sel:BYTE_0 src1_sel:DWORD
	s_andn2_b64 s[4:5], s[4:5], exec
	s_and_b64 s[8:9], s[8:9], exec
	s_or_b64 s[4:5], s[4:5], s[8:9]
	s_or_b64 exec, exec, s[6:7]
	s_and_saveexec_b64 s[6:7], s[4:5]
	s_cbranch_execz .LBB2_33107
; %bb.59047:
	s_getpc_b64 s[14:15]
.Lpost_getpc33107:
	s_add_u32 s14, s14, (.LBB2_8871-.Lpost_getpc33107)&4294967295
	s_addc_u32 s15, s15, (.LBB2_8871-.Lpost_getpc33107)>>32
	s_setpc_b64 s[14:15]
.LBB2_33107:
	s_getpc_b64 s[14:15]
.Lpost_getpc20137:
	s_add_u32 s14, s14, (.LBB2_8872-.Lpost_getpc20137)&4294967295
	s_addc_u32 s15, s15, (.LBB2_8872-.Lpost_getpc20137)>>32
	s_setpc_b64 s[14:15]
.LBB2_23209:
	s_movk_i32 s4, 0x80
	v_cmp_eq_u16_sdwa s[12:13], v6, s4 src0_sel:BYTE_0 src1_sel:DWORD
	s_mov_b64 s[4:5], -1
                                        ; implicit-def: $sgpr10
	s_and_saveexec_b64 s[8:9], s[12:13]
; %bb.23210:
	s_mov_b32 s10, 0x7f800001
	s_xor_b64 s[4:5], exec, -1
; %bb.23211:
	s_or_b64 exec, exec, s[8:9]
	s_and_b64 s[4:5], s[4:5], exec
	s_or_saveexec_b64 s[6:7], s[6:7]
	v_mov_b32_e32 v2, s10
	s_xor_b64 exec, exec, s[6:7]
	s_cbranch_execnz .LBB2_23212
; %bb.59049:
	s_getpc_b64 s[14:15]
.Lpost_getpc33108:
	s_add_u32 s14, s14, (.LBB2_8874-.Lpost_getpc33108)&4294967295
	s_addc_u32 s15, s15, (.LBB2_8874-.Lpost_getpc33108)>>32
	s_setpc_b64 s[14:15]
.LBB2_23212:
	v_mov_b32_e32 v2, 0
	v_cmp_ne_u16_sdwa s[8:9], v6, v2 src0_sel:BYTE_0 src1_sel:DWORD
	s_andn2_b64 s[4:5], s[4:5], exec
	s_and_b64 s[8:9], s[8:9], exec
	s_or_b64 s[4:5], s[4:5], s[8:9]
	s_or_b64 exec, exec, s[6:7]
	s_and_saveexec_b64 s[6:7], s[4:5]
	s_cbranch_execz .LBB2_33109
; %bb.59051:
	s_getpc_b64 s[14:15]
.Lpost_getpc33109:
	s_add_u32 s14, s14, (.LBB2_8875-.Lpost_getpc33109)&4294967295
	s_addc_u32 s15, s15, (.LBB2_8875-.Lpost_getpc33109)>>32
	s_setpc_b64 s[14:15]
.LBB2_33109:
	s_getpc_b64 s[14:15]
.Lpost_getpc20138:
	s_add_u32 s14, s14, (.LBB2_8876-.Lpost_getpc20138)&4294967295
	s_addc_u32 s15, s15, (.LBB2_8876-.Lpost_getpc20138)>>32
	s_setpc_b64 s[14:15]
.LBB2_23213:
	s_movk_i32 s4, 0x80
	v_cmp_eq_u16_sdwa s[12:13], v6, s4 src0_sel:BYTE_0 src1_sel:DWORD
	s_mov_b64 s[4:5], -1
                                        ; implicit-def: $sgpr10
	s_and_saveexec_b64 s[8:9], s[12:13]
; %bb.23214:
	s_mov_b32 s10, 0x7f800001
	s_xor_b64 s[4:5], exec, -1
; %bb.23215:
	s_or_b64 exec, exec, s[8:9]
	s_and_b64 s[4:5], s[4:5], exec
	s_or_saveexec_b64 s[6:7], s[6:7]
	v_mov_b32_e32 v12, s10
	s_xor_b64 exec, exec, s[6:7]
	s_cbranch_execnz .LBB2_23216
; %bb.59053:
	s_getpc_b64 s[14:15]
.Lpost_getpc33110:
	s_add_u32 s14, s14, (.LBB2_8878-.Lpost_getpc33110)&4294967295
	s_addc_u32 s15, s15, (.LBB2_8878-.Lpost_getpc33110)>>32
	s_setpc_b64 s[14:15]
.LBB2_23216:
	v_mov_b32_e32 v12, 0
	v_cmp_ne_u16_sdwa s[8:9], v6, v12 src0_sel:BYTE_0 src1_sel:DWORD
	s_andn2_b64 s[4:5], s[4:5], exec
	s_and_b64 s[8:9], s[8:9], exec
	s_or_b64 s[4:5], s[4:5], s[8:9]
	s_or_b64 exec, exec, s[6:7]
	s_and_saveexec_b64 s[6:7], s[4:5]
	s_cbranch_execz .LBB2_33111
; %bb.59055:
	s_getpc_b64 s[14:15]
.Lpost_getpc33111:
	s_add_u32 s14, s14, (.LBB2_8879-.Lpost_getpc33111)&4294967295
	s_addc_u32 s15, s15, (.LBB2_8879-.Lpost_getpc33111)>>32
	s_setpc_b64 s[14:15]
.LBB2_33111:
	s_getpc_b64 s[14:15]
.Lpost_getpc20139:
	s_add_u32 s14, s14, (.LBB2_8880-.Lpost_getpc20139)&4294967295
	s_addc_u32 s15, s15, (.LBB2_8880-.Lpost_getpc20139)>>32
	s_setpc_b64 s[14:15]
.LBB2_23217:
	s_movk_i32 s4, 0x80
	v_cmp_eq_u16_e32 vcc, s4, v6
	s_mov_b64 s[4:5], -1
                                        ; implicit-def: $sgpr10
	s_and_saveexec_b64 s[8:9], vcc
; %bb.23218:
	s_mov_b32 s10, 0x7f800001
	s_xor_b64 s[4:5], exec, -1
; %bb.23219:
	s_or_b64 exec, exec, s[8:9]
	s_and_b64 s[4:5], s[4:5], exec
                                        ; implicit-def: $vgpr6
	s_or_saveexec_b64 s[6:7], s[6:7]
	v_mov_b32_e32 v2, s10
	s_xor_b64 exec, exec, s[6:7]
	s_cbranch_execnz .LBB2_23220
; %bb.59057:
	s_getpc_b64 s[14:15]
.Lpost_getpc33112:
	s_add_u32 s14, s14, (.LBB2_8882-.Lpost_getpc33112)&4294967295
	s_addc_u32 s15, s15, (.LBB2_8882-.Lpost_getpc33112)>>32
	s_setpc_b64 s[14:15]
.LBB2_23220:
	v_cmp_ne_u16_e32 vcc, 0, v6
	s_andn2_b64 s[4:5], s[4:5], exec
	s_and_b64 s[8:9], vcc, exec
	v_mov_b32_e32 v2, 0
	s_or_b64 s[4:5], s[4:5], s[8:9]
	s_or_b64 exec, exec, s[6:7]
	s_and_saveexec_b64 s[6:7], s[4:5]
	s_cbranch_execz .LBB2_33113
; %bb.59059:
	s_getpc_b64 s[14:15]
.Lpost_getpc33113:
	s_add_u32 s14, s14, (.LBB2_8883-.Lpost_getpc33113)&4294967295
	s_addc_u32 s15, s15, (.LBB2_8883-.Lpost_getpc33113)>>32
	s_setpc_b64 s[14:15]
.LBB2_33113:
	s_getpc_b64 s[14:15]
.Lpost_getpc20140:
	s_add_u32 s14, s14, (.LBB2_8884-.Lpost_getpc20140)&4294967295
	s_addc_u32 s15, s15, (.LBB2_8884-.Lpost_getpc20140)>>32
	s_setpc_b64 s[14:15]
.LBB2_23221:
	s_movk_i32 s4, 0x80
	v_cmp_eq_u16_e32 vcc, s4, v6
	s_mov_b64 s[4:5], -1
                                        ; implicit-def: $sgpr10
	s_and_saveexec_b64 s[8:9], vcc
; %bb.23222:
	s_mov_b32 s10, 0x7f800001
	s_xor_b64 s[4:5], exec, -1
; %bb.23223:
	s_or_b64 exec, exec, s[8:9]
	s_and_b64 s[4:5], s[4:5], exec
                                        ; implicit-def: $vgpr6
	s_or_saveexec_b64 s[6:7], s[6:7]
	v_mov_b32_e32 v12, s10
	s_xor_b64 exec, exec, s[6:7]
	s_cbranch_execnz .LBB2_23224
; %bb.59061:
	s_getpc_b64 s[14:15]
.Lpost_getpc33114:
	s_add_u32 s14, s14, (.LBB2_8886-.Lpost_getpc33114)&4294967295
	s_addc_u32 s15, s15, (.LBB2_8886-.Lpost_getpc33114)>>32
	s_setpc_b64 s[14:15]
.LBB2_23224:
	v_cmp_ne_u16_e32 vcc, 0, v6
	s_andn2_b64 s[4:5], s[4:5], exec
	s_and_b64 s[8:9], vcc, exec
	v_mov_b32_e32 v12, 0
	s_or_b64 s[4:5], s[4:5], s[8:9]
	s_or_b64 exec, exec, s[6:7]
	s_and_saveexec_b64 s[6:7], s[4:5]
	s_cbranch_execz .LBB2_33115
; %bb.59063:
	s_getpc_b64 s[14:15]
.Lpost_getpc33115:
	s_add_u32 s14, s14, (.LBB2_8887-.Lpost_getpc33115)&4294967295
	s_addc_u32 s15, s15, (.LBB2_8887-.Lpost_getpc33115)>>32
	s_setpc_b64 s[14:15]
.LBB2_33115:
	s_getpc_b64 s[14:15]
.Lpost_getpc20141:
	s_add_u32 s14, s14, (.LBB2_8888-.Lpost_getpc20141)&4294967295
	s_addc_u32 s15, s15, (.LBB2_8888-.Lpost_getpc20141)>>32
	s_setpc_b64 s[14:15]
.LBB2_23225:
	s_movk_i32 s4, 0x80
	v_cmp_eq_u16_sdwa s[12:13], v7, s4 src0_sel:BYTE_3 src1_sel:DWORD
	s_mov_b64 s[4:5], -1
                                        ; implicit-def: $sgpr10
	s_and_saveexec_b64 s[8:9], s[12:13]
; %bb.23226:
	s_mov_b32 s10, 0x7f800001
	s_xor_b64 s[4:5], exec, -1
; %bb.23227:
	s_or_b64 exec, exec, s[8:9]
	s_and_b64 s[4:5], s[4:5], exec
	s_or_saveexec_b64 s[6:7], s[6:7]
	v_mov_b32_e32 v2, s10
	s_xor_b64 exec, exec, s[6:7]
	s_cbranch_execnz .LBB2_23228
; %bb.59065:
	s_getpc_b64 s[14:15]
.Lpost_getpc33116:
	s_add_u32 s14, s14, (.LBB2_8890-.Lpost_getpc33116)&4294967295
	s_addc_u32 s15, s15, (.LBB2_8890-.Lpost_getpc33116)>>32
	s_setpc_b64 s[14:15]
.LBB2_23228:
	v_mov_b32_e32 v2, 0
	v_cmp_ne_u16_sdwa s[8:9], v7, v2 src0_sel:BYTE_3 src1_sel:DWORD
	s_andn2_b64 s[4:5], s[4:5], exec
	s_and_b64 s[8:9], s[8:9], exec
	s_or_b64 s[4:5], s[4:5], s[8:9]
	s_or_b64 exec, exec, s[6:7]
	s_and_saveexec_b64 s[6:7], s[4:5]
	s_cbranch_execz .LBB2_33117
; %bb.59067:
	s_getpc_b64 s[14:15]
.Lpost_getpc33117:
	s_add_u32 s14, s14, (.LBB2_8891-.Lpost_getpc33117)&4294967295
	s_addc_u32 s15, s15, (.LBB2_8891-.Lpost_getpc33117)>>32
	s_setpc_b64 s[14:15]
.LBB2_33117:
	s_getpc_b64 s[14:15]
.Lpost_getpc20142:
	s_add_u32 s14, s14, (.LBB2_8892-.Lpost_getpc20142)&4294967295
	s_addc_u32 s15, s15, (.LBB2_8892-.Lpost_getpc20142)>>32
	s_setpc_b64 s[14:15]
.LBB2_23229:
	s_movk_i32 s4, 0x80
	v_cmp_eq_u16_sdwa s[12:13], v3, s4 src0_sel:BYTE_3 src1_sel:DWORD
	s_mov_b64 s[4:5], -1
                                        ; implicit-def: $sgpr10
	s_and_saveexec_b64 s[8:9], s[12:13]
; %bb.23230:
	s_mov_b32 s10, 0x7f800001
	s_xor_b64 s[4:5], exec, -1
; %bb.23231:
	s_or_b64 exec, exec, s[8:9]
	s_and_b64 s[4:5], s[4:5], exec
	s_or_saveexec_b64 s[6:7], s[6:7]
	v_mov_b32_e32 v6, s10
	s_xor_b64 exec, exec, s[6:7]
	s_cbranch_execnz .LBB2_23232
; %bb.59069:
	s_getpc_b64 s[14:15]
.Lpost_getpc33118:
	s_add_u32 s14, s14, (.LBB2_8894-.Lpost_getpc33118)&4294967295
	s_addc_u32 s15, s15, (.LBB2_8894-.Lpost_getpc33118)>>32
	s_setpc_b64 s[14:15]
.LBB2_23232:
	v_mov_b32_e32 v6, 0
	v_cmp_ne_u16_sdwa s[8:9], v3, v6 src0_sel:BYTE_3 src1_sel:DWORD
	s_andn2_b64 s[4:5], s[4:5], exec
	s_and_b64 s[8:9], s[8:9], exec
	s_or_b64 s[4:5], s[4:5], s[8:9]
	s_or_b64 exec, exec, s[6:7]
	s_and_saveexec_b64 s[6:7], s[4:5]
	s_cbranch_execz .LBB2_33119
; %bb.59071:
	s_getpc_b64 s[14:15]
.Lpost_getpc33119:
	s_add_u32 s14, s14, (.LBB2_8895-.Lpost_getpc33119)&4294967295
	s_addc_u32 s15, s15, (.LBB2_8895-.Lpost_getpc33119)>>32
	s_setpc_b64 s[14:15]
.LBB2_33119:
	s_getpc_b64 s[14:15]
.Lpost_getpc20143:
	s_add_u32 s14, s14, (.LBB2_8896-.Lpost_getpc20143)&4294967295
	s_addc_u32 s15, s15, (.LBB2_8896-.Lpost_getpc20143)>>32
	s_setpc_b64 s[14:15]
.LBB2_23233:
	s_movk_i32 s4, 0x80
	v_cmp_eq_u16_sdwa s[12:13], v8, s4 src0_sel:BYTE_0 src1_sel:DWORD
	s_mov_b64 s[4:5], -1
                                        ; implicit-def: $sgpr10
	s_and_saveexec_b64 s[8:9], s[12:13]
; %bb.23234:
	s_mov_b32 s10, 0x7f800001
	s_xor_b64 s[4:5], exec, -1
; %bb.23235:
	s_or_b64 exec, exec, s[8:9]
	s_and_b64 s[4:5], s[4:5], exec
	s_or_saveexec_b64 s[6:7], s[6:7]
	v_mov_b32_e32 v2, s10
	s_xor_b64 exec, exec, s[6:7]
	s_cbranch_execnz .LBB2_23236
; %bb.59073:
	s_getpc_b64 s[14:15]
.Lpost_getpc33120:
	s_add_u32 s14, s14, (.LBB2_8898-.Lpost_getpc33120)&4294967295
	s_addc_u32 s15, s15, (.LBB2_8898-.Lpost_getpc33120)>>32
	s_setpc_b64 s[14:15]
.LBB2_23236:
	v_mov_b32_e32 v2, 0
	v_cmp_ne_u16_sdwa s[8:9], v8, v2 src0_sel:BYTE_0 src1_sel:DWORD
	s_andn2_b64 s[4:5], s[4:5], exec
	s_and_b64 s[8:9], s[8:9], exec
	s_or_b64 s[4:5], s[4:5], s[8:9]
	s_or_b64 exec, exec, s[6:7]
	s_and_saveexec_b64 s[6:7], s[4:5]
	s_cbranch_execz .LBB2_33121
; %bb.59075:
	s_getpc_b64 s[14:15]
.Lpost_getpc33121:
	s_add_u32 s14, s14, (.LBB2_8899-.Lpost_getpc33121)&4294967295
	s_addc_u32 s15, s15, (.LBB2_8899-.Lpost_getpc33121)>>32
	s_setpc_b64 s[14:15]
.LBB2_33121:
	s_getpc_b64 s[14:15]
.Lpost_getpc20144:
	s_add_u32 s14, s14, (.LBB2_8900-.Lpost_getpc20144)&4294967295
	s_addc_u32 s15, s15, (.LBB2_8900-.Lpost_getpc20144)>>32
	s_setpc_b64 s[14:15]
.LBB2_23237:
	s_movk_i32 s4, 0x80
	v_cmp_eq_u16_sdwa s[12:13], v4, s4 src0_sel:BYTE_0 src1_sel:DWORD
	s_mov_b64 s[4:5], -1
                                        ; implicit-def: $sgpr10
	s_and_saveexec_b64 s[8:9], s[12:13]
; %bb.23238:
	s_mov_b32 s10, 0x7f800001
	s_xor_b64 s[4:5], exec, -1
; %bb.23239:
	s_or_b64 exec, exec, s[8:9]
	s_and_b64 s[4:5], s[4:5], exec
	s_or_saveexec_b64 s[6:7], s[6:7]
	v_mov_b32_e32 v3, s10
	s_xor_b64 exec, exec, s[6:7]
	s_cbranch_execnz .LBB2_23240
; %bb.59077:
	s_getpc_b64 s[14:15]
.Lpost_getpc33122:
	s_add_u32 s14, s14, (.LBB2_8902-.Lpost_getpc33122)&4294967295
	s_addc_u32 s15, s15, (.LBB2_8902-.Lpost_getpc33122)>>32
	s_setpc_b64 s[14:15]
.LBB2_23240:
	v_mov_b32_e32 v3, 0
	v_cmp_ne_u16_sdwa s[8:9], v4, v3 src0_sel:BYTE_0 src1_sel:DWORD
	s_andn2_b64 s[4:5], s[4:5], exec
	s_and_b64 s[8:9], s[8:9], exec
	s_or_b64 s[4:5], s[4:5], s[8:9]
	s_or_b64 exec, exec, s[6:7]
	s_and_saveexec_b64 s[6:7], s[4:5]
	s_cbranch_execz .LBB2_33123
; %bb.59079:
	s_getpc_b64 s[14:15]
.Lpost_getpc33123:
	s_add_u32 s14, s14, (.LBB2_8903-.Lpost_getpc33123)&4294967295
	s_addc_u32 s15, s15, (.LBB2_8903-.Lpost_getpc33123)>>32
	s_setpc_b64 s[14:15]
.LBB2_33123:
	s_getpc_b64 s[14:15]
.Lpost_getpc20145:
	s_add_u32 s14, s14, (.LBB2_8904-.Lpost_getpc20145)&4294967295
	s_addc_u32 s15, s15, (.LBB2_8904-.Lpost_getpc20145)>>32
	s_setpc_b64 s[14:15]
.LBB2_23241:
	s_movk_i32 s4, 0x80
	v_cmp_eq_u16_sdwa s[12:13], v3, s4 src0_sel:BYTE_0 src1_sel:DWORD
	s_mov_b64 s[4:5], -1
                                        ; implicit-def: $sgpr10
	s_and_saveexec_b64 s[8:9], s[12:13]
; %bb.23242:
	s_mov_b32 s10, 0x7f800001
	s_xor_b64 s[4:5], exec, -1
; %bb.23243:
	s_or_b64 exec, exec, s[8:9]
	s_and_b64 s[4:5], s[4:5], exec
	s_or_saveexec_b64 s[6:7], s[6:7]
	v_mov_b32_e32 v2, s10
	s_xor_b64 exec, exec, s[6:7]
	s_cbranch_execnz .LBB2_23244
; %bb.59081:
	s_getpc_b64 s[14:15]
.Lpost_getpc33124:
	s_add_u32 s14, s14, (.LBB2_8906-.Lpost_getpc33124)&4294967295
	s_addc_u32 s15, s15, (.LBB2_8906-.Lpost_getpc33124)>>32
	s_setpc_b64 s[14:15]
.LBB2_23244:
	v_mov_b32_e32 v2, 0
	v_cmp_ne_u16_sdwa s[8:9], v3, v2 src0_sel:BYTE_0 src1_sel:DWORD
	s_andn2_b64 s[4:5], s[4:5], exec
	s_and_b64 s[8:9], s[8:9], exec
	s_or_b64 s[4:5], s[4:5], s[8:9]
	s_or_b64 exec, exec, s[6:7]
	s_and_saveexec_b64 s[6:7], s[4:5]
	s_cbranch_execz .LBB2_33125
; %bb.59083:
	s_getpc_b64 s[14:15]
.Lpost_getpc33125:
	s_add_u32 s14, s14, (.LBB2_8907-.Lpost_getpc33125)&4294967295
	s_addc_u32 s15, s15, (.LBB2_8907-.Lpost_getpc33125)>>32
	s_setpc_b64 s[14:15]
.LBB2_33125:
	s_getpc_b64 s[14:15]
.Lpost_getpc20146:
	s_add_u32 s14, s14, (.LBB2_8908-.Lpost_getpc20146)&4294967295
	s_addc_u32 s15, s15, (.LBB2_8908-.Lpost_getpc20146)>>32
	s_setpc_b64 s[14:15]
.LBB2_23245:
	s_movk_i32 s4, 0x80
	v_cmp_eq_u16_sdwa s[12:13], v3, s4 src0_sel:BYTE_0 src1_sel:DWORD
	s_mov_b64 s[4:5], -1
                                        ; implicit-def: $sgpr10
	s_and_saveexec_b64 s[8:9], s[12:13]
; %bb.23246:
	s_mov_b32 s10, 0x7f800001
	s_xor_b64 s[4:5], exec, -1
; %bb.23247:
	s_or_b64 exec, exec, s[8:9]
	s_and_b64 s[4:5], s[4:5], exec
	s_or_saveexec_b64 s[6:7], s[6:7]
	v_mov_b32_e32 v6, s10
	s_xor_b64 exec, exec, s[6:7]
	s_cbranch_execnz .LBB2_23248
; %bb.59085:
	s_getpc_b64 s[14:15]
.Lpost_getpc33126:
	s_add_u32 s14, s14, (.LBB2_8910-.Lpost_getpc33126)&4294967295
	s_addc_u32 s15, s15, (.LBB2_8910-.Lpost_getpc33126)>>32
	s_setpc_b64 s[14:15]
.LBB2_23248:
	v_mov_b32_e32 v6, 0
	v_cmp_ne_u16_sdwa s[8:9], v3, v6 src0_sel:BYTE_0 src1_sel:DWORD
	s_andn2_b64 s[4:5], s[4:5], exec
	s_and_b64 s[8:9], s[8:9], exec
	s_or_b64 s[4:5], s[4:5], s[8:9]
	s_or_b64 exec, exec, s[6:7]
	s_and_saveexec_b64 s[6:7], s[4:5]
	s_cbranch_execz .LBB2_33127
; %bb.59087:
	s_getpc_b64 s[14:15]
.Lpost_getpc33127:
	s_add_u32 s14, s14, (.LBB2_8911-.Lpost_getpc33127)&4294967295
	s_addc_u32 s15, s15, (.LBB2_8911-.Lpost_getpc33127)>>32
	s_setpc_b64 s[14:15]
.LBB2_33127:
	s_getpc_b64 s[14:15]
.Lpost_getpc20147:
	s_add_u32 s14, s14, (.LBB2_8912-.Lpost_getpc20147)&4294967295
	s_addc_u32 s15, s15, (.LBB2_8912-.Lpost_getpc20147)>>32
	s_setpc_b64 s[14:15]
.LBB2_23249:
	s_movk_i32 s4, 0x80
	v_cmp_eq_u16_e32 vcc, s4, v3
	s_mov_b64 s[4:5], -1
                                        ; implicit-def: $sgpr10
	s_and_saveexec_b64 s[8:9], vcc
; %bb.23250:
	s_mov_b32 s10, 0x7f800001
	s_xor_b64 s[4:5], exec, -1
; %bb.23251:
	s_or_b64 exec, exec, s[8:9]
	s_and_b64 s[4:5], s[4:5], exec
                                        ; implicit-def: $vgpr3
	s_or_saveexec_b64 s[6:7], s[6:7]
	v_mov_b32_e32 v2, s10
	s_xor_b64 exec, exec, s[6:7]
	s_cbranch_execnz .LBB2_23252
; %bb.59089:
	s_getpc_b64 s[14:15]
.Lpost_getpc33128:
	s_add_u32 s14, s14, (.LBB2_8914-.Lpost_getpc33128)&4294967295
	s_addc_u32 s15, s15, (.LBB2_8914-.Lpost_getpc33128)>>32
	s_setpc_b64 s[14:15]
.LBB2_23252:
	v_cmp_ne_u16_e32 vcc, 0, v3
	s_andn2_b64 s[4:5], s[4:5], exec
	s_and_b64 s[8:9], vcc, exec
	v_mov_b32_e32 v2, 0
	s_or_b64 s[4:5], s[4:5], s[8:9]
	s_or_b64 exec, exec, s[6:7]
	s_and_saveexec_b64 s[6:7], s[4:5]
	s_cbranch_execz .LBB2_33129
; %bb.59091:
	s_getpc_b64 s[14:15]
.Lpost_getpc33129:
	s_add_u32 s14, s14, (.LBB2_8915-.Lpost_getpc33129)&4294967295
	s_addc_u32 s15, s15, (.LBB2_8915-.Lpost_getpc33129)>>32
	s_setpc_b64 s[14:15]
.LBB2_33129:
	s_getpc_b64 s[14:15]
.Lpost_getpc20148:
	s_add_u32 s14, s14, (.LBB2_8916-.Lpost_getpc20148)&4294967295
	s_addc_u32 s15, s15, (.LBB2_8916-.Lpost_getpc20148)>>32
	s_setpc_b64 s[14:15]
.LBB2_23253:
	s_movk_i32 s4, 0x80
	v_cmp_eq_u16_e32 vcc, s4, v3
	s_mov_b64 s[4:5], -1
                                        ; implicit-def: $sgpr10
	s_and_saveexec_b64 s[8:9], vcc
; %bb.23254:
	s_mov_b32 s10, 0x7f800001
	s_xor_b64 s[4:5], exec, -1
; %bb.23255:
	s_or_b64 exec, exec, s[8:9]
	s_and_b64 s[4:5], s[4:5], exec
                                        ; implicit-def: $vgpr3
	s_or_saveexec_b64 s[6:7], s[6:7]
	v_mov_b32_e32 v6, s10
	s_xor_b64 exec, exec, s[6:7]
	s_cbranch_execnz .LBB2_23256
; %bb.59093:
	s_getpc_b64 s[14:15]
.Lpost_getpc33130:
	s_add_u32 s14, s14, (.LBB2_8918-.Lpost_getpc33130)&4294967295
	s_addc_u32 s15, s15, (.LBB2_8918-.Lpost_getpc33130)>>32
	s_setpc_b64 s[14:15]
.LBB2_23256:
	v_cmp_ne_u16_e32 vcc, 0, v3
	s_andn2_b64 s[4:5], s[4:5], exec
	s_and_b64 s[8:9], vcc, exec
	v_mov_b32_e32 v6, 0
	s_or_b64 s[4:5], s[4:5], s[8:9]
	s_or_b64 exec, exec, s[6:7]
	s_and_saveexec_b64 s[6:7], s[4:5]
	s_cbranch_execz .LBB2_33131
; %bb.59095:
	s_getpc_b64 s[14:15]
.Lpost_getpc33131:
	s_add_u32 s14, s14, (.LBB2_8919-.Lpost_getpc33131)&4294967295
	s_addc_u32 s15, s15, (.LBB2_8919-.Lpost_getpc33131)>>32
	s_setpc_b64 s[14:15]
.LBB2_33131:
	s_getpc_b64 s[14:15]
.Lpost_getpc20149:
	s_add_u32 s14, s14, (.LBB2_8920-.Lpost_getpc20149)&4294967295
	s_addc_u32 s15, s15, (.LBB2_8920-.Lpost_getpc20149)>>32
	s_setpc_b64 s[14:15]
.LBB2_23257:
	s_movk_i32 s4, 0x80
	v_cmp_eq_u16_sdwa s[12:13], v8, s4 src0_sel:BYTE_3 src1_sel:DWORD
	s_mov_b64 s[4:5], -1
                                        ; implicit-def: $sgpr10
	s_and_saveexec_b64 s[8:9], s[12:13]
; %bb.23258:
	s_mov_b32 s10, 0x7f800001
	s_xor_b64 s[4:5], exec, -1
; %bb.23259:
	s_or_b64 exec, exec, s[8:9]
	s_and_b64 s[4:5], s[4:5], exec
	s_or_saveexec_b64 s[6:7], s[6:7]
	v_mov_b32_e32 v2, s10
	s_xor_b64 exec, exec, s[6:7]
	s_cbranch_execnz .LBB2_23260
; %bb.59097:
	s_getpc_b64 s[14:15]
.Lpost_getpc33132:
	s_add_u32 s14, s14, (.LBB2_8922-.Lpost_getpc33132)&4294967295
	s_addc_u32 s15, s15, (.LBB2_8922-.Lpost_getpc33132)>>32
	s_setpc_b64 s[14:15]
.LBB2_23260:
	v_mov_b32_e32 v2, 0
	v_cmp_ne_u16_sdwa s[8:9], v8, v2 src0_sel:BYTE_3 src1_sel:DWORD
	s_andn2_b64 s[4:5], s[4:5], exec
	s_and_b64 s[8:9], s[8:9], exec
	s_or_b64 s[4:5], s[4:5], s[8:9]
	s_or_b64 exec, exec, s[6:7]
	s_and_saveexec_b64 s[6:7], s[4:5]
	s_cbranch_execz .LBB2_33133
; %bb.59099:
	s_getpc_b64 s[14:15]
.Lpost_getpc33133:
	s_add_u32 s14, s14, (.LBB2_8923-.Lpost_getpc33133)&4294967295
	s_addc_u32 s15, s15, (.LBB2_8923-.Lpost_getpc33133)>>32
	s_setpc_b64 s[14:15]
.LBB2_33133:
	s_getpc_b64 s[14:15]
.Lpost_getpc20150:
	s_add_u32 s14, s14, (.LBB2_8924-.Lpost_getpc20150)&4294967295
	s_addc_u32 s15, s15, (.LBB2_8924-.Lpost_getpc20150)>>32
	s_setpc_b64 s[14:15]
.LBB2_23261:
	s_movk_i32 s4, 0x80
	v_cmp_eq_u16_sdwa s[12:13], v4, s4 src0_sel:BYTE_3 src1_sel:DWORD
	s_mov_b64 s[4:5], -1
                                        ; implicit-def: $sgpr10
	s_and_saveexec_b64 s[8:9], s[12:13]
; %bb.23262:
	s_mov_b32 s10, 0x7f800001
	s_xor_b64 s[4:5], exec, -1
; %bb.23263:
	s_or_b64 exec, exec, s[8:9]
	s_and_b64 s[4:5], s[4:5], exec
	s_or_saveexec_b64 s[6:7], s[6:7]
	v_mov_b32_e32 v3, s10
	s_xor_b64 exec, exec, s[6:7]
	s_cbranch_execnz .LBB2_23264
; %bb.59101:
	s_getpc_b64 s[14:15]
.Lpost_getpc33134:
	s_add_u32 s14, s14, (.LBB2_8926-.Lpost_getpc33134)&4294967295
	s_addc_u32 s15, s15, (.LBB2_8926-.Lpost_getpc33134)>>32
	s_setpc_b64 s[14:15]
.LBB2_23264:
	v_mov_b32_e32 v3, 0
	v_cmp_ne_u16_sdwa s[8:9], v4, v3 src0_sel:BYTE_3 src1_sel:DWORD
	s_andn2_b64 s[4:5], s[4:5], exec
	s_and_b64 s[8:9], s[8:9], exec
	s_or_b64 s[4:5], s[4:5], s[8:9]
	s_or_b64 exec, exec, s[6:7]
	s_and_saveexec_b64 s[6:7], s[4:5]
	s_cbranch_execz .LBB2_33135
; %bb.59103:
	s_getpc_b64 s[14:15]
.Lpost_getpc33135:
	s_add_u32 s14, s14, (.LBB2_8927-.Lpost_getpc33135)&4294967295
	s_addc_u32 s15, s15, (.LBB2_8927-.Lpost_getpc33135)>>32
	s_setpc_b64 s[14:15]
.LBB2_33135:
	s_getpc_b64 s[14:15]
.Lpost_getpc20151:
	s_add_u32 s14, s14, (.LBB2_8928-.Lpost_getpc20151)&4294967295
	s_addc_u32 s15, s15, (.LBB2_8928-.Lpost_getpc20151)>>32
	s_setpc_b64 s[14:15]
.LBB2_23265:
	s_movk_i32 s4, 0x80
	v_cmp_eq_u16_sdwa s[12:13], v9, s4 src0_sel:BYTE_0 src1_sel:DWORD
	s_mov_b64 s[4:5], -1
                                        ; implicit-def: $sgpr10
	s_and_saveexec_b64 s[8:9], s[12:13]
; %bb.23266:
	s_mov_b32 s10, 0x7f800001
	s_xor_b64 s[4:5], exec, -1
; %bb.23267:
	s_or_b64 exec, exec, s[8:9]
	s_and_b64 s[4:5], s[4:5], exec
	s_or_saveexec_b64 s[6:7], s[6:7]
	v_mov_b32_e32 v2, s10
	s_xor_b64 exec, exec, s[6:7]
	s_cbranch_execnz .LBB2_23268
; %bb.59105:
	s_getpc_b64 s[14:15]
.Lpost_getpc33136:
	s_add_u32 s14, s14, (.LBB2_8930-.Lpost_getpc33136)&4294967295
	s_addc_u32 s15, s15, (.LBB2_8930-.Lpost_getpc33136)>>32
	s_setpc_b64 s[14:15]
.LBB2_23268:
	v_mov_b32_e32 v2, 0
	v_cmp_ne_u16_sdwa s[8:9], v9, v2 src0_sel:BYTE_0 src1_sel:DWORD
	s_andn2_b64 s[4:5], s[4:5], exec
	s_and_b64 s[8:9], s[8:9], exec
	s_or_b64 s[4:5], s[4:5], s[8:9]
	s_or_b64 exec, exec, s[6:7]
	s_and_saveexec_b64 s[6:7], s[4:5]
	s_cbranch_execz .LBB2_33137
; %bb.59107:
	s_getpc_b64 s[14:15]
.Lpost_getpc33137:
	s_add_u32 s14, s14, (.LBB2_8931-.Lpost_getpc33137)&4294967295
	s_addc_u32 s15, s15, (.LBB2_8931-.Lpost_getpc33137)>>32
	s_setpc_b64 s[14:15]
.LBB2_33137:
	s_getpc_b64 s[14:15]
.Lpost_getpc20152:
	s_add_u32 s14, s14, (.LBB2_8932-.Lpost_getpc20152)&4294967295
	s_addc_u32 s15, s15, (.LBB2_8932-.Lpost_getpc20152)>>32
	s_setpc_b64 s[14:15]
.LBB2_23269:
	s_movk_i32 s4, 0x80
	v_cmp_eq_u16_sdwa s[12:13], v5, s4 src0_sel:BYTE_0 src1_sel:DWORD
	s_mov_b64 s[4:5], -1
                                        ; implicit-def: $sgpr10
	s_and_saveexec_b64 s[8:9], s[12:13]
; %bb.23270:
	s_mov_b32 s10, 0x7f800001
	s_xor_b64 s[4:5], exec, -1
; %bb.23271:
	s_or_b64 exec, exec, s[8:9]
	s_and_b64 s[4:5], s[4:5], exec
	s_or_saveexec_b64 s[6:7], s[6:7]
	v_mov_b32_e32 v3, s10
	s_xor_b64 exec, exec, s[6:7]
	s_cbranch_execnz .LBB2_23272
; %bb.59109:
	s_getpc_b64 s[14:15]
.Lpost_getpc33138:
	s_add_u32 s14, s14, (.LBB2_8934-.Lpost_getpc33138)&4294967295
	s_addc_u32 s15, s15, (.LBB2_8934-.Lpost_getpc33138)>>32
	s_setpc_b64 s[14:15]
.LBB2_23272:
	v_mov_b32_e32 v3, 0
	v_cmp_ne_u16_sdwa s[8:9], v5, v3 src0_sel:BYTE_0 src1_sel:DWORD
	s_andn2_b64 s[4:5], s[4:5], exec
	s_and_b64 s[8:9], s[8:9], exec
	s_or_b64 s[4:5], s[4:5], s[8:9]
	s_or_b64 exec, exec, s[6:7]
	s_and_saveexec_b64 s[6:7], s[4:5]
	s_cbranch_execz .LBB2_33139
; %bb.59111:
	s_getpc_b64 s[14:15]
.Lpost_getpc33139:
	s_add_u32 s14, s14, (.LBB2_8935-.Lpost_getpc33139)&4294967295
	s_addc_u32 s15, s15, (.LBB2_8935-.Lpost_getpc33139)>>32
	s_setpc_b64 s[14:15]
.LBB2_33139:
	s_getpc_b64 s[14:15]
.Lpost_getpc20153:
	s_add_u32 s14, s14, (.LBB2_8936-.Lpost_getpc20153)&4294967295
	s_addc_u32 s15, s15, (.LBB2_8936-.Lpost_getpc20153)>>32
	s_setpc_b64 s[14:15]
.LBB2_23273:
	s_movk_i32 s4, 0x80
	v_cmp_eq_u16_sdwa s[12:13], v3, s4 src0_sel:BYTE_0 src1_sel:DWORD
	s_mov_b64 s[4:5], -1
                                        ; implicit-def: $sgpr10
	s_and_saveexec_b64 s[8:9], s[12:13]
; %bb.23274:
	s_mov_b32 s10, 0x7f800001
	s_xor_b64 s[4:5], exec, -1
; %bb.23275:
	s_or_b64 exec, exec, s[8:9]
	s_and_b64 s[4:5], s[4:5], exec
	s_or_saveexec_b64 s[6:7], s[6:7]
	v_mov_b32_e32 v2, s10
	s_xor_b64 exec, exec, s[6:7]
	s_cbranch_execnz .LBB2_23276
; %bb.59113:
	s_getpc_b64 s[14:15]
.Lpost_getpc33140:
	s_add_u32 s14, s14, (.LBB2_8938-.Lpost_getpc33140)&4294967295
	s_addc_u32 s15, s15, (.LBB2_8938-.Lpost_getpc33140)>>32
	s_setpc_b64 s[14:15]
.LBB2_23276:
	v_mov_b32_e32 v2, 0
	v_cmp_ne_u16_sdwa s[8:9], v3, v2 src0_sel:BYTE_0 src1_sel:DWORD
	s_andn2_b64 s[4:5], s[4:5], exec
	s_and_b64 s[8:9], s[8:9], exec
	s_or_b64 s[4:5], s[4:5], s[8:9]
	s_or_b64 exec, exec, s[6:7]
	s_and_saveexec_b64 s[6:7], s[4:5]
	s_cbranch_execz .LBB2_33141
; %bb.59115:
	s_getpc_b64 s[14:15]
.Lpost_getpc33141:
	s_add_u32 s14, s14, (.LBB2_8939-.Lpost_getpc33141)&4294967295
	s_addc_u32 s15, s15, (.LBB2_8939-.Lpost_getpc33141)>>32
	s_setpc_b64 s[14:15]
.LBB2_33141:
	s_getpc_b64 s[14:15]
.Lpost_getpc20154:
	s_add_u32 s14, s14, (.LBB2_8940-.Lpost_getpc20154)&4294967295
	s_addc_u32 s15, s15, (.LBB2_8940-.Lpost_getpc20154)>>32
	s_setpc_b64 s[14:15]
.LBB2_23277:
	s_movk_i32 s4, 0x80
	v_cmp_eq_u16_sdwa s[12:13], v3, s4 src0_sel:BYTE_0 src1_sel:DWORD
	s_mov_b64 s[4:5], -1
                                        ; implicit-def: $sgpr10
	s_and_saveexec_b64 s[8:9], s[12:13]
; %bb.23278:
	s_mov_b32 s10, 0x7f800001
	s_xor_b64 s[4:5], exec, -1
; %bb.23279:
	s_or_b64 exec, exec, s[8:9]
	s_and_b64 s[4:5], s[4:5], exec
	s_or_saveexec_b64 s[6:7], s[6:7]
	v_mov_b32_e32 v4, s10
	s_xor_b64 exec, exec, s[6:7]
	s_cbranch_execnz .LBB2_23280
; %bb.59117:
	s_getpc_b64 s[14:15]
.Lpost_getpc33142:
	s_add_u32 s14, s14, (.LBB2_8942-.Lpost_getpc33142)&4294967295
	s_addc_u32 s15, s15, (.LBB2_8942-.Lpost_getpc33142)>>32
	s_setpc_b64 s[14:15]
.LBB2_23280:
	v_mov_b32_e32 v4, 0
	v_cmp_ne_u16_sdwa s[8:9], v3, v4 src0_sel:BYTE_0 src1_sel:DWORD
	s_andn2_b64 s[4:5], s[4:5], exec
	s_and_b64 s[8:9], s[8:9], exec
	s_or_b64 s[4:5], s[4:5], s[8:9]
	s_or_b64 exec, exec, s[6:7]
	s_and_saveexec_b64 s[6:7], s[4:5]
	s_cbranch_execz .LBB2_33143
; %bb.59119:
	s_getpc_b64 s[14:15]
.Lpost_getpc33143:
	s_add_u32 s14, s14, (.LBB2_8943-.Lpost_getpc33143)&4294967295
	s_addc_u32 s15, s15, (.LBB2_8943-.Lpost_getpc33143)>>32
	s_setpc_b64 s[14:15]
.LBB2_33143:
	s_getpc_b64 s[14:15]
.Lpost_getpc20155:
	s_add_u32 s14, s14, (.LBB2_8944-.Lpost_getpc20155)&4294967295
	s_addc_u32 s15, s15, (.LBB2_8944-.Lpost_getpc20155)>>32
	s_setpc_b64 s[14:15]
.LBB2_23281:
	s_movk_i32 s4, 0x80
	v_cmp_eq_u16_e32 vcc, s4, v3
	s_mov_b64 s[4:5], -1
                                        ; implicit-def: $sgpr10
	s_and_saveexec_b64 s[8:9], vcc
; %bb.23282:
	s_mov_b32 s10, 0x7f800001
	s_xor_b64 s[4:5], exec, -1
; %bb.23283:
	s_or_b64 exec, exec, s[8:9]
	s_and_b64 s[4:5], s[4:5], exec
                                        ; implicit-def: $vgpr3
	s_or_saveexec_b64 s[6:7], s[6:7]
	v_mov_b32_e32 v2, s10
	s_xor_b64 exec, exec, s[6:7]
	s_cbranch_execnz .LBB2_23284
; %bb.59121:
	s_getpc_b64 s[14:15]
.Lpost_getpc33144:
	s_add_u32 s14, s14, (.LBB2_8946-.Lpost_getpc33144)&4294967295
	s_addc_u32 s15, s15, (.LBB2_8946-.Lpost_getpc33144)>>32
	s_setpc_b64 s[14:15]
.LBB2_23284:
	v_cmp_ne_u16_e32 vcc, 0, v3
	s_andn2_b64 s[4:5], s[4:5], exec
	s_and_b64 s[8:9], vcc, exec
	v_mov_b32_e32 v2, 0
	s_or_b64 s[4:5], s[4:5], s[8:9]
	s_or_b64 exec, exec, s[6:7]
	s_and_saveexec_b64 s[6:7], s[4:5]
	s_cbranch_execz .LBB2_33145
; %bb.59123:
	s_getpc_b64 s[14:15]
.Lpost_getpc33145:
	s_add_u32 s14, s14, (.LBB2_8947-.Lpost_getpc33145)&4294967295
	s_addc_u32 s15, s15, (.LBB2_8947-.Lpost_getpc33145)>>32
	s_setpc_b64 s[14:15]
.LBB2_33145:
	s_getpc_b64 s[14:15]
.Lpost_getpc20156:
	s_add_u32 s14, s14, (.LBB2_8948-.Lpost_getpc20156)&4294967295
	s_addc_u32 s15, s15, (.LBB2_8948-.Lpost_getpc20156)>>32
	s_setpc_b64 s[14:15]
.LBB2_23285:
	s_movk_i32 s4, 0x80
	v_cmp_eq_u16_e32 vcc, s4, v3
	s_mov_b64 s[4:5], -1
                                        ; implicit-def: $sgpr10
	s_and_saveexec_b64 s[8:9], vcc
; %bb.23286:
	s_mov_b32 s10, 0x7f800001
	s_xor_b64 s[4:5], exec, -1
; %bb.23287:
	s_or_b64 exec, exec, s[8:9]
	s_and_b64 s[4:5], s[4:5], exec
                                        ; implicit-def: $vgpr3
	s_or_saveexec_b64 s[6:7], s[6:7]
	v_mov_b32_e32 v4, s10
	s_xor_b64 exec, exec, s[6:7]
	s_cbranch_execnz .LBB2_23288
; %bb.59125:
	s_getpc_b64 s[14:15]
.Lpost_getpc33146:
	s_add_u32 s14, s14, (.LBB2_8950-.Lpost_getpc33146)&4294967295
	s_addc_u32 s15, s15, (.LBB2_8950-.Lpost_getpc33146)>>32
	s_setpc_b64 s[14:15]
.LBB2_23288:
	v_cmp_ne_u16_e32 vcc, 0, v3
	s_andn2_b64 s[4:5], s[4:5], exec
	s_and_b64 s[8:9], vcc, exec
	v_mov_b32_e32 v4, 0
	s_or_b64 s[4:5], s[4:5], s[8:9]
	s_or_b64 exec, exec, s[6:7]
	s_and_saveexec_b64 s[6:7], s[4:5]
	s_cbranch_execz .LBB2_33147
; %bb.59127:
	s_getpc_b64 s[14:15]
.Lpost_getpc33147:
	s_add_u32 s14, s14, (.LBB2_8951-.Lpost_getpc33147)&4294967295
	s_addc_u32 s15, s15, (.LBB2_8951-.Lpost_getpc33147)>>32
	s_setpc_b64 s[14:15]
.LBB2_33147:
	s_getpc_b64 s[14:15]
.Lpost_getpc20157:
	s_add_u32 s14, s14, (.LBB2_8952-.Lpost_getpc20157)&4294967295
	s_addc_u32 s15, s15, (.LBB2_8952-.Lpost_getpc20157)>>32
	s_setpc_b64 s[14:15]
.LBB2_23289:
	s_movk_i32 s4, 0x80
	v_cmp_eq_u16_sdwa s[12:13], v9, s4 src0_sel:BYTE_3 src1_sel:DWORD
	s_mov_b64 s[4:5], -1
                                        ; implicit-def: $sgpr10
	s_and_saveexec_b64 s[8:9], s[12:13]
; %bb.23290:
	s_mov_b32 s10, 0x7f800001
	s_xor_b64 s[4:5], exec, -1
; %bb.23291:
	s_or_b64 exec, exec, s[8:9]
	s_and_b64 s[4:5], s[4:5], exec
	s_or_saveexec_b64 s[6:7], s[6:7]
	v_mov_b32_e32 v2, s10
	s_xor_b64 exec, exec, s[6:7]
	s_cbranch_execnz .LBB2_23292
; %bb.59129:
	s_getpc_b64 s[14:15]
.Lpost_getpc33148:
	s_add_u32 s14, s14, (.LBB2_8954-.Lpost_getpc33148)&4294967295
	s_addc_u32 s15, s15, (.LBB2_8954-.Lpost_getpc33148)>>32
	s_setpc_b64 s[14:15]
.LBB2_23292:
	v_mov_b32_e32 v2, 0
	v_cmp_ne_u16_sdwa s[8:9], v9, v2 src0_sel:BYTE_3 src1_sel:DWORD
	s_andn2_b64 s[4:5], s[4:5], exec
	s_and_b64 s[8:9], s[8:9], exec
	s_or_b64 s[4:5], s[4:5], s[8:9]
	s_or_b64 exec, exec, s[6:7]
	s_and_saveexec_b64 s[6:7], s[4:5]
	s_cbranch_execz .LBB2_33149
; %bb.59131:
	s_getpc_b64 s[14:15]
.Lpost_getpc33149:
	s_add_u32 s14, s14, (.LBB2_8955-.Lpost_getpc33149)&4294967295
	s_addc_u32 s15, s15, (.LBB2_8955-.Lpost_getpc33149)>>32
	s_setpc_b64 s[14:15]
.LBB2_33149:
	s_getpc_b64 s[14:15]
.Lpost_getpc20158:
	s_add_u32 s14, s14, (.LBB2_8956-.Lpost_getpc20158)&4294967295
	s_addc_u32 s15, s15, (.LBB2_8956-.Lpost_getpc20158)>>32
	s_setpc_b64 s[14:15]
.LBB2_23293:
	s_movk_i32 s4, 0x80
	v_cmp_eq_u16_sdwa s[12:13], v5, s4 src0_sel:BYTE_3 src1_sel:DWORD
	s_mov_b64 s[4:5], -1
                                        ; implicit-def: $sgpr10
	s_and_saveexec_b64 s[8:9], s[12:13]
; %bb.23294:
	s_mov_b32 s10, 0x7f800001
	s_xor_b64 s[4:5], exec, -1
; %bb.23295:
	s_or_b64 exec, exec, s[8:9]
	s_and_b64 s[4:5], s[4:5], exec
	s_or_saveexec_b64 s[6:7], s[6:7]
	v_mov_b32_e32 v3, s10
	s_xor_b64 exec, exec, s[6:7]
	s_cbranch_execnz .LBB2_23296
; %bb.59133:
	s_getpc_b64 s[14:15]
.Lpost_getpc33150:
	s_add_u32 s14, s14, (.LBB2_8958-.Lpost_getpc33150)&4294967295
	s_addc_u32 s15, s15, (.LBB2_8958-.Lpost_getpc33150)>>32
	s_setpc_b64 s[14:15]
.LBB2_23296:
	v_mov_b32_e32 v3, 0
	v_cmp_ne_u16_sdwa s[8:9], v5, v3 src0_sel:BYTE_3 src1_sel:DWORD
	s_andn2_b64 s[4:5], s[4:5], exec
	s_and_b64 s[8:9], s[8:9], exec
	s_or_b64 s[4:5], s[4:5], s[8:9]
	s_or_b64 exec, exec, s[6:7]
	s_and_saveexec_b64 s[6:7], s[4:5]
	s_cbranch_execz .LBB2_33151
; %bb.59135:
	s_getpc_b64 s[14:15]
.Lpost_getpc33151:
	s_add_u32 s14, s14, (.LBB2_8959-.Lpost_getpc33151)&4294967295
	s_addc_u32 s15, s15, (.LBB2_8959-.Lpost_getpc33151)>>32
	s_setpc_b64 s[14:15]
.LBB2_33151:
	s_getpc_b64 s[14:15]
.Lpost_getpc20159:
	s_add_u32 s14, s14, (.LBB2_8960-.Lpost_getpc20159)&4294967295
	s_addc_u32 s15, s15, (.LBB2_8960-.Lpost_getpc20159)>>32
	s_setpc_b64 s[14:15]
.LBB2_23297:
	s_movk_i32 s4, 0x80
	v_cmp_eq_u16_sdwa s[12:13], v6, s4 src0_sel:BYTE_0 src1_sel:DWORD
	s_mov_b64 s[4:5], -1
                                        ; implicit-def: $sgpr10
	s_and_saveexec_b64 s[8:9], s[12:13]
; %bb.23298:
	s_mov_b32 s10, 0x7f800001
	s_xor_b64 s[4:5], exec, -1
; %bb.23299:
	s_or_b64 exec, exec, s[8:9]
	s_and_b64 s[4:5], s[4:5], exec
	s_or_saveexec_b64 s[6:7], s[6:7]
	v_mov_b32_e32 v12, s10
	s_xor_b64 exec, exec, s[6:7]
	s_cbranch_execnz .LBB2_23300
; %bb.59137:
	s_getpc_b64 s[14:15]
.Lpost_getpc33152:
	s_add_u32 s14, s14, (.LBB2_8962-.Lpost_getpc33152)&4294967295
	s_addc_u32 s15, s15, (.LBB2_8962-.Lpost_getpc33152)>>32
	s_setpc_b64 s[14:15]
.LBB2_23300:
	v_mov_b32_e32 v12, 0
	v_cmp_ne_u16_sdwa s[8:9], v6, v12 src0_sel:BYTE_0 src1_sel:DWORD
	s_andn2_b64 s[4:5], s[4:5], exec
	s_and_b64 s[8:9], s[8:9], exec
	s_or_b64 s[4:5], s[4:5], s[8:9]
	s_or_b64 exec, exec, s[6:7]
	s_and_saveexec_b64 s[6:7], s[4:5]
	s_cbranch_execz .LBB2_33153
; %bb.59139:
	s_getpc_b64 s[14:15]
.Lpost_getpc33153:
	s_add_u32 s14, s14, (.LBB2_8963-.Lpost_getpc33153)&4294967295
	s_addc_u32 s15, s15, (.LBB2_8963-.Lpost_getpc33153)>>32
	s_setpc_b64 s[14:15]
.LBB2_33153:
	s_getpc_b64 s[14:15]
.Lpost_getpc20160:
	s_add_u32 s14, s14, (.LBB2_8964-.Lpost_getpc20160)&4294967295
	s_addc_u32 s15, s15, (.LBB2_8964-.Lpost_getpc20160)>>32
	s_setpc_b64 s[14:15]
.LBB2_23301:
	s_movk_i32 s4, 0x80
	v_cmp_eq_u16_sdwa s[12:13], v2, s4 src0_sel:BYTE_0 src1_sel:DWORD
	s_mov_b64 s[4:5], -1
                                        ; implicit-def: $sgpr10
	s_and_saveexec_b64 s[8:9], s[12:13]
; %bb.23302:
	s_mov_b32 s10, 0x7f800001
	s_xor_b64 s[4:5], exec, -1
; %bb.23303:
	s_or_b64 exec, exec, s[8:9]
	s_and_b64 s[4:5], s[4:5], exec
	s_or_saveexec_b64 s[6:7], s[6:7]
	v_mov_b32_e32 v13, s10
	s_xor_b64 exec, exec, s[6:7]
	s_cbranch_execnz .LBB2_23304
; %bb.59141:
	s_getpc_b64 s[14:15]
.Lpost_getpc33154:
	s_add_u32 s14, s14, (.LBB2_8966-.Lpost_getpc33154)&4294967295
	s_addc_u32 s15, s15, (.LBB2_8966-.Lpost_getpc33154)>>32
	s_setpc_b64 s[14:15]
.LBB2_23304:
	v_mov_b32_e32 v13, 0
	v_cmp_ne_u16_sdwa s[8:9], v2, v13 src0_sel:BYTE_0 src1_sel:DWORD
	s_andn2_b64 s[4:5], s[4:5], exec
	s_and_b64 s[8:9], s[8:9], exec
	s_or_b64 s[4:5], s[4:5], s[8:9]
	s_or_b64 exec, exec, s[6:7]
	s_and_saveexec_b64 s[6:7], s[4:5]
	s_cbranch_execz .LBB2_33155
; %bb.59143:
	s_getpc_b64 s[14:15]
.Lpost_getpc33155:
	s_add_u32 s14, s14, (.LBB2_8967-.Lpost_getpc33155)&4294967295
	s_addc_u32 s15, s15, (.LBB2_8967-.Lpost_getpc33155)>>32
	s_setpc_b64 s[14:15]
.LBB2_33155:
	s_getpc_b64 s[14:15]
.Lpost_getpc20161:
	s_add_u32 s14, s14, (.LBB2_8968-.Lpost_getpc20161)&4294967295
	s_addc_u32 s15, s15, (.LBB2_8968-.Lpost_getpc20161)>>32
	s_setpc_b64 s[14:15]
.LBB2_23305:
	s_movk_i32 s4, 0x80
	v_cmp_eq_u16_sdwa s[12:13], v13, s4 src0_sel:BYTE_0 src1_sel:DWORD
	s_mov_b64 s[4:5], -1
                                        ; implicit-def: $sgpr10
	s_and_saveexec_b64 s[8:9], s[12:13]
; %bb.23306:
	s_mov_b32 s10, 0x7f800001
	s_xor_b64 s[4:5], exec, -1
; %bb.23307:
	s_or_b64 exec, exec, s[8:9]
	s_and_b64 s[4:5], s[4:5], exec
	s_or_saveexec_b64 s[6:7], s[6:7]
	v_mov_b32_e32 v12, s10
	s_xor_b64 exec, exec, s[6:7]
	s_cbranch_execnz .LBB2_23308
; %bb.59145:
	s_getpc_b64 s[14:15]
.Lpost_getpc33156:
	s_add_u32 s14, s14, (.LBB2_8970-.Lpost_getpc33156)&4294967295
	s_addc_u32 s15, s15, (.LBB2_8970-.Lpost_getpc33156)>>32
	s_setpc_b64 s[14:15]
.LBB2_23308:
	v_mov_b32_e32 v12, 0
	v_cmp_ne_u16_sdwa s[8:9], v13, v12 src0_sel:BYTE_0 src1_sel:DWORD
	s_andn2_b64 s[4:5], s[4:5], exec
	s_and_b64 s[8:9], s[8:9], exec
	s_or_b64 s[4:5], s[4:5], s[8:9]
	s_or_b64 exec, exec, s[6:7]
	s_and_saveexec_b64 s[6:7], s[4:5]
	s_cbranch_execz .LBB2_33157
; %bb.59147:
	s_getpc_b64 s[14:15]
.Lpost_getpc33157:
	s_add_u32 s14, s14, (.LBB2_8971-.Lpost_getpc33157)&4294967295
	s_addc_u32 s15, s15, (.LBB2_8971-.Lpost_getpc33157)>>32
	s_setpc_b64 s[14:15]
.LBB2_33157:
	s_getpc_b64 s[14:15]
.Lpost_getpc20162:
	s_add_u32 s14, s14, (.LBB2_8972-.Lpost_getpc20162)&4294967295
	s_addc_u32 s15, s15, (.LBB2_8972-.Lpost_getpc20162)>>32
	s_setpc_b64 s[14:15]
.LBB2_23309:
	s_movk_i32 s4, 0x80
	v_cmp_eq_u16_sdwa s[12:13], v13, s4 src0_sel:BYTE_0 src1_sel:DWORD
	s_mov_b64 s[4:5], -1
                                        ; implicit-def: $sgpr10
	s_and_saveexec_b64 s[8:9], s[12:13]
; %bb.23310:
	s_mov_b32 s10, 0x7f800001
	s_xor_b64 s[4:5], exec, -1
; %bb.23311:
	s_or_b64 exec, exec, s[8:9]
	s_and_b64 s[4:5], s[4:5], exec
	s_or_saveexec_b64 s[6:7], s[6:7]
	v_mov_b32_e32 v14, s10
	s_xor_b64 exec, exec, s[6:7]
	s_cbranch_execnz .LBB2_23312
; %bb.59149:
	s_getpc_b64 s[14:15]
.Lpost_getpc33158:
	s_add_u32 s14, s14, (.LBB2_8974-.Lpost_getpc33158)&4294967295
	s_addc_u32 s15, s15, (.LBB2_8974-.Lpost_getpc33158)>>32
	s_setpc_b64 s[14:15]
.LBB2_23312:
	v_mov_b32_e32 v14, 0
	v_cmp_ne_u16_sdwa s[8:9], v13, v14 src0_sel:BYTE_0 src1_sel:DWORD
	s_andn2_b64 s[4:5], s[4:5], exec
	s_and_b64 s[8:9], s[8:9], exec
	s_or_b64 s[4:5], s[4:5], s[8:9]
	s_or_b64 exec, exec, s[6:7]
	s_and_saveexec_b64 s[6:7], s[4:5]
	s_cbranch_execz .LBB2_33159
; %bb.59151:
	s_getpc_b64 s[14:15]
.Lpost_getpc33159:
	s_add_u32 s14, s14, (.LBB2_8975-.Lpost_getpc33159)&4294967295
	s_addc_u32 s15, s15, (.LBB2_8975-.Lpost_getpc33159)>>32
	s_setpc_b64 s[14:15]
.LBB2_33159:
	s_getpc_b64 s[14:15]
.Lpost_getpc20163:
	s_add_u32 s14, s14, (.LBB2_8976-.Lpost_getpc20163)&4294967295
	s_addc_u32 s15, s15, (.LBB2_8976-.Lpost_getpc20163)>>32
	s_setpc_b64 s[14:15]
.LBB2_23313:
	s_movk_i32 s4, 0x80
	v_cmp_eq_u16_e32 vcc, s4, v13
	s_mov_b64 s[4:5], -1
                                        ; implicit-def: $sgpr10
	s_and_saveexec_b64 s[8:9], vcc
; %bb.23314:
	s_mov_b32 s10, 0x7f800001
	s_xor_b64 s[4:5], exec, -1
; %bb.23315:
	s_or_b64 exec, exec, s[8:9]
	s_and_b64 s[4:5], s[4:5], exec
                                        ; implicit-def: $vgpr13
	s_or_saveexec_b64 s[6:7], s[6:7]
	v_mov_b32_e32 v12, s10
	s_xor_b64 exec, exec, s[6:7]
	s_cbranch_execnz .LBB2_23316
; %bb.59153:
	s_getpc_b64 s[14:15]
.Lpost_getpc33160:
	s_add_u32 s14, s14, (.LBB2_8978-.Lpost_getpc33160)&4294967295
	s_addc_u32 s15, s15, (.LBB2_8978-.Lpost_getpc33160)>>32
	s_setpc_b64 s[14:15]
.LBB2_23316:
	v_cmp_ne_u16_e32 vcc, 0, v13
	s_andn2_b64 s[4:5], s[4:5], exec
	s_and_b64 s[8:9], vcc, exec
	v_mov_b32_e32 v12, 0
	s_or_b64 s[4:5], s[4:5], s[8:9]
	s_or_b64 exec, exec, s[6:7]
	s_and_saveexec_b64 s[6:7], s[4:5]
	s_cbranch_execz .LBB2_33161
; %bb.59155:
	s_getpc_b64 s[14:15]
.Lpost_getpc33161:
	s_add_u32 s14, s14, (.LBB2_8979-.Lpost_getpc33161)&4294967295
	s_addc_u32 s15, s15, (.LBB2_8979-.Lpost_getpc33161)>>32
	s_setpc_b64 s[14:15]
.LBB2_33161:
	s_getpc_b64 s[14:15]
.Lpost_getpc20164:
	s_add_u32 s14, s14, (.LBB2_8980-.Lpost_getpc20164)&4294967295
	s_addc_u32 s15, s15, (.LBB2_8980-.Lpost_getpc20164)>>32
	s_setpc_b64 s[14:15]
.LBB2_23317:
	s_movk_i32 s4, 0x80
	v_cmp_eq_u16_e32 vcc, s4, v13
	s_mov_b64 s[4:5], -1
                                        ; implicit-def: $sgpr10
	s_and_saveexec_b64 s[8:9], vcc
; %bb.23318:
	s_mov_b32 s10, 0x7f800001
	s_xor_b64 s[4:5], exec, -1
; %bb.23319:
	s_or_b64 exec, exec, s[8:9]
	s_and_b64 s[4:5], s[4:5], exec
                                        ; implicit-def: $vgpr13
	s_or_saveexec_b64 s[6:7], s[6:7]
	v_mov_b32_e32 v14, s10
	s_xor_b64 exec, exec, s[6:7]
	s_cbranch_execnz .LBB2_23320
; %bb.59157:
	s_getpc_b64 s[14:15]
.Lpost_getpc33162:
	s_add_u32 s14, s14, (.LBB2_8982-.Lpost_getpc33162)&4294967295
	s_addc_u32 s15, s15, (.LBB2_8982-.Lpost_getpc33162)>>32
	s_setpc_b64 s[14:15]
.LBB2_23320:
	v_cmp_ne_u16_e32 vcc, 0, v13
	s_andn2_b64 s[4:5], s[4:5], exec
	s_and_b64 s[8:9], vcc, exec
	v_mov_b32_e32 v14, 0
	s_or_b64 s[4:5], s[4:5], s[8:9]
	s_or_b64 exec, exec, s[6:7]
	s_and_saveexec_b64 s[6:7], s[4:5]
	s_cbranch_execz .LBB2_33163
; %bb.59159:
	s_getpc_b64 s[14:15]
.Lpost_getpc33163:
	s_add_u32 s14, s14, (.LBB2_8983-.Lpost_getpc33163)&4294967295
	s_addc_u32 s15, s15, (.LBB2_8983-.Lpost_getpc33163)>>32
	s_setpc_b64 s[14:15]
.LBB2_33163:
	s_getpc_b64 s[14:15]
.Lpost_getpc20165:
	s_add_u32 s14, s14, (.LBB2_8984-.Lpost_getpc20165)&4294967295
	s_addc_u32 s15, s15, (.LBB2_8984-.Lpost_getpc20165)>>32
	s_setpc_b64 s[14:15]
.LBB2_23321:
	s_movk_i32 s4, 0x80
	v_cmp_eq_u16_sdwa s[12:13], v6, s4 src0_sel:BYTE_3 src1_sel:DWORD
	s_mov_b64 s[4:5], -1
                                        ; implicit-def: $sgpr10
	s_and_saveexec_b64 s[8:9], s[12:13]
; %bb.23322:
	s_mov_b32 s10, 0x7f800001
	s_xor_b64 s[4:5], exec, -1
; %bb.23323:
	s_or_b64 exec, exec, s[8:9]
	s_and_b64 s[4:5], s[4:5], exec
	s_or_saveexec_b64 s[6:7], s[6:7]
	v_mov_b32_e32 v12, s10
	s_xor_b64 exec, exec, s[6:7]
	s_cbranch_execnz .LBB2_23324
; %bb.59161:
	s_getpc_b64 s[14:15]
.Lpost_getpc33164:
	s_add_u32 s14, s14, (.LBB2_8986-.Lpost_getpc33164)&4294967295
	s_addc_u32 s15, s15, (.LBB2_8986-.Lpost_getpc33164)>>32
	s_setpc_b64 s[14:15]
.LBB2_23324:
	v_mov_b32_e32 v12, 0
	v_cmp_ne_u16_sdwa s[8:9], v6, v12 src0_sel:BYTE_3 src1_sel:DWORD
	s_andn2_b64 s[4:5], s[4:5], exec
	s_and_b64 s[8:9], s[8:9], exec
	s_or_b64 s[4:5], s[4:5], s[8:9]
	s_or_b64 exec, exec, s[6:7]
	s_and_saveexec_b64 s[6:7], s[4:5]
	s_cbranch_execz .LBB2_33165
; %bb.59163:
	s_getpc_b64 s[14:15]
.Lpost_getpc33165:
	s_add_u32 s14, s14, (.LBB2_8987-.Lpost_getpc33165)&4294967295
	s_addc_u32 s15, s15, (.LBB2_8987-.Lpost_getpc33165)>>32
	s_setpc_b64 s[14:15]
.LBB2_33165:
	s_getpc_b64 s[14:15]
.Lpost_getpc20166:
	s_add_u32 s14, s14, (.LBB2_8988-.Lpost_getpc20166)&4294967295
	s_addc_u32 s15, s15, (.LBB2_8988-.Lpost_getpc20166)>>32
	s_setpc_b64 s[14:15]
.LBB2_23325:
	s_movk_i32 s4, 0x80
	v_cmp_eq_u16_sdwa s[12:13], v2, s4 src0_sel:BYTE_3 src1_sel:DWORD
	s_mov_b64 s[4:5], -1
                                        ; implicit-def: $sgpr10
	s_and_saveexec_b64 s[8:9], s[12:13]
; %bb.23326:
	s_mov_b32 s10, 0x7f800001
	s_xor_b64 s[4:5], exec, -1
; %bb.23327:
	s_or_b64 exec, exec, s[8:9]
	s_and_b64 s[4:5], s[4:5], exec
	s_or_saveexec_b64 s[6:7], s[6:7]
	v_mov_b32_e32 v6, s10
	s_xor_b64 exec, exec, s[6:7]
	s_cbranch_execnz .LBB2_23328
; %bb.59165:
	s_getpc_b64 s[14:15]
.Lpost_getpc33166:
	s_add_u32 s14, s14, (.LBB2_8990-.Lpost_getpc33166)&4294967295
	s_addc_u32 s15, s15, (.LBB2_8990-.Lpost_getpc33166)>>32
	s_setpc_b64 s[14:15]
.LBB2_23328:
	v_mov_b32_e32 v6, 0
	v_cmp_ne_u16_sdwa s[8:9], v2, v6 src0_sel:BYTE_3 src1_sel:DWORD
	s_andn2_b64 s[4:5], s[4:5], exec
	s_and_b64 s[8:9], s[8:9], exec
	s_or_b64 s[4:5], s[4:5], s[8:9]
	s_or_b64 exec, exec, s[6:7]
	s_and_saveexec_b64 s[6:7], s[4:5]
	s_cbranch_execz .LBB2_33167
; %bb.59167:
	s_getpc_b64 s[14:15]
.Lpost_getpc33167:
	s_add_u32 s14, s14, (.LBB2_8991-.Lpost_getpc33167)&4294967295
	s_addc_u32 s15, s15, (.LBB2_8991-.Lpost_getpc33167)>>32
	s_setpc_b64 s[14:15]
.LBB2_33167:
	s_getpc_b64 s[14:15]
.Lpost_getpc20167:
	s_add_u32 s14, s14, (.LBB2_8992-.Lpost_getpc20167)&4294967295
	s_addc_u32 s15, s15, (.LBB2_8992-.Lpost_getpc20167)>>32
	s_setpc_b64 s[14:15]
.LBB2_23329:
	s_movk_i32 s4, 0x80
	v_cmp_eq_u16_sdwa s[12:13], v7, s4 src0_sel:BYTE_0 src1_sel:DWORD
	s_mov_b64 s[4:5], -1
                                        ; implicit-def: $sgpr10
	s_and_saveexec_b64 s[8:9], s[12:13]
; %bb.23330:
	s_mov_b32 s10, 0x7f800001
	s_xor_b64 s[4:5], exec, -1
; %bb.23331:
	s_or_b64 exec, exec, s[8:9]
	s_and_b64 s[4:5], s[4:5], exec
	s_or_saveexec_b64 s[6:7], s[6:7]
	v_mov_b32_e32 v2, s10
	s_xor_b64 exec, exec, s[6:7]
	s_cbranch_execnz .LBB2_23332
; %bb.59169:
	s_getpc_b64 s[14:15]
.Lpost_getpc33168:
	s_add_u32 s14, s14, (.LBB2_8994-.Lpost_getpc33168)&4294967295
	s_addc_u32 s15, s15, (.LBB2_8994-.Lpost_getpc33168)>>32
	s_setpc_b64 s[14:15]
.LBB2_23332:
	v_mov_b32_e32 v2, 0
	v_cmp_ne_u16_sdwa s[8:9], v7, v2 src0_sel:BYTE_0 src1_sel:DWORD
	s_andn2_b64 s[4:5], s[4:5], exec
	s_and_b64 s[8:9], s[8:9], exec
	s_or_b64 s[4:5], s[4:5], s[8:9]
	s_or_b64 exec, exec, s[6:7]
	s_and_saveexec_b64 s[6:7], s[4:5]
	s_cbranch_execz .LBB2_33169
; %bb.59171:
	s_getpc_b64 s[14:15]
.Lpost_getpc33169:
	s_add_u32 s14, s14, (.LBB2_8995-.Lpost_getpc33169)&4294967295
	s_addc_u32 s15, s15, (.LBB2_8995-.Lpost_getpc33169)>>32
	s_setpc_b64 s[14:15]
.LBB2_33169:
	s_getpc_b64 s[14:15]
.Lpost_getpc20168:
	s_add_u32 s14, s14, (.LBB2_8996-.Lpost_getpc20168)&4294967295
	s_addc_u32 s15, s15, (.LBB2_8996-.Lpost_getpc20168)>>32
	s_setpc_b64 s[14:15]
.LBB2_23333:
	s_movk_i32 s4, 0x80
	v_cmp_eq_u16_sdwa s[12:13], v3, s4 src0_sel:BYTE_0 src1_sel:DWORD
	s_mov_b64 s[4:5], -1
                                        ; implicit-def: $sgpr10
	s_and_saveexec_b64 s[8:9], s[12:13]
; %bb.23334:
	s_mov_b32 s10, 0x7f800001
	s_xor_b64 s[4:5], exec, -1
; %bb.23335:
	s_or_b64 exec, exec, s[8:9]
	s_and_b64 s[4:5], s[4:5], exec
	s_or_saveexec_b64 s[6:7], s[6:7]
	v_mov_b32_e32 v6, s10
	s_xor_b64 exec, exec, s[6:7]
	s_cbranch_execnz .LBB2_23336
; %bb.59173:
	s_getpc_b64 s[14:15]
.Lpost_getpc33170:
	s_add_u32 s14, s14, (.LBB2_8998-.Lpost_getpc33170)&4294967295
	s_addc_u32 s15, s15, (.LBB2_8998-.Lpost_getpc33170)>>32
	s_setpc_b64 s[14:15]
.LBB2_23336:
	v_mov_b32_e32 v6, 0
	v_cmp_ne_u16_sdwa s[8:9], v3, v6 src0_sel:BYTE_0 src1_sel:DWORD
	s_andn2_b64 s[4:5], s[4:5], exec
	s_and_b64 s[8:9], s[8:9], exec
	s_or_b64 s[4:5], s[4:5], s[8:9]
	s_or_b64 exec, exec, s[6:7]
	s_and_saveexec_b64 s[6:7], s[4:5]
	s_cbranch_execz .LBB2_33171
; %bb.59175:
	s_getpc_b64 s[14:15]
.Lpost_getpc33171:
	s_add_u32 s14, s14, (.LBB2_8999-.Lpost_getpc33171)&4294967295
	s_addc_u32 s15, s15, (.LBB2_8999-.Lpost_getpc33171)>>32
	s_setpc_b64 s[14:15]
.LBB2_33171:
	s_getpc_b64 s[14:15]
.Lpost_getpc20169:
	s_add_u32 s14, s14, (.LBB2_9000-.Lpost_getpc20169)&4294967295
	s_addc_u32 s15, s15, (.LBB2_9000-.Lpost_getpc20169)>>32
	s_setpc_b64 s[14:15]
.LBB2_23337:
	s_movk_i32 s4, 0x80
	v_cmp_eq_u16_sdwa s[12:13], v6, s4 src0_sel:BYTE_0 src1_sel:DWORD
	s_mov_b64 s[4:5], -1
                                        ; implicit-def: $sgpr10
	s_and_saveexec_b64 s[8:9], s[12:13]
; %bb.23338:
	s_mov_b32 s10, 0x7f800001
	s_xor_b64 s[4:5], exec, -1
; %bb.23339:
	s_or_b64 exec, exec, s[8:9]
	s_and_b64 s[4:5], s[4:5], exec
	s_or_saveexec_b64 s[6:7], s[6:7]
	v_mov_b32_e32 v2, s10
	s_xor_b64 exec, exec, s[6:7]
	s_cbranch_execnz .LBB2_23340
; %bb.59177:
	s_getpc_b64 s[14:15]
.Lpost_getpc33172:
	s_add_u32 s14, s14, (.LBB2_9002-.Lpost_getpc33172)&4294967295
	s_addc_u32 s15, s15, (.LBB2_9002-.Lpost_getpc33172)>>32
	s_setpc_b64 s[14:15]
.LBB2_23340:
	v_mov_b32_e32 v2, 0
	v_cmp_ne_u16_sdwa s[8:9], v6, v2 src0_sel:BYTE_0 src1_sel:DWORD
	s_andn2_b64 s[4:5], s[4:5], exec
	s_and_b64 s[8:9], s[8:9], exec
	s_or_b64 s[4:5], s[4:5], s[8:9]
	s_or_b64 exec, exec, s[6:7]
	s_and_saveexec_b64 s[6:7], s[4:5]
	s_cbranch_execz .LBB2_33173
; %bb.59179:
	s_getpc_b64 s[14:15]
.Lpost_getpc33173:
	s_add_u32 s14, s14, (.LBB2_9003-.Lpost_getpc33173)&4294967295
	s_addc_u32 s15, s15, (.LBB2_9003-.Lpost_getpc33173)>>32
	s_setpc_b64 s[14:15]
.LBB2_33173:
	s_getpc_b64 s[14:15]
.Lpost_getpc20170:
	s_add_u32 s14, s14, (.LBB2_9004-.Lpost_getpc20170)&4294967295
	s_addc_u32 s15, s15, (.LBB2_9004-.Lpost_getpc20170)>>32
	s_setpc_b64 s[14:15]
.LBB2_23341:
	s_movk_i32 s4, 0x80
	v_cmp_eq_u16_sdwa s[12:13], v6, s4 src0_sel:BYTE_0 src1_sel:DWORD
	s_mov_b64 s[4:5], -1
                                        ; implicit-def: $sgpr10
	s_and_saveexec_b64 s[8:9], s[12:13]
; %bb.23342:
	s_mov_b32 s10, 0x7f800001
	s_xor_b64 s[4:5], exec, -1
; %bb.23343:
	s_or_b64 exec, exec, s[8:9]
	s_and_b64 s[4:5], s[4:5], exec
	s_or_saveexec_b64 s[6:7], s[6:7]
	v_mov_b32_e32 v12, s10
	s_xor_b64 exec, exec, s[6:7]
	s_cbranch_execnz .LBB2_23344
; %bb.59181:
	s_getpc_b64 s[14:15]
.Lpost_getpc33174:
	s_add_u32 s14, s14, (.LBB2_9006-.Lpost_getpc33174)&4294967295
	s_addc_u32 s15, s15, (.LBB2_9006-.Lpost_getpc33174)>>32
	s_setpc_b64 s[14:15]
.LBB2_23344:
	v_mov_b32_e32 v12, 0
	v_cmp_ne_u16_sdwa s[8:9], v6, v12 src0_sel:BYTE_0 src1_sel:DWORD
	s_andn2_b64 s[4:5], s[4:5], exec
	s_and_b64 s[8:9], s[8:9], exec
	s_or_b64 s[4:5], s[4:5], s[8:9]
	s_or_b64 exec, exec, s[6:7]
	s_and_saveexec_b64 s[6:7], s[4:5]
	s_cbranch_execz .LBB2_33175
; %bb.59183:
	s_getpc_b64 s[14:15]
.Lpost_getpc33175:
	s_add_u32 s14, s14, (.LBB2_9007-.Lpost_getpc33175)&4294967295
	s_addc_u32 s15, s15, (.LBB2_9007-.Lpost_getpc33175)>>32
	s_setpc_b64 s[14:15]
.LBB2_33175:
	s_getpc_b64 s[14:15]
.Lpost_getpc20171:
	s_add_u32 s14, s14, (.LBB2_9008-.Lpost_getpc20171)&4294967295
	s_addc_u32 s15, s15, (.LBB2_9008-.Lpost_getpc20171)>>32
	s_setpc_b64 s[14:15]
.LBB2_23345:
	s_movk_i32 s4, 0x80
	v_cmp_eq_u16_e32 vcc, s4, v6
	s_mov_b64 s[4:5], -1
                                        ; implicit-def: $sgpr10
	s_and_saveexec_b64 s[8:9], vcc
; %bb.23346:
	s_mov_b32 s10, 0x7f800001
	s_xor_b64 s[4:5], exec, -1
; %bb.23347:
	s_or_b64 exec, exec, s[8:9]
	s_and_b64 s[4:5], s[4:5], exec
                                        ; implicit-def: $vgpr6
	s_or_saveexec_b64 s[6:7], s[6:7]
	v_mov_b32_e32 v2, s10
	s_xor_b64 exec, exec, s[6:7]
	s_cbranch_execnz .LBB2_23348
; %bb.59185:
	s_getpc_b64 s[14:15]
.Lpost_getpc33176:
	s_add_u32 s14, s14, (.LBB2_9010-.Lpost_getpc33176)&4294967295
	s_addc_u32 s15, s15, (.LBB2_9010-.Lpost_getpc33176)>>32
	s_setpc_b64 s[14:15]
.LBB2_23348:
	v_cmp_ne_u16_e32 vcc, 0, v6
	s_andn2_b64 s[4:5], s[4:5], exec
	s_and_b64 s[8:9], vcc, exec
	v_mov_b32_e32 v2, 0
	s_or_b64 s[4:5], s[4:5], s[8:9]
	s_or_b64 exec, exec, s[6:7]
	s_and_saveexec_b64 s[6:7], s[4:5]
	s_cbranch_execz .LBB2_33177
; %bb.59187:
	s_getpc_b64 s[14:15]
.Lpost_getpc33177:
	s_add_u32 s14, s14, (.LBB2_9011-.Lpost_getpc33177)&4294967295
	s_addc_u32 s15, s15, (.LBB2_9011-.Lpost_getpc33177)>>32
	s_setpc_b64 s[14:15]
.LBB2_33177:
	s_getpc_b64 s[14:15]
.Lpost_getpc20172:
	s_add_u32 s14, s14, (.LBB2_9012-.Lpost_getpc20172)&4294967295
	s_addc_u32 s15, s15, (.LBB2_9012-.Lpost_getpc20172)>>32
	s_setpc_b64 s[14:15]
.LBB2_23349:
	s_movk_i32 s4, 0x80
	v_cmp_eq_u16_e32 vcc, s4, v6
	s_mov_b64 s[4:5], -1
                                        ; implicit-def: $sgpr10
	s_and_saveexec_b64 s[8:9], vcc
; %bb.23350:
	s_mov_b32 s10, 0x7f800001
	s_xor_b64 s[4:5], exec, -1
; %bb.23351:
	s_or_b64 exec, exec, s[8:9]
	s_and_b64 s[4:5], s[4:5], exec
                                        ; implicit-def: $vgpr6
	s_or_saveexec_b64 s[6:7], s[6:7]
	v_mov_b32_e32 v12, s10
	s_xor_b64 exec, exec, s[6:7]
	s_cbranch_execnz .LBB2_23352
; %bb.59189:
	s_getpc_b64 s[14:15]
.Lpost_getpc33178:
	s_add_u32 s14, s14, (.LBB2_9014-.Lpost_getpc33178)&4294967295
	s_addc_u32 s15, s15, (.LBB2_9014-.Lpost_getpc33178)>>32
	s_setpc_b64 s[14:15]
.LBB2_23352:
	v_cmp_ne_u16_e32 vcc, 0, v6
	s_andn2_b64 s[4:5], s[4:5], exec
	s_and_b64 s[8:9], vcc, exec
	v_mov_b32_e32 v12, 0
	s_or_b64 s[4:5], s[4:5], s[8:9]
	s_or_b64 exec, exec, s[6:7]
	s_and_saveexec_b64 s[6:7], s[4:5]
	s_cbranch_execz .LBB2_33179
; %bb.59191:
	s_getpc_b64 s[14:15]
.Lpost_getpc33179:
	s_add_u32 s14, s14, (.LBB2_9015-.Lpost_getpc33179)&4294967295
	s_addc_u32 s15, s15, (.LBB2_9015-.Lpost_getpc33179)>>32
	s_setpc_b64 s[14:15]
.LBB2_33179:
	s_getpc_b64 s[14:15]
.Lpost_getpc20173:
	s_add_u32 s14, s14, (.LBB2_9016-.Lpost_getpc20173)&4294967295
	s_addc_u32 s15, s15, (.LBB2_9016-.Lpost_getpc20173)>>32
	s_setpc_b64 s[14:15]
.LBB2_23353:
	s_movk_i32 s4, 0x80
	v_cmp_eq_u16_sdwa s[12:13], v7, s4 src0_sel:BYTE_3 src1_sel:DWORD
	s_mov_b64 s[4:5], -1
                                        ; implicit-def: $sgpr10
	s_and_saveexec_b64 s[8:9], s[12:13]
; %bb.23354:
	s_mov_b32 s10, 0x7f800001
	s_xor_b64 s[4:5], exec, -1
; %bb.23355:
	s_or_b64 exec, exec, s[8:9]
	s_and_b64 s[4:5], s[4:5], exec
	s_or_saveexec_b64 s[6:7], s[6:7]
	v_mov_b32_e32 v2, s10
	s_xor_b64 exec, exec, s[6:7]
	s_cbranch_execnz .LBB2_23356
; %bb.59193:
	s_getpc_b64 s[14:15]
.Lpost_getpc33180:
	s_add_u32 s14, s14, (.LBB2_9018-.Lpost_getpc33180)&4294967295
	s_addc_u32 s15, s15, (.LBB2_9018-.Lpost_getpc33180)>>32
	s_setpc_b64 s[14:15]
.LBB2_23356:
	v_mov_b32_e32 v2, 0
	v_cmp_ne_u16_sdwa s[8:9], v7, v2 src0_sel:BYTE_3 src1_sel:DWORD
	s_andn2_b64 s[4:5], s[4:5], exec
	s_and_b64 s[8:9], s[8:9], exec
	s_or_b64 s[4:5], s[4:5], s[8:9]
	s_or_b64 exec, exec, s[6:7]
	s_and_saveexec_b64 s[6:7], s[4:5]
	s_cbranch_execz .LBB2_33181
; %bb.59195:
	s_getpc_b64 s[14:15]
.Lpost_getpc33181:
	s_add_u32 s14, s14, (.LBB2_9019-.Lpost_getpc33181)&4294967295
	s_addc_u32 s15, s15, (.LBB2_9019-.Lpost_getpc33181)>>32
	s_setpc_b64 s[14:15]
.LBB2_33181:
	s_getpc_b64 s[14:15]
.Lpost_getpc20174:
	s_add_u32 s14, s14, (.LBB2_9020-.Lpost_getpc20174)&4294967295
	s_addc_u32 s15, s15, (.LBB2_9020-.Lpost_getpc20174)>>32
	s_setpc_b64 s[14:15]
.LBB2_23357:
	s_movk_i32 s4, 0x80
	v_cmp_eq_u16_sdwa s[12:13], v3, s4 src0_sel:BYTE_3 src1_sel:DWORD
	s_mov_b64 s[4:5], -1
                                        ; implicit-def: $sgpr10
	s_and_saveexec_b64 s[8:9], s[12:13]
; %bb.23358:
	s_mov_b32 s10, 0x7f800001
	s_xor_b64 s[4:5], exec, -1
; %bb.23359:
	s_or_b64 exec, exec, s[8:9]
	s_and_b64 s[4:5], s[4:5], exec
	s_or_saveexec_b64 s[6:7], s[6:7]
	v_mov_b32_e32 v6, s10
	s_xor_b64 exec, exec, s[6:7]
	s_cbranch_execnz .LBB2_23360
; %bb.59197:
	s_getpc_b64 s[14:15]
.Lpost_getpc33182:
	s_add_u32 s14, s14, (.LBB2_9022-.Lpost_getpc33182)&4294967295
	s_addc_u32 s15, s15, (.LBB2_9022-.Lpost_getpc33182)>>32
	s_setpc_b64 s[14:15]
.LBB2_23360:
	v_mov_b32_e32 v6, 0
	v_cmp_ne_u16_sdwa s[8:9], v3, v6 src0_sel:BYTE_3 src1_sel:DWORD
	s_andn2_b64 s[4:5], s[4:5], exec
	s_and_b64 s[8:9], s[8:9], exec
	s_or_b64 s[4:5], s[4:5], s[8:9]
	s_or_b64 exec, exec, s[6:7]
	s_and_saveexec_b64 s[6:7], s[4:5]
	s_cbranch_execz .LBB2_33183
; %bb.59199:
	s_getpc_b64 s[14:15]
.Lpost_getpc33183:
	s_add_u32 s14, s14, (.LBB2_9023-.Lpost_getpc33183)&4294967295
	s_addc_u32 s15, s15, (.LBB2_9023-.Lpost_getpc33183)>>32
	s_setpc_b64 s[14:15]
.LBB2_33183:
	s_getpc_b64 s[14:15]
.Lpost_getpc20175:
	s_add_u32 s14, s14, (.LBB2_9024-.Lpost_getpc20175)&4294967295
	s_addc_u32 s15, s15, (.LBB2_9024-.Lpost_getpc20175)>>32
	s_setpc_b64 s[14:15]
.LBB2_23361:
	s_movk_i32 s4, 0x80
	v_cmp_eq_u16_sdwa s[12:13], v8, s4 src0_sel:BYTE_0 src1_sel:DWORD
	s_mov_b64 s[4:5], -1
                                        ; implicit-def: $sgpr10
	s_and_saveexec_b64 s[8:9], s[12:13]
; %bb.23362:
	s_mov_b32 s10, 0x7f800001
	s_xor_b64 s[4:5], exec, -1
; %bb.23363:
	s_or_b64 exec, exec, s[8:9]
	s_and_b64 s[4:5], s[4:5], exec
	s_or_saveexec_b64 s[6:7], s[6:7]
	v_mov_b32_e32 v2, s10
	s_xor_b64 exec, exec, s[6:7]
	s_cbranch_execnz .LBB2_23364
; %bb.59201:
	s_getpc_b64 s[14:15]
.Lpost_getpc33184:
	s_add_u32 s14, s14, (.LBB2_9026-.Lpost_getpc33184)&4294967295
	s_addc_u32 s15, s15, (.LBB2_9026-.Lpost_getpc33184)>>32
	s_setpc_b64 s[14:15]
.LBB2_23364:
	v_mov_b32_e32 v2, 0
	v_cmp_ne_u16_sdwa s[8:9], v8, v2 src0_sel:BYTE_0 src1_sel:DWORD
	s_andn2_b64 s[4:5], s[4:5], exec
	s_and_b64 s[8:9], s[8:9], exec
	s_or_b64 s[4:5], s[4:5], s[8:9]
	s_or_b64 exec, exec, s[6:7]
	s_and_saveexec_b64 s[6:7], s[4:5]
	s_cbranch_execz .LBB2_33185
; %bb.59203:
	s_getpc_b64 s[14:15]
.Lpost_getpc33185:
	s_add_u32 s14, s14, (.LBB2_9027-.Lpost_getpc33185)&4294967295
	s_addc_u32 s15, s15, (.LBB2_9027-.Lpost_getpc33185)>>32
	s_setpc_b64 s[14:15]
.LBB2_33185:
	s_getpc_b64 s[14:15]
.Lpost_getpc20176:
	s_add_u32 s14, s14, (.LBB2_9028-.Lpost_getpc20176)&4294967295
	s_addc_u32 s15, s15, (.LBB2_9028-.Lpost_getpc20176)>>32
	s_setpc_b64 s[14:15]
.LBB2_23365:
	s_movk_i32 s4, 0x80
	v_cmp_eq_u16_sdwa s[12:13], v4, s4 src0_sel:BYTE_0 src1_sel:DWORD
	s_mov_b64 s[4:5], -1
                                        ; implicit-def: $sgpr10
	s_and_saveexec_b64 s[8:9], s[12:13]
; %bb.23366:
	s_mov_b32 s10, 0x7f800001
	s_xor_b64 s[4:5], exec, -1
; %bb.23367:
	s_or_b64 exec, exec, s[8:9]
	s_and_b64 s[4:5], s[4:5], exec
	s_or_saveexec_b64 s[6:7], s[6:7]
	v_mov_b32_e32 v3, s10
	s_xor_b64 exec, exec, s[6:7]
	s_cbranch_execnz .LBB2_23368
; %bb.59205:
	s_getpc_b64 s[14:15]
.Lpost_getpc33186:
	s_add_u32 s14, s14, (.LBB2_9030-.Lpost_getpc33186)&4294967295
	s_addc_u32 s15, s15, (.LBB2_9030-.Lpost_getpc33186)>>32
	s_setpc_b64 s[14:15]
.LBB2_23368:
	v_mov_b32_e32 v3, 0
	v_cmp_ne_u16_sdwa s[8:9], v4, v3 src0_sel:BYTE_0 src1_sel:DWORD
	s_andn2_b64 s[4:5], s[4:5], exec
	s_and_b64 s[8:9], s[8:9], exec
	s_or_b64 s[4:5], s[4:5], s[8:9]
	s_or_b64 exec, exec, s[6:7]
	s_and_saveexec_b64 s[6:7], s[4:5]
	s_cbranch_execz .LBB2_33187
; %bb.59207:
	s_getpc_b64 s[14:15]
.Lpost_getpc33187:
	s_add_u32 s14, s14, (.LBB2_9031-.Lpost_getpc33187)&4294967295
	s_addc_u32 s15, s15, (.LBB2_9031-.Lpost_getpc33187)>>32
	s_setpc_b64 s[14:15]
.LBB2_33187:
	s_getpc_b64 s[14:15]
.Lpost_getpc20177:
	s_add_u32 s14, s14, (.LBB2_9032-.Lpost_getpc20177)&4294967295
	s_addc_u32 s15, s15, (.LBB2_9032-.Lpost_getpc20177)>>32
	s_setpc_b64 s[14:15]
.LBB2_23369:
	s_movk_i32 s4, 0x80
	v_cmp_eq_u16_sdwa s[12:13], v3, s4 src0_sel:BYTE_0 src1_sel:DWORD
	s_mov_b64 s[4:5], -1
                                        ; implicit-def: $sgpr10
	s_and_saveexec_b64 s[8:9], s[12:13]
; %bb.23370:
	s_mov_b32 s10, 0x7f800001
	s_xor_b64 s[4:5], exec, -1
; %bb.23371:
	s_or_b64 exec, exec, s[8:9]
	s_and_b64 s[4:5], s[4:5], exec
	s_or_saveexec_b64 s[6:7], s[6:7]
	v_mov_b32_e32 v2, s10
	s_xor_b64 exec, exec, s[6:7]
	s_cbranch_execnz .LBB2_23372
; %bb.59209:
	s_getpc_b64 s[14:15]
.Lpost_getpc33188:
	s_add_u32 s14, s14, (.LBB2_9034-.Lpost_getpc33188)&4294967295
	s_addc_u32 s15, s15, (.LBB2_9034-.Lpost_getpc33188)>>32
	s_setpc_b64 s[14:15]
.LBB2_23372:
	v_mov_b32_e32 v2, 0
	v_cmp_ne_u16_sdwa s[8:9], v3, v2 src0_sel:BYTE_0 src1_sel:DWORD
	s_andn2_b64 s[4:5], s[4:5], exec
	s_and_b64 s[8:9], s[8:9], exec
	s_or_b64 s[4:5], s[4:5], s[8:9]
	s_or_b64 exec, exec, s[6:7]
	s_and_saveexec_b64 s[6:7], s[4:5]
	s_cbranch_execz .LBB2_33189
; %bb.59211:
	s_getpc_b64 s[14:15]
.Lpost_getpc33189:
	s_add_u32 s14, s14, (.LBB2_9035-.Lpost_getpc33189)&4294967295
	s_addc_u32 s15, s15, (.LBB2_9035-.Lpost_getpc33189)>>32
	s_setpc_b64 s[14:15]
.LBB2_33189:
	s_getpc_b64 s[14:15]
.Lpost_getpc20178:
	s_add_u32 s14, s14, (.LBB2_9036-.Lpost_getpc20178)&4294967295
	s_addc_u32 s15, s15, (.LBB2_9036-.Lpost_getpc20178)>>32
	s_setpc_b64 s[14:15]
.LBB2_23373:
	s_movk_i32 s4, 0x80
	v_cmp_eq_u16_sdwa s[12:13], v3, s4 src0_sel:BYTE_0 src1_sel:DWORD
	s_mov_b64 s[4:5], -1
                                        ; implicit-def: $sgpr10
	s_and_saveexec_b64 s[8:9], s[12:13]
; %bb.23374:
	s_mov_b32 s10, 0x7f800001
	s_xor_b64 s[4:5], exec, -1
; %bb.23375:
	s_or_b64 exec, exec, s[8:9]
	s_and_b64 s[4:5], s[4:5], exec
	s_or_saveexec_b64 s[6:7], s[6:7]
	v_mov_b32_e32 v6, s10
	s_xor_b64 exec, exec, s[6:7]
	s_cbranch_execnz .LBB2_23376
; %bb.59213:
	s_getpc_b64 s[14:15]
.Lpost_getpc33190:
	s_add_u32 s14, s14, (.LBB2_9038-.Lpost_getpc33190)&4294967295
	s_addc_u32 s15, s15, (.LBB2_9038-.Lpost_getpc33190)>>32
	s_setpc_b64 s[14:15]
.LBB2_23376:
	v_mov_b32_e32 v6, 0
	v_cmp_ne_u16_sdwa s[8:9], v3, v6 src0_sel:BYTE_0 src1_sel:DWORD
	s_andn2_b64 s[4:5], s[4:5], exec
	s_and_b64 s[8:9], s[8:9], exec
	s_or_b64 s[4:5], s[4:5], s[8:9]
	s_or_b64 exec, exec, s[6:7]
	s_and_saveexec_b64 s[6:7], s[4:5]
	s_cbranch_execz .LBB2_33191
; %bb.59215:
	s_getpc_b64 s[14:15]
.Lpost_getpc33191:
	s_add_u32 s14, s14, (.LBB2_9039-.Lpost_getpc33191)&4294967295
	s_addc_u32 s15, s15, (.LBB2_9039-.Lpost_getpc33191)>>32
	s_setpc_b64 s[14:15]
.LBB2_33191:
	s_getpc_b64 s[14:15]
.Lpost_getpc20179:
	s_add_u32 s14, s14, (.LBB2_9040-.Lpost_getpc20179)&4294967295
	s_addc_u32 s15, s15, (.LBB2_9040-.Lpost_getpc20179)>>32
	s_setpc_b64 s[14:15]
.LBB2_23377:
	s_movk_i32 s4, 0x80
	v_cmp_eq_u16_e32 vcc, s4, v3
	s_mov_b64 s[4:5], -1
                                        ; implicit-def: $sgpr10
	s_and_saveexec_b64 s[8:9], vcc
; %bb.23378:
	s_mov_b32 s10, 0x7f800001
	s_xor_b64 s[4:5], exec, -1
; %bb.23379:
	s_or_b64 exec, exec, s[8:9]
	s_and_b64 s[4:5], s[4:5], exec
                                        ; implicit-def: $vgpr3
	s_or_saveexec_b64 s[6:7], s[6:7]
	v_mov_b32_e32 v2, s10
	s_xor_b64 exec, exec, s[6:7]
	s_cbranch_execnz .LBB2_23380
; %bb.59217:
	s_getpc_b64 s[14:15]
.Lpost_getpc33192:
	s_add_u32 s14, s14, (.LBB2_9042-.Lpost_getpc33192)&4294967295
	s_addc_u32 s15, s15, (.LBB2_9042-.Lpost_getpc33192)>>32
	s_setpc_b64 s[14:15]
.LBB2_23380:
	v_cmp_ne_u16_e32 vcc, 0, v3
	s_andn2_b64 s[4:5], s[4:5], exec
	s_and_b64 s[8:9], vcc, exec
	v_mov_b32_e32 v2, 0
	s_or_b64 s[4:5], s[4:5], s[8:9]
	s_or_b64 exec, exec, s[6:7]
	s_and_saveexec_b64 s[6:7], s[4:5]
	s_cbranch_execz .LBB2_33193
; %bb.59219:
	s_getpc_b64 s[14:15]
.Lpost_getpc33193:
	s_add_u32 s14, s14, (.LBB2_9043-.Lpost_getpc33193)&4294967295
	s_addc_u32 s15, s15, (.LBB2_9043-.Lpost_getpc33193)>>32
	s_setpc_b64 s[14:15]
.LBB2_33193:
	s_getpc_b64 s[14:15]
.Lpost_getpc20180:
	s_add_u32 s14, s14, (.LBB2_9044-.Lpost_getpc20180)&4294967295
	s_addc_u32 s15, s15, (.LBB2_9044-.Lpost_getpc20180)>>32
	s_setpc_b64 s[14:15]
.LBB2_23381:
	s_movk_i32 s4, 0x80
	v_cmp_eq_u16_e32 vcc, s4, v3
	s_mov_b64 s[4:5], -1
                                        ; implicit-def: $sgpr10
	s_and_saveexec_b64 s[8:9], vcc
; %bb.23382:
	s_mov_b32 s10, 0x7f800001
	s_xor_b64 s[4:5], exec, -1
; %bb.23383:
	s_or_b64 exec, exec, s[8:9]
	s_and_b64 s[4:5], s[4:5], exec
                                        ; implicit-def: $vgpr3
	s_or_saveexec_b64 s[6:7], s[6:7]
	v_mov_b32_e32 v6, s10
	s_xor_b64 exec, exec, s[6:7]
	s_cbranch_execnz .LBB2_23384
; %bb.59221:
	s_getpc_b64 s[14:15]
.Lpost_getpc33194:
	s_add_u32 s14, s14, (.LBB2_9046-.Lpost_getpc33194)&4294967295
	s_addc_u32 s15, s15, (.LBB2_9046-.Lpost_getpc33194)>>32
	s_setpc_b64 s[14:15]
.LBB2_23384:
	v_cmp_ne_u16_e32 vcc, 0, v3
	s_andn2_b64 s[4:5], s[4:5], exec
	s_and_b64 s[8:9], vcc, exec
	v_mov_b32_e32 v6, 0
	s_or_b64 s[4:5], s[4:5], s[8:9]
	s_or_b64 exec, exec, s[6:7]
	s_and_saveexec_b64 s[6:7], s[4:5]
	s_cbranch_execz .LBB2_33195
; %bb.59223:
	s_getpc_b64 s[14:15]
.Lpost_getpc33195:
	s_add_u32 s14, s14, (.LBB2_9047-.Lpost_getpc33195)&4294967295
	s_addc_u32 s15, s15, (.LBB2_9047-.Lpost_getpc33195)>>32
	s_setpc_b64 s[14:15]
.LBB2_33195:
	s_getpc_b64 s[14:15]
.Lpost_getpc20181:
	s_add_u32 s14, s14, (.LBB2_9048-.Lpost_getpc20181)&4294967295
	s_addc_u32 s15, s15, (.LBB2_9048-.Lpost_getpc20181)>>32
	s_setpc_b64 s[14:15]
.LBB2_23385:
	s_movk_i32 s4, 0x80
	v_cmp_eq_u16_sdwa s[12:13], v8, s4 src0_sel:BYTE_3 src1_sel:DWORD
	s_mov_b64 s[4:5], -1
                                        ; implicit-def: $sgpr10
	s_and_saveexec_b64 s[8:9], s[12:13]
; %bb.23386:
	s_mov_b32 s10, 0x7f800001
	s_xor_b64 s[4:5], exec, -1
; %bb.23387:
	s_or_b64 exec, exec, s[8:9]
	s_and_b64 s[4:5], s[4:5], exec
	s_or_saveexec_b64 s[6:7], s[6:7]
	v_mov_b32_e32 v2, s10
	s_xor_b64 exec, exec, s[6:7]
	s_cbranch_execnz .LBB2_23388
; %bb.59225:
	s_getpc_b64 s[14:15]
.Lpost_getpc33196:
	s_add_u32 s14, s14, (.LBB2_9050-.Lpost_getpc33196)&4294967295
	s_addc_u32 s15, s15, (.LBB2_9050-.Lpost_getpc33196)>>32
	s_setpc_b64 s[14:15]
.LBB2_23388:
	v_mov_b32_e32 v2, 0
	v_cmp_ne_u16_sdwa s[8:9], v8, v2 src0_sel:BYTE_3 src1_sel:DWORD
	s_andn2_b64 s[4:5], s[4:5], exec
	s_and_b64 s[8:9], s[8:9], exec
	s_or_b64 s[4:5], s[4:5], s[8:9]
	s_or_b64 exec, exec, s[6:7]
	s_and_saveexec_b64 s[6:7], s[4:5]
	s_cbranch_execz .LBB2_33197
; %bb.59227:
	s_getpc_b64 s[14:15]
.Lpost_getpc33197:
	s_add_u32 s14, s14, (.LBB2_9051-.Lpost_getpc33197)&4294967295
	s_addc_u32 s15, s15, (.LBB2_9051-.Lpost_getpc33197)>>32
	s_setpc_b64 s[14:15]
.LBB2_33197:
	s_getpc_b64 s[14:15]
.Lpost_getpc20182:
	s_add_u32 s14, s14, (.LBB2_9052-.Lpost_getpc20182)&4294967295
	s_addc_u32 s15, s15, (.LBB2_9052-.Lpost_getpc20182)>>32
	s_setpc_b64 s[14:15]
.LBB2_23389:
	s_movk_i32 s4, 0x80
	v_cmp_eq_u16_sdwa s[12:13], v4, s4 src0_sel:BYTE_3 src1_sel:DWORD
	s_mov_b64 s[4:5], -1
                                        ; implicit-def: $sgpr10
	s_and_saveexec_b64 s[8:9], s[12:13]
; %bb.23390:
	s_mov_b32 s10, 0x7f800001
	s_xor_b64 s[4:5], exec, -1
; %bb.23391:
	s_or_b64 exec, exec, s[8:9]
	s_and_b64 s[4:5], s[4:5], exec
	s_or_saveexec_b64 s[6:7], s[6:7]
	v_mov_b32_e32 v3, s10
	s_xor_b64 exec, exec, s[6:7]
	s_cbranch_execnz .LBB2_23392
; %bb.59229:
	s_getpc_b64 s[14:15]
.Lpost_getpc33198:
	s_add_u32 s14, s14, (.LBB2_9054-.Lpost_getpc33198)&4294967295
	s_addc_u32 s15, s15, (.LBB2_9054-.Lpost_getpc33198)>>32
	s_setpc_b64 s[14:15]
.LBB2_23392:
	v_mov_b32_e32 v3, 0
	v_cmp_ne_u16_sdwa s[8:9], v4, v3 src0_sel:BYTE_3 src1_sel:DWORD
	s_andn2_b64 s[4:5], s[4:5], exec
	s_and_b64 s[8:9], s[8:9], exec
	s_or_b64 s[4:5], s[4:5], s[8:9]
	s_or_b64 exec, exec, s[6:7]
	s_and_saveexec_b64 s[6:7], s[4:5]
	s_cbranch_execz .LBB2_33199
; %bb.59231:
	s_getpc_b64 s[14:15]
.Lpost_getpc33199:
	s_add_u32 s14, s14, (.LBB2_9055-.Lpost_getpc33199)&4294967295
	s_addc_u32 s15, s15, (.LBB2_9055-.Lpost_getpc33199)>>32
	s_setpc_b64 s[14:15]
.LBB2_33199:
	s_getpc_b64 s[14:15]
.Lpost_getpc20183:
	s_add_u32 s14, s14, (.LBB2_9056-.Lpost_getpc20183)&4294967295
	s_addc_u32 s15, s15, (.LBB2_9056-.Lpost_getpc20183)>>32
	s_setpc_b64 s[14:15]
.LBB2_23393:
	s_movk_i32 s4, 0x80
	v_cmp_eq_u16_sdwa s[12:13], v9, s4 src0_sel:BYTE_0 src1_sel:DWORD
	s_mov_b64 s[4:5], -1
                                        ; implicit-def: $sgpr10
	s_and_saveexec_b64 s[8:9], s[12:13]
; %bb.23394:
	s_mov_b32 s10, 0x7f800001
	s_xor_b64 s[4:5], exec, -1
; %bb.23395:
	s_or_b64 exec, exec, s[8:9]
	s_and_b64 s[4:5], s[4:5], exec
	s_or_saveexec_b64 s[6:7], s[6:7]
	v_mov_b32_e32 v2, s10
	s_xor_b64 exec, exec, s[6:7]
	s_cbranch_execnz .LBB2_23396
; %bb.59233:
	s_getpc_b64 s[14:15]
.Lpost_getpc33200:
	s_add_u32 s14, s14, (.LBB2_9058-.Lpost_getpc33200)&4294967295
	s_addc_u32 s15, s15, (.LBB2_9058-.Lpost_getpc33200)>>32
	s_setpc_b64 s[14:15]
.LBB2_23396:
	v_mov_b32_e32 v2, 0
	v_cmp_ne_u16_sdwa s[8:9], v9, v2 src0_sel:BYTE_0 src1_sel:DWORD
	s_andn2_b64 s[4:5], s[4:5], exec
	s_and_b64 s[8:9], s[8:9], exec
	s_or_b64 s[4:5], s[4:5], s[8:9]
	s_or_b64 exec, exec, s[6:7]
	s_and_saveexec_b64 s[6:7], s[4:5]
	s_cbranch_execz .LBB2_33201
; %bb.59235:
	s_getpc_b64 s[14:15]
.Lpost_getpc33201:
	s_add_u32 s14, s14, (.LBB2_9059-.Lpost_getpc33201)&4294967295
	s_addc_u32 s15, s15, (.LBB2_9059-.Lpost_getpc33201)>>32
	s_setpc_b64 s[14:15]
.LBB2_33201:
	s_getpc_b64 s[14:15]
.Lpost_getpc20184:
	s_add_u32 s14, s14, (.LBB2_9060-.Lpost_getpc20184)&4294967295
	s_addc_u32 s15, s15, (.LBB2_9060-.Lpost_getpc20184)>>32
	s_setpc_b64 s[14:15]
.LBB2_23397:
	s_movk_i32 s4, 0x80
	v_cmp_eq_u16_sdwa s[12:13], v5, s4 src0_sel:BYTE_0 src1_sel:DWORD
	s_mov_b64 s[4:5], -1
                                        ; implicit-def: $sgpr10
	s_and_saveexec_b64 s[8:9], s[12:13]
; %bb.23398:
	s_mov_b32 s10, 0x7f800001
	s_xor_b64 s[4:5], exec, -1
; %bb.23399:
	s_or_b64 exec, exec, s[8:9]
	s_and_b64 s[4:5], s[4:5], exec
	s_or_saveexec_b64 s[6:7], s[6:7]
	v_mov_b32_e32 v3, s10
	s_xor_b64 exec, exec, s[6:7]
	s_cbranch_execnz .LBB2_23400
; %bb.59237:
	s_getpc_b64 s[14:15]
.Lpost_getpc33202:
	s_add_u32 s14, s14, (.LBB2_9062-.Lpost_getpc33202)&4294967295
	s_addc_u32 s15, s15, (.LBB2_9062-.Lpost_getpc33202)>>32
	s_setpc_b64 s[14:15]
.LBB2_23400:
	v_mov_b32_e32 v3, 0
	v_cmp_ne_u16_sdwa s[8:9], v5, v3 src0_sel:BYTE_0 src1_sel:DWORD
	s_andn2_b64 s[4:5], s[4:5], exec
	s_and_b64 s[8:9], s[8:9], exec
	s_or_b64 s[4:5], s[4:5], s[8:9]
	s_or_b64 exec, exec, s[6:7]
	s_and_saveexec_b64 s[6:7], s[4:5]
	s_cbranch_execz .LBB2_33203
; %bb.59239:
	s_getpc_b64 s[14:15]
.Lpost_getpc33203:
	s_add_u32 s14, s14, (.LBB2_9063-.Lpost_getpc33203)&4294967295
	s_addc_u32 s15, s15, (.LBB2_9063-.Lpost_getpc33203)>>32
	s_setpc_b64 s[14:15]
.LBB2_33203:
	s_getpc_b64 s[14:15]
.Lpost_getpc20185:
	s_add_u32 s14, s14, (.LBB2_9064-.Lpost_getpc20185)&4294967295
	s_addc_u32 s15, s15, (.LBB2_9064-.Lpost_getpc20185)>>32
	s_setpc_b64 s[14:15]
.LBB2_23401:
	s_movk_i32 s4, 0x80
	v_cmp_eq_u16_sdwa s[12:13], v3, s4 src0_sel:BYTE_0 src1_sel:DWORD
	s_mov_b64 s[4:5], -1
                                        ; implicit-def: $sgpr10
	s_and_saveexec_b64 s[8:9], s[12:13]
; %bb.23402:
	s_mov_b32 s10, 0x7f800001
	s_xor_b64 s[4:5], exec, -1
; %bb.23403:
	s_or_b64 exec, exec, s[8:9]
	s_and_b64 s[4:5], s[4:5], exec
	s_or_saveexec_b64 s[6:7], s[6:7]
	v_mov_b32_e32 v2, s10
	s_xor_b64 exec, exec, s[6:7]
	s_cbranch_execnz .LBB2_23404
; %bb.59241:
	s_getpc_b64 s[14:15]
.Lpost_getpc33204:
	s_add_u32 s14, s14, (.LBB2_9066-.Lpost_getpc33204)&4294967295
	s_addc_u32 s15, s15, (.LBB2_9066-.Lpost_getpc33204)>>32
	s_setpc_b64 s[14:15]
.LBB2_23404:
	v_mov_b32_e32 v2, 0
	v_cmp_ne_u16_sdwa s[8:9], v3, v2 src0_sel:BYTE_0 src1_sel:DWORD
	s_andn2_b64 s[4:5], s[4:5], exec
	s_and_b64 s[8:9], s[8:9], exec
	s_or_b64 s[4:5], s[4:5], s[8:9]
	s_or_b64 exec, exec, s[6:7]
	s_and_saveexec_b64 s[6:7], s[4:5]
	s_cbranch_execz .LBB2_33205
; %bb.59243:
	s_getpc_b64 s[14:15]
.Lpost_getpc33205:
	s_add_u32 s14, s14, (.LBB2_9067-.Lpost_getpc33205)&4294967295
	s_addc_u32 s15, s15, (.LBB2_9067-.Lpost_getpc33205)>>32
	s_setpc_b64 s[14:15]
.LBB2_33205:
	s_getpc_b64 s[14:15]
.Lpost_getpc20186:
	s_add_u32 s14, s14, (.LBB2_9068-.Lpost_getpc20186)&4294967295
	s_addc_u32 s15, s15, (.LBB2_9068-.Lpost_getpc20186)>>32
	s_setpc_b64 s[14:15]
.LBB2_23405:
	s_movk_i32 s4, 0x80
	v_cmp_eq_u16_sdwa s[12:13], v3, s4 src0_sel:BYTE_0 src1_sel:DWORD
	s_mov_b64 s[4:5], -1
                                        ; implicit-def: $sgpr10
	s_and_saveexec_b64 s[8:9], s[12:13]
; %bb.23406:
	s_mov_b32 s10, 0x7f800001
	s_xor_b64 s[4:5], exec, -1
; %bb.23407:
	s_or_b64 exec, exec, s[8:9]
	s_and_b64 s[4:5], s[4:5], exec
	s_or_saveexec_b64 s[6:7], s[6:7]
	v_mov_b32_e32 v4, s10
	s_xor_b64 exec, exec, s[6:7]
	s_cbranch_execnz .LBB2_23408
; %bb.59245:
	s_getpc_b64 s[14:15]
.Lpost_getpc33206:
	s_add_u32 s14, s14, (.LBB2_9070-.Lpost_getpc33206)&4294967295
	s_addc_u32 s15, s15, (.LBB2_9070-.Lpost_getpc33206)>>32
	s_setpc_b64 s[14:15]
.LBB2_23408:
	v_mov_b32_e32 v4, 0
	v_cmp_ne_u16_sdwa s[8:9], v3, v4 src0_sel:BYTE_0 src1_sel:DWORD
	s_andn2_b64 s[4:5], s[4:5], exec
	s_and_b64 s[8:9], s[8:9], exec
	s_or_b64 s[4:5], s[4:5], s[8:9]
	s_or_b64 exec, exec, s[6:7]
	s_and_saveexec_b64 s[6:7], s[4:5]
	s_cbranch_execz .LBB2_33207
; %bb.59247:
	s_getpc_b64 s[14:15]
.Lpost_getpc33207:
	s_add_u32 s14, s14, (.LBB2_9071-.Lpost_getpc33207)&4294967295
	s_addc_u32 s15, s15, (.LBB2_9071-.Lpost_getpc33207)>>32
	s_setpc_b64 s[14:15]
.LBB2_33207:
	s_getpc_b64 s[14:15]
.Lpost_getpc20187:
	s_add_u32 s14, s14, (.LBB2_9072-.Lpost_getpc20187)&4294967295
	s_addc_u32 s15, s15, (.LBB2_9072-.Lpost_getpc20187)>>32
	s_setpc_b64 s[14:15]
.LBB2_23409:
	s_movk_i32 s4, 0x80
	v_cmp_eq_u16_e32 vcc, s4, v3
	s_mov_b64 s[4:5], -1
                                        ; implicit-def: $sgpr10
	s_and_saveexec_b64 s[8:9], vcc
; %bb.23410:
	s_mov_b32 s10, 0x7f800001
	s_xor_b64 s[4:5], exec, -1
; %bb.23411:
	s_or_b64 exec, exec, s[8:9]
	s_and_b64 s[4:5], s[4:5], exec
                                        ; implicit-def: $vgpr3
	s_or_saveexec_b64 s[6:7], s[6:7]
	v_mov_b32_e32 v2, s10
	s_xor_b64 exec, exec, s[6:7]
	s_cbranch_execnz .LBB2_23412
; %bb.59249:
	s_getpc_b64 s[14:15]
.Lpost_getpc33208:
	s_add_u32 s14, s14, (.LBB2_9074-.Lpost_getpc33208)&4294967295
	s_addc_u32 s15, s15, (.LBB2_9074-.Lpost_getpc33208)>>32
	s_setpc_b64 s[14:15]
.LBB2_23412:
	v_cmp_ne_u16_e32 vcc, 0, v3
	s_andn2_b64 s[4:5], s[4:5], exec
	s_and_b64 s[8:9], vcc, exec
	v_mov_b32_e32 v2, 0
	s_or_b64 s[4:5], s[4:5], s[8:9]
	s_or_b64 exec, exec, s[6:7]
	s_and_saveexec_b64 s[6:7], s[4:5]
	s_cbranch_execz .LBB2_33209
; %bb.59251:
	s_getpc_b64 s[14:15]
.Lpost_getpc33209:
	s_add_u32 s14, s14, (.LBB2_9075-.Lpost_getpc33209)&4294967295
	s_addc_u32 s15, s15, (.LBB2_9075-.Lpost_getpc33209)>>32
	s_setpc_b64 s[14:15]
.LBB2_33209:
	s_getpc_b64 s[14:15]
.Lpost_getpc20188:
	s_add_u32 s14, s14, (.LBB2_9076-.Lpost_getpc20188)&4294967295
	s_addc_u32 s15, s15, (.LBB2_9076-.Lpost_getpc20188)>>32
	s_setpc_b64 s[14:15]
.LBB2_23413:
	s_movk_i32 s4, 0x80
	v_cmp_eq_u16_e32 vcc, s4, v3
	s_mov_b64 s[4:5], -1
                                        ; implicit-def: $sgpr10
	s_and_saveexec_b64 s[8:9], vcc
; %bb.23414:
	s_mov_b32 s10, 0x7f800001
	s_xor_b64 s[4:5], exec, -1
; %bb.23415:
	s_or_b64 exec, exec, s[8:9]
	s_and_b64 s[4:5], s[4:5], exec
                                        ; implicit-def: $vgpr3
	s_or_saveexec_b64 s[6:7], s[6:7]
	v_mov_b32_e32 v4, s10
	s_xor_b64 exec, exec, s[6:7]
	s_cbranch_execnz .LBB2_23416
; %bb.59253:
	s_getpc_b64 s[14:15]
.Lpost_getpc33210:
	s_add_u32 s14, s14, (.LBB2_9078-.Lpost_getpc33210)&4294967295
	s_addc_u32 s15, s15, (.LBB2_9078-.Lpost_getpc33210)>>32
	s_setpc_b64 s[14:15]
.LBB2_23416:
	v_cmp_ne_u16_e32 vcc, 0, v3
	s_andn2_b64 s[4:5], s[4:5], exec
	s_and_b64 s[8:9], vcc, exec
	v_mov_b32_e32 v4, 0
	s_or_b64 s[4:5], s[4:5], s[8:9]
	s_or_b64 exec, exec, s[6:7]
	s_and_saveexec_b64 s[6:7], s[4:5]
	s_cbranch_execz .LBB2_33211
; %bb.59255:
	s_getpc_b64 s[14:15]
.Lpost_getpc33211:
	s_add_u32 s14, s14, (.LBB2_9079-.Lpost_getpc33211)&4294967295
	s_addc_u32 s15, s15, (.LBB2_9079-.Lpost_getpc33211)>>32
	s_setpc_b64 s[14:15]
.LBB2_33211:
	s_getpc_b64 s[14:15]
.Lpost_getpc20189:
	s_add_u32 s14, s14, (.LBB2_9080-.Lpost_getpc20189)&4294967295
	s_addc_u32 s15, s15, (.LBB2_9080-.Lpost_getpc20189)>>32
	s_setpc_b64 s[14:15]
.LBB2_23417:
	s_movk_i32 s4, 0x80
	v_cmp_eq_u16_sdwa s[12:13], v9, s4 src0_sel:BYTE_3 src1_sel:DWORD
	s_mov_b64 s[4:5], -1
                                        ; implicit-def: $sgpr10
	s_and_saveexec_b64 s[8:9], s[12:13]
; %bb.23418:
	s_mov_b32 s10, 0x7f800001
	s_xor_b64 s[4:5], exec, -1
; %bb.23419:
	s_or_b64 exec, exec, s[8:9]
	s_and_b64 s[4:5], s[4:5], exec
	s_or_saveexec_b64 s[6:7], s[6:7]
	v_mov_b32_e32 v2, s10
	s_xor_b64 exec, exec, s[6:7]
	s_cbranch_execnz .LBB2_23420
; %bb.59257:
	s_getpc_b64 s[14:15]
.Lpost_getpc33212:
	s_add_u32 s14, s14, (.LBB2_9082-.Lpost_getpc33212)&4294967295
	s_addc_u32 s15, s15, (.LBB2_9082-.Lpost_getpc33212)>>32
	s_setpc_b64 s[14:15]
.LBB2_23420:
	v_mov_b32_e32 v2, 0
	v_cmp_ne_u16_sdwa s[8:9], v9, v2 src0_sel:BYTE_3 src1_sel:DWORD
	s_andn2_b64 s[4:5], s[4:5], exec
	s_and_b64 s[8:9], s[8:9], exec
	s_or_b64 s[4:5], s[4:5], s[8:9]
	s_or_b64 exec, exec, s[6:7]
	s_and_saveexec_b64 s[6:7], s[4:5]
	s_cbranch_execz .LBB2_33213
; %bb.59259:
	s_getpc_b64 s[14:15]
.Lpost_getpc33213:
	s_add_u32 s14, s14, (.LBB2_9083-.Lpost_getpc33213)&4294967295
	s_addc_u32 s15, s15, (.LBB2_9083-.Lpost_getpc33213)>>32
	s_setpc_b64 s[14:15]
.LBB2_33213:
	s_getpc_b64 s[14:15]
.Lpost_getpc20190:
	s_add_u32 s14, s14, (.LBB2_9084-.Lpost_getpc20190)&4294967295
	s_addc_u32 s15, s15, (.LBB2_9084-.Lpost_getpc20190)>>32
	s_setpc_b64 s[14:15]
.LBB2_23421:
	s_movk_i32 s4, 0x80
	v_cmp_eq_u16_sdwa s[12:13], v5, s4 src0_sel:BYTE_3 src1_sel:DWORD
	s_mov_b64 s[4:5], -1
                                        ; implicit-def: $sgpr10
	s_and_saveexec_b64 s[8:9], s[12:13]
; %bb.23422:
	s_mov_b32 s10, 0x7f800001
	s_xor_b64 s[4:5], exec, -1
; %bb.23423:
	s_or_b64 exec, exec, s[8:9]
	s_and_b64 s[4:5], s[4:5], exec
	s_or_saveexec_b64 s[6:7], s[6:7]
	v_mov_b32_e32 v3, s10
	s_xor_b64 exec, exec, s[6:7]
	s_cbranch_execnz .LBB2_23424
; %bb.59261:
	s_getpc_b64 s[14:15]
.Lpost_getpc33214:
	s_add_u32 s14, s14, (.LBB2_9086-.Lpost_getpc33214)&4294967295
	s_addc_u32 s15, s15, (.LBB2_9086-.Lpost_getpc33214)>>32
	s_setpc_b64 s[14:15]
.LBB2_23424:
	v_mov_b32_e32 v3, 0
	v_cmp_ne_u16_sdwa s[8:9], v5, v3 src0_sel:BYTE_3 src1_sel:DWORD
	s_andn2_b64 s[4:5], s[4:5], exec
	s_and_b64 s[8:9], s[8:9], exec
	s_or_b64 s[4:5], s[4:5], s[8:9]
	s_or_b64 exec, exec, s[6:7]
	s_and_saveexec_b64 s[6:7], s[4:5]
	s_cbranch_execz .LBB2_33215
; %bb.59263:
	s_getpc_b64 s[14:15]
.Lpost_getpc33215:
	s_add_u32 s14, s14, (.LBB2_9087-.Lpost_getpc33215)&4294967295
	s_addc_u32 s15, s15, (.LBB2_9087-.Lpost_getpc33215)>>32
	s_setpc_b64 s[14:15]
.LBB2_33215:
	s_getpc_b64 s[14:15]
.Lpost_getpc20191:
	s_add_u32 s14, s14, (.LBB2_9088-.Lpost_getpc20191)&4294967295
	s_addc_u32 s15, s15, (.LBB2_9088-.Lpost_getpc20191)>>32
	s_setpc_b64 s[14:15]
.LBB2_23425:
	s_movk_i32 s4, 0x80
	v_cmp_eq_u16_sdwa s[12:13], v6, s4 src0_sel:BYTE_0 src1_sel:DWORD
	s_mov_b64 s[4:5], -1
                                        ; implicit-def: $sgpr10
	s_and_saveexec_b64 s[8:9], s[12:13]
; %bb.23426:
	s_mov_b32 s10, 0x7f800001
	s_xor_b64 s[4:5], exec, -1
; %bb.23427:
	s_or_b64 exec, exec, s[8:9]
	s_and_b64 s[4:5], s[4:5], exec
	s_or_saveexec_b64 s[6:7], s[6:7]
	v_mov_b32_e32 v12, s10
	s_xor_b64 exec, exec, s[6:7]
	s_cbranch_execnz .LBB2_23428
; %bb.59265:
	s_getpc_b64 s[14:15]
.Lpost_getpc33216:
	s_add_u32 s14, s14, (.LBB2_9090-.Lpost_getpc33216)&4294967295
	s_addc_u32 s15, s15, (.LBB2_9090-.Lpost_getpc33216)>>32
	s_setpc_b64 s[14:15]
.LBB2_23428:
	v_mov_b32_e32 v12, 0
	v_cmp_ne_u16_sdwa s[8:9], v6, v12 src0_sel:BYTE_0 src1_sel:DWORD
	s_andn2_b64 s[4:5], s[4:5], exec
	s_and_b64 s[8:9], s[8:9], exec
	s_or_b64 s[4:5], s[4:5], s[8:9]
	s_or_b64 exec, exec, s[6:7]
	s_and_saveexec_b64 s[6:7], s[4:5]
	s_cbranch_execz .LBB2_33217
; %bb.59267:
	s_getpc_b64 s[14:15]
.Lpost_getpc33217:
	s_add_u32 s14, s14, (.LBB2_9091-.Lpost_getpc33217)&4294967295
	s_addc_u32 s15, s15, (.LBB2_9091-.Lpost_getpc33217)>>32
	s_setpc_b64 s[14:15]
.LBB2_33217:
	s_getpc_b64 s[14:15]
.Lpost_getpc20192:
	s_add_u32 s14, s14, (.LBB2_9092-.Lpost_getpc20192)&4294967295
	s_addc_u32 s15, s15, (.LBB2_9092-.Lpost_getpc20192)>>32
	s_setpc_b64 s[14:15]
.LBB2_23429:
	s_movk_i32 s4, 0x80
	v_cmp_eq_u16_sdwa s[12:13], v2, s4 src0_sel:BYTE_0 src1_sel:DWORD
	s_mov_b64 s[4:5], -1
                                        ; implicit-def: $sgpr10
	s_and_saveexec_b64 s[8:9], s[12:13]
; %bb.23430:
	s_mov_b32 s10, 0x7f800001
	s_xor_b64 s[4:5], exec, -1
; %bb.23431:
	s_or_b64 exec, exec, s[8:9]
	s_and_b64 s[4:5], s[4:5], exec
	s_or_saveexec_b64 s[6:7], s[6:7]
	v_mov_b32_e32 v13, s10
	s_xor_b64 exec, exec, s[6:7]
	s_cbranch_execnz .LBB2_23432
; %bb.59269:
	s_getpc_b64 s[14:15]
.Lpost_getpc33218:
	s_add_u32 s14, s14, (.LBB2_9094-.Lpost_getpc33218)&4294967295
	s_addc_u32 s15, s15, (.LBB2_9094-.Lpost_getpc33218)>>32
	s_setpc_b64 s[14:15]
.LBB2_23432:
	v_mov_b32_e32 v13, 0
	v_cmp_ne_u16_sdwa s[8:9], v2, v13 src0_sel:BYTE_0 src1_sel:DWORD
	s_andn2_b64 s[4:5], s[4:5], exec
	s_and_b64 s[8:9], s[8:9], exec
	s_or_b64 s[4:5], s[4:5], s[8:9]
	s_or_b64 exec, exec, s[6:7]
	s_and_saveexec_b64 s[6:7], s[4:5]
	s_cbranch_execz .LBB2_33219
; %bb.59271:
	s_getpc_b64 s[14:15]
.Lpost_getpc33219:
	s_add_u32 s14, s14, (.LBB2_9095-.Lpost_getpc33219)&4294967295
	s_addc_u32 s15, s15, (.LBB2_9095-.Lpost_getpc33219)>>32
	s_setpc_b64 s[14:15]
.LBB2_33219:
	s_getpc_b64 s[14:15]
.Lpost_getpc20193:
	s_add_u32 s14, s14, (.LBB2_9096-.Lpost_getpc20193)&4294967295
	s_addc_u32 s15, s15, (.LBB2_9096-.Lpost_getpc20193)>>32
	s_setpc_b64 s[14:15]
.LBB2_23433:
	s_movk_i32 s4, 0x80
	v_cmp_eq_u16_sdwa s[12:13], v13, s4 src0_sel:BYTE_0 src1_sel:DWORD
	s_mov_b64 s[4:5], -1
                                        ; implicit-def: $sgpr10
	s_and_saveexec_b64 s[8:9], s[12:13]
; %bb.23434:
	s_mov_b32 s10, 0x7f800001
	s_xor_b64 s[4:5], exec, -1
; %bb.23435:
	s_or_b64 exec, exec, s[8:9]
	s_and_b64 s[4:5], s[4:5], exec
	s_or_saveexec_b64 s[6:7], s[6:7]
	v_mov_b32_e32 v12, s10
	s_xor_b64 exec, exec, s[6:7]
	s_cbranch_execnz .LBB2_23436
; %bb.59273:
	s_getpc_b64 s[14:15]
.Lpost_getpc33220:
	s_add_u32 s14, s14, (.LBB2_9098-.Lpost_getpc33220)&4294967295
	s_addc_u32 s15, s15, (.LBB2_9098-.Lpost_getpc33220)>>32
	s_setpc_b64 s[14:15]
.LBB2_23436:
	v_mov_b32_e32 v12, 0
	v_cmp_ne_u16_sdwa s[8:9], v13, v12 src0_sel:BYTE_0 src1_sel:DWORD
	s_andn2_b64 s[4:5], s[4:5], exec
	s_and_b64 s[8:9], s[8:9], exec
	s_or_b64 s[4:5], s[4:5], s[8:9]
	s_or_b64 exec, exec, s[6:7]
	s_and_saveexec_b64 s[6:7], s[4:5]
	s_cbranch_execz .LBB2_33221
; %bb.59275:
	s_getpc_b64 s[14:15]
.Lpost_getpc33221:
	s_add_u32 s14, s14, (.LBB2_9099-.Lpost_getpc33221)&4294967295
	s_addc_u32 s15, s15, (.LBB2_9099-.Lpost_getpc33221)>>32
	s_setpc_b64 s[14:15]
.LBB2_33221:
	s_getpc_b64 s[14:15]
.Lpost_getpc20194:
	s_add_u32 s14, s14, (.LBB2_9100-.Lpost_getpc20194)&4294967295
	s_addc_u32 s15, s15, (.LBB2_9100-.Lpost_getpc20194)>>32
	s_setpc_b64 s[14:15]
.LBB2_23437:
	s_movk_i32 s4, 0x80
	v_cmp_eq_u16_sdwa s[12:13], v13, s4 src0_sel:BYTE_0 src1_sel:DWORD
	s_mov_b64 s[4:5], -1
                                        ; implicit-def: $sgpr10
	s_and_saveexec_b64 s[8:9], s[12:13]
; %bb.23438:
	s_mov_b32 s10, 0x7f800001
	s_xor_b64 s[4:5], exec, -1
; %bb.23439:
	s_or_b64 exec, exec, s[8:9]
	s_and_b64 s[4:5], s[4:5], exec
	s_or_saveexec_b64 s[6:7], s[6:7]
	v_mov_b32_e32 v14, s10
	s_xor_b64 exec, exec, s[6:7]
	s_cbranch_execnz .LBB2_23440
; %bb.59277:
	s_getpc_b64 s[14:15]
.Lpost_getpc33222:
	s_add_u32 s14, s14, (.LBB2_9102-.Lpost_getpc33222)&4294967295
	s_addc_u32 s15, s15, (.LBB2_9102-.Lpost_getpc33222)>>32
	s_setpc_b64 s[14:15]
.LBB2_23440:
	v_mov_b32_e32 v14, 0
	v_cmp_ne_u16_sdwa s[8:9], v13, v14 src0_sel:BYTE_0 src1_sel:DWORD
	s_andn2_b64 s[4:5], s[4:5], exec
	s_and_b64 s[8:9], s[8:9], exec
	s_or_b64 s[4:5], s[4:5], s[8:9]
	s_or_b64 exec, exec, s[6:7]
	s_and_saveexec_b64 s[6:7], s[4:5]
	s_cbranch_execz .LBB2_33223
; %bb.59279:
	s_getpc_b64 s[14:15]
.Lpost_getpc33223:
	s_add_u32 s14, s14, (.LBB2_9103-.Lpost_getpc33223)&4294967295
	s_addc_u32 s15, s15, (.LBB2_9103-.Lpost_getpc33223)>>32
	s_setpc_b64 s[14:15]
.LBB2_33223:
	s_getpc_b64 s[14:15]
.Lpost_getpc20195:
	s_add_u32 s14, s14, (.LBB2_9104-.Lpost_getpc20195)&4294967295
	s_addc_u32 s15, s15, (.LBB2_9104-.Lpost_getpc20195)>>32
	s_setpc_b64 s[14:15]
.LBB2_23441:
	s_movk_i32 s4, 0x80
	v_cmp_eq_u16_e32 vcc, s4, v13
	s_mov_b64 s[4:5], -1
                                        ; implicit-def: $sgpr10
	s_and_saveexec_b64 s[8:9], vcc
; %bb.23442:
	s_mov_b32 s10, 0x7f800001
	s_xor_b64 s[4:5], exec, -1
; %bb.23443:
	s_or_b64 exec, exec, s[8:9]
	s_and_b64 s[4:5], s[4:5], exec
                                        ; implicit-def: $vgpr13
	s_or_saveexec_b64 s[6:7], s[6:7]
	v_mov_b32_e32 v12, s10
	s_xor_b64 exec, exec, s[6:7]
	s_cbranch_execnz .LBB2_23444
; %bb.59281:
	s_getpc_b64 s[14:15]
.Lpost_getpc33224:
	s_add_u32 s14, s14, (.LBB2_9106-.Lpost_getpc33224)&4294967295
	s_addc_u32 s15, s15, (.LBB2_9106-.Lpost_getpc33224)>>32
	s_setpc_b64 s[14:15]
.LBB2_23444:
	v_cmp_ne_u16_e32 vcc, 0, v13
	s_andn2_b64 s[4:5], s[4:5], exec
	s_and_b64 s[8:9], vcc, exec
	v_mov_b32_e32 v12, 0
	s_or_b64 s[4:5], s[4:5], s[8:9]
	s_or_b64 exec, exec, s[6:7]
	s_and_saveexec_b64 s[6:7], s[4:5]
	s_cbranch_execz .LBB2_33225
; %bb.59283:
	s_getpc_b64 s[14:15]
.Lpost_getpc33225:
	s_add_u32 s14, s14, (.LBB2_9107-.Lpost_getpc33225)&4294967295
	s_addc_u32 s15, s15, (.LBB2_9107-.Lpost_getpc33225)>>32
	s_setpc_b64 s[14:15]
.LBB2_33225:
	s_getpc_b64 s[14:15]
.Lpost_getpc20196:
	s_add_u32 s14, s14, (.LBB2_9108-.Lpost_getpc20196)&4294967295
	s_addc_u32 s15, s15, (.LBB2_9108-.Lpost_getpc20196)>>32
	s_setpc_b64 s[14:15]
.LBB2_23445:
	s_movk_i32 s4, 0x80
	v_cmp_eq_u16_e32 vcc, s4, v13
	s_mov_b64 s[4:5], -1
                                        ; implicit-def: $sgpr10
	s_and_saveexec_b64 s[8:9], vcc
; %bb.23446:
	s_mov_b32 s10, 0x7f800001
	s_xor_b64 s[4:5], exec, -1
; %bb.23447:
	s_or_b64 exec, exec, s[8:9]
	s_and_b64 s[4:5], s[4:5], exec
                                        ; implicit-def: $vgpr13
	s_or_saveexec_b64 s[6:7], s[6:7]
	v_mov_b32_e32 v14, s10
	s_xor_b64 exec, exec, s[6:7]
	s_cbranch_execnz .LBB2_23448
; %bb.59285:
	s_getpc_b64 s[14:15]
.Lpost_getpc33226:
	s_add_u32 s14, s14, (.LBB2_9110-.Lpost_getpc33226)&4294967295
	s_addc_u32 s15, s15, (.LBB2_9110-.Lpost_getpc33226)>>32
	s_setpc_b64 s[14:15]
.LBB2_23448:
	v_cmp_ne_u16_e32 vcc, 0, v13
	s_andn2_b64 s[4:5], s[4:5], exec
	s_and_b64 s[8:9], vcc, exec
	v_mov_b32_e32 v14, 0
	s_or_b64 s[4:5], s[4:5], s[8:9]
	s_or_b64 exec, exec, s[6:7]
	s_and_saveexec_b64 s[6:7], s[4:5]
	s_cbranch_execz .LBB2_33227
; %bb.59287:
	s_getpc_b64 s[14:15]
.Lpost_getpc33227:
	s_add_u32 s14, s14, (.LBB2_9111-.Lpost_getpc33227)&4294967295
	s_addc_u32 s15, s15, (.LBB2_9111-.Lpost_getpc33227)>>32
	s_setpc_b64 s[14:15]
.LBB2_33227:
	s_getpc_b64 s[14:15]
.Lpost_getpc20197:
	s_add_u32 s14, s14, (.LBB2_9112-.Lpost_getpc20197)&4294967295
	s_addc_u32 s15, s15, (.LBB2_9112-.Lpost_getpc20197)>>32
	s_setpc_b64 s[14:15]
.LBB2_23449:
	s_movk_i32 s4, 0x80
	v_cmp_eq_u16_sdwa s[12:13], v6, s4 src0_sel:BYTE_3 src1_sel:DWORD
	s_mov_b64 s[4:5], -1
                                        ; implicit-def: $sgpr10
	s_and_saveexec_b64 s[8:9], s[12:13]
; %bb.23450:
	s_mov_b32 s10, 0x7f800001
	s_xor_b64 s[4:5], exec, -1
; %bb.23451:
	s_or_b64 exec, exec, s[8:9]
	s_and_b64 s[4:5], s[4:5], exec
	s_or_saveexec_b64 s[6:7], s[6:7]
	v_mov_b32_e32 v12, s10
	s_xor_b64 exec, exec, s[6:7]
	s_cbranch_execnz .LBB2_23452
; %bb.59289:
	s_getpc_b64 s[14:15]
.Lpost_getpc33228:
	s_add_u32 s14, s14, (.LBB2_9114-.Lpost_getpc33228)&4294967295
	s_addc_u32 s15, s15, (.LBB2_9114-.Lpost_getpc33228)>>32
	s_setpc_b64 s[14:15]
.LBB2_23452:
	v_mov_b32_e32 v12, 0
	v_cmp_ne_u16_sdwa s[8:9], v6, v12 src0_sel:BYTE_3 src1_sel:DWORD
	s_andn2_b64 s[4:5], s[4:5], exec
	s_and_b64 s[8:9], s[8:9], exec
	s_or_b64 s[4:5], s[4:5], s[8:9]
	s_or_b64 exec, exec, s[6:7]
	s_and_saveexec_b64 s[6:7], s[4:5]
	s_cbranch_execz .LBB2_33229
; %bb.59291:
	s_getpc_b64 s[14:15]
.Lpost_getpc33229:
	s_add_u32 s14, s14, (.LBB2_9115-.Lpost_getpc33229)&4294967295
	s_addc_u32 s15, s15, (.LBB2_9115-.Lpost_getpc33229)>>32
	s_setpc_b64 s[14:15]
.LBB2_33229:
	s_getpc_b64 s[14:15]
.Lpost_getpc20198:
	s_add_u32 s14, s14, (.LBB2_9116-.Lpost_getpc20198)&4294967295
	s_addc_u32 s15, s15, (.LBB2_9116-.Lpost_getpc20198)>>32
	s_setpc_b64 s[14:15]
.LBB2_23453:
	s_movk_i32 s4, 0x80
	v_cmp_eq_u16_sdwa s[12:13], v2, s4 src0_sel:BYTE_3 src1_sel:DWORD
	s_mov_b64 s[4:5], -1
                                        ; implicit-def: $sgpr10
	s_and_saveexec_b64 s[8:9], s[12:13]
; %bb.23454:
	s_mov_b32 s10, 0x7f800001
	s_xor_b64 s[4:5], exec, -1
; %bb.23455:
	s_or_b64 exec, exec, s[8:9]
	s_and_b64 s[4:5], s[4:5], exec
	s_or_saveexec_b64 s[6:7], s[6:7]
	v_mov_b32_e32 v6, s10
	s_xor_b64 exec, exec, s[6:7]
	s_cbranch_execnz .LBB2_23456
; %bb.59293:
	s_getpc_b64 s[14:15]
.Lpost_getpc33230:
	s_add_u32 s14, s14, (.LBB2_9118-.Lpost_getpc33230)&4294967295
	s_addc_u32 s15, s15, (.LBB2_9118-.Lpost_getpc33230)>>32
	s_setpc_b64 s[14:15]
.LBB2_23456:
	v_mov_b32_e32 v6, 0
	v_cmp_ne_u16_sdwa s[8:9], v2, v6 src0_sel:BYTE_3 src1_sel:DWORD
	s_andn2_b64 s[4:5], s[4:5], exec
	s_and_b64 s[8:9], s[8:9], exec
	s_or_b64 s[4:5], s[4:5], s[8:9]
	s_or_b64 exec, exec, s[6:7]
	s_and_saveexec_b64 s[6:7], s[4:5]
	s_cbranch_execz .LBB2_33231
; %bb.59295:
	s_getpc_b64 s[14:15]
.Lpost_getpc33231:
	s_add_u32 s14, s14, (.LBB2_9119-.Lpost_getpc33231)&4294967295
	s_addc_u32 s15, s15, (.LBB2_9119-.Lpost_getpc33231)>>32
	s_setpc_b64 s[14:15]
.LBB2_33231:
	s_getpc_b64 s[14:15]
.Lpost_getpc20199:
	s_add_u32 s14, s14, (.LBB2_9120-.Lpost_getpc20199)&4294967295
	s_addc_u32 s15, s15, (.LBB2_9120-.Lpost_getpc20199)>>32
	s_setpc_b64 s[14:15]
.LBB2_23457:
	s_movk_i32 s4, 0x80
	v_cmp_eq_u16_sdwa s[12:13], v7, s4 src0_sel:BYTE_0 src1_sel:DWORD
	s_mov_b64 s[4:5], -1
                                        ; implicit-def: $sgpr10
	s_and_saveexec_b64 s[8:9], s[12:13]
; %bb.23458:
	s_mov_b32 s10, 0x7f800001
	s_xor_b64 s[4:5], exec, -1
; %bb.23459:
	s_or_b64 exec, exec, s[8:9]
	s_and_b64 s[4:5], s[4:5], exec
	s_or_saveexec_b64 s[6:7], s[6:7]
	v_mov_b32_e32 v2, s10
	s_xor_b64 exec, exec, s[6:7]
	s_cbranch_execnz .LBB2_23460
; %bb.59297:
	s_getpc_b64 s[14:15]
.Lpost_getpc33232:
	s_add_u32 s14, s14, (.LBB2_9122-.Lpost_getpc33232)&4294967295
	s_addc_u32 s15, s15, (.LBB2_9122-.Lpost_getpc33232)>>32
	s_setpc_b64 s[14:15]
.LBB2_23460:
	v_mov_b32_e32 v2, 0
	v_cmp_ne_u16_sdwa s[8:9], v7, v2 src0_sel:BYTE_0 src1_sel:DWORD
	s_andn2_b64 s[4:5], s[4:5], exec
	s_and_b64 s[8:9], s[8:9], exec
	s_or_b64 s[4:5], s[4:5], s[8:9]
	s_or_b64 exec, exec, s[6:7]
	s_and_saveexec_b64 s[6:7], s[4:5]
	s_cbranch_execz .LBB2_33233
; %bb.59299:
	s_getpc_b64 s[14:15]
.Lpost_getpc33233:
	s_add_u32 s14, s14, (.LBB2_9123-.Lpost_getpc33233)&4294967295
	s_addc_u32 s15, s15, (.LBB2_9123-.Lpost_getpc33233)>>32
	s_setpc_b64 s[14:15]
.LBB2_33233:
	s_getpc_b64 s[14:15]
.Lpost_getpc20200:
	s_add_u32 s14, s14, (.LBB2_9124-.Lpost_getpc20200)&4294967295
	s_addc_u32 s15, s15, (.LBB2_9124-.Lpost_getpc20200)>>32
	s_setpc_b64 s[14:15]
.LBB2_23461:
	s_movk_i32 s4, 0x80
	v_cmp_eq_u16_sdwa s[12:13], v3, s4 src0_sel:BYTE_0 src1_sel:DWORD
	s_mov_b64 s[4:5], -1
                                        ; implicit-def: $sgpr10
	s_and_saveexec_b64 s[8:9], s[12:13]
; %bb.23462:
	s_mov_b32 s10, 0x7f800001
	s_xor_b64 s[4:5], exec, -1
; %bb.23463:
	s_or_b64 exec, exec, s[8:9]
	s_and_b64 s[4:5], s[4:5], exec
	s_or_saveexec_b64 s[6:7], s[6:7]
	v_mov_b32_e32 v6, s10
	s_xor_b64 exec, exec, s[6:7]
	s_cbranch_execnz .LBB2_23464
; %bb.59301:
	s_getpc_b64 s[14:15]
.Lpost_getpc33234:
	s_add_u32 s14, s14, (.LBB2_9126-.Lpost_getpc33234)&4294967295
	s_addc_u32 s15, s15, (.LBB2_9126-.Lpost_getpc33234)>>32
	s_setpc_b64 s[14:15]
.LBB2_23464:
	v_mov_b32_e32 v6, 0
	v_cmp_ne_u16_sdwa s[8:9], v3, v6 src0_sel:BYTE_0 src1_sel:DWORD
	s_andn2_b64 s[4:5], s[4:5], exec
	s_and_b64 s[8:9], s[8:9], exec
	s_or_b64 s[4:5], s[4:5], s[8:9]
	s_or_b64 exec, exec, s[6:7]
	s_and_saveexec_b64 s[6:7], s[4:5]
	s_cbranch_execz .LBB2_33235
; %bb.59303:
	s_getpc_b64 s[14:15]
.Lpost_getpc33235:
	s_add_u32 s14, s14, (.LBB2_9127-.Lpost_getpc33235)&4294967295
	s_addc_u32 s15, s15, (.LBB2_9127-.Lpost_getpc33235)>>32
	s_setpc_b64 s[14:15]
.LBB2_33235:
	s_getpc_b64 s[14:15]
.Lpost_getpc20201:
	s_add_u32 s14, s14, (.LBB2_9128-.Lpost_getpc20201)&4294967295
	s_addc_u32 s15, s15, (.LBB2_9128-.Lpost_getpc20201)>>32
	s_setpc_b64 s[14:15]
.LBB2_23465:
	s_movk_i32 s4, 0x80
	v_cmp_eq_u16_sdwa s[12:13], v6, s4 src0_sel:BYTE_0 src1_sel:DWORD
	s_mov_b64 s[4:5], -1
                                        ; implicit-def: $sgpr10
	s_and_saveexec_b64 s[8:9], s[12:13]
; %bb.23466:
	s_mov_b32 s10, 0x7f800001
	s_xor_b64 s[4:5], exec, -1
; %bb.23467:
	s_or_b64 exec, exec, s[8:9]
	s_and_b64 s[4:5], s[4:5], exec
	s_or_saveexec_b64 s[6:7], s[6:7]
	v_mov_b32_e32 v2, s10
	s_xor_b64 exec, exec, s[6:7]
	s_cbranch_execnz .LBB2_23468
; %bb.59305:
	s_getpc_b64 s[14:15]
.Lpost_getpc33236:
	s_add_u32 s14, s14, (.LBB2_9130-.Lpost_getpc33236)&4294967295
	s_addc_u32 s15, s15, (.LBB2_9130-.Lpost_getpc33236)>>32
	s_setpc_b64 s[14:15]
.LBB2_23468:
	v_mov_b32_e32 v2, 0
	v_cmp_ne_u16_sdwa s[8:9], v6, v2 src0_sel:BYTE_0 src1_sel:DWORD
	s_andn2_b64 s[4:5], s[4:5], exec
	s_and_b64 s[8:9], s[8:9], exec
	s_or_b64 s[4:5], s[4:5], s[8:9]
	s_or_b64 exec, exec, s[6:7]
	s_and_saveexec_b64 s[6:7], s[4:5]
	s_cbranch_execz .LBB2_33237
; %bb.59307:
	s_getpc_b64 s[14:15]
.Lpost_getpc33237:
	s_add_u32 s14, s14, (.LBB2_9131-.Lpost_getpc33237)&4294967295
	s_addc_u32 s15, s15, (.LBB2_9131-.Lpost_getpc33237)>>32
	s_setpc_b64 s[14:15]
.LBB2_33237:
	s_getpc_b64 s[14:15]
.Lpost_getpc20202:
	s_add_u32 s14, s14, (.LBB2_9132-.Lpost_getpc20202)&4294967295
	s_addc_u32 s15, s15, (.LBB2_9132-.Lpost_getpc20202)>>32
	s_setpc_b64 s[14:15]
.LBB2_23469:
	s_movk_i32 s4, 0x80
	v_cmp_eq_u16_sdwa s[12:13], v6, s4 src0_sel:BYTE_0 src1_sel:DWORD
	s_mov_b64 s[4:5], -1
                                        ; implicit-def: $sgpr10
	s_and_saveexec_b64 s[8:9], s[12:13]
; %bb.23470:
	s_mov_b32 s10, 0x7f800001
	s_xor_b64 s[4:5], exec, -1
; %bb.23471:
	s_or_b64 exec, exec, s[8:9]
	s_and_b64 s[4:5], s[4:5], exec
	s_or_saveexec_b64 s[6:7], s[6:7]
	v_mov_b32_e32 v12, s10
	s_xor_b64 exec, exec, s[6:7]
	s_cbranch_execnz .LBB2_23472
; %bb.59309:
	s_getpc_b64 s[14:15]
.Lpost_getpc33238:
	s_add_u32 s14, s14, (.LBB2_9134-.Lpost_getpc33238)&4294967295
	s_addc_u32 s15, s15, (.LBB2_9134-.Lpost_getpc33238)>>32
	s_setpc_b64 s[14:15]
.LBB2_23472:
	v_mov_b32_e32 v12, 0
	v_cmp_ne_u16_sdwa s[8:9], v6, v12 src0_sel:BYTE_0 src1_sel:DWORD
	s_andn2_b64 s[4:5], s[4:5], exec
	s_and_b64 s[8:9], s[8:9], exec
	s_or_b64 s[4:5], s[4:5], s[8:9]
	s_or_b64 exec, exec, s[6:7]
	s_and_saveexec_b64 s[6:7], s[4:5]
	s_cbranch_execz .LBB2_33239
; %bb.59311:
	s_getpc_b64 s[14:15]
.Lpost_getpc33239:
	s_add_u32 s14, s14, (.LBB2_9135-.Lpost_getpc33239)&4294967295
	s_addc_u32 s15, s15, (.LBB2_9135-.Lpost_getpc33239)>>32
	s_setpc_b64 s[14:15]
.LBB2_33239:
	s_getpc_b64 s[14:15]
.Lpost_getpc20203:
	s_add_u32 s14, s14, (.LBB2_9136-.Lpost_getpc20203)&4294967295
	s_addc_u32 s15, s15, (.LBB2_9136-.Lpost_getpc20203)>>32
	s_setpc_b64 s[14:15]
.LBB2_23473:
	s_movk_i32 s4, 0x80
	v_cmp_eq_u16_e32 vcc, s4, v6
	s_mov_b64 s[4:5], -1
                                        ; implicit-def: $sgpr10
	s_and_saveexec_b64 s[8:9], vcc
; %bb.23474:
	s_mov_b32 s10, 0x7f800001
	s_xor_b64 s[4:5], exec, -1
; %bb.23475:
	s_or_b64 exec, exec, s[8:9]
	s_and_b64 s[4:5], s[4:5], exec
                                        ; implicit-def: $vgpr6
	s_or_saveexec_b64 s[6:7], s[6:7]
	v_mov_b32_e32 v2, s10
	s_xor_b64 exec, exec, s[6:7]
	s_cbranch_execnz .LBB2_23476
; %bb.59313:
	s_getpc_b64 s[14:15]
.Lpost_getpc33240:
	s_add_u32 s14, s14, (.LBB2_9138-.Lpost_getpc33240)&4294967295
	s_addc_u32 s15, s15, (.LBB2_9138-.Lpost_getpc33240)>>32
	s_setpc_b64 s[14:15]
.LBB2_23476:
	v_cmp_ne_u16_e32 vcc, 0, v6
	s_andn2_b64 s[4:5], s[4:5], exec
	s_and_b64 s[8:9], vcc, exec
	v_mov_b32_e32 v2, 0
	s_or_b64 s[4:5], s[4:5], s[8:9]
	s_or_b64 exec, exec, s[6:7]
	s_and_saveexec_b64 s[6:7], s[4:5]
	s_cbranch_execz .LBB2_33241
; %bb.59315:
	s_getpc_b64 s[14:15]
.Lpost_getpc33241:
	s_add_u32 s14, s14, (.LBB2_9139-.Lpost_getpc33241)&4294967295
	s_addc_u32 s15, s15, (.LBB2_9139-.Lpost_getpc33241)>>32
	s_setpc_b64 s[14:15]
.LBB2_33241:
	s_getpc_b64 s[14:15]
.Lpost_getpc20204:
	s_add_u32 s14, s14, (.LBB2_9140-.Lpost_getpc20204)&4294967295
	s_addc_u32 s15, s15, (.LBB2_9140-.Lpost_getpc20204)>>32
	s_setpc_b64 s[14:15]
.LBB2_23477:
	s_movk_i32 s4, 0x80
	v_cmp_eq_u16_e32 vcc, s4, v6
	s_mov_b64 s[4:5], -1
                                        ; implicit-def: $sgpr10
	s_and_saveexec_b64 s[8:9], vcc
; %bb.23478:
	s_mov_b32 s10, 0x7f800001
	s_xor_b64 s[4:5], exec, -1
; %bb.23479:
	s_or_b64 exec, exec, s[8:9]
	s_and_b64 s[4:5], s[4:5], exec
                                        ; implicit-def: $vgpr6
	s_or_saveexec_b64 s[6:7], s[6:7]
	v_mov_b32_e32 v12, s10
	s_xor_b64 exec, exec, s[6:7]
	s_cbranch_execnz .LBB2_23480
; %bb.59317:
	s_getpc_b64 s[14:15]
.Lpost_getpc33242:
	s_add_u32 s14, s14, (.LBB2_9142-.Lpost_getpc33242)&4294967295
	s_addc_u32 s15, s15, (.LBB2_9142-.Lpost_getpc33242)>>32
	s_setpc_b64 s[14:15]
.LBB2_23480:
	v_cmp_ne_u16_e32 vcc, 0, v6
	s_andn2_b64 s[4:5], s[4:5], exec
	s_and_b64 s[8:9], vcc, exec
	v_mov_b32_e32 v12, 0
	s_or_b64 s[4:5], s[4:5], s[8:9]
	s_or_b64 exec, exec, s[6:7]
	s_and_saveexec_b64 s[6:7], s[4:5]
	s_cbranch_execz .LBB2_33243
; %bb.59319:
	s_getpc_b64 s[14:15]
.Lpost_getpc33243:
	s_add_u32 s14, s14, (.LBB2_9143-.Lpost_getpc33243)&4294967295
	s_addc_u32 s15, s15, (.LBB2_9143-.Lpost_getpc33243)>>32
	s_setpc_b64 s[14:15]
.LBB2_33243:
	s_getpc_b64 s[14:15]
.Lpost_getpc20205:
	s_add_u32 s14, s14, (.LBB2_9144-.Lpost_getpc20205)&4294967295
	s_addc_u32 s15, s15, (.LBB2_9144-.Lpost_getpc20205)>>32
	s_setpc_b64 s[14:15]
.LBB2_23481:
	s_movk_i32 s4, 0x80
	v_cmp_eq_u16_sdwa s[12:13], v7, s4 src0_sel:BYTE_3 src1_sel:DWORD
	s_mov_b64 s[4:5], -1
                                        ; implicit-def: $sgpr10
	s_and_saveexec_b64 s[8:9], s[12:13]
; %bb.23482:
	s_mov_b32 s10, 0x7f800001
	s_xor_b64 s[4:5], exec, -1
; %bb.23483:
	s_or_b64 exec, exec, s[8:9]
	s_and_b64 s[4:5], s[4:5], exec
	s_or_saveexec_b64 s[6:7], s[6:7]
	v_mov_b32_e32 v2, s10
	s_xor_b64 exec, exec, s[6:7]
	s_cbranch_execnz .LBB2_23484
; %bb.59321:
	s_getpc_b64 s[14:15]
.Lpost_getpc33244:
	s_add_u32 s14, s14, (.LBB2_9146-.Lpost_getpc33244)&4294967295
	s_addc_u32 s15, s15, (.LBB2_9146-.Lpost_getpc33244)>>32
	s_setpc_b64 s[14:15]
.LBB2_23484:
	v_mov_b32_e32 v2, 0
	v_cmp_ne_u16_sdwa s[8:9], v7, v2 src0_sel:BYTE_3 src1_sel:DWORD
	s_andn2_b64 s[4:5], s[4:5], exec
	s_and_b64 s[8:9], s[8:9], exec
	s_or_b64 s[4:5], s[4:5], s[8:9]
	s_or_b64 exec, exec, s[6:7]
	s_and_saveexec_b64 s[6:7], s[4:5]
	s_cbranch_execz .LBB2_33245
; %bb.59323:
	s_getpc_b64 s[14:15]
.Lpost_getpc33245:
	s_add_u32 s14, s14, (.LBB2_9147-.Lpost_getpc33245)&4294967295
	s_addc_u32 s15, s15, (.LBB2_9147-.Lpost_getpc33245)>>32
	s_setpc_b64 s[14:15]
.LBB2_33245:
	s_getpc_b64 s[14:15]
.Lpost_getpc20206:
	s_add_u32 s14, s14, (.LBB2_9148-.Lpost_getpc20206)&4294967295
	s_addc_u32 s15, s15, (.LBB2_9148-.Lpost_getpc20206)>>32
	s_setpc_b64 s[14:15]
.LBB2_23485:
	s_movk_i32 s4, 0x80
	v_cmp_eq_u16_sdwa s[12:13], v3, s4 src0_sel:BYTE_3 src1_sel:DWORD
	s_mov_b64 s[4:5], -1
                                        ; implicit-def: $sgpr10
	s_and_saveexec_b64 s[8:9], s[12:13]
; %bb.23486:
	s_mov_b32 s10, 0x7f800001
	s_xor_b64 s[4:5], exec, -1
; %bb.23487:
	s_or_b64 exec, exec, s[8:9]
	s_and_b64 s[4:5], s[4:5], exec
	s_or_saveexec_b64 s[6:7], s[6:7]
	v_mov_b32_e32 v6, s10
	s_xor_b64 exec, exec, s[6:7]
	s_cbranch_execnz .LBB2_23488
; %bb.59325:
	s_getpc_b64 s[14:15]
.Lpost_getpc33246:
	s_add_u32 s14, s14, (.LBB2_9150-.Lpost_getpc33246)&4294967295
	s_addc_u32 s15, s15, (.LBB2_9150-.Lpost_getpc33246)>>32
	s_setpc_b64 s[14:15]
.LBB2_23488:
	v_mov_b32_e32 v6, 0
	v_cmp_ne_u16_sdwa s[8:9], v3, v6 src0_sel:BYTE_3 src1_sel:DWORD
	s_andn2_b64 s[4:5], s[4:5], exec
	s_and_b64 s[8:9], s[8:9], exec
	s_or_b64 s[4:5], s[4:5], s[8:9]
	s_or_b64 exec, exec, s[6:7]
	s_and_saveexec_b64 s[6:7], s[4:5]
	s_cbranch_execz .LBB2_33247
; %bb.59327:
	s_getpc_b64 s[14:15]
.Lpost_getpc33247:
	s_add_u32 s14, s14, (.LBB2_9151-.Lpost_getpc33247)&4294967295
	s_addc_u32 s15, s15, (.LBB2_9151-.Lpost_getpc33247)>>32
	s_setpc_b64 s[14:15]
.LBB2_33247:
	s_getpc_b64 s[14:15]
.Lpost_getpc20207:
	s_add_u32 s14, s14, (.LBB2_9152-.Lpost_getpc20207)&4294967295
	s_addc_u32 s15, s15, (.LBB2_9152-.Lpost_getpc20207)>>32
	s_setpc_b64 s[14:15]
.LBB2_23489:
	s_movk_i32 s4, 0x80
	v_cmp_eq_u16_sdwa s[12:13], v8, s4 src0_sel:BYTE_0 src1_sel:DWORD
	s_mov_b64 s[4:5], -1
                                        ; implicit-def: $sgpr10
	s_and_saveexec_b64 s[8:9], s[12:13]
; %bb.23490:
	s_mov_b32 s10, 0x7f800001
	s_xor_b64 s[4:5], exec, -1
; %bb.23491:
	s_or_b64 exec, exec, s[8:9]
	s_and_b64 s[4:5], s[4:5], exec
	s_or_saveexec_b64 s[6:7], s[6:7]
	v_mov_b32_e32 v2, s10
	s_xor_b64 exec, exec, s[6:7]
	s_cbranch_execnz .LBB2_23492
; %bb.59329:
	s_getpc_b64 s[14:15]
.Lpost_getpc33248:
	s_add_u32 s14, s14, (.LBB2_9154-.Lpost_getpc33248)&4294967295
	s_addc_u32 s15, s15, (.LBB2_9154-.Lpost_getpc33248)>>32
	s_setpc_b64 s[14:15]
.LBB2_23492:
	v_mov_b32_e32 v2, 0
	v_cmp_ne_u16_sdwa s[8:9], v8, v2 src0_sel:BYTE_0 src1_sel:DWORD
	s_andn2_b64 s[4:5], s[4:5], exec
	s_and_b64 s[8:9], s[8:9], exec
	s_or_b64 s[4:5], s[4:5], s[8:9]
	s_or_b64 exec, exec, s[6:7]
	s_and_saveexec_b64 s[6:7], s[4:5]
	s_cbranch_execz .LBB2_33249
; %bb.59331:
	s_getpc_b64 s[14:15]
.Lpost_getpc33249:
	s_add_u32 s14, s14, (.LBB2_9155-.Lpost_getpc33249)&4294967295
	s_addc_u32 s15, s15, (.LBB2_9155-.Lpost_getpc33249)>>32
	s_setpc_b64 s[14:15]
.LBB2_33249:
	s_getpc_b64 s[14:15]
.Lpost_getpc20208:
	s_add_u32 s14, s14, (.LBB2_9156-.Lpost_getpc20208)&4294967295
	s_addc_u32 s15, s15, (.LBB2_9156-.Lpost_getpc20208)>>32
	s_setpc_b64 s[14:15]
.LBB2_23493:
	s_movk_i32 s4, 0x80
	v_cmp_eq_u16_sdwa s[12:13], v4, s4 src0_sel:BYTE_0 src1_sel:DWORD
	s_mov_b64 s[4:5], -1
                                        ; implicit-def: $sgpr10
	s_and_saveexec_b64 s[8:9], s[12:13]
; %bb.23494:
	s_mov_b32 s10, 0x7f800001
	s_xor_b64 s[4:5], exec, -1
; %bb.23495:
	s_or_b64 exec, exec, s[8:9]
	s_and_b64 s[4:5], s[4:5], exec
	s_or_saveexec_b64 s[6:7], s[6:7]
	v_mov_b32_e32 v3, s10
	s_xor_b64 exec, exec, s[6:7]
	s_cbranch_execnz .LBB2_23496
; %bb.59333:
	s_getpc_b64 s[14:15]
.Lpost_getpc33250:
	s_add_u32 s14, s14, (.LBB2_9158-.Lpost_getpc33250)&4294967295
	s_addc_u32 s15, s15, (.LBB2_9158-.Lpost_getpc33250)>>32
	s_setpc_b64 s[14:15]
.LBB2_23496:
	v_mov_b32_e32 v3, 0
	v_cmp_ne_u16_sdwa s[8:9], v4, v3 src0_sel:BYTE_0 src1_sel:DWORD
	s_andn2_b64 s[4:5], s[4:5], exec
	s_and_b64 s[8:9], s[8:9], exec
	s_or_b64 s[4:5], s[4:5], s[8:9]
	s_or_b64 exec, exec, s[6:7]
	s_and_saveexec_b64 s[6:7], s[4:5]
	s_cbranch_execz .LBB2_33251
; %bb.59335:
	s_getpc_b64 s[14:15]
.Lpost_getpc33251:
	s_add_u32 s14, s14, (.LBB2_9159-.Lpost_getpc33251)&4294967295
	s_addc_u32 s15, s15, (.LBB2_9159-.Lpost_getpc33251)>>32
	s_setpc_b64 s[14:15]
.LBB2_33251:
	s_getpc_b64 s[14:15]
.Lpost_getpc20209:
	s_add_u32 s14, s14, (.LBB2_9160-.Lpost_getpc20209)&4294967295
	s_addc_u32 s15, s15, (.LBB2_9160-.Lpost_getpc20209)>>32
	s_setpc_b64 s[14:15]
.LBB2_23497:
	s_movk_i32 s4, 0x80
	v_cmp_eq_u16_sdwa s[12:13], v3, s4 src0_sel:BYTE_0 src1_sel:DWORD
	s_mov_b64 s[4:5], -1
                                        ; implicit-def: $sgpr10
	s_and_saveexec_b64 s[8:9], s[12:13]
; %bb.23498:
	s_mov_b32 s10, 0x7f800001
	s_xor_b64 s[4:5], exec, -1
; %bb.23499:
	s_or_b64 exec, exec, s[8:9]
	s_and_b64 s[4:5], s[4:5], exec
	s_or_saveexec_b64 s[6:7], s[6:7]
	v_mov_b32_e32 v2, s10
	s_xor_b64 exec, exec, s[6:7]
	s_cbranch_execnz .LBB2_23500
; %bb.59337:
	s_getpc_b64 s[14:15]
.Lpost_getpc33252:
	s_add_u32 s14, s14, (.LBB2_9162-.Lpost_getpc33252)&4294967295
	s_addc_u32 s15, s15, (.LBB2_9162-.Lpost_getpc33252)>>32
	s_setpc_b64 s[14:15]
.LBB2_23500:
	v_mov_b32_e32 v2, 0
	v_cmp_ne_u16_sdwa s[8:9], v3, v2 src0_sel:BYTE_0 src1_sel:DWORD
	s_andn2_b64 s[4:5], s[4:5], exec
	s_and_b64 s[8:9], s[8:9], exec
	s_or_b64 s[4:5], s[4:5], s[8:9]
	s_or_b64 exec, exec, s[6:7]
	s_and_saveexec_b64 s[6:7], s[4:5]
	s_cbranch_execz .LBB2_33253
; %bb.59339:
	s_getpc_b64 s[14:15]
.Lpost_getpc33253:
	s_add_u32 s14, s14, (.LBB2_9163-.Lpost_getpc33253)&4294967295
	s_addc_u32 s15, s15, (.LBB2_9163-.Lpost_getpc33253)>>32
	s_setpc_b64 s[14:15]
.LBB2_33253:
	s_getpc_b64 s[14:15]
.Lpost_getpc20210:
	s_add_u32 s14, s14, (.LBB2_9164-.Lpost_getpc20210)&4294967295
	s_addc_u32 s15, s15, (.LBB2_9164-.Lpost_getpc20210)>>32
	s_setpc_b64 s[14:15]
.LBB2_23501:
	s_movk_i32 s4, 0x80
	v_cmp_eq_u16_sdwa s[12:13], v3, s4 src0_sel:BYTE_0 src1_sel:DWORD
	s_mov_b64 s[4:5], -1
                                        ; implicit-def: $sgpr10
	s_and_saveexec_b64 s[8:9], s[12:13]
; %bb.23502:
	s_mov_b32 s10, 0x7f800001
	s_xor_b64 s[4:5], exec, -1
; %bb.23503:
	s_or_b64 exec, exec, s[8:9]
	s_and_b64 s[4:5], s[4:5], exec
	s_or_saveexec_b64 s[6:7], s[6:7]
	v_mov_b32_e32 v6, s10
	s_xor_b64 exec, exec, s[6:7]
	s_cbranch_execnz .LBB2_23504
; %bb.59341:
	s_getpc_b64 s[14:15]
.Lpost_getpc33254:
	s_add_u32 s14, s14, (.LBB2_9166-.Lpost_getpc33254)&4294967295
	s_addc_u32 s15, s15, (.LBB2_9166-.Lpost_getpc33254)>>32
	s_setpc_b64 s[14:15]
.LBB2_23504:
	v_mov_b32_e32 v6, 0
	v_cmp_ne_u16_sdwa s[8:9], v3, v6 src0_sel:BYTE_0 src1_sel:DWORD
	s_andn2_b64 s[4:5], s[4:5], exec
	s_and_b64 s[8:9], s[8:9], exec
	s_or_b64 s[4:5], s[4:5], s[8:9]
	s_or_b64 exec, exec, s[6:7]
	s_and_saveexec_b64 s[6:7], s[4:5]
	s_cbranch_execz .LBB2_33255
; %bb.59343:
	s_getpc_b64 s[14:15]
.Lpost_getpc33255:
	s_add_u32 s14, s14, (.LBB2_9167-.Lpost_getpc33255)&4294967295
	s_addc_u32 s15, s15, (.LBB2_9167-.Lpost_getpc33255)>>32
	s_setpc_b64 s[14:15]
.LBB2_33255:
	s_getpc_b64 s[14:15]
.Lpost_getpc20211:
	s_add_u32 s14, s14, (.LBB2_9168-.Lpost_getpc20211)&4294967295
	s_addc_u32 s15, s15, (.LBB2_9168-.Lpost_getpc20211)>>32
	s_setpc_b64 s[14:15]
.LBB2_23505:
	s_movk_i32 s4, 0x80
	v_cmp_eq_u16_e32 vcc, s4, v3
	s_mov_b64 s[4:5], -1
                                        ; implicit-def: $sgpr10
	s_and_saveexec_b64 s[8:9], vcc
; %bb.23506:
	s_mov_b32 s10, 0x7f800001
	s_xor_b64 s[4:5], exec, -1
; %bb.23507:
	s_or_b64 exec, exec, s[8:9]
	s_and_b64 s[4:5], s[4:5], exec
                                        ; implicit-def: $vgpr3
	s_or_saveexec_b64 s[6:7], s[6:7]
	v_mov_b32_e32 v2, s10
	s_xor_b64 exec, exec, s[6:7]
	s_cbranch_execnz .LBB2_23508
; %bb.59345:
	s_getpc_b64 s[14:15]
.Lpost_getpc33256:
	s_add_u32 s14, s14, (.LBB2_9170-.Lpost_getpc33256)&4294967295
	s_addc_u32 s15, s15, (.LBB2_9170-.Lpost_getpc33256)>>32
	s_setpc_b64 s[14:15]
.LBB2_23508:
	v_cmp_ne_u16_e32 vcc, 0, v3
	s_andn2_b64 s[4:5], s[4:5], exec
	s_and_b64 s[8:9], vcc, exec
	v_mov_b32_e32 v2, 0
	s_or_b64 s[4:5], s[4:5], s[8:9]
	s_or_b64 exec, exec, s[6:7]
	s_and_saveexec_b64 s[6:7], s[4:5]
	s_cbranch_execz .LBB2_33257
; %bb.59347:
	s_getpc_b64 s[14:15]
.Lpost_getpc33257:
	s_add_u32 s14, s14, (.LBB2_9171-.Lpost_getpc33257)&4294967295
	s_addc_u32 s15, s15, (.LBB2_9171-.Lpost_getpc33257)>>32
	s_setpc_b64 s[14:15]
.LBB2_33257:
	s_getpc_b64 s[14:15]
.Lpost_getpc20212:
	s_add_u32 s14, s14, (.LBB2_9172-.Lpost_getpc20212)&4294967295
	s_addc_u32 s15, s15, (.LBB2_9172-.Lpost_getpc20212)>>32
	s_setpc_b64 s[14:15]
.LBB2_23509:
	s_movk_i32 s4, 0x80
	v_cmp_eq_u16_e32 vcc, s4, v3
	s_mov_b64 s[4:5], -1
                                        ; implicit-def: $sgpr10
	s_and_saveexec_b64 s[8:9], vcc
; %bb.23510:
	s_mov_b32 s10, 0x7f800001
	s_xor_b64 s[4:5], exec, -1
; %bb.23511:
	s_or_b64 exec, exec, s[8:9]
	s_and_b64 s[4:5], s[4:5], exec
                                        ; implicit-def: $vgpr3
	s_or_saveexec_b64 s[6:7], s[6:7]
	v_mov_b32_e32 v6, s10
	s_xor_b64 exec, exec, s[6:7]
	s_cbranch_execnz .LBB2_23512
; %bb.59349:
	s_getpc_b64 s[14:15]
.Lpost_getpc33258:
	s_add_u32 s14, s14, (.LBB2_9174-.Lpost_getpc33258)&4294967295
	s_addc_u32 s15, s15, (.LBB2_9174-.Lpost_getpc33258)>>32
	s_setpc_b64 s[14:15]
.LBB2_23512:
	v_cmp_ne_u16_e32 vcc, 0, v3
	s_andn2_b64 s[4:5], s[4:5], exec
	s_and_b64 s[8:9], vcc, exec
	v_mov_b32_e32 v6, 0
	s_or_b64 s[4:5], s[4:5], s[8:9]
	s_or_b64 exec, exec, s[6:7]
	s_and_saveexec_b64 s[6:7], s[4:5]
	s_cbranch_execz .LBB2_33259
; %bb.59351:
	s_getpc_b64 s[14:15]
.Lpost_getpc33259:
	s_add_u32 s14, s14, (.LBB2_9175-.Lpost_getpc33259)&4294967295
	s_addc_u32 s15, s15, (.LBB2_9175-.Lpost_getpc33259)>>32
	s_setpc_b64 s[14:15]
.LBB2_33259:
	s_getpc_b64 s[14:15]
.Lpost_getpc20213:
	s_add_u32 s14, s14, (.LBB2_9176-.Lpost_getpc20213)&4294967295
	s_addc_u32 s15, s15, (.LBB2_9176-.Lpost_getpc20213)>>32
	s_setpc_b64 s[14:15]
.LBB2_23513:
	s_movk_i32 s4, 0x80
	v_cmp_eq_u16_sdwa s[12:13], v8, s4 src0_sel:BYTE_3 src1_sel:DWORD
	s_mov_b64 s[4:5], -1
                                        ; implicit-def: $sgpr10
	s_and_saveexec_b64 s[8:9], s[12:13]
; %bb.23514:
	s_mov_b32 s10, 0x7f800001
	s_xor_b64 s[4:5], exec, -1
; %bb.23515:
	s_or_b64 exec, exec, s[8:9]
	s_and_b64 s[4:5], s[4:5], exec
	s_or_saveexec_b64 s[6:7], s[6:7]
	v_mov_b32_e32 v2, s10
	s_xor_b64 exec, exec, s[6:7]
	s_cbranch_execnz .LBB2_23516
; %bb.59353:
	s_getpc_b64 s[14:15]
.Lpost_getpc33260:
	s_add_u32 s14, s14, (.LBB2_9178-.Lpost_getpc33260)&4294967295
	s_addc_u32 s15, s15, (.LBB2_9178-.Lpost_getpc33260)>>32
	s_setpc_b64 s[14:15]
.LBB2_23516:
	v_mov_b32_e32 v2, 0
	v_cmp_ne_u16_sdwa s[8:9], v8, v2 src0_sel:BYTE_3 src1_sel:DWORD
	s_andn2_b64 s[4:5], s[4:5], exec
	s_and_b64 s[8:9], s[8:9], exec
	s_or_b64 s[4:5], s[4:5], s[8:9]
	s_or_b64 exec, exec, s[6:7]
	s_and_saveexec_b64 s[6:7], s[4:5]
	s_cbranch_execz .LBB2_33261
; %bb.59355:
	s_getpc_b64 s[14:15]
.Lpost_getpc33261:
	s_add_u32 s14, s14, (.LBB2_9179-.Lpost_getpc33261)&4294967295
	s_addc_u32 s15, s15, (.LBB2_9179-.Lpost_getpc33261)>>32
	s_setpc_b64 s[14:15]
.LBB2_33261:
	s_getpc_b64 s[14:15]
.Lpost_getpc20214:
	s_add_u32 s14, s14, (.LBB2_9180-.Lpost_getpc20214)&4294967295
	s_addc_u32 s15, s15, (.LBB2_9180-.Lpost_getpc20214)>>32
	s_setpc_b64 s[14:15]
.LBB2_23517:
	s_movk_i32 s4, 0x80
	v_cmp_eq_u16_sdwa s[12:13], v4, s4 src0_sel:BYTE_3 src1_sel:DWORD
	s_mov_b64 s[4:5], -1
                                        ; implicit-def: $sgpr10
	s_and_saveexec_b64 s[8:9], s[12:13]
; %bb.23518:
	s_mov_b32 s10, 0x7f800001
	s_xor_b64 s[4:5], exec, -1
; %bb.23519:
	s_or_b64 exec, exec, s[8:9]
	s_and_b64 s[4:5], s[4:5], exec
	s_or_saveexec_b64 s[6:7], s[6:7]
	v_mov_b32_e32 v3, s10
	s_xor_b64 exec, exec, s[6:7]
	s_cbranch_execnz .LBB2_23520
; %bb.59357:
	s_getpc_b64 s[14:15]
.Lpost_getpc33262:
	s_add_u32 s14, s14, (.LBB2_9182-.Lpost_getpc33262)&4294967295
	s_addc_u32 s15, s15, (.LBB2_9182-.Lpost_getpc33262)>>32
	s_setpc_b64 s[14:15]
.LBB2_23520:
	v_mov_b32_e32 v3, 0
	v_cmp_ne_u16_sdwa s[8:9], v4, v3 src0_sel:BYTE_3 src1_sel:DWORD
	s_andn2_b64 s[4:5], s[4:5], exec
	s_and_b64 s[8:9], s[8:9], exec
	s_or_b64 s[4:5], s[4:5], s[8:9]
	s_or_b64 exec, exec, s[6:7]
	s_and_saveexec_b64 s[6:7], s[4:5]
	s_cbranch_execz .LBB2_33263
; %bb.59359:
	s_getpc_b64 s[14:15]
.Lpost_getpc33263:
	s_add_u32 s14, s14, (.LBB2_9183-.Lpost_getpc33263)&4294967295
	s_addc_u32 s15, s15, (.LBB2_9183-.Lpost_getpc33263)>>32
	s_setpc_b64 s[14:15]
.LBB2_33263:
	s_getpc_b64 s[14:15]
.Lpost_getpc20215:
	s_add_u32 s14, s14, (.LBB2_9184-.Lpost_getpc20215)&4294967295
	s_addc_u32 s15, s15, (.LBB2_9184-.Lpost_getpc20215)>>32
	s_setpc_b64 s[14:15]
.LBB2_23521:
	s_movk_i32 s4, 0x80
	v_cmp_eq_u16_sdwa s[12:13], v9, s4 src0_sel:BYTE_0 src1_sel:DWORD
	s_mov_b64 s[4:5], -1
                                        ; implicit-def: $sgpr10
	s_and_saveexec_b64 s[8:9], s[12:13]
; %bb.23522:
	s_mov_b32 s10, 0x7f800001
	s_xor_b64 s[4:5], exec, -1
; %bb.23523:
	s_or_b64 exec, exec, s[8:9]
	s_and_b64 s[4:5], s[4:5], exec
	s_or_saveexec_b64 s[6:7], s[6:7]
	v_mov_b32_e32 v2, s10
	s_xor_b64 exec, exec, s[6:7]
	s_cbranch_execnz .LBB2_23524
; %bb.59361:
	s_getpc_b64 s[14:15]
.Lpost_getpc33264:
	s_add_u32 s14, s14, (.LBB2_9186-.Lpost_getpc33264)&4294967295
	s_addc_u32 s15, s15, (.LBB2_9186-.Lpost_getpc33264)>>32
	s_setpc_b64 s[14:15]
.LBB2_23524:
	v_mov_b32_e32 v2, 0
	v_cmp_ne_u16_sdwa s[8:9], v9, v2 src0_sel:BYTE_0 src1_sel:DWORD
	s_andn2_b64 s[4:5], s[4:5], exec
	s_and_b64 s[8:9], s[8:9], exec
	s_or_b64 s[4:5], s[4:5], s[8:9]
	s_or_b64 exec, exec, s[6:7]
	s_and_saveexec_b64 s[6:7], s[4:5]
	s_cbranch_execz .LBB2_33265
; %bb.59363:
	s_getpc_b64 s[14:15]
.Lpost_getpc33265:
	s_add_u32 s14, s14, (.LBB2_9187-.Lpost_getpc33265)&4294967295
	s_addc_u32 s15, s15, (.LBB2_9187-.Lpost_getpc33265)>>32
	s_setpc_b64 s[14:15]
.LBB2_33265:
	s_getpc_b64 s[14:15]
.Lpost_getpc20216:
	s_add_u32 s14, s14, (.LBB2_9188-.Lpost_getpc20216)&4294967295
	s_addc_u32 s15, s15, (.LBB2_9188-.Lpost_getpc20216)>>32
	s_setpc_b64 s[14:15]
.LBB2_23525:
	s_movk_i32 s4, 0x80
	v_cmp_eq_u16_sdwa s[12:13], v5, s4 src0_sel:BYTE_0 src1_sel:DWORD
	s_mov_b64 s[4:5], -1
                                        ; implicit-def: $sgpr10
	s_and_saveexec_b64 s[8:9], s[12:13]
; %bb.23526:
	s_mov_b32 s10, 0x7f800001
	s_xor_b64 s[4:5], exec, -1
; %bb.23527:
	s_or_b64 exec, exec, s[8:9]
	s_and_b64 s[4:5], s[4:5], exec
	s_or_saveexec_b64 s[6:7], s[6:7]
	v_mov_b32_e32 v3, s10
	s_xor_b64 exec, exec, s[6:7]
	s_cbranch_execnz .LBB2_23528
; %bb.59365:
	s_getpc_b64 s[14:15]
.Lpost_getpc33266:
	s_add_u32 s14, s14, (.LBB2_9190-.Lpost_getpc33266)&4294967295
	s_addc_u32 s15, s15, (.LBB2_9190-.Lpost_getpc33266)>>32
	s_setpc_b64 s[14:15]
.LBB2_23528:
	v_mov_b32_e32 v3, 0
	v_cmp_ne_u16_sdwa s[8:9], v5, v3 src0_sel:BYTE_0 src1_sel:DWORD
	s_andn2_b64 s[4:5], s[4:5], exec
	s_and_b64 s[8:9], s[8:9], exec
	s_or_b64 s[4:5], s[4:5], s[8:9]
	s_or_b64 exec, exec, s[6:7]
	s_and_saveexec_b64 s[6:7], s[4:5]
	s_cbranch_execz .LBB2_33267
; %bb.59367:
	s_getpc_b64 s[14:15]
.Lpost_getpc33267:
	s_add_u32 s14, s14, (.LBB2_9191-.Lpost_getpc33267)&4294967295
	s_addc_u32 s15, s15, (.LBB2_9191-.Lpost_getpc33267)>>32
	s_setpc_b64 s[14:15]
.LBB2_33267:
	s_getpc_b64 s[14:15]
.Lpost_getpc20217:
	s_add_u32 s14, s14, (.LBB2_9192-.Lpost_getpc20217)&4294967295
	s_addc_u32 s15, s15, (.LBB2_9192-.Lpost_getpc20217)>>32
	s_setpc_b64 s[14:15]
.LBB2_23529:
	s_movk_i32 s4, 0x80
	v_cmp_eq_u16_sdwa s[12:13], v3, s4 src0_sel:BYTE_0 src1_sel:DWORD
	s_mov_b64 s[4:5], -1
                                        ; implicit-def: $sgpr10
	s_and_saveexec_b64 s[8:9], s[12:13]
; %bb.23530:
	s_mov_b32 s10, 0x7f800001
	s_xor_b64 s[4:5], exec, -1
; %bb.23531:
	s_or_b64 exec, exec, s[8:9]
	s_and_b64 s[4:5], s[4:5], exec
	s_or_saveexec_b64 s[6:7], s[6:7]
	v_mov_b32_e32 v2, s10
	s_xor_b64 exec, exec, s[6:7]
	s_cbranch_execnz .LBB2_23532
; %bb.59369:
	s_getpc_b64 s[14:15]
.Lpost_getpc33268:
	s_add_u32 s14, s14, (.LBB2_9194-.Lpost_getpc33268)&4294967295
	s_addc_u32 s15, s15, (.LBB2_9194-.Lpost_getpc33268)>>32
	s_setpc_b64 s[14:15]
.LBB2_23532:
	v_mov_b32_e32 v2, 0
	v_cmp_ne_u16_sdwa s[8:9], v3, v2 src0_sel:BYTE_0 src1_sel:DWORD
	s_andn2_b64 s[4:5], s[4:5], exec
	s_and_b64 s[8:9], s[8:9], exec
	s_or_b64 s[4:5], s[4:5], s[8:9]
	s_or_b64 exec, exec, s[6:7]
	s_and_saveexec_b64 s[6:7], s[4:5]
	s_cbranch_execz .LBB2_33269
; %bb.59371:
	s_getpc_b64 s[14:15]
.Lpost_getpc33269:
	s_add_u32 s14, s14, (.LBB2_9195-.Lpost_getpc33269)&4294967295
	s_addc_u32 s15, s15, (.LBB2_9195-.Lpost_getpc33269)>>32
	s_setpc_b64 s[14:15]
.LBB2_33269:
	s_getpc_b64 s[14:15]
.Lpost_getpc20218:
	s_add_u32 s14, s14, (.LBB2_9196-.Lpost_getpc20218)&4294967295
	s_addc_u32 s15, s15, (.LBB2_9196-.Lpost_getpc20218)>>32
	s_setpc_b64 s[14:15]
.LBB2_23533:
	s_movk_i32 s4, 0x80
	v_cmp_eq_u16_sdwa s[12:13], v3, s4 src0_sel:BYTE_0 src1_sel:DWORD
	s_mov_b64 s[4:5], -1
                                        ; implicit-def: $sgpr10
	s_and_saveexec_b64 s[8:9], s[12:13]
; %bb.23534:
	s_mov_b32 s10, 0x7f800001
	s_xor_b64 s[4:5], exec, -1
; %bb.23535:
	s_or_b64 exec, exec, s[8:9]
	s_and_b64 s[4:5], s[4:5], exec
	s_or_saveexec_b64 s[6:7], s[6:7]
	v_mov_b32_e32 v4, s10
	s_xor_b64 exec, exec, s[6:7]
	s_cbranch_execnz .LBB2_23536
; %bb.59373:
	s_getpc_b64 s[14:15]
.Lpost_getpc33270:
	s_add_u32 s14, s14, (.LBB2_9198-.Lpost_getpc33270)&4294967295
	s_addc_u32 s15, s15, (.LBB2_9198-.Lpost_getpc33270)>>32
	s_setpc_b64 s[14:15]
.LBB2_23536:
	v_mov_b32_e32 v4, 0
	v_cmp_ne_u16_sdwa s[8:9], v3, v4 src0_sel:BYTE_0 src1_sel:DWORD
	s_andn2_b64 s[4:5], s[4:5], exec
	s_and_b64 s[8:9], s[8:9], exec
	s_or_b64 s[4:5], s[4:5], s[8:9]
	s_or_b64 exec, exec, s[6:7]
	s_and_saveexec_b64 s[6:7], s[4:5]
	s_cbranch_execz .LBB2_33271
; %bb.59375:
	s_getpc_b64 s[14:15]
.Lpost_getpc33271:
	s_add_u32 s14, s14, (.LBB2_9199-.Lpost_getpc33271)&4294967295
	s_addc_u32 s15, s15, (.LBB2_9199-.Lpost_getpc33271)>>32
	s_setpc_b64 s[14:15]
.LBB2_33271:
	s_getpc_b64 s[14:15]
.Lpost_getpc20219:
	s_add_u32 s14, s14, (.LBB2_9200-.Lpost_getpc20219)&4294967295
	s_addc_u32 s15, s15, (.LBB2_9200-.Lpost_getpc20219)>>32
	s_setpc_b64 s[14:15]
.LBB2_23537:
	s_movk_i32 s4, 0x80
	v_cmp_eq_u16_e32 vcc, s4, v3
	s_mov_b64 s[4:5], -1
                                        ; implicit-def: $sgpr10
	s_and_saveexec_b64 s[8:9], vcc
; %bb.23538:
	s_mov_b32 s10, 0x7f800001
	s_xor_b64 s[4:5], exec, -1
; %bb.23539:
	s_or_b64 exec, exec, s[8:9]
	s_and_b64 s[4:5], s[4:5], exec
                                        ; implicit-def: $vgpr3
	s_or_saveexec_b64 s[6:7], s[6:7]
	v_mov_b32_e32 v2, s10
	s_xor_b64 exec, exec, s[6:7]
	s_cbranch_execnz .LBB2_23540
; %bb.59377:
	s_getpc_b64 s[14:15]
.Lpost_getpc33272:
	s_add_u32 s14, s14, (.LBB2_9202-.Lpost_getpc33272)&4294967295
	s_addc_u32 s15, s15, (.LBB2_9202-.Lpost_getpc33272)>>32
	s_setpc_b64 s[14:15]
.LBB2_23540:
	v_cmp_ne_u16_e32 vcc, 0, v3
	s_andn2_b64 s[4:5], s[4:5], exec
	s_and_b64 s[8:9], vcc, exec
	v_mov_b32_e32 v2, 0
	s_or_b64 s[4:5], s[4:5], s[8:9]
	s_or_b64 exec, exec, s[6:7]
	s_and_saveexec_b64 s[6:7], s[4:5]
	s_cbranch_execz .LBB2_33273
; %bb.59379:
	s_getpc_b64 s[14:15]
.Lpost_getpc33273:
	s_add_u32 s14, s14, (.LBB2_9203-.Lpost_getpc33273)&4294967295
	s_addc_u32 s15, s15, (.LBB2_9203-.Lpost_getpc33273)>>32
	s_setpc_b64 s[14:15]
.LBB2_33273:
	s_getpc_b64 s[14:15]
.Lpost_getpc20220:
	s_add_u32 s14, s14, (.LBB2_9204-.Lpost_getpc20220)&4294967295
	s_addc_u32 s15, s15, (.LBB2_9204-.Lpost_getpc20220)>>32
	s_setpc_b64 s[14:15]
.LBB2_23541:
	s_movk_i32 s4, 0x80
	v_cmp_eq_u16_e32 vcc, s4, v3
	s_mov_b64 s[4:5], -1
                                        ; implicit-def: $sgpr10
	s_and_saveexec_b64 s[8:9], vcc
; %bb.23542:
	s_mov_b32 s10, 0x7f800001
	s_xor_b64 s[4:5], exec, -1
; %bb.23543:
	s_or_b64 exec, exec, s[8:9]
	s_and_b64 s[4:5], s[4:5], exec
                                        ; implicit-def: $vgpr3
	s_or_saveexec_b64 s[6:7], s[6:7]
	v_mov_b32_e32 v4, s10
	s_xor_b64 exec, exec, s[6:7]
	s_cbranch_execnz .LBB2_23544
; %bb.59381:
	s_getpc_b64 s[14:15]
.Lpost_getpc33274:
	s_add_u32 s14, s14, (.LBB2_9206-.Lpost_getpc33274)&4294967295
	s_addc_u32 s15, s15, (.LBB2_9206-.Lpost_getpc33274)>>32
	s_setpc_b64 s[14:15]
.LBB2_23544:
	v_cmp_ne_u16_e32 vcc, 0, v3
	s_andn2_b64 s[4:5], s[4:5], exec
	s_and_b64 s[8:9], vcc, exec
	v_mov_b32_e32 v4, 0
	s_or_b64 s[4:5], s[4:5], s[8:9]
	s_or_b64 exec, exec, s[6:7]
	s_and_saveexec_b64 s[6:7], s[4:5]
	s_cbranch_execz .LBB2_33275
; %bb.59383:
	s_getpc_b64 s[14:15]
.Lpost_getpc33275:
	s_add_u32 s14, s14, (.LBB2_9207-.Lpost_getpc33275)&4294967295
	s_addc_u32 s15, s15, (.LBB2_9207-.Lpost_getpc33275)>>32
	s_setpc_b64 s[14:15]
.LBB2_33275:
	s_getpc_b64 s[14:15]
.Lpost_getpc20221:
	s_add_u32 s14, s14, (.LBB2_9208-.Lpost_getpc20221)&4294967295
	s_addc_u32 s15, s15, (.LBB2_9208-.Lpost_getpc20221)>>32
	s_setpc_b64 s[14:15]
.LBB2_23545:
	s_movk_i32 s4, 0x80
	v_cmp_eq_u16_sdwa s[12:13], v9, s4 src0_sel:BYTE_3 src1_sel:DWORD
	s_mov_b64 s[4:5], -1
                                        ; implicit-def: $sgpr10
	s_and_saveexec_b64 s[8:9], s[12:13]
; %bb.23546:
	s_mov_b32 s10, 0x7f800001
	s_xor_b64 s[4:5], exec, -1
; %bb.23547:
	s_or_b64 exec, exec, s[8:9]
	s_and_b64 s[4:5], s[4:5], exec
	s_or_saveexec_b64 s[6:7], s[6:7]
	v_mov_b32_e32 v2, s10
	s_xor_b64 exec, exec, s[6:7]
	s_cbranch_execnz .LBB2_23548
; %bb.59385:
	s_getpc_b64 s[14:15]
.Lpost_getpc33276:
	s_add_u32 s14, s14, (.LBB2_9210-.Lpost_getpc33276)&4294967295
	s_addc_u32 s15, s15, (.LBB2_9210-.Lpost_getpc33276)>>32
	s_setpc_b64 s[14:15]
.LBB2_23548:
	v_mov_b32_e32 v2, 0
	v_cmp_ne_u16_sdwa s[8:9], v9, v2 src0_sel:BYTE_3 src1_sel:DWORD
	s_andn2_b64 s[4:5], s[4:5], exec
	s_and_b64 s[8:9], s[8:9], exec
	s_or_b64 s[4:5], s[4:5], s[8:9]
	s_or_b64 exec, exec, s[6:7]
	s_and_saveexec_b64 s[6:7], s[4:5]
	s_cbranch_execz .LBB2_33277
; %bb.59387:
	s_getpc_b64 s[14:15]
.Lpost_getpc33277:
	s_add_u32 s14, s14, (.LBB2_9211-.Lpost_getpc33277)&4294967295
	s_addc_u32 s15, s15, (.LBB2_9211-.Lpost_getpc33277)>>32
	s_setpc_b64 s[14:15]
.LBB2_33277:
	s_getpc_b64 s[14:15]
.Lpost_getpc20222:
	s_add_u32 s14, s14, (.LBB2_9212-.Lpost_getpc20222)&4294967295
	s_addc_u32 s15, s15, (.LBB2_9212-.Lpost_getpc20222)>>32
	s_setpc_b64 s[14:15]
.LBB2_23549:
	s_movk_i32 s4, 0x80
	v_cmp_eq_u16_sdwa s[12:13], v5, s4 src0_sel:BYTE_3 src1_sel:DWORD
	s_mov_b64 s[4:5], -1
                                        ; implicit-def: $sgpr10
	s_and_saveexec_b64 s[8:9], s[12:13]
; %bb.23550:
	s_mov_b32 s10, 0x7f800001
	s_xor_b64 s[4:5], exec, -1
; %bb.23551:
	s_or_b64 exec, exec, s[8:9]
	s_and_b64 s[4:5], s[4:5], exec
	s_or_saveexec_b64 s[6:7], s[6:7]
	v_mov_b32_e32 v3, s10
	s_xor_b64 exec, exec, s[6:7]
	s_cbranch_execnz .LBB2_23552
; %bb.59389:
	s_getpc_b64 s[14:15]
.Lpost_getpc33278:
	s_add_u32 s14, s14, (.LBB2_9214-.Lpost_getpc33278)&4294967295
	s_addc_u32 s15, s15, (.LBB2_9214-.Lpost_getpc33278)>>32
	s_setpc_b64 s[14:15]
.LBB2_23552:
	v_mov_b32_e32 v3, 0
	v_cmp_ne_u16_sdwa s[8:9], v5, v3 src0_sel:BYTE_3 src1_sel:DWORD
	s_andn2_b64 s[4:5], s[4:5], exec
	s_and_b64 s[8:9], s[8:9], exec
	s_or_b64 s[4:5], s[4:5], s[8:9]
	s_or_b64 exec, exec, s[6:7]
	s_and_saveexec_b64 s[6:7], s[4:5]
	s_cbranch_execz .LBB2_33279
; %bb.59391:
	s_getpc_b64 s[14:15]
.Lpost_getpc33279:
	s_add_u32 s14, s14, (.LBB2_9215-.Lpost_getpc33279)&4294967295
	s_addc_u32 s15, s15, (.LBB2_9215-.Lpost_getpc33279)>>32
	s_setpc_b64 s[14:15]
.LBB2_33279:
	s_getpc_b64 s[14:15]
.Lpost_getpc20223:
	s_add_u32 s14, s14, (.LBB2_9216-.Lpost_getpc20223)&4294967295
	s_addc_u32 s15, s15, (.LBB2_9216-.Lpost_getpc20223)>>32
	s_setpc_b64 s[14:15]
.LBB2_23553:
	s_movk_i32 s4, 0x80
	v_cmp_eq_u16_sdwa s[12:13], v6, s4 src0_sel:BYTE_0 src1_sel:DWORD
	s_mov_b64 s[4:5], -1
                                        ; implicit-def: $sgpr10
	s_and_saveexec_b64 s[8:9], s[12:13]
; %bb.23554:
	s_mov_b32 s10, 0x7f800001
	s_xor_b64 s[4:5], exec, -1
; %bb.23555:
	s_or_b64 exec, exec, s[8:9]
	s_and_b64 s[4:5], s[4:5], exec
	s_or_saveexec_b64 s[6:7], s[6:7]
	v_mov_b32_e32 v12, s10
	s_xor_b64 exec, exec, s[6:7]
	s_cbranch_execnz .LBB2_23556
; %bb.59393:
	s_getpc_b64 s[14:15]
.Lpost_getpc33280:
	s_add_u32 s14, s14, (.LBB2_9218-.Lpost_getpc33280)&4294967295
	s_addc_u32 s15, s15, (.LBB2_9218-.Lpost_getpc33280)>>32
	s_setpc_b64 s[14:15]
.LBB2_23556:
	v_mov_b32_e32 v12, 0
	v_cmp_ne_u16_sdwa s[8:9], v6, v12 src0_sel:BYTE_0 src1_sel:DWORD
	s_andn2_b64 s[4:5], s[4:5], exec
	s_and_b64 s[8:9], s[8:9], exec
	s_or_b64 s[4:5], s[4:5], s[8:9]
	s_or_b64 exec, exec, s[6:7]
	s_and_saveexec_b64 s[6:7], s[4:5]
	s_cbranch_execz .LBB2_33281
; %bb.59395:
	s_getpc_b64 s[14:15]
.Lpost_getpc33281:
	s_add_u32 s14, s14, (.LBB2_9219-.Lpost_getpc33281)&4294967295
	s_addc_u32 s15, s15, (.LBB2_9219-.Lpost_getpc33281)>>32
	s_setpc_b64 s[14:15]
.LBB2_33281:
	s_getpc_b64 s[14:15]
.Lpost_getpc20224:
	s_add_u32 s14, s14, (.LBB2_9220-.Lpost_getpc20224)&4294967295
	s_addc_u32 s15, s15, (.LBB2_9220-.Lpost_getpc20224)>>32
	s_setpc_b64 s[14:15]
.LBB2_23557:
	s_movk_i32 s4, 0x80
	v_cmp_eq_u16_sdwa s[12:13], v2, s4 src0_sel:BYTE_0 src1_sel:DWORD
	s_mov_b64 s[4:5], -1
                                        ; implicit-def: $sgpr10
	s_and_saveexec_b64 s[8:9], s[12:13]
; %bb.23558:
	s_mov_b32 s10, 0x7f800001
	s_xor_b64 s[4:5], exec, -1
; %bb.23559:
	s_or_b64 exec, exec, s[8:9]
	s_and_b64 s[4:5], s[4:5], exec
	s_or_saveexec_b64 s[6:7], s[6:7]
	v_mov_b32_e32 v13, s10
	s_xor_b64 exec, exec, s[6:7]
	s_cbranch_execnz .LBB2_23560
; %bb.59397:
	s_getpc_b64 s[14:15]
.Lpost_getpc33282:
	s_add_u32 s14, s14, (.LBB2_9222-.Lpost_getpc33282)&4294967295
	s_addc_u32 s15, s15, (.LBB2_9222-.Lpost_getpc33282)>>32
	s_setpc_b64 s[14:15]
.LBB2_23560:
	v_mov_b32_e32 v13, 0
	v_cmp_ne_u16_sdwa s[8:9], v2, v13 src0_sel:BYTE_0 src1_sel:DWORD
	s_andn2_b64 s[4:5], s[4:5], exec
	s_and_b64 s[8:9], s[8:9], exec
	s_or_b64 s[4:5], s[4:5], s[8:9]
	s_or_b64 exec, exec, s[6:7]
	s_and_saveexec_b64 s[6:7], s[4:5]
	s_cbranch_execz .LBB2_33283
; %bb.59399:
	s_getpc_b64 s[14:15]
.Lpost_getpc33283:
	s_add_u32 s14, s14, (.LBB2_9223-.Lpost_getpc33283)&4294967295
	s_addc_u32 s15, s15, (.LBB2_9223-.Lpost_getpc33283)>>32
	s_setpc_b64 s[14:15]
.LBB2_33283:
	s_getpc_b64 s[14:15]
.Lpost_getpc20225:
	s_add_u32 s14, s14, (.LBB2_9224-.Lpost_getpc20225)&4294967295
	s_addc_u32 s15, s15, (.LBB2_9224-.Lpost_getpc20225)>>32
	s_setpc_b64 s[14:15]
.LBB2_23561:
	s_movk_i32 s4, 0x80
	v_cmp_eq_u16_sdwa s[12:13], v13, s4 src0_sel:BYTE_0 src1_sel:DWORD
	s_mov_b64 s[4:5], -1
                                        ; implicit-def: $sgpr10
	s_and_saveexec_b64 s[8:9], s[12:13]
; %bb.23562:
	s_mov_b32 s10, 0x7f800001
	s_xor_b64 s[4:5], exec, -1
; %bb.23563:
	s_or_b64 exec, exec, s[8:9]
	s_and_b64 s[4:5], s[4:5], exec
	s_or_saveexec_b64 s[6:7], s[6:7]
	v_mov_b32_e32 v12, s10
	s_xor_b64 exec, exec, s[6:7]
	s_cbranch_execnz .LBB2_23564
; %bb.59401:
	s_getpc_b64 s[14:15]
.Lpost_getpc33284:
	s_add_u32 s14, s14, (.LBB2_9226-.Lpost_getpc33284)&4294967295
	s_addc_u32 s15, s15, (.LBB2_9226-.Lpost_getpc33284)>>32
	s_setpc_b64 s[14:15]
.LBB2_23564:
	v_mov_b32_e32 v12, 0
	v_cmp_ne_u16_sdwa s[8:9], v13, v12 src0_sel:BYTE_0 src1_sel:DWORD
	s_andn2_b64 s[4:5], s[4:5], exec
	s_and_b64 s[8:9], s[8:9], exec
	s_or_b64 s[4:5], s[4:5], s[8:9]
	s_or_b64 exec, exec, s[6:7]
	s_and_saveexec_b64 s[6:7], s[4:5]
	s_cbranch_execz .LBB2_33285
; %bb.59403:
	s_getpc_b64 s[14:15]
.Lpost_getpc33285:
	s_add_u32 s14, s14, (.LBB2_9227-.Lpost_getpc33285)&4294967295
	s_addc_u32 s15, s15, (.LBB2_9227-.Lpost_getpc33285)>>32
	s_setpc_b64 s[14:15]
.LBB2_33285:
	s_getpc_b64 s[14:15]
.Lpost_getpc20226:
	s_add_u32 s14, s14, (.LBB2_9228-.Lpost_getpc20226)&4294967295
	s_addc_u32 s15, s15, (.LBB2_9228-.Lpost_getpc20226)>>32
	s_setpc_b64 s[14:15]
.LBB2_23565:
	s_movk_i32 s4, 0x80
	v_cmp_eq_u16_sdwa s[12:13], v13, s4 src0_sel:BYTE_0 src1_sel:DWORD
	s_mov_b64 s[4:5], -1
                                        ; implicit-def: $sgpr10
	s_and_saveexec_b64 s[8:9], s[12:13]
; %bb.23566:
	s_mov_b32 s10, 0x7f800001
	s_xor_b64 s[4:5], exec, -1
; %bb.23567:
	s_or_b64 exec, exec, s[8:9]
	s_and_b64 s[4:5], s[4:5], exec
	s_or_saveexec_b64 s[6:7], s[6:7]
	v_mov_b32_e32 v14, s10
	s_xor_b64 exec, exec, s[6:7]
	s_cbranch_execnz .LBB2_23568
; %bb.59405:
	s_getpc_b64 s[14:15]
.Lpost_getpc33286:
	s_add_u32 s14, s14, (.LBB2_9230-.Lpost_getpc33286)&4294967295
	s_addc_u32 s15, s15, (.LBB2_9230-.Lpost_getpc33286)>>32
	s_setpc_b64 s[14:15]
.LBB2_23568:
	v_mov_b32_e32 v14, 0
	v_cmp_ne_u16_sdwa s[8:9], v13, v14 src0_sel:BYTE_0 src1_sel:DWORD
	s_andn2_b64 s[4:5], s[4:5], exec
	s_and_b64 s[8:9], s[8:9], exec
	s_or_b64 s[4:5], s[4:5], s[8:9]
	s_or_b64 exec, exec, s[6:7]
	s_and_saveexec_b64 s[6:7], s[4:5]
	s_cbranch_execz .LBB2_33287
; %bb.59407:
	s_getpc_b64 s[14:15]
.Lpost_getpc33287:
	s_add_u32 s14, s14, (.LBB2_9231-.Lpost_getpc33287)&4294967295
	s_addc_u32 s15, s15, (.LBB2_9231-.Lpost_getpc33287)>>32
	s_setpc_b64 s[14:15]
.LBB2_33287:
	s_getpc_b64 s[14:15]
.Lpost_getpc20227:
	s_add_u32 s14, s14, (.LBB2_9232-.Lpost_getpc20227)&4294967295
	s_addc_u32 s15, s15, (.LBB2_9232-.Lpost_getpc20227)>>32
	s_setpc_b64 s[14:15]
.LBB2_23569:
	s_movk_i32 s4, 0x80
	v_cmp_eq_u16_e32 vcc, s4, v13
	s_mov_b64 s[4:5], -1
                                        ; implicit-def: $sgpr10
	s_and_saveexec_b64 s[8:9], vcc
; %bb.23570:
	s_mov_b32 s10, 0x7f800001
	s_xor_b64 s[4:5], exec, -1
; %bb.23571:
	s_or_b64 exec, exec, s[8:9]
	s_and_b64 s[4:5], s[4:5], exec
                                        ; implicit-def: $vgpr13
	s_or_saveexec_b64 s[6:7], s[6:7]
	v_mov_b32_e32 v12, s10
	s_xor_b64 exec, exec, s[6:7]
	s_cbranch_execnz .LBB2_23572
; %bb.59409:
	s_getpc_b64 s[14:15]
.Lpost_getpc33288:
	s_add_u32 s14, s14, (.LBB2_9234-.Lpost_getpc33288)&4294967295
	s_addc_u32 s15, s15, (.LBB2_9234-.Lpost_getpc33288)>>32
	s_setpc_b64 s[14:15]
.LBB2_23572:
	v_cmp_ne_u16_e32 vcc, 0, v13
	s_andn2_b64 s[4:5], s[4:5], exec
	s_and_b64 s[8:9], vcc, exec
	v_mov_b32_e32 v12, 0
	s_or_b64 s[4:5], s[4:5], s[8:9]
	s_or_b64 exec, exec, s[6:7]
	s_and_saveexec_b64 s[6:7], s[4:5]
	s_cbranch_execz .LBB2_33289
; %bb.59411:
	s_getpc_b64 s[14:15]
.Lpost_getpc33289:
	s_add_u32 s14, s14, (.LBB2_9235-.Lpost_getpc33289)&4294967295
	s_addc_u32 s15, s15, (.LBB2_9235-.Lpost_getpc33289)>>32
	s_setpc_b64 s[14:15]
.LBB2_33289:
	s_getpc_b64 s[14:15]
.Lpost_getpc20228:
	s_add_u32 s14, s14, (.LBB2_9236-.Lpost_getpc20228)&4294967295
	s_addc_u32 s15, s15, (.LBB2_9236-.Lpost_getpc20228)>>32
	s_setpc_b64 s[14:15]
.LBB2_23573:
	s_movk_i32 s4, 0x80
	v_cmp_eq_u16_e32 vcc, s4, v13
	s_mov_b64 s[4:5], -1
                                        ; implicit-def: $sgpr10
	s_and_saveexec_b64 s[8:9], vcc
; %bb.23574:
	s_mov_b32 s10, 0x7f800001
	s_xor_b64 s[4:5], exec, -1
; %bb.23575:
	s_or_b64 exec, exec, s[8:9]
	s_and_b64 s[4:5], s[4:5], exec
                                        ; implicit-def: $vgpr13
	s_or_saveexec_b64 s[6:7], s[6:7]
	v_mov_b32_e32 v14, s10
	s_xor_b64 exec, exec, s[6:7]
	s_cbranch_execnz .LBB2_23576
; %bb.59413:
	s_getpc_b64 s[14:15]
.Lpost_getpc33290:
	s_add_u32 s14, s14, (.LBB2_9238-.Lpost_getpc33290)&4294967295
	s_addc_u32 s15, s15, (.LBB2_9238-.Lpost_getpc33290)>>32
	s_setpc_b64 s[14:15]
.LBB2_23576:
	v_cmp_ne_u16_e32 vcc, 0, v13
	s_andn2_b64 s[4:5], s[4:5], exec
	s_and_b64 s[8:9], vcc, exec
	v_mov_b32_e32 v14, 0
	s_or_b64 s[4:5], s[4:5], s[8:9]
	s_or_b64 exec, exec, s[6:7]
	s_and_saveexec_b64 s[6:7], s[4:5]
	s_cbranch_execz .LBB2_33291
; %bb.59415:
	s_getpc_b64 s[14:15]
.Lpost_getpc33291:
	s_add_u32 s14, s14, (.LBB2_9239-.Lpost_getpc33291)&4294967295
	s_addc_u32 s15, s15, (.LBB2_9239-.Lpost_getpc33291)>>32
	s_setpc_b64 s[14:15]
.LBB2_33291:
	s_getpc_b64 s[14:15]
.Lpost_getpc20229:
	s_add_u32 s14, s14, (.LBB2_9240-.Lpost_getpc20229)&4294967295
	s_addc_u32 s15, s15, (.LBB2_9240-.Lpost_getpc20229)>>32
	s_setpc_b64 s[14:15]
.LBB2_23577:
	s_movk_i32 s4, 0x80
	v_cmp_eq_u16_sdwa s[12:13], v6, s4 src0_sel:BYTE_3 src1_sel:DWORD
	s_mov_b64 s[4:5], -1
                                        ; implicit-def: $sgpr10
	s_and_saveexec_b64 s[8:9], s[12:13]
; %bb.23578:
	s_mov_b32 s10, 0x7f800001
	s_xor_b64 s[4:5], exec, -1
; %bb.23579:
	s_or_b64 exec, exec, s[8:9]
	s_and_b64 s[4:5], s[4:5], exec
	s_or_saveexec_b64 s[6:7], s[6:7]
	v_mov_b32_e32 v12, s10
	s_xor_b64 exec, exec, s[6:7]
	s_cbranch_execnz .LBB2_23580
; %bb.59417:
	s_getpc_b64 s[14:15]
.Lpost_getpc33292:
	s_add_u32 s14, s14, (.LBB2_9242-.Lpost_getpc33292)&4294967295
	s_addc_u32 s15, s15, (.LBB2_9242-.Lpost_getpc33292)>>32
	s_setpc_b64 s[14:15]
.LBB2_23580:
	v_mov_b32_e32 v12, 0
	v_cmp_ne_u16_sdwa s[8:9], v6, v12 src0_sel:BYTE_3 src1_sel:DWORD
	s_andn2_b64 s[4:5], s[4:5], exec
	s_and_b64 s[8:9], s[8:9], exec
	s_or_b64 s[4:5], s[4:5], s[8:9]
	s_or_b64 exec, exec, s[6:7]
	s_and_saveexec_b64 s[6:7], s[4:5]
	s_cbranch_execz .LBB2_33293
; %bb.59419:
	s_getpc_b64 s[14:15]
.Lpost_getpc33293:
	s_add_u32 s14, s14, (.LBB2_9243-.Lpost_getpc33293)&4294967295
	s_addc_u32 s15, s15, (.LBB2_9243-.Lpost_getpc33293)>>32
	s_setpc_b64 s[14:15]
.LBB2_33293:
	s_getpc_b64 s[14:15]
.Lpost_getpc20230:
	s_add_u32 s14, s14, (.LBB2_9244-.Lpost_getpc20230)&4294967295
	s_addc_u32 s15, s15, (.LBB2_9244-.Lpost_getpc20230)>>32
	s_setpc_b64 s[14:15]
.LBB2_23581:
	s_movk_i32 s4, 0x80
	v_cmp_eq_u16_sdwa s[12:13], v2, s4 src0_sel:BYTE_3 src1_sel:DWORD
	s_mov_b64 s[4:5], -1
                                        ; implicit-def: $sgpr10
	s_and_saveexec_b64 s[8:9], s[12:13]
; %bb.23582:
	s_mov_b32 s10, 0x7f800001
	s_xor_b64 s[4:5], exec, -1
; %bb.23583:
	s_or_b64 exec, exec, s[8:9]
	s_and_b64 s[4:5], s[4:5], exec
	s_or_saveexec_b64 s[6:7], s[6:7]
	v_mov_b32_e32 v6, s10
	s_xor_b64 exec, exec, s[6:7]
	s_cbranch_execnz .LBB2_23584
; %bb.59421:
	s_getpc_b64 s[14:15]
.Lpost_getpc33294:
	s_add_u32 s14, s14, (.LBB2_9246-.Lpost_getpc33294)&4294967295
	s_addc_u32 s15, s15, (.LBB2_9246-.Lpost_getpc33294)>>32
	s_setpc_b64 s[14:15]
.LBB2_23584:
	v_mov_b32_e32 v6, 0
	v_cmp_ne_u16_sdwa s[8:9], v2, v6 src0_sel:BYTE_3 src1_sel:DWORD
	s_andn2_b64 s[4:5], s[4:5], exec
	s_and_b64 s[8:9], s[8:9], exec
	s_or_b64 s[4:5], s[4:5], s[8:9]
	s_or_b64 exec, exec, s[6:7]
	s_and_saveexec_b64 s[6:7], s[4:5]
	s_cbranch_execz .LBB2_33295
; %bb.59423:
	s_getpc_b64 s[14:15]
.Lpost_getpc33295:
	s_add_u32 s14, s14, (.LBB2_9247-.Lpost_getpc33295)&4294967295
	s_addc_u32 s15, s15, (.LBB2_9247-.Lpost_getpc33295)>>32
	s_setpc_b64 s[14:15]
.LBB2_33295:
	s_getpc_b64 s[14:15]
.Lpost_getpc20231:
	s_add_u32 s14, s14, (.LBB2_9248-.Lpost_getpc20231)&4294967295
	s_addc_u32 s15, s15, (.LBB2_9248-.Lpost_getpc20231)>>32
	s_setpc_b64 s[14:15]
.LBB2_23585:
	s_movk_i32 s4, 0x80
	v_cmp_eq_u16_sdwa s[12:13], v7, s4 src0_sel:BYTE_0 src1_sel:DWORD
	s_mov_b64 s[4:5], -1
                                        ; implicit-def: $sgpr10
	s_and_saveexec_b64 s[8:9], s[12:13]
; %bb.23586:
	s_mov_b32 s10, 0x7f800001
	s_xor_b64 s[4:5], exec, -1
; %bb.23587:
	s_or_b64 exec, exec, s[8:9]
	s_and_b64 s[4:5], s[4:5], exec
	s_or_saveexec_b64 s[6:7], s[6:7]
	v_mov_b32_e32 v2, s10
	s_xor_b64 exec, exec, s[6:7]
	s_cbranch_execnz .LBB2_23588
; %bb.59425:
	s_getpc_b64 s[14:15]
.Lpost_getpc33296:
	s_add_u32 s14, s14, (.LBB2_9250-.Lpost_getpc33296)&4294967295
	s_addc_u32 s15, s15, (.LBB2_9250-.Lpost_getpc33296)>>32
	s_setpc_b64 s[14:15]
.LBB2_23588:
	v_mov_b32_e32 v2, 0
	v_cmp_ne_u16_sdwa s[8:9], v7, v2 src0_sel:BYTE_0 src1_sel:DWORD
	s_andn2_b64 s[4:5], s[4:5], exec
	s_and_b64 s[8:9], s[8:9], exec
	s_or_b64 s[4:5], s[4:5], s[8:9]
	s_or_b64 exec, exec, s[6:7]
	s_and_saveexec_b64 s[6:7], s[4:5]
	s_cbranch_execz .LBB2_33297
; %bb.59427:
	s_getpc_b64 s[14:15]
.Lpost_getpc33297:
	s_add_u32 s14, s14, (.LBB2_9251-.Lpost_getpc33297)&4294967295
	s_addc_u32 s15, s15, (.LBB2_9251-.Lpost_getpc33297)>>32
	s_setpc_b64 s[14:15]
.LBB2_33297:
	s_getpc_b64 s[14:15]
.Lpost_getpc20232:
	s_add_u32 s14, s14, (.LBB2_9252-.Lpost_getpc20232)&4294967295
	s_addc_u32 s15, s15, (.LBB2_9252-.Lpost_getpc20232)>>32
	s_setpc_b64 s[14:15]
.LBB2_23589:
	s_movk_i32 s4, 0x80
	v_cmp_eq_u16_sdwa s[12:13], v3, s4 src0_sel:BYTE_0 src1_sel:DWORD
	s_mov_b64 s[4:5], -1
                                        ; implicit-def: $sgpr10
	s_and_saveexec_b64 s[8:9], s[12:13]
; %bb.23590:
	s_mov_b32 s10, 0x7f800001
	s_xor_b64 s[4:5], exec, -1
; %bb.23591:
	s_or_b64 exec, exec, s[8:9]
	s_and_b64 s[4:5], s[4:5], exec
	s_or_saveexec_b64 s[6:7], s[6:7]
	v_mov_b32_e32 v6, s10
	s_xor_b64 exec, exec, s[6:7]
	s_cbranch_execnz .LBB2_23592
; %bb.59429:
	s_getpc_b64 s[14:15]
.Lpost_getpc33298:
	s_add_u32 s14, s14, (.LBB2_9254-.Lpost_getpc33298)&4294967295
	s_addc_u32 s15, s15, (.LBB2_9254-.Lpost_getpc33298)>>32
	s_setpc_b64 s[14:15]
.LBB2_23592:
	v_mov_b32_e32 v6, 0
	v_cmp_ne_u16_sdwa s[8:9], v3, v6 src0_sel:BYTE_0 src1_sel:DWORD
	s_andn2_b64 s[4:5], s[4:5], exec
	s_and_b64 s[8:9], s[8:9], exec
	s_or_b64 s[4:5], s[4:5], s[8:9]
	s_or_b64 exec, exec, s[6:7]
	s_and_saveexec_b64 s[6:7], s[4:5]
	s_cbranch_execz .LBB2_33299
; %bb.59431:
	s_getpc_b64 s[14:15]
.Lpost_getpc33299:
	s_add_u32 s14, s14, (.LBB2_9255-.Lpost_getpc33299)&4294967295
	s_addc_u32 s15, s15, (.LBB2_9255-.Lpost_getpc33299)>>32
	s_setpc_b64 s[14:15]
.LBB2_33299:
	s_getpc_b64 s[14:15]
.Lpost_getpc20233:
	s_add_u32 s14, s14, (.LBB2_9256-.Lpost_getpc20233)&4294967295
	s_addc_u32 s15, s15, (.LBB2_9256-.Lpost_getpc20233)>>32
	s_setpc_b64 s[14:15]
.LBB2_23593:
	s_movk_i32 s4, 0x80
	v_cmp_eq_u16_sdwa s[12:13], v6, s4 src0_sel:BYTE_0 src1_sel:DWORD
	s_mov_b64 s[4:5], -1
                                        ; implicit-def: $sgpr10
	s_and_saveexec_b64 s[8:9], s[12:13]
; %bb.23594:
	s_mov_b32 s10, 0x7f800001
	s_xor_b64 s[4:5], exec, -1
; %bb.23595:
	s_or_b64 exec, exec, s[8:9]
	s_and_b64 s[4:5], s[4:5], exec
	s_or_saveexec_b64 s[6:7], s[6:7]
	v_mov_b32_e32 v2, s10
	s_xor_b64 exec, exec, s[6:7]
	s_cbranch_execnz .LBB2_23596
; %bb.59433:
	s_getpc_b64 s[14:15]
.Lpost_getpc33300:
	s_add_u32 s14, s14, (.LBB2_9258-.Lpost_getpc33300)&4294967295
	s_addc_u32 s15, s15, (.LBB2_9258-.Lpost_getpc33300)>>32
	s_setpc_b64 s[14:15]
.LBB2_23596:
	v_mov_b32_e32 v2, 0
	v_cmp_ne_u16_sdwa s[8:9], v6, v2 src0_sel:BYTE_0 src1_sel:DWORD
	s_andn2_b64 s[4:5], s[4:5], exec
	s_and_b64 s[8:9], s[8:9], exec
	s_or_b64 s[4:5], s[4:5], s[8:9]
	s_or_b64 exec, exec, s[6:7]
	s_and_saveexec_b64 s[6:7], s[4:5]
	s_cbranch_execz .LBB2_33301
; %bb.59435:
	s_getpc_b64 s[14:15]
.Lpost_getpc33301:
	s_add_u32 s14, s14, (.LBB2_9259-.Lpost_getpc33301)&4294967295
	s_addc_u32 s15, s15, (.LBB2_9259-.Lpost_getpc33301)>>32
	s_setpc_b64 s[14:15]
.LBB2_33301:
	s_getpc_b64 s[14:15]
.Lpost_getpc20234:
	s_add_u32 s14, s14, (.LBB2_9260-.Lpost_getpc20234)&4294967295
	s_addc_u32 s15, s15, (.LBB2_9260-.Lpost_getpc20234)>>32
	s_setpc_b64 s[14:15]
.LBB2_23597:
	s_movk_i32 s4, 0x80
	v_cmp_eq_u16_sdwa s[12:13], v6, s4 src0_sel:BYTE_0 src1_sel:DWORD
	s_mov_b64 s[4:5], -1
                                        ; implicit-def: $sgpr10
	s_and_saveexec_b64 s[8:9], s[12:13]
; %bb.23598:
	s_mov_b32 s10, 0x7f800001
	s_xor_b64 s[4:5], exec, -1
; %bb.23599:
	s_or_b64 exec, exec, s[8:9]
	s_and_b64 s[4:5], s[4:5], exec
	s_or_saveexec_b64 s[6:7], s[6:7]
	v_mov_b32_e32 v12, s10
	s_xor_b64 exec, exec, s[6:7]
	s_cbranch_execnz .LBB2_23600
; %bb.59437:
	s_getpc_b64 s[14:15]
.Lpost_getpc33302:
	s_add_u32 s14, s14, (.LBB2_9262-.Lpost_getpc33302)&4294967295
	s_addc_u32 s15, s15, (.LBB2_9262-.Lpost_getpc33302)>>32
	s_setpc_b64 s[14:15]
.LBB2_23600:
	v_mov_b32_e32 v12, 0
	v_cmp_ne_u16_sdwa s[8:9], v6, v12 src0_sel:BYTE_0 src1_sel:DWORD
	s_andn2_b64 s[4:5], s[4:5], exec
	s_and_b64 s[8:9], s[8:9], exec
	s_or_b64 s[4:5], s[4:5], s[8:9]
	s_or_b64 exec, exec, s[6:7]
	s_and_saveexec_b64 s[6:7], s[4:5]
	s_cbranch_execz .LBB2_33303
; %bb.59439:
	s_getpc_b64 s[14:15]
.Lpost_getpc33303:
	s_add_u32 s14, s14, (.LBB2_9263-.Lpost_getpc33303)&4294967295
	s_addc_u32 s15, s15, (.LBB2_9263-.Lpost_getpc33303)>>32
	s_setpc_b64 s[14:15]
.LBB2_33303:
	s_getpc_b64 s[14:15]
.Lpost_getpc20235:
	s_add_u32 s14, s14, (.LBB2_9264-.Lpost_getpc20235)&4294967295
	s_addc_u32 s15, s15, (.LBB2_9264-.Lpost_getpc20235)>>32
	s_setpc_b64 s[14:15]
.LBB2_23601:
	s_movk_i32 s4, 0x80
	v_cmp_eq_u16_e32 vcc, s4, v6
	s_mov_b64 s[4:5], -1
                                        ; implicit-def: $sgpr10
	s_and_saveexec_b64 s[8:9], vcc
; %bb.23602:
	s_mov_b32 s10, 0x7f800001
	s_xor_b64 s[4:5], exec, -1
; %bb.23603:
	s_or_b64 exec, exec, s[8:9]
	s_and_b64 s[4:5], s[4:5], exec
                                        ; implicit-def: $vgpr6
	s_or_saveexec_b64 s[6:7], s[6:7]
	v_mov_b32_e32 v2, s10
	s_xor_b64 exec, exec, s[6:7]
	s_cbranch_execnz .LBB2_23604
; %bb.59441:
	s_getpc_b64 s[14:15]
.Lpost_getpc33304:
	s_add_u32 s14, s14, (.LBB2_9266-.Lpost_getpc33304)&4294967295
	s_addc_u32 s15, s15, (.LBB2_9266-.Lpost_getpc33304)>>32
	s_setpc_b64 s[14:15]
.LBB2_23604:
	v_cmp_ne_u16_e32 vcc, 0, v6
	s_andn2_b64 s[4:5], s[4:5], exec
	s_and_b64 s[8:9], vcc, exec
	v_mov_b32_e32 v2, 0
	s_or_b64 s[4:5], s[4:5], s[8:9]
	s_or_b64 exec, exec, s[6:7]
	s_and_saveexec_b64 s[6:7], s[4:5]
	s_cbranch_execz .LBB2_33305
; %bb.59443:
	s_getpc_b64 s[14:15]
.Lpost_getpc33305:
	s_add_u32 s14, s14, (.LBB2_9267-.Lpost_getpc33305)&4294967295
	s_addc_u32 s15, s15, (.LBB2_9267-.Lpost_getpc33305)>>32
	s_setpc_b64 s[14:15]
.LBB2_33305:
	s_getpc_b64 s[14:15]
.Lpost_getpc20236:
	s_add_u32 s14, s14, (.LBB2_9268-.Lpost_getpc20236)&4294967295
	s_addc_u32 s15, s15, (.LBB2_9268-.Lpost_getpc20236)>>32
	s_setpc_b64 s[14:15]
.LBB2_23605:
	s_movk_i32 s4, 0x80
	v_cmp_eq_u16_e32 vcc, s4, v6
	s_mov_b64 s[4:5], -1
                                        ; implicit-def: $sgpr10
	s_and_saveexec_b64 s[8:9], vcc
; %bb.23606:
	s_mov_b32 s10, 0x7f800001
	s_xor_b64 s[4:5], exec, -1
; %bb.23607:
	s_or_b64 exec, exec, s[8:9]
	s_and_b64 s[4:5], s[4:5], exec
                                        ; implicit-def: $vgpr6
	s_or_saveexec_b64 s[6:7], s[6:7]
	v_mov_b32_e32 v12, s10
	s_xor_b64 exec, exec, s[6:7]
	s_cbranch_execnz .LBB2_23608
; %bb.59445:
	s_getpc_b64 s[14:15]
.Lpost_getpc33306:
	s_add_u32 s14, s14, (.LBB2_9270-.Lpost_getpc33306)&4294967295
	s_addc_u32 s15, s15, (.LBB2_9270-.Lpost_getpc33306)>>32
	s_setpc_b64 s[14:15]
.LBB2_23608:
	v_cmp_ne_u16_e32 vcc, 0, v6
	s_andn2_b64 s[4:5], s[4:5], exec
	s_and_b64 s[8:9], vcc, exec
	v_mov_b32_e32 v12, 0
	s_or_b64 s[4:5], s[4:5], s[8:9]
	s_or_b64 exec, exec, s[6:7]
	s_and_saveexec_b64 s[6:7], s[4:5]
	s_cbranch_execz .LBB2_33307
; %bb.59447:
	s_getpc_b64 s[14:15]
.Lpost_getpc33307:
	s_add_u32 s14, s14, (.LBB2_9271-.Lpost_getpc33307)&4294967295
	s_addc_u32 s15, s15, (.LBB2_9271-.Lpost_getpc33307)>>32
	s_setpc_b64 s[14:15]
.LBB2_33307:
	s_getpc_b64 s[14:15]
.Lpost_getpc20237:
	s_add_u32 s14, s14, (.LBB2_9272-.Lpost_getpc20237)&4294967295
	s_addc_u32 s15, s15, (.LBB2_9272-.Lpost_getpc20237)>>32
	s_setpc_b64 s[14:15]
.LBB2_23609:
	s_movk_i32 s4, 0x80
	v_cmp_eq_u16_sdwa s[12:13], v7, s4 src0_sel:BYTE_3 src1_sel:DWORD
	s_mov_b64 s[4:5], -1
                                        ; implicit-def: $sgpr10
	s_and_saveexec_b64 s[8:9], s[12:13]
; %bb.23610:
	s_mov_b32 s10, 0x7f800001
	s_xor_b64 s[4:5], exec, -1
; %bb.23611:
	s_or_b64 exec, exec, s[8:9]
	s_and_b64 s[4:5], s[4:5], exec
	s_or_saveexec_b64 s[6:7], s[6:7]
	v_mov_b32_e32 v2, s10
	s_xor_b64 exec, exec, s[6:7]
	s_cbranch_execnz .LBB2_23612
; %bb.59449:
	s_getpc_b64 s[14:15]
.Lpost_getpc33308:
	s_add_u32 s14, s14, (.LBB2_9274-.Lpost_getpc33308)&4294967295
	s_addc_u32 s15, s15, (.LBB2_9274-.Lpost_getpc33308)>>32
	s_setpc_b64 s[14:15]
.LBB2_23612:
	v_mov_b32_e32 v2, 0
	v_cmp_ne_u16_sdwa s[8:9], v7, v2 src0_sel:BYTE_3 src1_sel:DWORD
	s_andn2_b64 s[4:5], s[4:5], exec
	s_and_b64 s[8:9], s[8:9], exec
	s_or_b64 s[4:5], s[4:5], s[8:9]
	s_or_b64 exec, exec, s[6:7]
	s_and_saveexec_b64 s[6:7], s[4:5]
	s_cbranch_execz .LBB2_33309
; %bb.59451:
	s_getpc_b64 s[14:15]
.Lpost_getpc33309:
	s_add_u32 s14, s14, (.LBB2_9275-.Lpost_getpc33309)&4294967295
	s_addc_u32 s15, s15, (.LBB2_9275-.Lpost_getpc33309)>>32
	s_setpc_b64 s[14:15]
.LBB2_33309:
	s_getpc_b64 s[14:15]
.Lpost_getpc20238:
	s_add_u32 s14, s14, (.LBB2_9276-.Lpost_getpc20238)&4294967295
	s_addc_u32 s15, s15, (.LBB2_9276-.Lpost_getpc20238)>>32
	s_setpc_b64 s[14:15]
.LBB2_23613:
	s_movk_i32 s4, 0x80
	v_cmp_eq_u16_sdwa s[12:13], v3, s4 src0_sel:BYTE_3 src1_sel:DWORD
	s_mov_b64 s[4:5], -1
                                        ; implicit-def: $sgpr10
	s_and_saveexec_b64 s[8:9], s[12:13]
; %bb.23614:
	s_mov_b32 s10, 0x7f800001
	s_xor_b64 s[4:5], exec, -1
; %bb.23615:
	s_or_b64 exec, exec, s[8:9]
	s_and_b64 s[4:5], s[4:5], exec
	s_or_saveexec_b64 s[6:7], s[6:7]
	v_mov_b32_e32 v6, s10
	s_xor_b64 exec, exec, s[6:7]
	s_cbranch_execnz .LBB2_23616
; %bb.59453:
	s_getpc_b64 s[14:15]
.Lpost_getpc33310:
	s_add_u32 s14, s14, (.LBB2_9278-.Lpost_getpc33310)&4294967295
	s_addc_u32 s15, s15, (.LBB2_9278-.Lpost_getpc33310)>>32
	s_setpc_b64 s[14:15]
.LBB2_23616:
	v_mov_b32_e32 v6, 0
	v_cmp_ne_u16_sdwa s[8:9], v3, v6 src0_sel:BYTE_3 src1_sel:DWORD
	s_andn2_b64 s[4:5], s[4:5], exec
	s_and_b64 s[8:9], s[8:9], exec
	s_or_b64 s[4:5], s[4:5], s[8:9]
	s_or_b64 exec, exec, s[6:7]
	s_and_saveexec_b64 s[6:7], s[4:5]
	s_cbranch_execz .LBB2_33311
; %bb.59455:
	s_getpc_b64 s[14:15]
.Lpost_getpc33311:
	s_add_u32 s14, s14, (.LBB2_9279-.Lpost_getpc33311)&4294967295
	s_addc_u32 s15, s15, (.LBB2_9279-.Lpost_getpc33311)>>32
	s_setpc_b64 s[14:15]
.LBB2_33311:
	s_getpc_b64 s[14:15]
.Lpost_getpc20239:
	s_add_u32 s14, s14, (.LBB2_9280-.Lpost_getpc20239)&4294967295
	s_addc_u32 s15, s15, (.LBB2_9280-.Lpost_getpc20239)>>32
	s_setpc_b64 s[14:15]
.LBB2_23617:
	s_movk_i32 s4, 0x80
	v_cmp_eq_u16_sdwa s[12:13], v8, s4 src0_sel:BYTE_0 src1_sel:DWORD
	s_mov_b64 s[4:5], -1
                                        ; implicit-def: $sgpr10
	s_and_saveexec_b64 s[8:9], s[12:13]
; %bb.23618:
	s_mov_b32 s10, 0x7f800001
	s_xor_b64 s[4:5], exec, -1
; %bb.23619:
	s_or_b64 exec, exec, s[8:9]
	s_and_b64 s[4:5], s[4:5], exec
	s_or_saveexec_b64 s[6:7], s[6:7]
	v_mov_b32_e32 v2, s10
	s_xor_b64 exec, exec, s[6:7]
	s_cbranch_execnz .LBB2_23620
; %bb.59457:
	s_getpc_b64 s[14:15]
.Lpost_getpc33312:
	s_add_u32 s14, s14, (.LBB2_9282-.Lpost_getpc33312)&4294967295
	s_addc_u32 s15, s15, (.LBB2_9282-.Lpost_getpc33312)>>32
	s_setpc_b64 s[14:15]
.LBB2_23620:
	v_mov_b32_e32 v2, 0
	v_cmp_ne_u16_sdwa s[8:9], v8, v2 src0_sel:BYTE_0 src1_sel:DWORD
	s_andn2_b64 s[4:5], s[4:5], exec
	s_and_b64 s[8:9], s[8:9], exec
	s_or_b64 s[4:5], s[4:5], s[8:9]
	s_or_b64 exec, exec, s[6:7]
	s_and_saveexec_b64 s[6:7], s[4:5]
	s_cbranch_execz .LBB2_33313
; %bb.59459:
	s_getpc_b64 s[14:15]
.Lpost_getpc33313:
	s_add_u32 s14, s14, (.LBB2_9283-.Lpost_getpc33313)&4294967295
	s_addc_u32 s15, s15, (.LBB2_9283-.Lpost_getpc33313)>>32
	s_setpc_b64 s[14:15]
.LBB2_33313:
	s_getpc_b64 s[14:15]
.Lpost_getpc20240:
	s_add_u32 s14, s14, (.LBB2_9284-.Lpost_getpc20240)&4294967295
	s_addc_u32 s15, s15, (.LBB2_9284-.Lpost_getpc20240)>>32
	s_setpc_b64 s[14:15]
.LBB2_23621:
	s_movk_i32 s4, 0x80
	v_cmp_eq_u16_sdwa s[12:13], v4, s4 src0_sel:BYTE_0 src1_sel:DWORD
	s_mov_b64 s[4:5], -1
                                        ; implicit-def: $sgpr10
	s_and_saveexec_b64 s[8:9], s[12:13]
; %bb.23622:
	s_mov_b32 s10, 0x7f800001
	s_xor_b64 s[4:5], exec, -1
; %bb.23623:
	s_or_b64 exec, exec, s[8:9]
	s_and_b64 s[4:5], s[4:5], exec
	s_or_saveexec_b64 s[6:7], s[6:7]
	v_mov_b32_e32 v3, s10
	s_xor_b64 exec, exec, s[6:7]
	s_cbranch_execnz .LBB2_23624
; %bb.59461:
	s_getpc_b64 s[14:15]
.Lpost_getpc33314:
	s_add_u32 s14, s14, (.LBB2_9286-.Lpost_getpc33314)&4294967295
	s_addc_u32 s15, s15, (.LBB2_9286-.Lpost_getpc33314)>>32
	s_setpc_b64 s[14:15]
.LBB2_23624:
	v_mov_b32_e32 v3, 0
	v_cmp_ne_u16_sdwa s[8:9], v4, v3 src0_sel:BYTE_0 src1_sel:DWORD
	s_andn2_b64 s[4:5], s[4:5], exec
	s_and_b64 s[8:9], s[8:9], exec
	s_or_b64 s[4:5], s[4:5], s[8:9]
	s_or_b64 exec, exec, s[6:7]
	s_and_saveexec_b64 s[6:7], s[4:5]
	s_cbranch_execz .LBB2_33315
; %bb.59463:
	s_getpc_b64 s[14:15]
.Lpost_getpc33315:
	s_add_u32 s14, s14, (.LBB2_9287-.Lpost_getpc33315)&4294967295
	s_addc_u32 s15, s15, (.LBB2_9287-.Lpost_getpc33315)>>32
	s_setpc_b64 s[14:15]
.LBB2_33315:
	s_getpc_b64 s[14:15]
.Lpost_getpc20241:
	s_add_u32 s14, s14, (.LBB2_9288-.Lpost_getpc20241)&4294967295
	s_addc_u32 s15, s15, (.LBB2_9288-.Lpost_getpc20241)>>32
	s_setpc_b64 s[14:15]
.LBB2_23625:
	s_movk_i32 s4, 0x80
	v_cmp_eq_u16_sdwa s[12:13], v3, s4 src0_sel:BYTE_0 src1_sel:DWORD
	s_mov_b64 s[4:5], -1
                                        ; implicit-def: $sgpr10
	s_and_saveexec_b64 s[8:9], s[12:13]
; %bb.23626:
	s_mov_b32 s10, 0x7f800001
	s_xor_b64 s[4:5], exec, -1
; %bb.23627:
	s_or_b64 exec, exec, s[8:9]
	s_and_b64 s[4:5], s[4:5], exec
	s_or_saveexec_b64 s[6:7], s[6:7]
	v_mov_b32_e32 v2, s10
	s_xor_b64 exec, exec, s[6:7]
	s_cbranch_execnz .LBB2_23628
; %bb.59465:
	s_getpc_b64 s[14:15]
.Lpost_getpc33316:
	s_add_u32 s14, s14, (.LBB2_9290-.Lpost_getpc33316)&4294967295
	s_addc_u32 s15, s15, (.LBB2_9290-.Lpost_getpc33316)>>32
	s_setpc_b64 s[14:15]
.LBB2_23628:
	v_mov_b32_e32 v2, 0
	v_cmp_ne_u16_sdwa s[8:9], v3, v2 src0_sel:BYTE_0 src1_sel:DWORD
	s_andn2_b64 s[4:5], s[4:5], exec
	s_and_b64 s[8:9], s[8:9], exec
	s_or_b64 s[4:5], s[4:5], s[8:9]
	s_or_b64 exec, exec, s[6:7]
	s_and_saveexec_b64 s[6:7], s[4:5]
	s_cbranch_execz .LBB2_33317
; %bb.59467:
	s_getpc_b64 s[14:15]
.Lpost_getpc33317:
	s_add_u32 s14, s14, (.LBB2_9291-.Lpost_getpc33317)&4294967295
	s_addc_u32 s15, s15, (.LBB2_9291-.Lpost_getpc33317)>>32
	s_setpc_b64 s[14:15]
.LBB2_33317:
	s_getpc_b64 s[14:15]
.Lpost_getpc20242:
	s_add_u32 s14, s14, (.LBB2_9292-.Lpost_getpc20242)&4294967295
	s_addc_u32 s15, s15, (.LBB2_9292-.Lpost_getpc20242)>>32
	s_setpc_b64 s[14:15]
.LBB2_23629:
	s_movk_i32 s4, 0x80
	v_cmp_eq_u16_sdwa s[12:13], v3, s4 src0_sel:BYTE_0 src1_sel:DWORD
	s_mov_b64 s[4:5], -1
                                        ; implicit-def: $sgpr10
	s_and_saveexec_b64 s[8:9], s[12:13]
; %bb.23630:
	s_mov_b32 s10, 0x7f800001
	s_xor_b64 s[4:5], exec, -1
; %bb.23631:
	s_or_b64 exec, exec, s[8:9]
	s_and_b64 s[4:5], s[4:5], exec
	s_or_saveexec_b64 s[6:7], s[6:7]
	v_mov_b32_e32 v6, s10
	s_xor_b64 exec, exec, s[6:7]
	s_cbranch_execnz .LBB2_23632
; %bb.59469:
	s_getpc_b64 s[14:15]
.Lpost_getpc33318:
	s_add_u32 s14, s14, (.LBB2_9294-.Lpost_getpc33318)&4294967295
	s_addc_u32 s15, s15, (.LBB2_9294-.Lpost_getpc33318)>>32
	s_setpc_b64 s[14:15]
.LBB2_23632:
	v_mov_b32_e32 v6, 0
	v_cmp_ne_u16_sdwa s[8:9], v3, v6 src0_sel:BYTE_0 src1_sel:DWORD
	s_andn2_b64 s[4:5], s[4:5], exec
	s_and_b64 s[8:9], s[8:9], exec
	s_or_b64 s[4:5], s[4:5], s[8:9]
	s_or_b64 exec, exec, s[6:7]
	s_and_saveexec_b64 s[6:7], s[4:5]
	s_cbranch_execz .LBB2_33319
; %bb.59471:
	s_getpc_b64 s[14:15]
.Lpost_getpc33319:
	s_add_u32 s14, s14, (.LBB2_9295-.Lpost_getpc33319)&4294967295
	s_addc_u32 s15, s15, (.LBB2_9295-.Lpost_getpc33319)>>32
	s_setpc_b64 s[14:15]
.LBB2_33319:
	s_getpc_b64 s[14:15]
.Lpost_getpc20243:
	s_add_u32 s14, s14, (.LBB2_9296-.Lpost_getpc20243)&4294967295
	s_addc_u32 s15, s15, (.LBB2_9296-.Lpost_getpc20243)>>32
	s_setpc_b64 s[14:15]
.LBB2_23633:
	s_movk_i32 s4, 0x80
	v_cmp_eq_u16_e32 vcc, s4, v3
	s_mov_b64 s[4:5], -1
                                        ; implicit-def: $sgpr10
	s_and_saveexec_b64 s[8:9], vcc
; %bb.23634:
	s_mov_b32 s10, 0x7f800001
	s_xor_b64 s[4:5], exec, -1
; %bb.23635:
	s_or_b64 exec, exec, s[8:9]
	s_and_b64 s[4:5], s[4:5], exec
                                        ; implicit-def: $vgpr3
	s_or_saveexec_b64 s[6:7], s[6:7]
	v_mov_b32_e32 v2, s10
	s_xor_b64 exec, exec, s[6:7]
	s_cbranch_execnz .LBB2_23636
; %bb.59473:
	s_getpc_b64 s[14:15]
.Lpost_getpc33320:
	s_add_u32 s14, s14, (.LBB2_9298-.Lpost_getpc33320)&4294967295
	s_addc_u32 s15, s15, (.LBB2_9298-.Lpost_getpc33320)>>32
	s_setpc_b64 s[14:15]
.LBB2_23636:
	v_cmp_ne_u16_e32 vcc, 0, v3
	s_andn2_b64 s[4:5], s[4:5], exec
	s_and_b64 s[8:9], vcc, exec
	v_mov_b32_e32 v2, 0
	s_or_b64 s[4:5], s[4:5], s[8:9]
	s_or_b64 exec, exec, s[6:7]
	s_and_saveexec_b64 s[6:7], s[4:5]
	s_cbranch_execz .LBB2_33321
; %bb.59475:
	s_getpc_b64 s[14:15]
.Lpost_getpc33321:
	s_add_u32 s14, s14, (.LBB2_9299-.Lpost_getpc33321)&4294967295
	s_addc_u32 s15, s15, (.LBB2_9299-.Lpost_getpc33321)>>32
	s_setpc_b64 s[14:15]
.LBB2_33321:
	s_getpc_b64 s[14:15]
.Lpost_getpc20244:
	s_add_u32 s14, s14, (.LBB2_9300-.Lpost_getpc20244)&4294967295
	s_addc_u32 s15, s15, (.LBB2_9300-.Lpost_getpc20244)>>32
	s_setpc_b64 s[14:15]
.LBB2_23637:
	s_movk_i32 s4, 0x80
	v_cmp_eq_u16_e32 vcc, s4, v3
	s_mov_b64 s[4:5], -1
                                        ; implicit-def: $sgpr10
	s_and_saveexec_b64 s[8:9], vcc
; %bb.23638:
	s_mov_b32 s10, 0x7f800001
	s_xor_b64 s[4:5], exec, -1
; %bb.23639:
	s_or_b64 exec, exec, s[8:9]
	s_and_b64 s[4:5], s[4:5], exec
                                        ; implicit-def: $vgpr3
	s_or_saveexec_b64 s[6:7], s[6:7]
	v_mov_b32_e32 v6, s10
	s_xor_b64 exec, exec, s[6:7]
	s_cbranch_execnz .LBB2_23640
; %bb.59477:
	s_getpc_b64 s[14:15]
.Lpost_getpc33322:
	s_add_u32 s14, s14, (.LBB2_9302-.Lpost_getpc33322)&4294967295
	s_addc_u32 s15, s15, (.LBB2_9302-.Lpost_getpc33322)>>32
	s_setpc_b64 s[14:15]
.LBB2_23640:
	v_cmp_ne_u16_e32 vcc, 0, v3
	s_andn2_b64 s[4:5], s[4:5], exec
	s_and_b64 s[8:9], vcc, exec
	v_mov_b32_e32 v6, 0
	s_or_b64 s[4:5], s[4:5], s[8:9]
	s_or_b64 exec, exec, s[6:7]
	s_and_saveexec_b64 s[6:7], s[4:5]
	s_cbranch_execz .LBB2_33323
; %bb.59479:
	s_getpc_b64 s[14:15]
.Lpost_getpc33323:
	s_add_u32 s14, s14, (.LBB2_9303-.Lpost_getpc33323)&4294967295
	s_addc_u32 s15, s15, (.LBB2_9303-.Lpost_getpc33323)>>32
	s_setpc_b64 s[14:15]
.LBB2_33323:
	s_getpc_b64 s[14:15]
.Lpost_getpc20245:
	s_add_u32 s14, s14, (.LBB2_9304-.Lpost_getpc20245)&4294967295
	s_addc_u32 s15, s15, (.LBB2_9304-.Lpost_getpc20245)>>32
	s_setpc_b64 s[14:15]
.LBB2_23641:
	s_movk_i32 s4, 0x80
	v_cmp_eq_u16_sdwa s[12:13], v8, s4 src0_sel:BYTE_3 src1_sel:DWORD
	s_mov_b64 s[4:5], -1
                                        ; implicit-def: $sgpr10
	s_and_saveexec_b64 s[8:9], s[12:13]
; %bb.23642:
	s_mov_b32 s10, 0x7f800001
	s_xor_b64 s[4:5], exec, -1
; %bb.23643:
	s_or_b64 exec, exec, s[8:9]
	s_and_b64 s[4:5], s[4:5], exec
	s_or_saveexec_b64 s[6:7], s[6:7]
	v_mov_b32_e32 v2, s10
	s_xor_b64 exec, exec, s[6:7]
	s_cbranch_execnz .LBB2_23644
; %bb.59481:
	s_getpc_b64 s[14:15]
.Lpost_getpc33324:
	s_add_u32 s14, s14, (.LBB2_9306-.Lpost_getpc33324)&4294967295
	s_addc_u32 s15, s15, (.LBB2_9306-.Lpost_getpc33324)>>32
	s_setpc_b64 s[14:15]
.LBB2_23644:
	v_mov_b32_e32 v2, 0
	v_cmp_ne_u16_sdwa s[8:9], v8, v2 src0_sel:BYTE_3 src1_sel:DWORD
	s_andn2_b64 s[4:5], s[4:5], exec
	s_and_b64 s[8:9], s[8:9], exec
	s_or_b64 s[4:5], s[4:5], s[8:9]
	s_or_b64 exec, exec, s[6:7]
	s_and_saveexec_b64 s[6:7], s[4:5]
	s_cbranch_execz .LBB2_33325
; %bb.59483:
	s_getpc_b64 s[14:15]
.Lpost_getpc33325:
	s_add_u32 s14, s14, (.LBB2_9307-.Lpost_getpc33325)&4294967295
	s_addc_u32 s15, s15, (.LBB2_9307-.Lpost_getpc33325)>>32
	s_setpc_b64 s[14:15]
.LBB2_33325:
	s_getpc_b64 s[14:15]
.Lpost_getpc20246:
	s_add_u32 s14, s14, (.LBB2_9308-.Lpost_getpc20246)&4294967295
	s_addc_u32 s15, s15, (.LBB2_9308-.Lpost_getpc20246)>>32
	s_setpc_b64 s[14:15]
.LBB2_23645:
	s_movk_i32 s4, 0x80
	v_cmp_eq_u16_sdwa s[12:13], v4, s4 src0_sel:BYTE_3 src1_sel:DWORD
	s_mov_b64 s[4:5], -1
                                        ; implicit-def: $sgpr10
	s_and_saveexec_b64 s[8:9], s[12:13]
; %bb.23646:
	s_mov_b32 s10, 0x7f800001
	s_xor_b64 s[4:5], exec, -1
; %bb.23647:
	s_or_b64 exec, exec, s[8:9]
	s_and_b64 s[4:5], s[4:5], exec
	s_or_saveexec_b64 s[6:7], s[6:7]
	v_mov_b32_e32 v3, s10
	s_xor_b64 exec, exec, s[6:7]
	s_cbranch_execnz .LBB2_23648
; %bb.59485:
	s_getpc_b64 s[14:15]
.Lpost_getpc33326:
	s_add_u32 s14, s14, (.LBB2_9310-.Lpost_getpc33326)&4294967295
	s_addc_u32 s15, s15, (.LBB2_9310-.Lpost_getpc33326)>>32
	s_setpc_b64 s[14:15]
.LBB2_23648:
	v_mov_b32_e32 v3, 0
	v_cmp_ne_u16_sdwa s[8:9], v4, v3 src0_sel:BYTE_3 src1_sel:DWORD
	s_andn2_b64 s[4:5], s[4:5], exec
	s_and_b64 s[8:9], s[8:9], exec
	s_or_b64 s[4:5], s[4:5], s[8:9]
	s_or_b64 exec, exec, s[6:7]
	s_and_saveexec_b64 s[6:7], s[4:5]
	s_cbranch_execz .LBB2_33327
; %bb.59487:
	s_getpc_b64 s[14:15]
.Lpost_getpc33327:
	s_add_u32 s14, s14, (.LBB2_9311-.Lpost_getpc33327)&4294967295
	s_addc_u32 s15, s15, (.LBB2_9311-.Lpost_getpc33327)>>32
	s_setpc_b64 s[14:15]
.LBB2_33327:
	s_getpc_b64 s[14:15]
.Lpost_getpc20247:
	s_add_u32 s14, s14, (.LBB2_9312-.Lpost_getpc20247)&4294967295
	s_addc_u32 s15, s15, (.LBB2_9312-.Lpost_getpc20247)>>32
	s_setpc_b64 s[14:15]
.LBB2_23649:
	s_movk_i32 s4, 0x80
	v_cmp_eq_u16_sdwa s[12:13], v9, s4 src0_sel:BYTE_0 src1_sel:DWORD
	s_mov_b64 s[4:5], -1
                                        ; implicit-def: $sgpr10
	s_and_saveexec_b64 s[8:9], s[12:13]
; %bb.23650:
	s_mov_b32 s10, 0x7f800001
	s_xor_b64 s[4:5], exec, -1
; %bb.23651:
	s_or_b64 exec, exec, s[8:9]
	s_and_b64 s[4:5], s[4:5], exec
	s_or_saveexec_b64 s[6:7], s[6:7]
	v_mov_b32_e32 v2, s10
	s_xor_b64 exec, exec, s[6:7]
	s_cbranch_execnz .LBB2_23652
; %bb.59489:
	s_getpc_b64 s[14:15]
.Lpost_getpc33328:
	s_add_u32 s14, s14, (.LBB2_9314-.Lpost_getpc33328)&4294967295
	s_addc_u32 s15, s15, (.LBB2_9314-.Lpost_getpc33328)>>32
	s_setpc_b64 s[14:15]
.LBB2_23652:
	v_mov_b32_e32 v2, 0
	v_cmp_ne_u16_sdwa s[8:9], v9, v2 src0_sel:BYTE_0 src1_sel:DWORD
	s_andn2_b64 s[4:5], s[4:5], exec
	s_and_b64 s[8:9], s[8:9], exec
	s_or_b64 s[4:5], s[4:5], s[8:9]
	s_or_b64 exec, exec, s[6:7]
	s_and_saveexec_b64 s[6:7], s[4:5]
	s_cbranch_execz .LBB2_33329
; %bb.59491:
	s_getpc_b64 s[14:15]
.Lpost_getpc33329:
	s_add_u32 s14, s14, (.LBB2_9315-.Lpost_getpc33329)&4294967295
	s_addc_u32 s15, s15, (.LBB2_9315-.Lpost_getpc33329)>>32
	s_setpc_b64 s[14:15]
.LBB2_33329:
	s_getpc_b64 s[14:15]
.Lpost_getpc20248:
	s_add_u32 s14, s14, (.LBB2_9316-.Lpost_getpc20248)&4294967295
	s_addc_u32 s15, s15, (.LBB2_9316-.Lpost_getpc20248)>>32
	s_setpc_b64 s[14:15]
.LBB2_23653:
	s_movk_i32 s4, 0x80
	v_cmp_eq_u16_sdwa s[12:13], v5, s4 src0_sel:BYTE_0 src1_sel:DWORD
	s_mov_b64 s[4:5], -1
                                        ; implicit-def: $sgpr10
	s_and_saveexec_b64 s[8:9], s[12:13]
; %bb.23654:
	s_mov_b32 s10, 0x7f800001
	s_xor_b64 s[4:5], exec, -1
; %bb.23655:
	s_or_b64 exec, exec, s[8:9]
	s_and_b64 s[4:5], s[4:5], exec
	s_or_saveexec_b64 s[6:7], s[6:7]
	v_mov_b32_e32 v3, s10
	s_xor_b64 exec, exec, s[6:7]
	s_cbranch_execnz .LBB2_23656
; %bb.59493:
	s_getpc_b64 s[14:15]
.Lpost_getpc33330:
	s_add_u32 s14, s14, (.LBB2_9318-.Lpost_getpc33330)&4294967295
	s_addc_u32 s15, s15, (.LBB2_9318-.Lpost_getpc33330)>>32
	s_setpc_b64 s[14:15]
.LBB2_23656:
	v_mov_b32_e32 v3, 0
	v_cmp_ne_u16_sdwa s[8:9], v5, v3 src0_sel:BYTE_0 src1_sel:DWORD
	s_andn2_b64 s[4:5], s[4:5], exec
	s_and_b64 s[8:9], s[8:9], exec
	s_or_b64 s[4:5], s[4:5], s[8:9]
	s_or_b64 exec, exec, s[6:7]
	s_and_saveexec_b64 s[6:7], s[4:5]
	s_cbranch_execz .LBB2_33331
; %bb.59495:
	s_getpc_b64 s[14:15]
.Lpost_getpc33331:
	s_add_u32 s14, s14, (.LBB2_9319-.Lpost_getpc33331)&4294967295
	s_addc_u32 s15, s15, (.LBB2_9319-.Lpost_getpc33331)>>32
	s_setpc_b64 s[14:15]
.LBB2_33331:
	s_getpc_b64 s[14:15]
.Lpost_getpc20249:
	s_add_u32 s14, s14, (.LBB2_9320-.Lpost_getpc20249)&4294967295
	s_addc_u32 s15, s15, (.LBB2_9320-.Lpost_getpc20249)>>32
	s_setpc_b64 s[14:15]
.LBB2_23657:
	s_movk_i32 s4, 0x80
	v_cmp_eq_u16_sdwa s[12:13], v3, s4 src0_sel:BYTE_0 src1_sel:DWORD
	s_mov_b64 s[4:5], -1
                                        ; implicit-def: $sgpr10
	s_and_saveexec_b64 s[8:9], s[12:13]
; %bb.23658:
	s_mov_b32 s10, 0x7f800001
	s_xor_b64 s[4:5], exec, -1
; %bb.23659:
	s_or_b64 exec, exec, s[8:9]
	s_and_b64 s[4:5], s[4:5], exec
	s_or_saveexec_b64 s[6:7], s[6:7]
	v_mov_b32_e32 v2, s10
	s_xor_b64 exec, exec, s[6:7]
	s_cbranch_execnz .LBB2_23660
; %bb.59497:
	s_getpc_b64 s[14:15]
.Lpost_getpc33332:
	s_add_u32 s14, s14, (.LBB2_9322-.Lpost_getpc33332)&4294967295
	s_addc_u32 s15, s15, (.LBB2_9322-.Lpost_getpc33332)>>32
	s_setpc_b64 s[14:15]
.LBB2_23660:
	v_mov_b32_e32 v2, 0
	v_cmp_ne_u16_sdwa s[8:9], v3, v2 src0_sel:BYTE_0 src1_sel:DWORD
	s_andn2_b64 s[4:5], s[4:5], exec
	s_and_b64 s[8:9], s[8:9], exec
	s_or_b64 s[4:5], s[4:5], s[8:9]
	s_or_b64 exec, exec, s[6:7]
	s_and_saveexec_b64 s[6:7], s[4:5]
	s_cbranch_execz .LBB2_33333
; %bb.59499:
	s_getpc_b64 s[14:15]
.Lpost_getpc33333:
	s_add_u32 s14, s14, (.LBB2_9323-.Lpost_getpc33333)&4294967295
	s_addc_u32 s15, s15, (.LBB2_9323-.Lpost_getpc33333)>>32
	s_setpc_b64 s[14:15]
.LBB2_33333:
	s_getpc_b64 s[14:15]
.Lpost_getpc20250:
	s_add_u32 s14, s14, (.LBB2_9324-.Lpost_getpc20250)&4294967295
	s_addc_u32 s15, s15, (.LBB2_9324-.Lpost_getpc20250)>>32
	s_setpc_b64 s[14:15]
.LBB2_23661:
	s_movk_i32 s4, 0x80
	v_cmp_eq_u16_sdwa s[12:13], v3, s4 src0_sel:BYTE_0 src1_sel:DWORD
	s_mov_b64 s[4:5], -1
                                        ; implicit-def: $sgpr10
	s_and_saveexec_b64 s[8:9], s[12:13]
; %bb.23662:
	s_mov_b32 s10, 0x7f800001
	s_xor_b64 s[4:5], exec, -1
; %bb.23663:
	s_or_b64 exec, exec, s[8:9]
	s_and_b64 s[4:5], s[4:5], exec
	s_or_saveexec_b64 s[6:7], s[6:7]
	v_mov_b32_e32 v4, s10
	s_xor_b64 exec, exec, s[6:7]
	s_cbranch_execnz .LBB2_23664
; %bb.59501:
	s_getpc_b64 s[14:15]
.Lpost_getpc33334:
	s_add_u32 s14, s14, (.LBB2_9326-.Lpost_getpc33334)&4294967295
	s_addc_u32 s15, s15, (.LBB2_9326-.Lpost_getpc33334)>>32
	s_setpc_b64 s[14:15]
.LBB2_23664:
	v_mov_b32_e32 v4, 0
	v_cmp_ne_u16_sdwa s[8:9], v3, v4 src0_sel:BYTE_0 src1_sel:DWORD
	s_andn2_b64 s[4:5], s[4:5], exec
	s_and_b64 s[8:9], s[8:9], exec
	s_or_b64 s[4:5], s[4:5], s[8:9]
	s_or_b64 exec, exec, s[6:7]
	s_and_saveexec_b64 s[6:7], s[4:5]
	s_cbranch_execz .LBB2_33335
; %bb.59503:
	s_getpc_b64 s[14:15]
.Lpost_getpc33335:
	s_add_u32 s14, s14, (.LBB2_9327-.Lpost_getpc33335)&4294967295
	s_addc_u32 s15, s15, (.LBB2_9327-.Lpost_getpc33335)>>32
	s_setpc_b64 s[14:15]
.LBB2_33335:
	s_getpc_b64 s[14:15]
.Lpost_getpc20251:
	s_add_u32 s14, s14, (.LBB2_9328-.Lpost_getpc20251)&4294967295
	s_addc_u32 s15, s15, (.LBB2_9328-.Lpost_getpc20251)>>32
	s_setpc_b64 s[14:15]
.LBB2_23665:
	s_movk_i32 s4, 0x80
	v_cmp_eq_u16_e32 vcc, s4, v3
	s_mov_b64 s[4:5], -1
                                        ; implicit-def: $sgpr10
	s_and_saveexec_b64 s[8:9], vcc
; %bb.23666:
	s_mov_b32 s10, 0x7f800001
	s_xor_b64 s[4:5], exec, -1
; %bb.23667:
	s_or_b64 exec, exec, s[8:9]
	s_and_b64 s[4:5], s[4:5], exec
                                        ; implicit-def: $vgpr3
	s_or_saveexec_b64 s[6:7], s[6:7]
	v_mov_b32_e32 v2, s10
	s_xor_b64 exec, exec, s[6:7]
	s_cbranch_execnz .LBB2_23668
; %bb.59505:
	s_getpc_b64 s[14:15]
.Lpost_getpc33336:
	s_add_u32 s14, s14, (.LBB2_9330-.Lpost_getpc33336)&4294967295
	s_addc_u32 s15, s15, (.LBB2_9330-.Lpost_getpc33336)>>32
	s_setpc_b64 s[14:15]
.LBB2_23668:
	v_cmp_ne_u16_e32 vcc, 0, v3
	s_andn2_b64 s[4:5], s[4:5], exec
	s_and_b64 s[8:9], vcc, exec
	v_mov_b32_e32 v2, 0
	s_or_b64 s[4:5], s[4:5], s[8:9]
	s_or_b64 exec, exec, s[6:7]
	s_and_saveexec_b64 s[6:7], s[4:5]
	s_cbranch_execz .LBB2_33337
; %bb.59507:
	s_getpc_b64 s[14:15]
.Lpost_getpc33337:
	s_add_u32 s14, s14, (.LBB2_9331-.Lpost_getpc33337)&4294967295
	s_addc_u32 s15, s15, (.LBB2_9331-.Lpost_getpc33337)>>32
	s_setpc_b64 s[14:15]
.LBB2_33337:
	s_getpc_b64 s[14:15]
.Lpost_getpc20252:
	s_add_u32 s14, s14, (.LBB2_9332-.Lpost_getpc20252)&4294967295
	s_addc_u32 s15, s15, (.LBB2_9332-.Lpost_getpc20252)>>32
	s_setpc_b64 s[14:15]
.LBB2_23669:
	s_movk_i32 s4, 0x80
	v_cmp_eq_u16_e32 vcc, s4, v3
	s_mov_b64 s[4:5], -1
                                        ; implicit-def: $sgpr10
	s_and_saveexec_b64 s[8:9], vcc
; %bb.23670:
	s_mov_b32 s10, 0x7f800001
	s_xor_b64 s[4:5], exec, -1
; %bb.23671:
	s_or_b64 exec, exec, s[8:9]
	s_and_b64 s[4:5], s[4:5], exec
                                        ; implicit-def: $vgpr3
	s_or_saveexec_b64 s[6:7], s[6:7]
	v_mov_b32_e32 v4, s10
	s_xor_b64 exec, exec, s[6:7]
	s_cbranch_execnz .LBB2_23672
; %bb.59509:
	s_getpc_b64 s[14:15]
.Lpost_getpc33338:
	s_add_u32 s14, s14, (.LBB2_9334-.Lpost_getpc33338)&4294967295
	s_addc_u32 s15, s15, (.LBB2_9334-.Lpost_getpc33338)>>32
	s_setpc_b64 s[14:15]
.LBB2_23672:
	v_cmp_ne_u16_e32 vcc, 0, v3
	s_andn2_b64 s[4:5], s[4:5], exec
	s_and_b64 s[8:9], vcc, exec
	v_mov_b32_e32 v4, 0
	s_or_b64 s[4:5], s[4:5], s[8:9]
	s_or_b64 exec, exec, s[6:7]
	s_and_saveexec_b64 s[6:7], s[4:5]
	s_cbranch_execz .LBB2_33339
; %bb.59511:
	s_getpc_b64 s[14:15]
.Lpost_getpc33339:
	s_add_u32 s14, s14, (.LBB2_9335-.Lpost_getpc33339)&4294967295
	s_addc_u32 s15, s15, (.LBB2_9335-.Lpost_getpc33339)>>32
	s_setpc_b64 s[14:15]
.LBB2_33339:
	s_getpc_b64 s[14:15]
.Lpost_getpc20253:
	s_add_u32 s14, s14, (.LBB2_9336-.Lpost_getpc20253)&4294967295
	s_addc_u32 s15, s15, (.LBB2_9336-.Lpost_getpc20253)>>32
	s_setpc_b64 s[14:15]
.LBB2_23673:
	s_movk_i32 s4, 0x80
	v_cmp_eq_u16_sdwa s[12:13], v9, s4 src0_sel:BYTE_3 src1_sel:DWORD
	s_mov_b64 s[4:5], -1
                                        ; implicit-def: $sgpr10
	s_and_saveexec_b64 s[8:9], s[12:13]
; %bb.23674:
	s_mov_b32 s10, 0x7f800001
	s_xor_b64 s[4:5], exec, -1
; %bb.23675:
	s_or_b64 exec, exec, s[8:9]
	s_and_b64 s[4:5], s[4:5], exec
	s_or_saveexec_b64 s[6:7], s[6:7]
	v_mov_b32_e32 v2, s10
	s_xor_b64 exec, exec, s[6:7]
	s_cbranch_execnz .LBB2_23676
; %bb.59513:
	s_getpc_b64 s[14:15]
.Lpost_getpc33340:
	s_add_u32 s14, s14, (.LBB2_9338-.Lpost_getpc33340)&4294967295
	s_addc_u32 s15, s15, (.LBB2_9338-.Lpost_getpc33340)>>32
	s_setpc_b64 s[14:15]
.LBB2_23676:
	v_mov_b32_e32 v2, 0
	v_cmp_ne_u16_sdwa s[8:9], v9, v2 src0_sel:BYTE_3 src1_sel:DWORD
	s_andn2_b64 s[4:5], s[4:5], exec
	s_and_b64 s[8:9], s[8:9], exec
	s_or_b64 s[4:5], s[4:5], s[8:9]
	s_or_b64 exec, exec, s[6:7]
	s_and_saveexec_b64 s[6:7], s[4:5]
	s_cbranch_execz .LBB2_33341
; %bb.59515:
	s_getpc_b64 s[14:15]
.Lpost_getpc33341:
	s_add_u32 s14, s14, (.LBB2_9339-.Lpost_getpc33341)&4294967295
	s_addc_u32 s15, s15, (.LBB2_9339-.Lpost_getpc33341)>>32
	s_setpc_b64 s[14:15]
.LBB2_33341:
	s_getpc_b64 s[14:15]
.Lpost_getpc20254:
	s_add_u32 s14, s14, (.LBB2_9340-.Lpost_getpc20254)&4294967295
	s_addc_u32 s15, s15, (.LBB2_9340-.Lpost_getpc20254)>>32
	s_setpc_b64 s[14:15]
.LBB2_23677:
	s_movk_i32 s4, 0x80
	v_cmp_eq_u16_sdwa s[12:13], v5, s4 src0_sel:BYTE_3 src1_sel:DWORD
	s_mov_b64 s[4:5], -1
                                        ; implicit-def: $sgpr10
	s_and_saveexec_b64 s[8:9], s[12:13]
; %bb.23678:
	s_mov_b32 s10, 0x7f800001
	s_xor_b64 s[4:5], exec, -1
; %bb.23679:
	s_or_b64 exec, exec, s[8:9]
	s_and_b64 s[4:5], s[4:5], exec
	s_or_saveexec_b64 s[6:7], s[6:7]
	v_mov_b32_e32 v3, s10
	s_xor_b64 exec, exec, s[6:7]
	s_cbranch_execnz .LBB2_23680
; %bb.59517:
	s_getpc_b64 s[14:15]
.Lpost_getpc33342:
	s_add_u32 s14, s14, (.LBB2_9342-.Lpost_getpc33342)&4294967295
	s_addc_u32 s15, s15, (.LBB2_9342-.Lpost_getpc33342)>>32
	s_setpc_b64 s[14:15]
.LBB2_23680:
	v_mov_b32_e32 v3, 0
	v_cmp_ne_u16_sdwa s[8:9], v5, v3 src0_sel:BYTE_3 src1_sel:DWORD
	s_andn2_b64 s[4:5], s[4:5], exec
	s_and_b64 s[8:9], s[8:9], exec
	s_or_b64 s[4:5], s[4:5], s[8:9]
	s_or_b64 exec, exec, s[6:7]
	s_and_saveexec_b64 s[6:7], s[4:5]
	s_cbranch_execz .LBB2_33343
; %bb.59519:
	s_getpc_b64 s[14:15]
.Lpost_getpc33343:
	s_add_u32 s14, s14, (.LBB2_9343-.Lpost_getpc33343)&4294967295
	s_addc_u32 s15, s15, (.LBB2_9343-.Lpost_getpc33343)>>32
	s_setpc_b64 s[14:15]
.LBB2_33343:
	s_getpc_b64 s[14:15]
.Lpost_getpc20255:
	s_add_u32 s14, s14, (.LBB2_9344-.Lpost_getpc20255)&4294967295
	s_addc_u32 s15, s15, (.LBB2_9344-.Lpost_getpc20255)>>32
	s_setpc_b64 s[14:15]
.LBB2_23681:
	s_movk_i32 s4, 0x80
	v_cmp_eq_u16_sdwa s[12:13], v6, s4 src0_sel:BYTE_0 src1_sel:DWORD
	s_mov_b64 s[4:5], -1
                                        ; implicit-def: $sgpr10
	s_and_saveexec_b64 s[8:9], s[12:13]
; %bb.23682:
	s_mov_b32 s10, 0x7f800001
	s_xor_b64 s[4:5], exec, -1
; %bb.23683:
	s_or_b64 exec, exec, s[8:9]
	s_and_b64 s[4:5], s[4:5], exec
	s_or_saveexec_b64 s[6:7], s[6:7]
	v_mov_b32_e32 v12, s10
	s_xor_b64 exec, exec, s[6:7]
	s_cbranch_execnz .LBB2_23684
; %bb.59521:
	s_getpc_b64 s[14:15]
.Lpost_getpc33344:
	s_add_u32 s14, s14, (.LBB2_9346-.Lpost_getpc33344)&4294967295
	s_addc_u32 s15, s15, (.LBB2_9346-.Lpost_getpc33344)>>32
	s_setpc_b64 s[14:15]
.LBB2_23684:
	v_mov_b32_e32 v12, 0
	v_cmp_ne_u16_sdwa s[8:9], v6, v12 src0_sel:BYTE_0 src1_sel:DWORD
	s_andn2_b64 s[4:5], s[4:5], exec
	s_and_b64 s[8:9], s[8:9], exec
	s_or_b64 s[4:5], s[4:5], s[8:9]
	s_or_b64 exec, exec, s[6:7]
	s_and_saveexec_b64 s[6:7], s[4:5]
	s_cbranch_execz .LBB2_33345
; %bb.59523:
	s_getpc_b64 s[14:15]
.Lpost_getpc33345:
	s_add_u32 s14, s14, (.LBB2_9347-.Lpost_getpc33345)&4294967295
	s_addc_u32 s15, s15, (.LBB2_9347-.Lpost_getpc33345)>>32
	s_setpc_b64 s[14:15]
.LBB2_33345:
	s_getpc_b64 s[14:15]
.Lpost_getpc20256:
	s_add_u32 s14, s14, (.LBB2_9348-.Lpost_getpc20256)&4294967295
	s_addc_u32 s15, s15, (.LBB2_9348-.Lpost_getpc20256)>>32
	s_setpc_b64 s[14:15]
.LBB2_23685:
	s_movk_i32 s4, 0x80
	v_cmp_eq_u16_sdwa s[12:13], v2, s4 src0_sel:BYTE_0 src1_sel:DWORD
	s_mov_b64 s[4:5], -1
                                        ; implicit-def: $sgpr10
	s_and_saveexec_b64 s[8:9], s[12:13]
; %bb.23686:
	s_mov_b32 s10, 0x7f800001
	s_xor_b64 s[4:5], exec, -1
; %bb.23687:
	s_or_b64 exec, exec, s[8:9]
	s_and_b64 s[4:5], s[4:5], exec
	s_or_saveexec_b64 s[6:7], s[6:7]
	v_mov_b32_e32 v13, s10
	s_xor_b64 exec, exec, s[6:7]
	s_cbranch_execnz .LBB2_23688
; %bb.59525:
	s_getpc_b64 s[14:15]
.Lpost_getpc33346:
	s_add_u32 s14, s14, (.LBB2_9350-.Lpost_getpc33346)&4294967295
	s_addc_u32 s15, s15, (.LBB2_9350-.Lpost_getpc33346)>>32
	s_setpc_b64 s[14:15]
.LBB2_23688:
	v_mov_b32_e32 v13, 0
	v_cmp_ne_u16_sdwa s[8:9], v2, v13 src0_sel:BYTE_0 src1_sel:DWORD
	s_andn2_b64 s[4:5], s[4:5], exec
	s_and_b64 s[8:9], s[8:9], exec
	s_or_b64 s[4:5], s[4:5], s[8:9]
	s_or_b64 exec, exec, s[6:7]
	s_and_saveexec_b64 s[6:7], s[4:5]
	s_cbranch_execz .LBB2_33347
; %bb.59527:
	s_getpc_b64 s[14:15]
.Lpost_getpc33347:
	s_add_u32 s14, s14, (.LBB2_9351-.Lpost_getpc33347)&4294967295
	s_addc_u32 s15, s15, (.LBB2_9351-.Lpost_getpc33347)>>32
	s_setpc_b64 s[14:15]
.LBB2_33347:
	s_getpc_b64 s[14:15]
.Lpost_getpc20257:
	s_add_u32 s14, s14, (.LBB2_9352-.Lpost_getpc20257)&4294967295
	s_addc_u32 s15, s15, (.LBB2_9352-.Lpost_getpc20257)>>32
	s_setpc_b64 s[14:15]
.LBB2_23689:
	s_movk_i32 s4, 0x80
	v_cmp_eq_u16_sdwa s[12:13], v13, s4 src0_sel:BYTE_0 src1_sel:DWORD
	s_mov_b64 s[4:5], -1
                                        ; implicit-def: $sgpr10
	s_and_saveexec_b64 s[8:9], s[12:13]
; %bb.23690:
	s_mov_b32 s10, 0x7f800001
	s_xor_b64 s[4:5], exec, -1
; %bb.23691:
	s_or_b64 exec, exec, s[8:9]
	s_and_b64 s[4:5], s[4:5], exec
	s_or_saveexec_b64 s[6:7], s[6:7]
	v_mov_b32_e32 v12, s10
	s_xor_b64 exec, exec, s[6:7]
	s_cbranch_execnz .LBB2_23692
; %bb.59529:
	s_getpc_b64 s[14:15]
.Lpost_getpc33348:
	s_add_u32 s14, s14, (.LBB2_9354-.Lpost_getpc33348)&4294967295
	s_addc_u32 s15, s15, (.LBB2_9354-.Lpost_getpc33348)>>32
	s_setpc_b64 s[14:15]
.LBB2_23692:
	v_mov_b32_e32 v12, 0
	v_cmp_ne_u16_sdwa s[8:9], v13, v12 src0_sel:BYTE_0 src1_sel:DWORD
	s_andn2_b64 s[4:5], s[4:5], exec
	s_and_b64 s[8:9], s[8:9], exec
	s_or_b64 s[4:5], s[4:5], s[8:9]
	s_or_b64 exec, exec, s[6:7]
	s_and_saveexec_b64 s[6:7], s[4:5]
	s_cbranch_execz .LBB2_33349
; %bb.59531:
	s_getpc_b64 s[14:15]
.Lpost_getpc33349:
	s_add_u32 s14, s14, (.LBB2_9355-.Lpost_getpc33349)&4294967295
	s_addc_u32 s15, s15, (.LBB2_9355-.Lpost_getpc33349)>>32
	s_setpc_b64 s[14:15]
.LBB2_33349:
	s_getpc_b64 s[14:15]
.Lpost_getpc20258:
	s_add_u32 s14, s14, (.LBB2_9356-.Lpost_getpc20258)&4294967295
	s_addc_u32 s15, s15, (.LBB2_9356-.Lpost_getpc20258)>>32
	s_setpc_b64 s[14:15]
.LBB2_23693:
	s_movk_i32 s4, 0x80
	v_cmp_eq_u16_sdwa s[12:13], v13, s4 src0_sel:BYTE_0 src1_sel:DWORD
	s_mov_b64 s[4:5], -1
                                        ; implicit-def: $sgpr10
	s_and_saveexec_b64 s[8:9], s[12:13]
; %bb.23694:
	s_mov_b32 s10, 0x7f800001
	s_xor_b64 s[4:5], exec, -1
; %bb.23695:
	s_or_b64 exec, exec, s[8:9]
	s_and_b64 s[4:5], s[4:5], exec
	s_or_saveexec_b64 s[6:7], s[6:7]
	v_mov_b32_e32 v14, s10
	s_xor_b64 exec, exec, s[6:7]
	s_cbranch_execnz .LBB2_23696
; %bb.59533:
	s_getpc_b64 s[14:15]
.Lpost_getpc33350:
	s_add_u32 s14, s14, (.LBB2_9358-.Lpost_getpc33350)&4294967295
	s_addc_u32 s15, s15, (.LBB2_9358-.Lpost_getpc33350)>>32
	s_setpc_b64 s[14:15]
.LBB2_23696:
	v_mov_b32_e32 v14, 0
	v_cmp_ne_u16_sdwa s[8:9], v13, v14 src0_sel:BYTE_0 src1_sel:DWORD
	s_andn2_b64 s[4:5], s[4:5], exec
	s_and_b64 s[8:9], s[8:9], exec
	s_or_b64 s[4:5], s[4:5], s[8:9]
	s_or_b64 exec, exec, s[6:7]
	s_and_saveexec_b64 s[6:7], s[4:5]
	s_cbranch_execz .LBB2_33351
; %bb.59535:
	s_getpc_b64 s[14:15]
.Lpost_getpc33351:
	s_add_u32 s14, s14, (.LBB2_9359-.Lpost_getpc33351)&4294967295
	s_addc_u32 s15, s15, (.LBB2_9359-.Lpost_getpc33351)>>32
	s_setpc_b64 s[14:15]
.LBB2_33351:
	s_getpc_b64 s[14:15]
.Lpost_getpc20259:
	s_add_u32 s14, s14, (.LBB2_9360-.Lpost_getpc20259)&4294967295
	s_addc_u32 s15, s15, (.LBB2_9360-.Lpost_getpc20259)>>32
	s_setpc_b64 s[14:15]
.LBB2_23697:
	s_movk_i32 s4, 0x80
	v_cmp_eq_u16_e32 vcc, s4, v13
	s_mov_b64 s[4:5], -1
                                        ; implicit-def: $sgpr10
	s_and_saveexec_b64 s[8:9], vcc
; %bb.23698:
	s_mov_b32 s10, 0x7f800001
	s_xor_b64 s[4:5], exec, -1
; %bb.23699:
	s_or_b64 exec, exec, s[8:9]
	s_and_b64 s[4:5], s[4:5], exec
                                        ; implicit-def: $vgpr13
	s_or_saveexec_b64 s[6:7], s[6:7]
	v_mov_b32_e32 v12, s10
	s_xor_b64 exec, exec, s[6:7]
	s_cbranch_execnz .LBB2_23700
; %bb.59537:
	s_getpc_b64 s[14:15]
.Lpost_getpc33352:
	s_add_u32 s14, s14, (.LBB2_9362-.Lpost_getpc33352)&4294967295
	s_addc_u32 s15, s15, (.LBB2_9362-.Lpost_getpc33352)>>32
	s_setpc_b64 s[14:15]
.LBB2_23700:
	v_cmp_ne_u16_e32 vcc, 0, v13
	s_andn2_b64 s[4:5], s[4:5], exec
	s_and_b64 s[8:9], vcc, exec
	v_mov_b32_e32 v12, 0
	s_or_b64 s[4:5], s[4:5], s[8:9]
	s_or_b64 exec, exec, s[6:7]
	s_and_saveexec_b64 s[6:7], s[4:5]
	s_cbranch_execz .LBB2_33353
; %bb.59539:
	s_getpc_b64 s[14:15]
.Lpost_getpc33353:
	s_add_u32 s14, s14, (.LBB2_9363-.Lpost_getpc33353)&4294967295
	s_addc_u32 s15, s15, (.LBB2_9363-.Lpost_getpc33353)>>32
	s_setpc_b64 s[14:15]
.LBB2_33353:
	s_getpc_b64 s[14:15]
.Lpost_getpc20260:
	s_add_u32 s14, s14, (.LBB2_9364-.Lpost_getpc20260)&4294967295
	s_addc_u32 s15, s15, (.LBB2_9364-.Lpost_getpc20260)>>32
	s_setpc_b64 s[14:15]
.LBB2_23701:
	s_movk_i32 s4, 0x80
	v_cmp_eq_u16_e32 vcc, s4, v13
	s_mov_b64 s[4:5], -1
                                        ; implicit-def: $sgpr10
	s_and_saveexec_b64 s[8:9], vcc
; %bb.23702:
	s_mov_b32 s10, 0x7f800001
	s_xor_b64 s[4:5], exec, -1
; %bb.23703:
	s_or_b64 exec, exec, s[8:9]
	s_and_b64 s[4:5], s[4:5], exec
                                        ; implicit-def: $vgpr13
	s_or_saveexec_b64 s[6:7], s[6:7]
	v_mov_b32_e32 v14, s10
	s_xor_b64 exec, exec, s[6:7]
	s_cbranch_execnz .LBB2_23704
; %bb.59541:
	s_getpc_b64 s[14:15]
.Lpost_getpc33354:
	s_add_u32 s14, s14, (.LBB2_9366-.Lpost_getpc33354)&4294967295
	s_addc_u32 s15, s15, (.LBB2_9366-.Lpost_getpc33354)>>32
	s_setpc_b64 s[14:15]
.LBB2_23704:
	v_cmp_ne_u16_e32 vcc, 0, v13
	s_andn2_b64 s[4:5], s[4:5], exec
	s_and_b64 s[8:9], vcc, exec
	v_mov_b32_e32 v14, 0
	s_or_b64 s[4:5], s[4:5], s[8:9]
	s_or_b64 exec, exec, s[6:7]
	s_and_saveexec_b64 s[6:7], s[4:5]
	s_cbranch_execz .LBB2_33355
; %bb.59543:
	s_getpc_b64 s[14:15]
.Lpost_getpc33355:
	s_add_u32 s14, s14, (.LBB2_9367-.Lpost_getpc33355)&4294967295
	s_addc_u32 s15, s15, (.LBB2_9367-.Lpost_getpc33355)>>32
	s_setpc_b64 s[14:15]
.LBB2_33355:
	s_getpc_b64 s[14:15]
.Lpost_getpc20261:
	s_add_u32 s14, s14, (.LBB2_9368-.Lpost_getpc20261)&4294967295
	s_addc_u32 s15, s15, (.LBB2_9368-.Lpost_getpc20261)>>32
	s_setpc_b64 s[14:15]
.LBB2_23705:
	s_movk_i32 s4, 0x80
	v_cmp_eq_u16_sdwa s[12:13], v6, s4 src0_sel:BYTE_3 src1_sel:DWORD
	s_mov_b64 s[4:5], -1
                                        ; implicit-def: $sgpr10
	s_and_saveexec_b64 s[8:9], s[12:13]
; %bb.23706:
	s_mov_b32 s10, 0x7f800001
	s_xor_b64 s[4:5], exec, -1
; %bb.23707:
	s_or_b64 exec, exec, s[8:9]
	s_and_b64 s[4:5], s[4:5], exec
	s_or_saveexec_b64 s[6:7], s[6:7]
	v_mov_b32_e32 v12, s10
	s_xor_b64 exec, exec, s[6:7]
	s_cbranch_execnz .LBB2_23708
; %bb.59545:
	s_getpc_b64 s[14:15]
.Lpost_getpc33356:
	s_add_u32 s14, s14, (.LBB2_9370-.Lpost_getpc33356)&4294967295
	s_addc_u32 s15, s15, (.LBB2_9370-.Lpost_getpc33356)>>32
	s_setpc_b64 s[14:15]
.LBB2_23708:
	v_mov_b32_e32 v12, 0
	v_cmp_ne_u16_sdwa s[8:9], v6, v12 src0_sel:BYTE_3 src1_sel:DWORD
	s_andn2_b64 s[4:5], s[4:5], exec
	s_and_b64 s[8:9], s[8:9], exec
	s_or_b64 s[4:5], s[4:5], s[8:9]
	s_or_b64 exec, exec, s[6:7]
	s_and_saveexec_b64 s[6:7], s[4:5]
	s_cbranch_execz .LBB2_33357
; %bb.59547:
	s_getpc_b64 s[14:15]
.Lpost_getpc33357:
	s_add_u32 s14, s14, (.LBB2_9371-.Lpost_getpc33357)&4294967295
	s_addc_u32 s15, s15, (.LBB2_9371-.Lpost_getpc33357)>>32
	s_setpc_b64 s[14:15]
.LBB2_33357:
	s_getpc_b64 s[14:15]
.Lpost_getpc20262:
	s_add_u32 s14, s14, (.LBB2_9372-.Lpost_getpc20262)&4294967295
	s_addc_u32 s15, s15, (.LBB2_9372-.Lpost_getpc20262)>>32
	s_setpc_b64 s[14:15]
.LBB2_23709:
	s_movk_i32 s4, 0x80
	v_cmp_eq_u16_sdwa s[12:13], v2, s4 src0_sel:BYTE_3 src1_sel:DWORD
	s_mov_b64 s[4:5], -1
                                        ; implicit-def: $sgpr10
	s_and_saveexec_b64 s[8:9], s[12:13]
; %bb.23710:
	s_mov_b32 s10, 0x7f800001
	s_xor_b64 s[4:5], exec, -1
; %bb.23711:
	s_or_b64 exec, exec, s[8:9]
	s_and_b64 s[4:5], s[4:5], exec
	s_or_saveexec_b64 s[6:7], s[6:7]
	v_mov_b32_e32 v6, s10
	s_xor_b64 exec, exec, s[6:7]
	s_cbranch_execnz .LBB2_23712
; %bb.59549:
	s_getpc_b64 s[14:15]
.Lpost_getpc33358:
	s_add_u32 s14, s14, (.LBB2_9374-.Lpost_getpc33358)&4294967295
	s_addc_u32 s15, s15, (.LBB2_9374-.Lpost_getpc33358)>>32
	s_setpc_b64 s[14:15]
.LBB2_23712:
	v_mov_b32_e32 v6, 0
	v_cmp_ne_u16_sdwa s[8:9], v2, v6 src0_sel:BYTE_3 src1_sel:DWORD
	s_andn2_b64 s[4:5], s[4:5], exec
	s_and_b64 s[8:9], s[8:9], exec
	s_or_b64 s[4:5], s[4:5], s[8:9]
	s_or_b64 exec, exec, s[6:7]
	s_and_saveexec_b64 s[6:7], s[4:5]
	s_cbranch_execz .LBB2_33359
; %bb.59551:
	s_getpc_b64 s[14:15]
.Lpost_getpc33359:
	s_add_u32 s14, s14, (.LBB2_9375-.Lpost_getpc33359)&4294967295
	s_addc_u32 s15, s15, (.LBB2_9375-.Lpost_getpc33359)>>32
	s_setpc_b64 s[14:15]
.LBB2_33359:
	s_getpc_b64 s[14:15]
.Lpost_getpc20263:
	s_add_u32 s14, s14, (.LBB2_9376-.Lpost_getpc20263)&4294967295
	s_addc_u32 s15, s15, (.LBB2_9376-.Lpost_getpc20263)>>32
	s_setpc_b64 s[14:15]
.LBB2_23713:
	s_movk_i32 s4, 0x80
	v_cmp_eq_u16_sdwa s[12:13], v7, s4 src0_sel:BYTE_0 src1_sel:DWORD
	s_mov_b64 s[4:5], -1
                                        ; implicit-def: $sgpr10
	s_and_saveexec_b64 s[8:9], s[12:13]
; %bb.23714:
	s_mov_b32 s10, 0x7f800001
	s_xor_b64 s[4:5], exec, -1
; %bb.23715:
	s_or_b64 exec, exec, s[8:9]
	s_and_b64 s[4:5], s[4:5], exec
	s_or_saveexec_b64 s[6:7], s[6:7]
	v_mov_b32_e32 v2, s10
	s_xor_b64 exec, exec, s[6:7]
	s_cbranch_execnz .LBB2_23716
; %bb.59553:
	s_getpc_b64 s[14:15]
.Lpost_getpc33360:
	s_add_u32 s14, s14, (.LBB2_9378-.Lpost_getpc33360)&4294967295
	s_addc_u32 s15, s15, (.LBB2_9378-.Lpost_getpc33360)>>32
	s_setpc_b64 s[14:15]
.LBB2_23716:
	v_mov_b32_e32 v2, 0
	v_cmp_ne_u16_sdwa s[8:9], v7, v2 src0_sel:BYTE_0 src1_sel:DWORD
	s_andn2_b64 s[4:5], s[4:5], exec
	s_and_b64 s[8:9], s[8:9], exec
	s_or_b64 s[4:5], s[4:5], s[8:9]
	s_or_b64 exec, exec, s[6:7]
	s_and_saveexec_b64 s[6:7], s[4:5]
	s_cbranch_execz .LBB2_33361
; %bb.59555:
	s_getpc_b64 s[14:15]
.Lpost_getpc33361:
	s_add_u32 s14, s14, (.LBB2_9379-.Lpost_getpc33361)&4294967295
	s_addc_u32 s15, s15, (.LBB2_9379-.Lpost_getpc33361)>>32
	s_setpc_b64 s[14:15]
.LBB2_33361:
	s_getpc_b64 s[14:15]
.Lpost_getpc20264:
	s_add_u32 s14, s14, (.LBB2_9380-.Lpost_getpc20264)&4294967295
	s_addc_u32 s15, s15, (.LBB2_9380-.Lpost_getpc20264)>>32
	s_setpc_b64 s[14:15]
.LBB2_23717:
	s_movk_i32 s4, 0x80
	v_cmp_eq_u16_sdwa s[12:13], v3, s4 src0_sel:BYTE_0 src1_sel:DWORD
	s_mov_b64 s[4:5], -1
                                        ; implicit-def: $sgpr10
	s_and_saveexec_b64 s[8:9], s[12:13]
; %bb.23718:
	s_mov_b32 s10, 0x7f800001
	s_xor_b64 s[4:5], exec, -1
; %bb.23719:
	s_or_b64 exec, exec, s[8:9]
	s_and_b64 s[4:5], s[4:5], exec
	s_or_saveexec_b64 s[6:7], s[6:7]
	v_mov_b32_e32 v6, s10
	s_xor_b64 exec, exec, s[6:7]
	s_cbranch_execnz .LBB2_23720
; %bb.59557:
	s_getpc_b64 s[14:15]
.Lpost_getpc33362:
	s_add_u32 s14, s14, (.LBB2_9382-.Lpost_getpc33362)&4294967295
	s_addc_u32 s15, s15, (.LBB2_9382-.Lpost_getpc33362)>>32
	s_setpc_b64 s[14:15]
.LBB2_23720:
	v_mov_b32_e32 v6, 0
	v_cmp_ne_u16_sdwa s[8:9], v3, v6 src0_sel:BYTE_0 src1_sel:DWORD
	s_andn2_b64 s[4:5], s[4:5], exec
	s_and_b64 s[8:9], s[8:9], exec
	s_or_b64 s[4:5], s[4:5], s[8:9]
	s_or_b64 exec, exec, s[6:7]
	s_and_saveexec_b64 s[6:7], s[4:5]
	s_cbranch_execz .LBB2_33363
; %bb.59559:
	s_getpc_b64 s[14:15]
.Lpost_getpc33363:
	s_add_u32 s14, s14, (.LBB2_9383-.Lpost_getpc33363)&4294967295
	s_addc_u32 s15, s15, (.LBB2_9383-.Lpost_getpc33363)>>32
	s_setpc_b64 s[14:15]
.LBB2_33363:
	s_getpc_b64 s[14:15]
.Lpost_getpc20265:
	s_add_u32 s14, s14, (.LBB2_9384-.Lpost_getpc20265)&4294967295
	s_addc_u32 s15, s15, (.LBB2_9384-.Lpost_getpc20265)>>32
	s_setpc_b64 s[14:15]
.LBB2_23721:
	s_movk_i32 s4, 0x80
	v_cmp_eq_u16_sdwa s[12:13], v6, s4 src0_sel:BYTE_0 src1_sel:DWORD
	s_mov_b64 s[4:5], -1
                                        ; implicit-def: $sgpr10
	s_and_saveexec_b64 s[8:9], s[12:13]
; %bb.23722:
	s_mov_b32 s10, 0x7f800001
	s_xor_b64 s[4:5], exec, -1
; %bb.23723:
	s_or_b64 exec, exec, s[8:9]
	s_and_b64 s[4:5], s[4:5], exec
	s_or_saveexec_b64 s[6:7], s[6:7]
	v_mov_b32_e32 v2, s10
	s_xor_b64 exec, exec, s[6:7]
	s_cbranch_execnz .LBB2_23724
; %bb.59561:
	s_getpc_b64 s[14:15]
.Lpost_getpc33364:
	s_add_u32 s14, s14, (.LBB2_9386-.Lpost_getpc33364)&4294967295
	s_addc_u32 s15, s15, (.LBB2_9386-.Lpost_getpc33364)>>32
	s_setpc_b64 s[14:15]
.LBB2_23724:
	v_mov_b32_e32 v2, 0
	v_cmp_ne_u16_sdwa s[8:9], v6, v2 src0_sel:BYTE_0 src1_sel:DWORD
	s_andn2_b64 s[4:5], s[4:5], exec
	s_and_b64 s[8:9], s[8:9], exec
	s_or_b64 s[4:5], s[4:5], s[8:9]
	s_or_b64 exec, exec, s[6:7]
	s_and_saveexec_b64 s[6:7], s[4:5]
	s_cbranch_execz .LBB2_33365
; %bb.59563:
	s_getpc_b64 s[14:15]
.Lpost_getpc33365:
	s_add_u32 s14, s14, (.LBB2_9387-.Lpost_getpc33365)&4294967295
	s_addc_u32 s15, s15, (.LBB2_9387-.Lpost_getpc33365)>>32
	s_setpc_b64 s[14:15]
.LBB2_33365:
	s_getpc_b64 s[14:15]
.Lpost_getpc20266:
	s_add_u32 s14, s14, (.LBB2_9388-.Lpost_getpc20266)&4294967295
	s_addc_u32 s15, s15, (.LBB2_9388-.Lpost_getpc20266)>>32
	s_setpc_b64 s[14:15]
.LBB2_23725:
	s_movk_i32 s4, 0x80
	v_cmp_eq_u16_sdwa s[12:13], v6, s4 src0_sel:BYTE_0 src1_sel:DWORD
	s_mov_b64 s[4:5], -1
                                        ; implicit-def: $sgpr10
	s_and_saveexec_b64 s[8:9], s[12:13]
; %bb.23726:
	s_mov_b32 s10, 0x7f800001
	s_xor_b64 s[4:5], exec, -1
; %bb.23727:
	s_or_b64 exec, exec, s[8:9]
	s_and_b64 s[4:5], s[4:5], exec
	s_or_saveexec_b64 s[6:7], s[6:7]
	v_mov_b32_e32 v12, s10
	s_xor_b64 exec, exec, s[6:7]
	s_cbranch_execnz .LBB2_23728
; %bb.59565:
	s_getpc_b64 s[14:15]
.Lpost_getpc33366:
	s_add_u32 s14, s14, (.LBB2_9390-.Lpost_getpc33366)&4294967295
	s_addc_u32 s15, s15, (.LBB2_9390-.Lpost_getpc33366)>>32
	s_setpc_b64 s[14:15]
.LBB2_23728:
	v_mov_b32_e32 v12, 0
	v_cmp_ne_u16_sdwa s[8:9], v6, v12 src0_sel:BYTE_0 src1_sel:DWORD
	s_andn2_b64 s[4:5], s[4:5], exec
	s_and_b64 s[8:9], s[8:9], exec
	s_or_b64 s[4:5], s[4:5], s[8:9]
	s_or_b64 exec, exec, s[6:7]
	s_and_saveexec_b64 s[6:7], s[4:5]
	s_cbranch_execz .LBB2_33367
; %bb.59567:
	s_getpc_b64 s[14:15]
.Lpost_getpc33367:
	s_add_u32 s14, s14, (.LBB2_9391-.Lpost_getpc33367)&4294967295
	s_addc_u32 s15, s15, (.LBB2_9391-.Lpost_getpc33367)>>32
	s_setpc_b64 s[14:15]
.LBB2_33367:
	s_getpc_b64 s[14:15]
.Lpost_getpc20267:
	s_add_u32 s14, s14, (.LBB2_9392-.Lpost_getpc20267)&4294967295
	s_addc_u32 s15, s15, (.LBB2_9392-.Lpost_getpc20267)>>32
	s_setpc_b64 s[14:15]
.LBB2_23729:
	s_movk_i32 s4, 0x80
	v_cmp_eq_u16_e32 vcc, s4, v6
	s_mov_b64 s[4:5], -1
                                        ; implicit-def: $sgpr10
	s_and_saveexec_b64 s[8:9], vcc
; %bb.23730:
	s_mov_b32 s10, 0x7f800001
	s_xor_b64 s[4:5], exec, -1
; %bb.23731:
	s_or_b64 exec, exec, s[8:9]
	s_and_b64 s[4:5], s[4:5], exec
                                        ; implicit-def: $vgpr6
	s_or_saveexec_b64 s[6:7], s[6:7]
	v_mov_b32_e32 v2, s10
	s_xor_b64 exec, exec, s[6:7]
	s_cbranch_execnz .LBB2_23732
; %bb.59569:
	s_getpc_b64 s[14:15]
.Lpost_getpc33368:
	s_add_u32 s14, s14, (.LBB2_9394-.Lpost_getpc33368)&4294967295
	s_addc_u32 s15, s15, (.LBB2_9394-.Lpost_getpc33368)>>32
	s_setpc_b64 s[14:15]
.LBB2_23732:
	v_cmp_ne_u16_e32 vcc, 0, v6
	s_andn2_b64 s[4:5], s[4:5], exec
	s_and_b64 s[8:9], vcc, exec
	v_mov_b32_e32 v2, 0
	s_or_b64 s[4:5], s[4:5], s[8:9]
	s_or_b64 exec, exec, s[6:7]
	s_and_saveexec_b64 s[6:7], s[4:5]
	s_cbranch_execz .LBB2_33369
; %bb.59571:
	s_getpc_b64 s[14:15]
.Lpost_getpc33369:
	s_add_u32 s14, s14, (.LBB2_9395-.Lpost_getpc33369)&4294967295
	s_addc_u32 s15, s15, (.LBB2_9395-.Lpost_getpc33369)>>32
	s_setpc_b64 s[14:15]
.LBB2_33369:
	s_getpc_b64 s[14:15]
.Lpost_getpc20268:
	s_add_u32 s14, s14, (.LBB2_9396-.Lpost_getpc20268)&4294967295
	s_addc_u32 s15, s15, (.LBB2_9396-.Lpost_getpc20268)>>32
	s_setpc_b64 s[14:15]
.LBB2_23733:
	s_movk_i32 s4, 0x80
	v_cmp_eq_u16_e32 vcc, s4, v6
	s_mov_b64 s[4:5], -1
                                        ; implicit-def: $sgpr10
	s_and_saveexec_b64 s[8:9], vcc
; %bb.23734:
	s_mov_b32 s10, 0x7f800001
	s_xor_b64 s[4:5], exec, -1
; %bb.23735:
	s_or_b64 exec, exec, s[8:9]
	s_and_b64 s[4:5], s[4:5], exec
                                        ; implicit-def: $vgpr6
	s_or_saveexec_b64 s[6:7], s[6:7]
	v_mov_b32_e32 v12, s10
	s_xor_b64 exec, exec, s[6:7]
	s_cbranch_execnz .LBB2_23736
; %bb.59573:
	s_getpc_b64 s[14:15]
.Lpost_getpc33370:
	s_add_u32 s14, s14, (.LBB2_9398-.Lpost_getpc33370)&4294967295
	s_addc_u32 s15, s15, (.LBB2_9398-.Lpost_getpc33370)>>32
	s_setpc_b64 s[14:15]
.LBB2_23736:
	v_cmp_ne_u16_e32 vcc, 0, v6
	s_andn2_b64 s[4:5], s[4:5], exec
	s_and_b64 s[8:9], vcc, exec
	v_mov_b32_e32 v12, 0
	s_or_b64 s[4:5], s[4:5], s[8:9]
	s_or_b64 exec, exec, s[6:7]
	s_and_saveexec_b64 s[6:7], s[4:5]
	s_cbranch_execz .LBB2_33371
; %bb.59575:
	s_getpc_b64 s[14:15]
.Lpost_getpc33371:
	s_add_u32 s14, s14, (.LBB2_9399-.Lpost_getpc33371)&4294967295
	s_addc_u32 s15, s15, (.LBB2_9399-.Lpost_getpc33371)>>32
	s_setpc_b64 s[14:15]
.LBB2_33371:
	s_getpc_b64 s[14:15]
.Lpost_getpc20269:
	s_add_u32 s14, s14, (.LBB2_9400-.Lpost_getpc20269)&4294967295
	s_addc_u32 s15, s15, (.LBB2_9400-.Lpost_getpc20269)>>32
	s_setpc_b64 s[14:15]
.LBB2_23737:
	s_movk_i32 s4, 0x80
	v_cmp_eq_u16_sdwa s[12:13], v7, s4 src0_sel:BYTE_3 src1_sel:DWORD
	s_mov_b64 s[4:5], -1
                                        ; implicit-def: $sgpr10
	s_and_saveexec_b64 s[8:9], s[12:13]
; %bb.23738:
	s_mov_b32 s10, 0x7f800001
	s_xor_b64 s[4:5], exec, -1
; %bb.23739:
	s_or_b64 exec, exec, s[8:9]
	s_and_b64 s[4:5], s[4:5], exec
	s_or_saveexec_b64 s[6:7], s[6:7]
	v_mov_b32_e32 v2, s10
	s_xor_b64 exec, exec, s[6:7]
	s_cbranch_execnz .LBB2_23740
; %bb.59577:
	s_getpc_b64 s[14:15]
.Lpost_getpc33372:
	s_add_u32 s14, s14, (.LBB2_9402-.Lpost_getpc33372)&4294967295
	s_addc_u32 s15, s15, (.LBB2_9402-.Lpost_getpc33372)>>32
	s_setpc_b64 s[14:15]
.LBB2_23740:
	v_mov_b32_e32 v2, 0
	v_cmp_ne_u16_sdwa s[8:9], v7, v2 src0_sel:BYTE_3 src1_sel:DWORD
	s_andn2_b64 s[4:5], s[4:5], exec
	s_and_b64 s[8:9], s[8:9], exec
	s_or_b64 s[4:5], s[4:5], s[8:9]
	s_or_b64 exec, exec, s[6:7]
	s_and_saveexec_b64 s[6:7], s[4:5]
	s_cbranch_execz .LBB2_33373
; %bb.59579:
	s_getpc_b64 s[14:15]
.Lpost_getpc33373:
	s_add_u32 s14, s14, (.LBB2_9403-.Lpost_getpc33373)&4294967295
	s_addc_u32 s15, s15, (.LBB2_9403-.Lpost_getpc33373)>>32
	s_setpc_b64 s[14:15]
.LBB2_33373:
	s_getpc_b64 s[14:15]
.Lpost_getpc20270:
	s_add_u32 s14, s14, (.LBB2_9404-.Lpost_getpc20270)&4294967295
	s_addc_u32 s15, s15, (.LBB2_9404-.Lpost_getpc20270)>>32
	s_setpc_b64 s[14:15]
.LBB2_23741:
	s_movk_i32 s4, 0x80
	v_cmp_eq_u16_sdwa s[12:13], v3, s4 src0_sel:BYTE_3 src1_sel:DWORD
	s_mov_b64 s[4:5], -1
                                        ; implicit-def: $sgpr10
	s_and_saveexec_b64 s[8:9], s[12:13]
; %bb.23742:
	s_mov_b32 s10, 0x7f800001
	s_xor_b64 s[4:5], exec, -1
; %bb.23743:
	s_or_b64 exec, exec, s[8:9]
	s_and_b64 s[4:5], s[4:5], exec
	s_or_saveexec_b64 s[6:7], s[6:7]
	v_mov_b32_e32 v6, s10
	s_xor_b64 exec, exec, s[6:7]
	s_cbranch_execnz .LBB2_23744
; %bb.59581:
	s_getpc_b64 s[14:15]
.Lpost_getpc33374:
	s_add_u32 s14, s14, (.LBB2_9406-.Lpost_getpc33374)&4294967295
	s_addc_u32 s15, s15, (.LBB2_9406-.Lpost_getpc33374)>>32
	s_setpc_b64 s[14:15]
.LBB2_23744:
	v_mov_b32_e32 v6, 0
	v_cmp_ne_u16_sdwa s[8:9], v3, v6 src0_sel:BYTE_3 src1_sel:DWORD
	s_andn2_b64 s[4:5], s[4:5], exec
	s_and_b64 s[8:9], s[8:9], exec
	s_or_b64 s[4:5], s[4:5], s[8:9]
	s_or_b64 exec, exec, s[6:7]
	s_and_saveexec_b64 s[6:7], s[4:5]
	s_cbranch_execz .LBB2_33375
; %bb.59583:
	s_getpc_b64 s[14:15]
.Lpost_getpc33375:
	s_add_u32 s14, s14, (.LBB2_9407-.Lpost_getpc33375)&4294967295
	s_addc_u32 s15, s15, (.LBB2_9407-.Lpost_getpc33375)>>32
	s_setpc_b64 s[14:15]
.LBB2_33375:
	s_getpc_b64 s[14:15]
.Lpost_getpc20271:
	s_add_u32 s14, s14, (.LBB2_9408-.Lpost_getpc20271)&4294967295
	s_addc_u32 s15, s15, (.LBB2_9408-.Lpost_getpc20271)>>32
	s_setpc_b64 s[14:15]
.LBB2_23745:
	s_movk_i32 s4, 0x80
	v_cmp_eq_u16_sdwa s[12:13], v8, s4 src0_sel:BYTE_0 src1_sel:DWORD
	s_mov_b64 s[4:5], -1
                                        ; implicit-def: $sgpr10
	s_and_saveexec_b64 s[8:9], s[12:13]
; %bb.23746:
	s_mov_b32 s10, 0x7f800001
	s_xor_b64 s[4:5], exec, -1
; %bb.23747:
	s_or_b64 exec, exec, s[8:9]
	s_and_b64 s[4:5], s[4:5], exec
	s_or_saveexec_b64 s[6:7], s[6:7]
	v_mov_b32_e32 v2, s10
	s_xor_b64 exec, exec, s[6:7]
	s_cbranch_execnz .LBB2_23748
; %bb.59585:
	s_getpc_b64 s[14:15]
.Lpost_getpc33376:
	s_add_u32 s14, s14, (.LBB2_9410-.Lpost_getpc33376)&4294967295
	s_addc_u32 s15, s15, (.LBB2_9410-.Lpost_getpc33376)>>32
	s_setpc_b64 s[14:15]
.LBB2_23748:
	v_mov_b32_e32 v2, 0
	v_cmp_ne_u16_sdwa s[8:9], v8, v2 src0_sel:BYTE_0 src1_sel:DWORD
	s_andn2_b64 s[4:5], s[4:5], exec
	s_and_b64 s[8:9], s[8:9], exec
	s_or_b64 s[4:5], s[4:5], s[8:9]
	s_or_b64 exec, exec, s[6:7]
	s_and_saveexec_b64 s[6:7], s[4:5]
	s_cbranch_execz .LBB2_33377
; %bb.59587:
	s_getpc_b64 s[14:15]
.Lpost_getpc33377:
	s_add_u32 s14, s14, (.LBB2_9411-.Lpost_getpc33377)&4294967295
	s_addc_u32 s15, s15, (.LBB2_9411-.Lpost_getpc33377)>>32
	s_setpc_b64 s[14:15]
.LBB2_33377:
	s_getpc_b64 s[14:15]
.Lpost_getpc20272:
	s_add_u32 s14, s14, (.LBB2_9412-.Lpost_getpc20272)&4294967295
	s_addc_u32 s15, s15, (.LBB2_9412-.Lpost_getpc20272)>>32
	s_setpc_b64 s[14:15]
.LBB2_23749:
	s_movk_i32 s4, 0x80
	v_cmp_eq_u16_sdwa s[12:13], v4, s4 src0_sel:BYTE_0 src1_sel:DWORD
	s_mov_b64 s[4:5], -1
                                        ; implicit-def: $sgpr10
	s_and_saveexec_b64 s[8:9], s[12:13]
; %bb.23750:
	s_mov_b32 s10, 0x7f800001
	s_xor_b64 s[4:5], exec, -1
; %bb.23751:
	s_or_b64 exec, exec, s[8:9]
	s_and_b64 s[4:5], s[4:5], exec
	s_or_saveexec_b64 s[6:7], s[6:7]
	v_mov_b32_e32 v3, s10
	s_xor_b64 exec, exec, s[6:7]
	s_cbranch_execnz .LBB2_23752
; %bb.59589:
	s_getpc_b64 s[14:15]
.Lpost_getpc33378:
	s_add_u32 s14, s14, (.LBB2_9414-.Lpost_getpc33378)&4294967295
	s_addc_u32 s15, s15, (.LBB2_9414-.Lpost_getpc33378)>>32
	s_setpc_b64 s[14:15]
.LBB2_23752:
	v_mov_b32_e32 v3, 0
	v_cmp_ne_u16_sdwa s[8:9], v4, v3 src0_sel:BYTE_0 src1_sel:DWORD
	s_andn2_b64 s[4:5], s[4:5], exec
	s_and_b64 s[8:9], s[8:9], exec
	s_or_b64 s[4:5], s[4:5], s[8:9]
	s_or_b64 exec, exec, s[6:7]
	s_and_saveexec_b64 s[6:7], s[4:5]
	s_cbranch_execz .LBB2_33379
; %bb.59591:
	s_getpc_b64 s[14:15]
.Lpost_getpc33379:
	s_add_u32 s14, s14, (.LBB2_9415-.Lpost_getpc33379)&4294967295
	s_addc_u32 s15, s15, (.LBB2_9415-.Lpost_getpc33379)>>32
	s_setpc_b64 s[14:15]
.LBB2_33379:
	s_getpc_b64 s[14:15]
.Lpost_getpc20273:
	s_add_u32 s14, s14, (.LBB2_9416-.Lpost_getpc20273)&4294967295
	s_addc_u32 s15, s15, (.LBB2_9416-.Lpost_getpc20273)>>32
	s_setpc_b64 s[14:15]
.LBB2_23753:
	s_movk_i32 s4, 0x80
	v_cmp_eq_u16_sdwa s[12:13], v3, s4 src0_sel:BYTE_0 src1_sel:DWORD
	s_mov_b64 s[4:5], -1
                                        ; implicit-def: $sgpr10
	s_and_saveexec_b64 s[8:9], s[12:13]
; %bb.23754:
	s_mov_b32 s10, 0x7f800001
	s_xor_b64 s[4:5], exec, -1
; %bb.23755:
	s_or_b64 exec, exec, s[8:9]
	s_and_b64 s[4:5], s[4:5], exec
	s_or_saveexec_b64 s[6:7], s[6:7]
	v_mov_b32_e32 v2, s10
	s_xor_b64 exec, exec, s[6:7]
	s_cbranch_execnz .LBB2_23756
; %bb.59593:
	s_getpc_b64 s[14:15]
.Lpost_getpc33380:
	s_add_u32 s14, s14, (.LBB2_9418-.Lpost_getpc33380)&4294967295
	s_addc_u32 s15, s15, (.LBB2_9418-.Lpost_getpc33380)>>32
	s_setpc_b64 s[14:15]
.LBB2_23756:
	v_mov_b32_e32 v2, 0
	v_cmp_ne_u16_sdwa s[8:9], v3, v2 src0_sel:BYTE_0 src1_sel:DWORD
	s_andn2_b64 s[4:5], s[4:5], exec
	s_and_b64 s[8:9], s[8:9], exec
	s_or_b64 s[4:5], s[4:5], s[8:9]
	s_or_b64 exec, exec, s[6:7]
	s_and_saveexec_b64 s[6:7], s[4:5]
	s_cbranch_execz .LBB2_33381
; %bb.59595:
	s_getpc_b64 s[14:15]
.Lpost_getpc33381:
	s_add_u32 s14, s14, (.LBB2_9419-.Lpost_getpc33381)&4294967295
	s_addc_u32 s15, s15, (.LBB2_9419-.Lpost_getpc33381)>>32
	s_setpc_b64 s[14:15]
.LBB2_33381:
	s_getpc_b64 s[14:15]
.Lpost_getpc20274:
	s_add_u32 s14, s14, (.LBB2_9420-.Lpost_getpc20274)&4294967295
	s_addc_u32 s15, s15, (.LBB2_9420-.Lpost_getpc20274)>>32
	s_setpc_b64 s[14:15]
.LBB2_23757:
	s_movk_i32 s4, 0x80
	v_cmp_eq_u16_sdwa s[12:13], v3, s4 src0_sel:BYTE_0 src1_sel:DWORD
	s_mov_b64 s[4:5], -1
                                        ; implicit-def: $sgpr10
	s_and_saveexec_b64 s[8:9], s[12:13]
; %bb.23758:
	s_mov_b32 s10, 0x7f800001
	s_xor_b64 s[4:5], exec, -1
; %bb.23759:
	s_or_b64 exec, exec, s[8:9]
	s_and_b64 s[4:5], s[4:5], exec
	s_or_saveexec_b64 s[6:7], s[6:7]
	v_mov_b32_e32 v6, s10
	s_xor_b64 exec, exec, s[6:7]
	s_cbranch_execnz .LBB2_23760
; %bb.59597:
	s_getpc_b64 s[14:15]
.Lpost_getpc33382:
	s_add_u32 s14, s14, (.LBB2_9422-.Lpost_getpc33382)&4294967295
	s_addc_u32 s15, s15, (.LBB2_9422-.Lpost_getpc33382)>>32
	s_setpc_b64 s[14:15]
.LBB2_23760:
	v_mov_b32_e32 v6, 0
	v_cmp_ne_u16_sdwa s[8:9], v3, v6 src0_sel:BYTE_0 src1_sel:DWORD
	s_andn2_b64 s[4:5], s[4:5], exec
	s_and_b64 s[8:9], s[8:9], exec
	s_or_b64 s[4:5], s[4:5], s[8:9]
	s_or_b64 exec, exec, s[6:7]
	s_and_saveexec_b64 s[6:7], s[4:5]
	s_cbranch_execz .LBB2_33383
; %bb.59599:
	s_getpc_b64 s[14:15]
.Lpost_getpc33383:
	s_add_u32 s14, s14, (.LBB2_9423-.Lpost_getpc33383)&4294967295
	s_addc_u32 s15, s15, (.LBB2_9423-.Lpost_getpc33383)>>32
	s_setpc_b64 s[14:15]
.LBB2_33383:
	s_getpc_b64 s[14:15]
.Lpost_getpc20275:
	s_add_u32 s14, s14, (.LBB2_9424-.Lpost_getpc20275)&4294967295
	s_addc_u32 s15, s15, (.LBB2_9424-.Lpost_getpc20275)>>32
	s_setpc_b64 s[14:15]
.LBB2_23761:
	s_movk_i32 s4, 0x80
	v_cmp_eq_u16_e32 vcc, s4, v3
	s_mov_b64 s[4:5], -1
                                        ; implicit-def: $sgpr10
	s_and_saveexec_b64 s[8:9], vcc
; %bb.23762:
	s_mov_b32 s10, 0x7f800001
	s_xor_b64 s[4:5], exec, -1
; %bb.23763:
	s_or_b64 exec, exec, s[8:9]
	s_and_b64 s[4:5], s[4:5], exec
                                        ; implicit-def: $vgpr3
	s_or_saveexec_b64 s[6:7], s[6:7]
	v_mov_b32_e32 v2, s10
	s_xor_b64 exec, exec, s[6:7]
	s_cbranch_execnz .LBB2_23764
; %bb.59601:
	s_getpc_b64 s[14:15]
.Lpost_getpc33384:
	s_add_u32 s14, s14, (.LBB2_9426-.Lpost_getpc33384)&4294967295
	s_addc_u32 s15, s15, (.LBB2_9426-.Lpost_getpc33384)>>32
	s_setpc_b64 s[14:15]
.LBB2_23764:
	v_cmp_ne_u16_e32 vcc, 0, v3
	s_andn2_b64 s[4:5], s[4:5], exec
	s_and_b64 s[8:9], vcc, exec
	v_mov_b32_e32 v2, 0
	s_or_b64 s[4:5], s[4:5], s[8:9]
	s_or_b64 exec, exec, s[6:7]
	s_and_saveexec_b64 s[6:7], s[4:5]
	s_cbranch_execz .LBB2_33385
; %bb.59603:
	s_getpc_b64 s[14:15]
.Lpost_getpc33385:
	s_add_u32 s14, s14, (.LBB2_9427-.Lpost_getpc33385)&4294967295
	s_addc_u32 s15, s15, (.LBB2_9427-.Lpost_getpc33385)>>32
	s_setpc_b64 s[14:15]
.LBB2_33385:
	s_getpc_b64 s[14:15]
.Lpost_getpc20276:
	s_add_u32 s14, s14, (.LBB2_9428-.Lpost_getpc20276)&4294967295
	s_addc_u32 s15, s15, (.LBB2_9428-.Lpost_getpc20276)>>32
	s_setpc_b64 s[14:15]
.LBB2_23765:
	s_movk_i32 s4, 0x80
	v_cmp_eq_u16_e32 vcc, s4, v3
	s_mov_b64 s[4:5], -1
                                        ; implicit-def: $sgpr10
	s_and_saveexec_b64 s[8:9], vcc
; %bb.23766:
	s_mov_b32 s10, 0x7f800001
	s_xor_b64 s[4:5], exec, -1
; %bb.23767:
	s_or_b64 exec, exec, s[8:9]
	s_and_b64 s[4:5], s[4:5], exec
                                        ; implicit-def: $vgpr3
	s_or_saveexec_b64 s[6:7], s[6:7]
	v_mov_b32_e32 v6, s10
	s_xor_b64 exec, exec, s[6:7]
	s_cbranch_execnz .LBB2_23768
; %bb.59605:
	s_getpc_b64 s[14:15]
.Lpost_getpc33386:
	s_add_u32 s14, s14, (.LBB2_9430-.Lpost_getpc33386)&4294967295
	s_addc_u32 s15, s15, (.LBB2_9430-.Lpost_getpc33386)>>32
	s_setpc_b64 s[14:15]
.LBB2_23768:
	v_cmp_ne_u16_e32 vcc, 0, v3
	s_andn2_b64 s[4:5], s[4:5], exec
	s_and_b64 s[8:9], vcc, exec
	v_mov_b32_e32 v6, 0
	s_or_b64 s[4:5], s[4:5], s[8:9]
	s_or_b64 exec, exec, s[6:7]
	s_and_saveexec_b64 s[6:7], s[4:5]
	s_cbranch_execz .LBB2_33387
; %bb.59607:
	s_getpc_b64 s[14:15]
.Lpost_getpc33387:
	s_add_u32 s14, s14, (.LBB2_9431-.Lpost_getpc33387)&4294967295
	s_addc_u32 s15, s15, (.LBB2_9431-.Lpost_getpc33387)>>32
	s_setpc_b64 s[14:15]
.LBB2_33387:
	s_getpc_b64 s[14:15]
.Lpost_getpc20277:
	s_add_u32 s14, s14, (.LBB2_9432-.Lpost_getpc20277)&4294967295
	s_addc_u32 s15, s15, (.LBB2_9432-.Lpost_getpc20277)>>32
	s_setpc_b64 s[14:15]
.LBB2_23769:
	s_movk_i32 s4, 0x80
	v_cmp_eq_u16_sdwa s[12:13], v8, s4 src0_sel:BYTE_3 src1_sel:DWORD
	s_mov_b64 s[4:5], -1
                                        ; implicit-def: $sgpr10
	s_and_saveexec_b64 s[8:9], s[12:13]
; %bb.23770:
	s_mov_b32 s10, 0x7f800001
	s_xor_b64 s[4:5], exec, -1
; %bb.23771:
	s_or_b64 exec, exec, s[8:9]
	s_and_b64 s[4:5], s[4:5], exec
	s_or_saveexec_b64 s[6:7], s[6:7]
	v_mov_b32_e32 v2, s10
	s_xor_b64 exec, exec, s[6:7]
	s_cbranch_execnz .LBB2_23772
; %bb.59609:
	s_getpc_b64 s[14:15]
.Lpost_getpc33388:
	s_add_u32 s14, s14, (.LBB2_9434-.Lpost_getpc33388)&4294967295
	s_addc_u32 s15, s15, (.LBB2_9434-.Lpost_getpc33388)>>32
	s_setpc_b64 s[14:15]
.LBB2_23772:
	v_mov_b32_e32 v2, 0
	v_cmp_ne_u16_sdwa s[8:9], v8, v2 src0_sel:BYTE_3 src1_sel:DWORD
	s_andn2_b64 s[4:5], s[4:5], exec
	s_and_b64 s[8:9], s[8:9], exec
	s_or_b64 s[4:5], s[4:5], s[8:9]
	s_or_b64 exec, exec, s[6:7]
	s_and_saveexec_b64 s[6:7], s[4:5]
	s_cbranch_execz .LBB2_33389
; %bb.59611:
	s_getpc_b64 s[14:15]
.Lpost_getpc33389:
	s_add_u32 s14, s14, (.LBB2_9435-.Lpost_getpc33389)&4294967295
	s_addc_u32 s15, s15, (.LBB2_9435-.Lpost_getpc33389)>>32
	s_setpc_b64 s[14:15]
.LBB2_33389:
	s_getpc_b64 s[14:15]
.Lpost_getpc20278:
	s_add_u32 s14, s14, (.LBB2_9436-.Lpost_getpc20278)&4294967295
	s_addc_u32 s15, s15, (.LBB2_9436-.Lpost_getpc20278)>>32
	s_setpc_b64 s[14:15]
.LBB2_23773:
	s_movk_i32 s4, 0x80
	v_cmp_eq_u16_sdwa s[12:13], v4, s4 src0_sel:BYTE_3 src1_sel:DWORD
	s_mov_b64 s[4:5], -1
                                        ; implicit-def: $sgpr10
	s_and_saveexec_b64 s[8:9], s[12:13]
; %bb.23774:
	s_mov_b32 s10, 0x7f800001
	s_xor_b64 s[4:5], exec, -1
; %bb.23775:
	s_or_b64 exec, exec, s[8:9]
	s_and_b64 s[4:5], s[4:5], exec
	s_or_saveexec_b64 s[6:7], s[6:7]
	v_mov_b32_e32 v3, s10
	s_xor_b64 exec, exec, s[6:7]
	s_cbranch_execnz .LBB2_23776
; %bb.59613:
	s_getpc_b64 s[14:15]
.Lpost_getpc33390:
	s_add_u32 s14, s14, (.LBB2_9438-.Lpost_getpc33390)&4294967295
	s_addc_u32 s15, s15, (.LBB2_9438-.Lpost_getpc33390)>>32
	s_setpc_b64 s[14:15]
.LBB2_23776:
	v_mov_b32_e32 v3, 0
	v_cmp_ne_u16_sdwa s[8:9], v4, v3 src0_sel:BYTE_3 src1_sel:DWORD
	s_andn2_b64 s[4:5], s[4:5], exec
	s_and_b64 s[8:9], s[8:9], exec
	s_or_b64 s[4:5], s[4:5], s[8:9]
	s_or_b64 exec, exec, s[6:7]
	s_and_saveexec_b64 s[6:7], s[4:5]
	s_cbranch_execz .LBB2_33391
; %bb.59615:
	s_getpc_b64 s[14:15]
.Lpost_getpc33391:
	s_add_u32 s14, s14, (.LBB2_9439-.Lpost_getpc33391)&4294967295
	s_addc_u32 s15, s15, (.LBB2_9439-.Lpost_getpc33391)>>32
	s_setpc_b64 s[14:15]
.LBB2_33391:
	s_getpc_b64 s[14:15]
.Lpost_getpc20279:
	s_add_u32 s14, s14, (.LBB2_9440-.Lpost_getpc20279)&4294967295
	s_addc_u32 s15, s15, (.LBB2_9440-.Lpost_getpc20279)>>32
	s_setpc_b64 s[14:15]
.LBB2_23777:
	s_movk_i32 s4, 0x80
	v_cmp_eq_u16_sdwa s[12:13], v9, s4 src0_sel:BYTE_0 src1_sel:DWORD
	s_mov_b64 s[4:5], -1
                                        ; implicit-def: $sgpr10
	s_and_saveexec_b64 s[8:9], s[12:13]
; %bb.23778:
	s_mov_b32 s10, 0x7f800001
	s_xor_b64 s[4:5], exec, -1
; %bb.23779:
	s_or_b64 exec, exec, s[8:9]
	s_and_b64 s[4:5], s[4:5], exec
	s_or_saveexec_b64 s[6:7], s[6:7]
	v_mov_b32_e32 v2, s10
	s_xor_b64 exec, exec, s[6:7]
	s_cbranch_execnz .LBB2_23780
; %bb.59617:
	s_getpc_b64 s[14:15]
.Lpost_getpc33392:
	s_add_u32 s14, s14, (.LBB2_9442-.Lpost_getpc33392)&4294967295
	s_addc_u32 s15, s15, (.LBB2_9442-.Lpost_getpc33392)>>32
	s_setpc_b64 s[14:15]
.LBB2_23780:
	v_mov_b32_e32 v2, 0
	v_cmp_ne_u16_sdwa s[8:9], v9, v2 src0_sel:BYTE_0 src1_sel:DWORD
	s_andn2_b64 s[4:5], s[4:5], exec
	s_and_b64 s[8:9], s[8:9], exec
	s_or_b64 s[4:5], s[4:5], s[8:9]
	s_or_b64 exec, exec, s[6:7]
	s_and_saveexec_b64 s[6:7], s[4:5]
	s_cbranch_execz .LBB2_33393
; %bb.59619:
	s_getpc_b64 s[14:15]
.Lpost_getpc33393:
	s_add_u32 s14, s14, (.LBB2_9443-.Lpost_getpc33393)&4294967295
	s_addc_u32 s15, s15, (.LBB2_9443-.Lpost_getpc33393)>>32
	s_setpc_b64 s[14:15]
.LBB2_33393:
	s_getpc_b64 s[14:15]
.Lpost_getpc20280:
	s_add_u32 s14, s14, (.LBB2_9444-.Lpost_getpc20280)&4294967295
	s_addc_u32 s15, s15, (.LBB2_9444-.Lpost_getpc20280)>>32
	s_setpc_b64 s[14:15]
.LBB2_23781:
	s_movk_i32 s4, 0x80
	v_cmp_eq_u16_sdwa s[12:13], v5, s4 src0_sel:BYTE_0 src1_sel:DWORD
	s_mov_b64 s[4:5], -1
                                        ; implicit-def: $sgpr10
	s_and_saveexec_b64 s[8:9], s[12:13]
; %bb.23782:
	s_mov_b32 s10, 0x7f800001
	s_xor_b64 s[4:5], exec, -1
; %bb.23783:
	s_or_b64 exec, exec, s[8:9]
	s_and_b64 s[4:5], s[4:5], exec
	s_or_saveexec_b64 s[6:7], s[6:7]
	v_mov_b32_e32 v3, s10
	s_xor_b64 exec, exec, s[6:7]
	s_cbranch_execnz .LBB2_23784
; %bb.59621:
	s_getpc_b64 s[14:15]
.Lpost_getpc33394:
	s_add_u32 s14, s14, (.LBB2_9446-.Lpost_getpc33394)&4294967295
	s_addc_u32 s15, s15, (.LBB2_9446-.Lpost_getpc33394)>>32
	s_setpc_b64 s[14:15]
.LBB2_23784:
	v_mov_b32_e32 v3, 0
	v_cmp_ne_u16_sdwa s[8:9], v5, v3 src0_sel:BYTE_0 src1_sel:DWORD
	s_andn2_b64 s[4:5], s[4:5], exec
	s_and_b64 s[8:9], s[8:9], exec
	s_or_b64 s[4:5], s[4:5], s[8:9]
	s_or_b64 exec, exec, s[6:7]
	s_and_saveexec_b64 s[6:7], s[4:5]
	s_cbranch_execz .LBB2_33395
; %bb.59623:
	s_getpc_b64 s[14:15]
.Lpost_getpc33395:
	s_add_u32 s14, s14, (.LBB2_9447-.Lpost_getpc33395)&4294967295
	s_addc_u32 s15, s15, (.LBB2_9447-.Lpost_getpc33395)>>32
	s_setpc_b64 s[14:15]
.LBB2_33395:
	s_getpc_b64 s[14:15]
.Lpost_getpc20281:
	s_add_u32 s14, s14, (.LBB2_9448-.Lpost_getpc20281)&4294967295
	s_addc_u32 s15, s15, (.LBB2_9448-.Lpost_getpc20281)>>32
	s_setpc_b64 s[14:15]
.LBB2_23785:
	s_movk_i32 s4, 0x80
	v_cmp_eq_u16_sdwa s[12:13], v3, s4 src0_sel:BYTE_0 src1_sel:DWORD
	s_mov_b64 s[4:5], -1
                                        ; implicit-def: $sgpr10
	s_and_saveexec_b64 s[8:9], s[12:13]
; %bb.23786:
	s_mov_b32 s10, 0x7f800001
	s_xor_b64 s[4:5], exec, -1
; %bb.23787:
	s_or_b64 exec, exec, s[8:9]
	s_and_b64 s[4:5], s[4:5], exec
	s_or_saveexec_b64 s[6:7], s[6:7]
	v_mov_b32_e32 v2, s10
	s_xor_b64 exec, exec, s[6:7]
	s_cbranch_execnz .LBB2_23788
; %bb.59625:
	s_getpc_b64 s[14:15]
.Lpost_getpc33396:
	s_add_u32 s14, s14, (.LBB2_9450-.Lpost_getpc33396)&4294967295
	s_addc_u32 s15, s15, (.LBB2_9450-.Lpost_getpc33396)>>32
	s_setpc_b64 s[14:15]
.LBB2_23788:
	v_mov_b32_e32 v2, 0
	v_cmp_ne_u16_sdwa s[8:9], v3, v2 src0_sel:BYTE_0 src1_sel:DWORD
	s_andn2_b64 s[4:5], s[4:5], exec
	s_and_b64 s[8:9], s[8:9], exec
	s_or_b64 s[4:5], s[4:5], s[8:9]
	s_or_b64 exec, exec, s[6:7]
	s_and_saveexec_b64 s[6:7], s[4:5]
	s_cbranch_execz .LBB2_33397
; %bb.59627:
	s_getpc_b64 s[14:15]
.Lpost_getpc33397:
	s_add_u32 s14, s14, (.LBB2_9451-.Lpost_getpc33397)&4294967295
	s_addc_u32 s15, s15, (.LBB2_9451-.Lpost_getpc33397)>>32
	s_setpc_b64 s[14:15]
.LBB2_33397:
	s_getpc_b64 s[14:15]
.Lpost_getpc20282:
	s_add_u32 s14, s14, (.LBB2_9452-.Lpost_getpc20282)&4294967295
	s_addc_u32 s15, s15, (.LBB2_9452-.Lpost_getpc20282)>>32
	s_setpc_b64 s[14:15]
.LBB2_23789:
	s_movk_i32 s4, 0x80
	v_cmp_eq_u16_sdwa s[12:13], v3, s4 src0_sel:BYTE_0 src1_sel:DWORD
	s_mov_b64 s[4:5], -1
                                        ; implicit-def: $sgpr10
	s_and_saveexec_b64 s[8:9], s[12:13]
; %bb.23790:
	s_mov_b32 s10, 0x7f800001
	s_xor_b64 s[4:5], exec, -1
; %bb.23791:
	s_or_b64 exec, exec, s[8:9]
	s_and_b64 s[4:5], s[4:5], exec
	s_or_saveexec_b64 s[6:7], s[6:7]
	v_mov_b32_e32 v4, s10
	s_xor_b64 exec, exec, s[6:7]
	s_cbranch_execnz .LBB2_23792
; %bb.59629:
	s_getpc_b64 s[14:15]
.Lpost_getpc33398:
	s_add_u32 s14, s14, (.LBB2_9454-.Lpost_getpc33398)&4294967295
	s_addc_u32 s15, s15, (.LBB2_9454-.Lpost_getpc33398)>>32
	s_setpc_b64 s[14:15]
.LBB2_23792:
	v_mov_b32_e32 v4, 0
	v_cmp_ne_u16_sdwa s[8:9], v3, v4 src0_sel:BYTE_0 src1_sel:DWORD
	s_andn2_b64 s[4:5], s[4:5], exec
	s_and_b64 s[8:9], s[8:9], exec
	s_or_b64 s[4:5], s[4:5], s[8:9]
	s_or_b64 exec, exec, s[6:7]
	s_and_saveexec_b64 s[6:7], s[4:5]
	s_cbranch_execz .LBB2_33399
; %bb.59631:
	s_getpc_b64 s[14:15]
.Lpost_getpc33399:
	s_add_u32 s14, s14, (.LBB2_9455-.Lpost_getpc33399)&4294967295
	s_addc_u32 s15, s15, (.LBB2_9455-.Lpost_getpc33399)>>32
	s_setpc_b64 s[14:15]
.LBB2_33399:
	s_getpc_b64 s[14:15]
.Lpost_getpc20283:
	s_add_u32 s14, s14, (.LBB2_9456-.Lpost_getpc20283)&4294967295
	s_addc_u32 s15, s15, (.LBB2_9456-.Lpost_getpc20283)>>32
	s_setpc_b64 s[14:15]
.LBB2_23793:
	s_movk_i32 s4, 0x80
	v_cmp_eq_u16_e32 vcc, s4, v3
	s_mov_b64 s[4:5], -1
                                        ; implicit-def: $sgpr10
	s_and_saveexec_b64 s[8:9], vcc
; %bb.23794:
	s_mov_b32 s10, 0x7f800001
	s_xor_b64 s[4:5], exec, -1
; %bb.23795:
	s_or_b64 exec, exec, s[8:9]
	s_and_b64 s[4:5], s[4:5], exec
                                        ; implicit-def: $vgpr3
	s_or_saveexec_b64 s[6:7], s[6:7]
	v_mov_b32_e32 v2, s10
	s_xor_b64 exec, exec, s[6:7]
	s_cbranch_execnz .LBB2_23796
; %bb.59633:
	s_getpc_b64 s[14:15]
.Lpost_getpc33400:
	s_add_u32 s14, s14, (.LBB2_9458-.Lpost_getpc33400)&4294967295
	s_addc_u32 s15, s15, (.LBB2_9458-.Lpost_getpc33400)>>32
	s_setpc_b64 s[14:15]
.LBB2_23796:
	v_cmp_ne_u16_e32 vcc, 0, v3
	s_andn2_b64 s[4:5], s[4:5], exec
	s_and_b64 s[8:9], vcc, exec
	v_mov_b32_e32 v2, 0
	s_or_b64 s[4:5], s[4:5], s[8:9]
	s_or_b64 exec, exec, s[6:7]
	s_and_saveexec_b64 s[6:7], s[4:5]
	s_cbranch_execz .LBB2_33401
; %bb.59635:
	s_getpc_b64 s[14:15]
.Lpost_getpc33401:
	s_add_u32 s14, s14, (.LBB2_9459-.Lpost_getpc33401)&4294967295
	s_addc_u32 s15, s15, (.LBB2_9459-.Lpost_getpc33401)>>32
	s_setpc_b64 s[14:15]
.LBB2_33401:
	s_getpc_b64 s[14:15]
.Lpost_getpc20284:
	s_add_u32 s14, s14, (.LBB2_9460-.Lpost_getpc20284)&4294967295
	s_addc_u32 s15, s15, (.LBB2_9460-.Lpost_getpc20284)>>32
	s_setpc_b64 s[14:15]
.LBB2_23797:
	s_movk_i32 s4, 0x80
	v_cmp_eq_u16_e32 vcc, s4, v3
	s_mov_b64 s[4:5], -1
                                        ; implicit-def: $sgpr10
	s_and_saveexec_b64 s[8:9], vcc
; %bb.23798:
	s_mov_b32 s10, 0x7f800001
	s_xor_b64 s[4:5], exec, -1
; %bb.23799:
	s_or_b64 exec, exec, s[8:9]
	s_and_b64 s[4:5], s[4:5], exec
                                        ; implicit-def: $vgpr3
	s_or_saveexec_b64 s[6:7], s[6:7]
	v_mov_b32_e32 v4, s10
	s_xor_b64 exec, exec, s[6:7]
	s_cbranch_execnz .LBB2_23800
; %bb.59637:
	s_getpc_b64 s[14:15]
.Lpost_getpc33402:
	s_add_u32 s14, s14, (.LBB2_9462-.Lpost_getpc33402)&4294967295
	s_addc_u32 s15, s15, (.LBB2_9462-.Lpost_getpc33402)>>32
	s_setpc_b64 s[14:15]
.LBB2_23800:
	v_cmp_ne_u16_e32 vcc, 0, v3
	s_andn2_b64 s[4:5], s[4:5], exec
	s_and_b64 s[8:9], vcc, exec
	v_mov_b32_e32 v4, 0
	s_or_b64 s[4:5], s[4:5], s[8:9]
	s_or_b64 exec, exec, s[6:7]
	s_and_saveexec_b64 s[6:7], s[4:5]
	s_cbranch_execz .LBB2_33403
; %bb.59639:
	s_getpc_b64 s[14:15]
.Lpost_getpc33403:
	s_add_u32 s14, s14, (.LBB2_9463-.Lpost_getpc33403)&4294967295
	s_addc_u32 s15, s15, (.LBB2_9463-.Lpost_getpc33403)>>32
	s_setpc_b64 s[14:15]
.LBB2_33403:
	s_getpc_b64 s[14:15]
.Lpost_getpc20285:
	s_add_u32 s14, s14, (.LBB2_9464-.Lpost_getpc20285)&4294967295
	s_addc_u32 s15, s15, (.LBB2_9464-.Lpost_getpc20285)>>32
	s_setpc_b64 s[14:15]
.LBB2_23801:
	s_movk_i32 s4, 0x80
	v_cmp_eq_u16_sdwa s[12:13], v9, s4 src0_sel:BYTE_3 src1_sel:DWORD
	s_mov_b64 s[4:5], -1
                                        ; implicit-def: $sgpr10
	s_and_saveexec_b64 s[8:9], s[12:13]
; %bb.23802:
	s_mov_b32 s10, 0x7f800001
	s_xor_b64 s[4:5], exec, -1
; %bb.23803:
	s_or_b64 exec, exec, s[8:9]
	s_and_b64 s[4:5], s[4:5], exec
	s_or_saveexec_b64 s[6:7], s[6:7]
	v_mov_b32_e32 v2, s10
	s_xor_b64 exec, exec, s[6:7]
	s_cbranch_execnz .LBB2_23804
; %bb.59641:
	s_getpc_b64 s[14:15]
.Lpost_getpc33404:
	s_add_u32 s14, s14, (.LBB2_9466-.Lpost_getpc33404)&4294967295
	s_addc_u32 s15, s15, (.LBB2_9466-.Lpost_getpc33404)>>32
	s_setpc_b64 s[14:15]
.LBB2_23804:
	v_mov_b32_e32 v2, 0
	v_cmp_ne_u16_sdwa s[8:9], v9, v2 src0_sel:BYTE_3 src1_sel:DWORD
	s_andn2_b64 s[4:5], s[4:5], exec
	s_and_b64 s[8:9], s[8:9], exec
	s_or_b64 s[4:5], s[4:5], s[8:9]
	s_or_b64 exec, exec, s[6:7]
	s_and_saveexec_b64 s[6:7], s[4:5]
	s_cbranch_execz .LBB2_33405
; %bb.59643:
	s_getpc_b64 s[14:15]
.Lpost_getpc33405:
	s_add_u32 s14, s14, (.LBB2_9467-.Lpost_getpc33405)&4294967295
	s_addc_u32 s15, s15, (.LBB2_9467-.Lpost_getpc33405)>>32
	s_setpc_b64 s[14:15]
.LBB2_33405:
	s_getpc_b64 s[14:15]
.Lpost_getpc20286:
	s_add_u32 s14, s14, (.LBB2_9468-.Lpost_getpc20286)&4294967295
	s_addc_u32 s15, s15, (.LBB2_9468-.Lpost_getpc20286)>>32
	s_setpc_b64 s[14:15]
.LBB2_23805:
	s_movk_i32 s4, 0x80
	v_cmp_eq_u16_sdwa s[12:13], v5, s4 src0_sel:BYTE_3 src1_sel:DWORD
	s_mov_b64 s[4:5], -1
                                        ; implicit-def: $sgpr10
	s_and_saveexec_b64 s[8:9], s[12:13]
; %bb.23806:
	s_mov_b32 s10, 0x7f800001
	s_xor_b64 s[4:5], exec, -1
; %bb.23807:
	s_or_b64 exec, exec, s[8:9]
	s_and_b64 s[4:5], s[4:5], exec
	s_or_saveexec_b64 s[6:7], s[6:7]
	v_mov_b32_e32 v3, s10
	s_xor_b64 exec, exec, s[6:7]
	s_cbranch_execnz .LBB2_23808
; %bb.59645:
	s_getpc_b64 s[14:15]
.Lpost_getpc33406:
	s_add_u32 s14, s14, (.LBB2_9470-.Lpost_getpc33406)&4294967295
	s_addc_u32 s15, s15, (.LBB2_9470-.Lpost_getpc33406)>>32
	s_setpc_b64 s[14:15]
.LBB2_23808:
	v_mov_b32_e32 v3, 0
	v_cmp_ne_u16_sdwa s[8:9], v5, v3 src0_sel:BYTE_3 src1_sel:DWORD
	s_andn2_b64 s[4:5], s[4:5], exec
	s_and_b64 s[8:9], s[8:9], exec
	s_or_b64 s[4:5], s[4:5], s[8:9]
	s_or_b64 exec, exec, s[6:7]
	s_and_saveexec_b64 s[6:7], s[4:5]
	s_cbranch_execz .LBB2_33407
; %bb.59647:
	s_getpc_b64 s[14:15]
.Lpost_getpc33407:
	s_add_u32 s14, s14, (.LBB2_9471-.Lpost_getpc33407)&4294967295
	s_addc_u32 s15, s15, (.LBB2_9471-.Lpost_getpc33407)>>32
	s_setpc_b64 s[14:15]
.LBB2_33407:
	s_getpc_b64 s[14:15]
.Lpost_getpc20287:
	s_add_u32 s14, s14, (.LBB2_9472-.Lpost_getpc20287)&4294967295
	s_addc_u32 s15, s15, (.LBB2_9472-.Lpost_getpc20287)>>32
	s_setpc_b64 s[14:15]
.LBB2_23809:
	s_movk_i32 s4, 0x80
	v_cmp_eq_u16_sdwa s[12:13], v6, s4 src0_sel:BYTE_0 src1_sel:DWORD
	s_mov_b64 s[4:5], -1
                                        ; implicit-def: $sgpr10
	s_and_saveexec_b64 s[8:9], s[12:13]
; %bb.23810:
	s_mov_b32 s10, 0x7f800001
	s_xor_b64 s[4:5], exec, -1
; %bb.23811:
	s_or_b64 exec, exec, s[8:9]
	s_and_b64 s[4:5], s[4:5], exec
	s_or_saveexec_b64 s[6:7], s[6:7]
	v_mov_b32_e32 v12, s10
	s_xor_b64 exec, exec, s[6:7]
	s_cbranch_execnz .LBB2_23812
; %bb.59649:
	s_getpc_b64 s[14:15]
.Lpost_getpc33408:
	s_add_u32 s14, s14, (.LBB2_9474-.Lpost_getpc33408)&4294967295
	s_addc_u32 s15, s15, (.LBB2_9474-.Lpost_getpc33408)>>32
	s_setpc_b64 s[14:15]
.LBB2_23812:
	v_mov_b32_e32 v12, 0
	v_cmp_ne_u16_sdwa s[8:9], v6, v12 src0_sel:BYTE_0 src1_sel:DWORD
	s_andn2_b64 s[4:5], s[4:5], exec
	s_and_b64 s[8:9], s[8:9], exec
	s_or_b64 s[4:5], s[4:5], s[8:9]
	s_or_b64 exec, exec, s[6:7]
	s_and_saveexec_b64 s[6:7], s[4:5]
	s_cbranch_execz .LBB2_33409
; %bb.59651:
	s_getpc_b64 s[14:15]
.Lpost_getpc33409:
	s_add_u32 s14, s14, (.LBB2_9475-.Lpost_getpc33409)&4294967295
	s_addc_u32 s15, s15, (.LBB2_9475-.Lpost_getpc33409)>>32
	s_setpc_b64 s[14:15]
.LBB2_33409:
	s_getpc_b64 s[14:15]
.Lpost_getpc20288:
	s_add_u32 s14, s14, (.LBB2_9476-.Lpost_getpc20288)&4294967295
	s_addc_u32 s15, s15, (.LBB2_9476-.Lpost_getpc20288)>>32
	s_setpc_b64 s[14:15]
.LBB2_23813:
	s_movk_i32 s4, 0x80
	v_cmp_eq_u16_sdwa s[12:13], v2, s4 src0_sel:BYTE_0 src1_sel:DWORD
	s_mov_b64 s[4:5], -1
                                        ; implicit-def: $sgpr10
	s_and_saveexec_b64 s[8:9], s[12:13]
; %bb.23814:
	s_mov_b32 s10, 0x7f800001
	s_xor_b64 s[4:5], exec, -1
; %bb.23815:
	s_or_b64 exec, exec, s[8:9]
	s_and_b64 s[4:5], s[4:5], exec
	s_or_saveexec_b64 s[6:7], s[6:7]
	v_mov_b32_e32 v13, s10
	s_xor_b64 exec, exec, s[6:7]
	s_cbranch_execnz .LBB2_23816
; %bb.59653:
	s_getpc_b64 s[14:15]
.Lpost_getpc33410:
	s_add_u32 s14, s14, (.LBB2_9478-.Lpost_getpc33410)&4294967295
	s_addc_u32 s15, s15, (.LBB2_9478-.Lpost_getpc33410)>>32
	s_setpc_b64 s[14:15]
.LBB2_23816:
	v_mov_b32_e32 v13, 0
	v_cmp_ne_u16_sdwa s[8:9], v2, v13 src0_sel:BYTE_0 src1_sel:DWORD
	s_andn2_b64 s[4:5], s[4:5], exec
	s_and_b64 s[8:9], s[8:9], exec
	s_or_b64 s[4:5], s[4:5], s[8:9]
	s_or_b64 exec, exec, s[6:7]
	s_and_saveexec_b64 s[6:7], s[4:5]
	s_cbranch_execz .LBB2_33411
; %bb.59655:
	s_getpc_b64 s[14:15]
.Lpost_getpc33411:
	s_add_u32 s14, s14, (.LBB2_9479-.Lpost_getpc33411)&4294967295
	s_addc_u32 s15, s15, (.LBB2_9479-.Lpost_getpc33411)>>32
	s_setpc_b64 s[14:15]
.LBB2_33411:
	s_getpc_b64 s[14:15]
.Lpost_getpc20289:
	s_add_u32 s14, s14, (.LBB2_9480-.Lpost_getpc20289)&4294967295
	s_addc_u32 s15, s15, (.LBB2_9480-.Lpost_getpc20289)>>32
	s_setpc_b64 s[14:15]
.LBB2_23817:
	s_movk_i32 s4, 0x80
	v_cmp_eq_u16_sdwa s[12:13], v13, s4 src0_sel:BYTE_0 src1_sel:DWORD
	s_mov_b64 s[4:5], -1
                                        ; implicit-def: $sgpr10
	s_and_saveexec_b64 s[8:9], s[12:13]
; %bb.23818:
	s_mov_b32 s10, 0x7f800001
	s_xor_b64 s[4:5], exec, -1
; %bb.23819:
	s_or_b64 exec, exec, s[8:9]
	s_and_b64 s[4:5], s[4:5], exec
	s_or_saveexec_b64 s[6:7], s[6:7]
	v_mov_b32_e32 v12, s10
	s_xor_b64 exec, exec, s[6:7]
	s_cbranch_execnz .LBB2_23820
; %bb.59657:
	s_getpc_b64 s[14:15]
.Lpost_getpc33412:
	s_add_u32 s14, s14, (.LBB2_9482-.Lpost_getpc33412)&4294967295
	s_addc_u32 s15, s15, (.LBB2_9482-.Lpost_getpc33412)>>32
	s_setpc_b64 s[14:15]
.LBB2_23820:
	v_mov_b32_e32 v12, 0
	v_cmp_ne_u16_sdwa s[8:9], v13, v12 src0_sel:BYTE_0 src1_sel:DWORD
	s_andn2_b64 s[4:5], s[4:5], exec
	s_and_b64 s[8:9], s[8:9], exec
	s_or_b64 s[4:5], s[4:5], s[8:9]
	s_or_b64 exec, exec, s[6:7]
	s_and_saveexec_b64 s[6:7], s[4:5]
	s_cbranch_execz .LBB2_33413
; %bb.59659:
	s_getpc_b64 s[14:15]
.Lpost_getpc33413:
	s_add_u32 s14, s14, (.LBB2_9483-.Lpost_getpc33413)&4294967295
	s_addc_u32 s15, s15, (.LBB2_9483-.Lpost_getpc33413)>>32
	s_setpc_b64 s[14:15]
.LBB2_33413:
	s_getpc_b64 s[14:15]
.Lpost_getpc20290:
	s_add_u32 s14, s14, (.LBB2_9484-.Lpost_getpc20290)&4294967295
	s_addc_u32 s15, s15, (.LBB2_9484-.Lpost_getpc20290)>>32
	s_setpc_b64 s[14:15]
.LBB2_23821:
	s_movk_i32 s4, 0x80
	v_cmp_eq_u16_sdwa s[12:13], v13, s4 src0_sel:BYTE_0 src1_sel:DWORD
	s_mov_b64 s[4:5], -1
                                        ; implicit-def: $sgpr10
	s_and_saveexec_b64 s[8:9], s[12:13]
; %bb.23822:
	s_mov_b32 s10, 0x7f800001
	s_xor_b64 s[4:5], exec, -1
; %bb.23823:
	s_or_b64 exec, exec, s[8:9]
	s_and_b64 s[4:5], s[4:5], exec
	s_or_saveexec_b64 s[6:7], s[6:7]
	v_mov_b32_e32 v14, s10
	s_xor_b64 exec, exec, s[6:7]
	s_cbranch_execnz .LBB2_23824
; %bb.59661:
	s_getpc_b64 s[14:15]
.Lpost_getpc33414:
	s_add_u32 s14, s14, (.LBB2_9486-.Lpost_getpc33414)&4294967295
	s_addc_u32 s15, s15, (.LBB2_9486-.Lpost_getpc33414)>>32
	s_setpc_b64 s[14:15]
.LBB2_23824:
	v_mov_b32_e32 v14, 0
	v_cmp_ne_u16_sdwa s[8:9], v13, v14 src0_sel:BYTE_0 src1_sel:DWORD
	s_andn2_b64 s[4:5], s[4:5], exec
	s_and_b64 s[8:9], s[8:9], exec
	s_or_b64 s[4:5], s[4:5], s[8:9]
	s_or_b64 exec, exec, s[6:7]
	s_and_saveexec_b64 s[6:7], s[4:5]
	s_cbranch_execz .LBB2_33415
; %bb.59663:
	s_getpc_b64 s[14:15]
.Lpost_getpc33415:
	s_add_u32 s14, s14, (.LBB2_9487-.Lpost_getpc33415)&4294967295
	s_addc_u32 s15, s15, (.LBB2_9487-.Lpost_getpc33415)>>32
	s_setpc_b64 s[14:15]
.LBB2_33415:
	s_getpc_b64 s[14:15]
.Lpost_getpc20291:
	s_add_u32 s14, s14, (.LBB2_9488-.Lpost_getpc20291)&4294967295
	s_addc_u32 s15, s15, (.LBB2_9488-.Lpost_getpc20291)>>32
	s_setpc_b64 s[14:15]
.LBB2_23825:
	s_movk_i32 s4, 0x80
	v_cmp_eq_u16_e32 vcc, s4, v13
	s_mov_b64 s[4:5], -1
                                        ; implicit-def: $sgpr10
	s_and_saveexec_b64 s[8:9], vcc
; %bb.23826:
	s_mov_b32 s10, 0x7f800001
	s_xor_b64 s[4:5], exec, -1
; %bb.23827:
	s_or_b64 exec, exec, s[8:9]
	s_and_b64 s[4:5], s[4:5], exec
                                        ; implicit-def: $vgpr13
	s_or_saveexec_b64 s[6:7], s[6:7]
	v_mov_b32_e32 v12, s10
	s_xor_b64 exec, exec, s[6:7]
	s_cbranch_execnz .LBB2_23828
; %bb.59665:
	s_getpc_b64 s[14:15]
.Lpost_getpc33416:
	s_add_u32 s14, s14, (.LBB2_9490-.Lpost_getpc33416)&4294967295
	s_addc_u32 s15, s15, (.LBB2_9490-.Lpost_getpc33416)>>32
	s_setpc_b64 s[14:15]
.LBB2_23828:
	v_cmp_ne_u16_e32 vcc, 0, v13
	s_andn2_b64 s[4:5], s[4:5], exec
	s_and_b64 s[8:9], vcc, exec
	v_mov_b32_e32 v12, 0
	s_or_b64 s[4:5], s[4:5], s[8:9]
	s_or_b64 exec, exec, s[6:7]
	s_and_saveexec_b64 s[6:7], s[4:5]
	s_cbranch_execz .LBB2_33417
; %bb.59667:
	s_getpc_b64 s[14:15]
.Lpost_getpc33417:
	s_add_u32 s14, s14, (.LBB2_9491-.Lpost_getpc33417)&4294967295
	s_addc_u32 s15, s15, (.LBB2_9491-.Lpost_getpc33417)>>32
	s_setpc_b64 s[14:15]
.LBB2_33417:
	s_getpc_b64 s[14:15]
.Lpost_getpc20292:
	s_add_u32 s14, s14, (.LBB2_9492-.Lpost_getpc20292)&4294967295
	s_addc_u32 s15, s15, (.LBB2_9492-.Lpost_getpc20292)>>32
	s_setpc_b64 s[14:15]
.LBB2_23829:
	s_movk_i32 s4, 0x80
	v_cmp_eq_u16_e32 vcc, s4, v13
	s_mov_b64 s[4:5], -1
                                        ; implicit-def: $sgpr10
	s_and_saveexec_b64 s[8:9], vcc
; %bb.23830:
	s_mov_b32 s10, 0x7f800001
	s_xor_b64 s[4:5], exec, -1
; %bb.23831:
	s_or_b64 exec, exec, s[8:9]
	s_and_b64 s[4:5], s[4:5], exec
                                        ; implicit-def: $vgpr13
	s_or_saveexec_b64 s[6:7], s[6:7]
	v_mov_b32_e32 v14, s10
	s_xor_b64 exec, exec, s[6:7]
	s_cbranch_execnz .LBB2_23832
; %bb.59669:
	s_getpc_b64 s[14:15]
.Lpost_getpc33418:
	s_add_u32 s14, s14, (.LBB2_9494-.Lpost_getpc33418)&4294967295
	s_addc_u32 s15, s15, (.LBB2_9494-.Lpost_getpc33418)>>32
	s_setpc_b64 s[14:15]
.LBB2_23832:
	v_cmp_ne_u16_e32 vcc, 0, v13
	s_andn2_b64 s[4:5], s[4:5], exec
	s_and_b64 s[8:9], vcc, exec
	v_mov_b32_e32 v14, 0
	s_or_b64 s[4:5], s[4:5], s[8:9]
	s_or_b64 exec, exec, s[6:7]
	s_and_saveexec_b64 s[6:7], s[4:5]
	s_cbranch_execz .LBB2_33419
; %bb.59671:
	s_getpc_b64 s[14:15]
.Lpost_getpc33419:
	s_add_u32 s14, s14, (.LBB2_9495-.Lpost_getpc33419)&4294967295
	s_addc_u32 s15, s15, (.LBB2_9495-.Lpost_getpc33419)>>32
	s_setpc_b64 s[14:15]
.LBB2_33419:
	s_getpc_b64 s[14:15]
.Lpost_getpc20293:
	s_add_u32 s14, s14, (.LBB2_9496-.Lpost_getpc20293)&4294967295
	s_addc_u32 s15, s15, (.LBB2_9496-.Lpost_getpc20293)>>32
	s_setpc_b64 s[14:15]
.LBB2_23833:
	s_movk_i32 s4, 0x80
	v_cmp_eq_u16_sdwa s[12:13], v6, s4 src0_sel:BYTE_3 src1_sel:DWORD
	s_mov_b64 s[4:5], -1
                                        ; implicit-def: $sgpr10
	s_and_saveexec_b64 s[8:9], s[12:13]
; %bb.23834:
	s_mov_b32 s10, 0x7f800001
	s_xor_b64 s[4:5], exec, -1
; %bb.23835:
	s_or_b64 exec, exec, s[8:9]
	s_and_b64 s[4:5], s[4:5], exec
	s_or_saveexec_b64 s[6:7], s[6:7]
	v_mov_b32_e32 v12, s10
	s_xor_b64 exec, exec, s[6:7]
	s_cbranch_execnz .LBB2_23836
; %bb.59673:
	s_getpc_b64 s[14:15]
.Lpost_getpc33420:
	s_add_u32 s14, s14, (.LBB2_9498-.Lpost_getpc33420)&4294967295
	s_addc_u32 s15, s15, (.LBB2_9498-.Lpost_getpc33420)>>32
	s_setpc_b64 s[14:15]
.LBB2_23836:
	v_mov_b32_e32 v12, 0
	v_cmp_ne_u16_sdwa s[8:9], v6, v12 src0_sel:BYTE_3 src1_sel:DWORD
	s_andn2_b64 s[4:5], s[4:5], exec
	s_and_b64 s[8:9], s[8:9], exec
	s_or_b64 s[4:5], s[4:5], s[8:9]
	s_or_b64 exec, exec, s[6:7]
	s_and_saveexec_b64 s[6:7], s[4:5]
	s_cbranch_execz .LBB2_33421
; %bb.59675:
	s_getpc_b64 s[14:15]
.Lpost_getpc33421:
	s_add_u32 s14, s14, (.LBB2_9499-.Lpost_getpc33421)&4294967295
	s_addc_u32 s15, s15, (.LBB2_9499-.Lpost_getpc33421)>>32
	s_setpc_b64 s[14:15]
.LBB2_33421:
	s_getpc_b64 s[14:15]
.Lpost_getpc20294:
	s_add_u32 s14, s14, (.LBB2_9500-.Lpost_getpc20294)&4294967295
	s_addc_u32 s15, s15, (.LBB2_9500-.Lpost_getpc20294)>>32
	s_setpc_b64 s[14:15]
.LBB2_23837:
	s_movk_i32 s4, 0x80
	v_cmp_eq_u16_sdwa s[12:13], v2, s4 src0_sel:BYTE_3 src1_sel:DWORD
	s_mov_b64 s[4:5], -1
                                        ; implicit-def: $sgpr10
	s_and_saveexec_b64 s[8:9], s[12:13]
; %bb.23838:
	s_mov_b32 s10, 0x7f800001
	s_xor_b64 s[4:5], exec, -1
; %bb.23839:
	s_or_b64 exec, exec, s[8:9]
	s_and_b64 s[4:5], s[4:5], exec
	s_or_saveexec_b64 s[6:7], s[6:7]
	v_mov_b32_e32 v6, s10
	s_xor_b64 exec, exec, s[6:7]
	s_cbranch_execnz .LBB2_23840
; %bb.59677:
	s_getpc_b64 s[14:15]
.Lpost_getpc33422:
	s_add_u32 s14, s14, (.LBB2_9502-.Lpost_getpc33422)&4294967295
	s_addc_u32 s15, s15, (.LBB2_9502-.Lpost_getpc33422)>>32
	s_setpc_b64 s[14:15]
.LBB2_23840:
	v_mov_b32_e32 v6, 0
	v_cmp_ne_u16_sdwa s[8:9], v2, v6 src0_sel:BYTE_3 src1_sel:DWORD
	s_andn2_b64 s[4:5], s[4:5], exec
	s_and_b64 s[8:9], s[8:9], exec
	s_or_b64 s[4:5], s[4:5], s[8:9]
	s_or_b64 exec, exec, s[6:7]
	s_and_saveexec_b64 s[6:7], s[4:5]
	s_cbranch_execz .LBB2_33423
; %bb.59679:
	s_getpc_b64 s[14:15]
.Lpost_getpc33423:
	s_add_u32 s14, s14, (.LBB2_9503-.Lpost_getpc33423)&4294967295
	s_addc_u32 s15, s15, (.LBB2_9503-.Lpost_getpc33423)>>32
	s_setpc_b64 s[14:15]
.LBB2_33423:
	s_getpc_b64 s[14:15]
.Lpost_getpc20295:
	s_add_u32 s14, s14, (.LBB2_9504-.Lpost_getpc20295)&4294967295
	s_addc_u32 s15, s15, (.LBB2_9504-.Lpost_getpc20295)>>32
	s_setpc_b64 s[14:15]
.LBB2_23841:
	s_movk_i32 s4, 0x80
	v_cmp_eq_u16_sdwa s[12:13], v7, s4 src0_sel:BYTE_0 src1_sel:DWORD
	s_mov_b64 s[4:5], -1
                                        ; implicit-def: $sgpr10
	s_and_saveexec_b64 s[8:9], s[12:13]
; %bb.23842:
	s_mov_b32 s10, 0x7f800001
	s_xor_b64 s[4:5], exec, -1
; %bb.23843:
	s_or_b64 exec, exec, s[8:9]
	s_and_b64 s[4:5], s[4:5], exec
	s_or_saveexec_b64 s[6:7], s[6:7]
	v_mov_b32_e32 v2, s10
	s_xor_b64 exec, exec, s[6:7]
	s_cbranch_execnz .LBB2_23844
; %bb.59681:
	s_getpc_b64 s[14:15]
.Lpost_getpc33424:
	s_add_u32 s14, s14, (.LBB2_9506-.Lpost_getpc33424)&4294967295
	s_addc_u32 s15, s15, (.LBB2_9506-.Lpost_getpc33424)>>32
	s_setpc_b64 s[14:15]
.LBB2_23844:
	v_mov_b32_e32 v2, 0
	v_cmp_ne_u16_sdwa s[8:9], v7, v2 src0_sel:BYTE_0 src1_sel:DWORD
	s_andn2_b64 s[4:5], s[4:5], exec
	s_and_b64 s[8:9], s[8:9], exec
	s_or_b64 s[4:5], s[4:5], s[8:9]
	s_or_b64 exec, exec, s[6:7]
	s_and_saveexec_b64 s[6:7], s[4:5]
	s_cbranch_execz .LBB2_33425
; %bb.59683:
	s_getpc_b64 s[14:15]
.Lpost_getpc33425:
	s_add_u32 s14, s14, (.LBB2_9507-.Lpost_getpc33425)&4294967295
	s_addc_u32 s15, s15, (.LBB2_9507-.Lpost_getpc33425)>>32
	s_setpc_b64 s[14:15]
.LBB2_33425:
	s_getpc_b64 s[14:15]
.Lpost_getpc20296:
	s_add_u32 s14, s14, (.LBB2_9508-.Lpost_getpc20296)&4294967295
	s_addc_u32 s15, s15, (.LBB2_9508-.Lpost_getpc20296)>>32
	s_setpc_b64 s[14:15]
.LBB2_23845:
	s_movk_i32 s4, 0x80
	v_cmp_eq_u16_sdwa s[12:13], v3, s4 src0_sel:BYTE_0 src1_sel:DWORD
	s_mov_b64 s[4:5], -1
                                        ; implicit-def: $sgpr10
	s_and_saveexec_b64 s[8:9], s[12:13]
; %bb.23846:
	s_mov_b32 s10, 0x7f800001
	s_xor_b64 s[4:5], exec, -1
; %bb.23847:
	s_or_b64 exec, exec, s[8:9]
	s_and_b64 s[4:5], s[4:5], exec
	s_or_saveexec_b64 s[6:7], s[6:7]
	v_mov_b32_e32 v6, s10
	s_xor_b64 exec, exec, s[6:7]
	s_cbranch_execnz .LBB2_23848
; %bb.59685:
	s_getpc_b64 s[14:15]
.Lpost_getpc33426:
	s_add_u32 s14, s14, (.LBB2_9510-.Lpost_getpc33426)&4294967295
	s_addc_u32 s15, s15, (.LBB2_9510-.Lpost_getpc33426)>>32
	s_setpc_b64 s[14:15]
.LBB2_23848:
	v_mov_b32_e32 v6, 0
	v_cmp_ne_u16_sdwa s[8:9], v3, v6 src0_sel:BYTE_0 src1_sel:DWORD
	s_andn2_b64 s[4:5], s[4:5], exec
	s_and_b64 s[8:9], s[8:9], exec
	s_or_b64 s[4:5], s[4:5], s[8:9]
	s_or_b64 exec, exec, s[6:7]
	s_and_saveexec_b64 s[6:7], s[4:5]
	s_cbranch_execz .LBB2_33427
; %bb.59687:
	s_getpc_b64 s[14:15]
.Lpost_getpc33427:
	s_add_u32 s14, s14, (.LBB2_9511-.Lpost_getpc33427)&4294967295
	s_addc_u32 s15, s15, (.LBB2_9511-.Lpost_getpc33427)>>32
	s_setpc_b64 s[14:15]
.LBB2_33427:
	s_getpc_b64 s[14:15]
.Lpost_getpc20297:
	s_add_u32 s14, s14, (.LBB2_9512-.Lpost_getpc20297)&4294967295
	s_addc_u32 s15, s15, (.LBB2_9512-.Lpost_getpc20297)>>32
	s_setpc_b64 s[14:15]
.LBB2_23849:
	s_movk_i32 s4, 0x80
	v_cmp_eq_u16_sdwa s[12:13], v6, s4 src0_sel:BYTE_0 src1_sel:DWORD
	s_mov_b64 s[4:5], -1
                                        ; implicit-def: $sgpr10
	s_and_saveexec_b64 s[8:9], s[12:13]
; %bb.23850:
	s_mov_b32 s10, 0x7f800001
	s_xor_b64 s[4:5], exec, -1
; %bb.23851:
	s_or_b64 exec, exec, s[8:9]
	s_and_b64 s[4:5], s[4:5], exec
	s_or_saveexec_b64 s[6:7], s[6:7]
	v_mov_b32_e32 v2, s10
	s_xor_b64 exec, exec, s[6:7]
	s_cbranch_execnz .LBB2_23852
; %bb.59689:
	s_getpc_b64 s[14:15]
.Lpost_getpc33428:
	s_add_u32 s14, s14, (.LBB2_9514-.Lpost_getpc33428)&4294967295
	s_addc_u32 s15, s15, (.LBB2_9514-.Lpost_getpc33428)>>32
	s_setpc_b64 s[14:15]
.LBB2_23852:
	v_mov_b32_e32 v2, 0
	v_cmp_ne_u16_sdwa s[8:9], v6, v2 src0_sel:BYTE_0 src1_sel:DWORD
	s_andn2_b64 s[4:5], s[4:5], exec
	s_and_b64 s[8:9], s[8:9], exec
	s_or_b64 s[4:5], s[4:5], s[8:9]
	s_or_b64 exec, exec, s[6:7]
	s_and_saveexec_b64 s[6:7], s[4:5]
	s_cbranch_execz .LBB2_33429
; %bb.59691:
	s_getpc_b64 s[14:15]
.Lpost_getpc33429:
	s_add_u32 s14, s14, (.LBB2_9515-.Lpost_getpc33429)&4294967295
	s_addc_u32 s15, s15, (.LBB2_9515-.Lpost_getpc33429)>>32
	s_setpc_b64 s[14:15]
.LBB2_33429:
	s_getpc_b64 s[14:15]
.Lpost_getpc20298:
	s_add_u32 s14, s14, (.LBB2_9516-.Lpost_getpc20298)&4294967295
	s_addc_u32 s15, s15, (.LBB2_9516-.Lpost_getpc20298)>>32
	s_setpc_b64 s[14:15]
.LBB2_23853:
	s_movk_i32 s4, 0x80
	v_cmp_eq_u16_sdwa s[12:13], v6, s4 src0_sel:BYTE_0 src1_sel:DWORD
	s_mov_b64 s[4:5], -1
                                        ; implicit-def: $sgpr10
	s_and_saveexec_b64 s[8:9], s[12:13]
; %bb.23854:
	s_mov_b32 s10, 0x7f800001
	s_xor_b64 s[4:5], exec, -1
; %bb.23855:
	s_or_b64 exec, exec, s[8:9]
	s_and_b64 s[4:5], s[4:5], exec
	s_or_saveexec_b64 s[6:7], s[6:7]
	v_mov_b32_e32 v12, s10
	s_xor_b64 exec, exec, s[6:7]
	s_cbranch_execnz .LBB2_23856
; %bb.59693:
	s_getpc_b64 s[14:15]
.Lpost_getpc33430:
	s_add_u32 s14, s14, (.LBB2_9518-.Lpost_getpc33430)&4294967295
	s_addc_u32 s15, s15, (.LBB2_9518-.Lpost_getpc33430)>>32
	s_setpc_b64 s[14:15]
.LBB2_23856:
	v_mov_b32_e32 v12, 0
	v_cmp_ne_u16_sdwa s[8:9], v6, v12 src0_sel:BYTE_0 src1_sel:DWORD
	s_andn2_b64 s[4:5], s[4:5], exec
	s_and_b64 s[8:9], s[8:9], exec
	s_or_b64 s[4:5], s[4:5], s[8:9]
	s_or_b64 exec, exec, s[6:7]
	s_and_saveexec_b64 s[6:7], s[4:5]
	s_cbranch_execz .LBB2_33431
; %bb.59695:
	s_getpc_b64 s[14:15]
.Lpost_getpc33431:
	s_add_u32 s14, s14, (.LBB2_9519-.Lpost_getpc33431)&4294967295
	s_addc_u32 s15, s15, (.LBB2_9519-.Lpost_getpc33431)>>32
	s_setpc_b64 s[14:15]
.LBB2_33431:
	s_getpc_b64 s[14:15]
.Lpost_getpc20299:
	s_add_u32 s14, s14, (.LBB2_9520-.Lpost_getpc20299)&4294967295
	s_addc_u32 s15, s15, (.LBB2_9520-.Lpost_getpc20299)>>32
	s_setpc_b64 s[14:15]
.LBB2_23857:
	s_movk_i32 s4, 0x80
	v_cmp_eq_u16_e32 vcc, s4, v6
	s_mov_b64 s[4:5], -1
                                        ; implicit-def: $sgpr10
	s_and_saveexec_b64 s[8:9], vcc
; %bb.23858:
	s_mov_b32 s10, 0x7f800001
	s_xor_b64 s[4:5], exec, -1
; %bb.23859:
	s_or_b64 exec, exec, s[8:9]
	s_and_b64 s[4:5], s[4:5], exec
                                        ; implicit-def: $vgpr6
	s_or_saveexec_b64 s[6:7], s[6:7]
	v_mov_b32_e32 v2, s10
	s_xor_b64 exec, exec, s[6:7]
	s_cbranch_execnz .LBB2_23860
; %bb.59697:
	s_getpc_b64 s[14:15]
.Lpost_getpc33432:
	s_add_u32 s14, s14, (.LBB2_9522-.Lpost_getpc33432)&4294967295
	s_addc_u32 s15, s15, (.LBB2_9522-.Lpost_getpc33432)>>32
	s_setpc_b64 s[14:15]
.LBB2_23860:
	v_cmp_ne_u16_e32 vcc, 0, v6
	s_andn2_b64 s[4:5], s[4:5], exec
	s_and_b64 s[8:9], vcc, exec
	v_mov_b32_e32 v2, 0
	s_or_b64 s[4:5], s[4:5], s[8:9]
	s_or_b64 exec, exec, s[6:7]
	s_and_saveexec_b64 s[6:7], s[4:5]
	s_cbranch_execz .LBB2_33433
; %bb.59699:
	s_getpc_b64 s[14:15]
.Lpost_getpc33433:
	s_add_u32 s14, s14, (.LBB2_9523-.Lpost_getpc33433)&4294967295
	s_addc_u32 s15, s15, (.LBB2_9523-.Lpost_getpc33433)>>32
	s_setpc_b64 s[14:15]
.LBB2_33433:
	s_getpc_b64 s[14:15]
.Lpost_getpc20300:
	s_add_u32 s14, s14, (.LBB2_9524-.Lpost_getpc20300)&4294967295
	s_addc_u32 s15, s15, (.LBB2_9524-.Lpost_getpc20300)>>32
	s_setpc_b64 s[14:15]
.LBB2_23861:
	s_movk_i32 s4, 0x80
	v_cmp_eq_u16_e32 vcc, s4, v6
	s_mov_b64 s[4:5], -1
                                        ; implicit-def: $sgpr10
	s_and_saveexec_b64 s[8:9], vcc
; %bb.23862:
	s_mov_b32 s10, 0x7f800001
	s_xor_b64 s[4:5], exec, -1
; %bb.23863:
	s_or_b64 exec, exec, s[8:9]
	s_and_b64 s[4:5], s[4:5], exec
                                        ; implicit-def: $vgpr6
	s_or_saveexec_b64 s[6:7], s[6:7]
	v_mov_b32_e32 v12, s10
	s_xor_b64 exec, exec, s[6:7]
	s_cbranch_execnz .LBB2_23864
; %bb.59701:
	s_getpc_b64 s[14:15]
.Lpost_getpc33434:
	s_add_u32 s14, s14, (.LBB2_9526-.Lpost_getpc33434)&4294967295
	s_addc_u32 s15, s15, (.LBB2_9526-.Lpost_getpc33434)>>32
	s_setpc_b64 s[14:15]
.LBB2_23864:
	v_cmp_ne_u16_e32 vcc, 0, v6
	s_andn2_b64 s[4:5], s[4:5], exec
	s_and_b64 s[8:9], vcc, exec
	v_mov_b32_e32 v12, 0
	s_or_b64 s[4:5], s[4:5], s[8:9]
	s_or_b64 exec, exec, s[6:7]
	s_and_saveexec_b64 s[6:7], s[4:5]
	s_cbranch_execz .LBB2_33435
; %bb.59703:
	s_getpc_b64 s[14:15]
.Lpost_getpc33435:
	s_add_u32 s14, s14, (.LBB2_9527-.Lpost_getpc33435)&4294967295
	s_addc_u32 s15, s15, (.LBB2_9527-.Lpost_getpc33435)>>32
	s_setpc_b64 s[14:15]
.LBB2_33435:
	s_getpc_b64 s[14:15]
.Lpost_getpc20301:
	s_add_u32 s14, s14, (.LBB2_9528-.Lpost_getpc20301)&4294967295
	s_addc_u32 s15, s15, (.LBB2_9528-.Lpost_getpc20301)>>32
	s_setpc_b64 s[14:15]
.LBB2_23865:
	s_movk_i32 s4, 0x80
	v_cmp_eq_u16_sdwa s[12:13], v7, s4 src0_sel:BYTE_3 src1_sel:DWORD
	s_mov_b64 s[4:5], -1
                                        ; implicit-def: $sgpr10
	s_and_saveexec_b64 s[8:9], s[12:13]
; %bb.23866:
	s_mov_b32 s10, 0x7f800001
	s_xor_b64 s[4:5], exec, -1
; %bb.23867:
	s_or_b64 exec, exec, s[8:9]
	s_and_b64 s[4:5], s[4:5], exec
	s_or_saveexec_b64 s[6:7], s[6:7]
	v_mov_b32_e32 v2, s10
	s_xor_b64 exec, exec, s[6:7]
	s_cbranch_execnz .LBB2_23868
; %bb.59705:
	s_getpc_b64 s[14:15]
.Lpost_getpc33436:
	s_add_u32 s14, s14, (.LBB2_9530-.Lpost_getpc33436)&4294967295
	s_addc_u32 s15, s15, (.LBB2_9530-.Lpost_getpc33436)>>32
	s_setpc_b64 s[14:15]
.LBB2_23868:
	v_mov_b32_e32 v2, 0
	v_cmp_ne_u16_sdwa s[8:9], v7, v2 src0_sel:BYTE_3 src1_sel:DWORD
	s_andn2_b64 s[4:5], s[4:5], exec
	s_and_b64 s[8:9], s[8:9], exec
	s_or_b64 s[4:5], s[4:5], s[8:9]
	s_or_b64 exec, exec, s[6:7]
	s_and_saveexec_b64 s[6:7], s[4:5]
	s_cbranch_execz .LBB2_33437
; %bb.59707:
	s_getpc_b64 s[14:15]
.Lpost_getpc33437:
	s_add_u32 s14, s14, (.LBB2_9531-.Lpost_getpc33437)&4294967295
	s_addc_u32 s15, s15, (.LBB2_9531-.Lpost_getpc33437)>>32
	s_setpc_b64 s[14:15]
.LBB2_33437:
	s_getpc_b64 s[14:15]
.Lpost_getpc20302:
	s_add_u32 s14, s14, (.LBB2_9532-.Lpost_getpc20302)&4294967295
	s_addc_u32 s15, s15, (.LBB2_9532-.Lpost_getpc20302)>>32
	s_setpc_b64 s[14:15]
.LBB2_23869:
	s_movk_i32 s4, 0x80
	v_cmp_eq_u16_sdwa s[12:13], v3, s4 src0_sel:BYTE_3 src1_sel:DWORD
	s_mov_b64 s[4:5], -1
                                        ; implicit-def: $sgpr10
	s_and_saveexec_b64 s[8:9], s[12:13]
; %bb.23870:
	s_mov_b32 s10, 0x7f800001
	s_xor_b64 s[4:5], exec, -1
; %bb.23871:
	s_or_b64 exec, exec, s[8:9]
	s_and_b64 s[4:5], s[4:5], exec
	s_or_saveexec_b64 s[6:7], s[6:7]
	v_mov_b32_e32 v6, s10
	s_xor_b64 exec, exec, s[6:7]
	s_cbranch_execnz .LBB2_23872
; %bb.59709:
	s_getpc_b64 s[14:15]
.Lpost_getpc33438:
	s_add_u32 s14, s14, (.LBB2_9534-.Lpost_getpc33438)&4294967295
	s_addc_u32 s15, s15, (.LBB2_9534-.Lpost_getpc33438)>>32
	s_setpc_b64 s[14:15]
.LBB2_23872:
	v_mov_b32_e32 v6, 0
	v_cmp_ne_u16_sdwa s[8:9], v3, v6 src0_sel:BYTE_3 src1_sel:DWORD
	s_andn2_b64 s[4:5], s[4:5], exec
	s_and_b64 s[8:9], s[8:9], exec
	s_or_b64 s[4:5], s[4:5], s[8:9]
	s_or_b64 exec, exec, s[6:7]
	s_and_saveexec_b64 s[6:7], s[4:5]
	s_cbranch_execz .LBB2_33439
; %bb.59711:
	s_getpc_b64 s[14:15]
.Lpost_getpc33439:
	s_add_u32 s14, s14, (.LBB2_9535-.Lpost_getpc33439)&4294967295
	s_addc_u32 s15, s15, (.LBB2_9535-.Lpost_getpc33439)>>32
	s_setpc_b64 s[14:15]
.LBB2_33439:
	s_getpc_b64 s[14:15]
.Lpost_getpc20303:
	s_add_u32 s14, s14, (.LBB2_9536-.Lpost_getpc20303)&4294967295
	s_addc_u32 s15, s15, (.LBB2_9536-.Lpost_getpc20303)>>32
	s_setpc_b64 s[14:15]
.LBB2_23873:
	s_movk_i32 s4, 0x80
	v_cmp_eq_u16_sdwa s[12:13], v8, s4 src0_sel:BYTE_0 src1_sel:DWORD
	s_mov_b64 s[4:5], -1
                                        ; implicit-def: $sgpr10
	s_and_saveexec_b64 s[8:9], s[12:13]
; %bb.23874:
	s_mov_b32 s10, 0x7f800001
	s_xor_b64 s[4:5], exec, -1
; %bb.23875:
	s_or_b64 exec, exec, s[8:9]
	s_and_b64 s[4:5], s[4:5], exec
	s_or_saveexec_b64 s[6:7], s[6:7]
	v_mov_b32_e32 v2, s10
	s_xor_b64 exec, exec, s[6:7]
	s_cbranch_execnz .LBB2_23876
; %bb.59713:
	s_getpc_b64 s[14:15]
.Lpost_getpc33440:
	s_add_u32 s14, s14, (.LBB2_9538-.Lpost_getpc33440)&4294967295
	s_addc_u32 s15, s15, (.LBB2_9538-.Lpost_getpc33440)>>32
	s_setpc_b64 s[14:15]
.LBB2_23876:
	v_mov_b32_e32 v2, 0
	v_cmp_ne_u16_sdwa s[8:9], v8, v2 src0_sel:BYTE_0 src1_sel:DWORD
	s_andn2_b64 s[4:5], s[4:5], exec
	s_and_b64 s[8:9], s[8:9], exec
	s_or_b64 s[4:5], s[4:5], s[8:9]
	s_or_b64 exec, exec, s[6:7]
	s_and_saveexec_b64 s[6:7], s[4:5]
	s_cbranch_execz .LBB2_33441
; %bb.59715:
	s_getpc_b64 s[14:15]
.Lpost_getpc33441:
	s_add_u32 s14, s14, (.LBB2_9539-.Lpost_getpc33441)&4294967295
	s_addc_u32 s15, s15, (.LBB2_9539-.Lpost_getpc33441)>>32
	s_setpc_b64 s[14:15]
.LBB2_33441:
	s_getpc_b64 s[14:15]
.Lpost_getpc20304:
	s_add_u32 s14, s14, (.LBB2_9540-.Lpost_getpc20304)&4294967295
	s_addc_u32 s15, s15, (.LBB2_9540-.Lpost_getpc20304)>>32
	s_setpc_b64 s[14:15]
.LBB2_23877:
	s_movk_i32 s4, 0x80
	v_cmp_eq_u16_sdwa s[12:13], v4, s4 src0_sel:BYTE_0 src1_sel:DWORD
	s_mov_b64 s[4:5], -1
                                        ; implicit-def: $sgpr10
	s_and_saveexec_b64 s[8:9], s[12:13]
; %bb.23878:
	s_mov_b32 s10, 0x7f800001
	s_xor_b64 s[4:5], exec, -1
; %bb.23879:
	s_or_b64 exec, exec, s[8:9]
	s_and_b64 s[4:5], s[4:5], exec
	s_or_saveexec_b64 s[6:7], s[6:7]
	v_mov_b32_e32 v3, s10
	s_xor_b64 exec, exec, s[6:7]
	s_cbranch_execnz .LBB2_23880
; %bb.59717:
	s_getpc_b64 s[14:15]
.Lpost_getpc33442:
	s_add_u32 s14, s14, (.LBB2_9542-.Lpost_getpc33442)&4294967295
	s_addc_u32 s15, s15, (.LBB2_9542-.Lpost_getpc33442)>>32
	s_setpc_b64 s[14:15]
.LBB2_23880:
	v_mov_b32_e32 v3, 0
	v_cmp_ne_u16_sdwa s[8:9], v4, v3 src0_sel:BYTE_0 src1_sel:DWORD
	s_andn2_b64 s[4:5], s[4:5], exec
	s_and_b64 s[8:9], s[8:9], exec
	s_or_b64 s[4:5], s[4:5], s[8:9]
	s_or_b64 exec, exec, s[6:7]
	s_and_saveexec_b64 s[6:7], s[4:5]
	s_cbranch_execz .LBB2_33443
; %bb.59719:
	s_getpc_b64 s[14:15]
.Lpost_getpc33443:
	s_add_u32 s14, s14, (.LBB2_9543-.Lpost_getpc33443)&4294967295
	s_addc_u32 s15, s15, (.LBB2_9543-.Lpost_getpc33443)>>32
	s_setpc_b64 s[14:15]
.LBB2_33443:
	s_getpc_b64 s[14:15]
.Lpost_getpc20305:
	s_add_u32 s14, s14, (.LBB2_9544-.Lpost_getpc20305)&4294967295
	s_addc_u32 s15, s15, (.LBB2_9544-.Lpost_getpc20305)>>32
	s_setpc_b64 s[14:15]
.LBB2_23881:
	s_movk_i32 s4, 0x80
	v_cmp_eq_u16_sdwa s[12:13], v3, s4 src0_sel:BYTE_0 src1_sel:DWORD
	s_mov_b64 s[4:5], -1
                                        ; implicit-def: $sgpr10
	s_and_saveexec_b64 s[8:9], s[12:13]
; %bb.23882:
	s_mov_b32 s10, 0x7f800001
	s_xor_b64 s[4:5], exec, -1
; %bb.23883:
	s_or_b64 exec, exec, s[8:9]
	s_and_b64 s[4:5], s[4:5], exec
	s_or_saveexec_b64 s[6:7], s[6:7]
	v_mov_b32_e32 v2, s10
	s_xor_b64 exec, exec, s[6:7]
	s_cbranch_execnz .LBB2_23884
; %bb.59721:
	s_getpc_b64 s[14:15]
.Lpost_getpc33444:
	s_add_u32 s14, s14, (.LBB2_9546-.Lpost_getpc33444)&4294967295
	s_addc_u32 s15, s15, (.LBB2_9546-.Lpost_getpc33444)>>32
	s_setpc_b64 s[14:15]
.LBB2_23884:
	v_mov_b32_e32 v2, 0
	v_cmp_ne_u16_sdwa s[8:9], v3, v2 src0_sel:BYTE_0 src1_sel:DWORD
	s_andn2_b64 s[4:5], s[4:5], exec
	s_and_b64 s[8:9], s[8:9], exec
	s_or_b64 s[4:5], s[4:5], s[8:9]
	s_or_b64 exec, exec, s[6:7]
	s_and_saveexec_b64 s[6:7], s[4:5]
	s_cbranch_execz .LBB2_33445
; %bb.59723:
	s_getpc_b64 s[14:15]
.Lpost_getpc33445:
	s_add_u32 s14, s14, (.LBB2_9547-.Lpost_getpc33445)&4294967295
	s_addc_u32 s15, s15, (.LBB2_9547-.Lpost_getpc33445)>>32
	s_setpc_b64 s[14:15]
.LBB2_33445:
	s_getpc_b64 s[14:15]
.Lpost_getpc20306:
	s_add_u32 s14, s14, (.LBB2_9548-.Lpost_getpc20306)&4294967295
	s_addc_u32 s15, s15, (.LBB2_9548-.Lpost_getpc20306)>>32
	s_setpc_b64 s[14:15]
.LBB2_23885:
	s_movk_i32 s4, 0x80
	v_cmp_eq_u16_sdwa s[12:13], v3, s4 src0_sel:BYTE_0 src1_sel:DWORD
	s_mov_b64 s[4:5], -1
                                        ; implicit-def: $sgpr10
	s_and_saveexec_b64 s[8:9], s[12:13]
; %bb.23886:
	s_mov_b32 s10, 0x7f800001
	s_xor_b64 s[4:5], exec, -1
; %bb.23887:
	s_or_b64 exec, exec, s[8:9]
	s_and_b64 s[4:5], s[4:5], exec
	s_or_saveexec_b64 s[6:7], s[6:7]
	v_mov_b32_e32 v6, s10
	s_xor_b64 exec, exec, s[6:7]
	s_cbranch_execnz .LBB2_23888
; %bb.59725:
	s_getpc_b64 s[14:15]
.Lpost_getpc33446:
	s_add_u32 s14, s14, (.LBB2_9550-.Lpost_getpc33446)&4294967295
	s_addc_u32 s15, s15, (.LBB2_9550-.Lpost_getpc33446)>>32
	s_setpc_b64 s[14:15]
.LBB2_23888:
	v_mov_b32_e32 v6, 0
	v_cmp_ne_u16_sdwa s[8:9], v3, v6 src0_sel:BYTE_0 src1_sel:DWORD
	s_andn2_b64 s[4:5], s[4:5], exec
	s_and_b64 s[8:9], s[8:9], exec
	s_or_b64 s[4:5], s[4:5], s[8:9]
	s_or_b64 exec, exec, s[6:7]
	s_and_saveexec_b64 s[6:7], s[4:5]
	s_cbranch_execz .LBB2_33447
; %bb.59727:
	s_getpc_b64 s[14:15]
.Lpost_getpc33447:
	s_add_u32 s14, s14, (.LBB2_9551-.Lpost_getpc33447)&4294967295
	s_addc_u32 s15, s15, (.LBB2_9551-.Lpost_getpc33447)>>32
	s_setpc_b64 s[14:15]
.LBB2_33447:
	s_getpc_b64 s[14:15]
.Lpost_getpc20307:
	s_add_u32 s14, s14, (.LBB2_9552-.Lpost_getpc20307)&4294967295
	s_addc_u32 s15, s15, (.LBB2_9552-.Lpost_getpc20307)>>32
	s_setpc_b64 s[14:15]
.LBB2_23889:
	s_movk_i32 s4, 0x80
	v_cmp_eq_u16_e32 vcc, s4, v3
	s_mov_b64 s[4:5], -1
                                        ; implicit-def: $sgpr10
	s_and_saveexec_b64 s[8:9], vcc
; %bb.23890:
	s_mov_b32 s10, 0x7f800001
	s_xor_b64 s[4:5], exec, -1
; %bb.23891:
	s_or_b64 exec, exec, s[8:9]
	s_and_b64 s[4:5], s[4:5], exec
                                        ; implicit-def: $vgpr3
	s_or_saveexec_b64 s[6:7], s[6:7]
	v_mov_b32_e32 v2, s10
	s_xor_b64 exec, exec, s[6:7]
	s_cbranch_execnz .LBB2_23892
; %bb.59729:
	s_getpc_b64 s[14:15]
.Lpost_getpc33448:
	s_add_u32 s14, s14, (.LBB2_9554-.Lpost_getpc33448)&4294967295
	s_addc_u32 s15, s15, (.LBB2_9554-.Lpost_getpc33448)>>32
	s_setpc_b64 s[14:15]
.LBB2_23892:
	v_cmp_ne_u16_e32 vcc, 0, v3
	s_andn2_b64 s[4:5], s[4:5], exec
	s_and_b64 s[8:9], vcc, exec
	v_mov_b32_e32 v2, 0
	s_or_b64 s[4:5], s[4:5], s[8:9]
	s_or_b64 exec, exec, s[6:7]
	s_and_saveexec_b64 s[6:7], s[4:5]
	s_cbranch_execz .LBB2_33449
; %bb.59731:
	s_getpc_b64 s[14:15]
.Lpost_getpc33449:
	s_add_u32 s14, s14, (.LBB2_9555-.Lpost_getpc33449)&4294967295
	s_addc_u32 s15, s15, (.LBB2_9555-.Lpost_getpc33449)>>32
	s_setpc_b64 s[14:15]
.LBB2_33449:
	s_getpc_b64 s[14:15]
.Lpost_getpc20308:
	s_add_u32 s14, s14, (.LBB2_9556-.Lpost_getpc20308)&4294967295
	s_addc_u32 s15, s15, (.LBB2_9556-.Lpost_getpc20308)>>32
	s_setpc_b64 s[14:15]
.LBB2_23893:
	s_movk_i32 s4, 0x80
	v_cmp_eq_u16_e32 vcc, s4, v3
	s_mov_b64 s[4:5], -1
                                        ; implicit-def: $sgpr10
	s_and_saveexec_b64 s[8:9], vcc
; %bb.23894:
	s_mov_b32 s10, 0x7f800001
	s_xor_b64 s[4:5], exec, -1
; %bb.23895:
	s_or_b64 exec, exec, s[8:9]
	s_and_b64 s[4:5], s[4:5], exec
                                        ; implicit-def: $vgpr3
	s_or_saveexec_b64 s[6:7], s[6:7]
	v_mov_b32_e32 v6, s10
	s_xor_b64 exec, exec, s[6:7]
	s_cbranch_execnz .LBB2_23896
; %bb.59733:
	s_getpc_b64 s[14:15]
.Lpost_getpc33450:
	s_add_u32 s14, s14, (.LBB2_9558-.Lpost_getpc33450)&4294967295
	s_addc_u32 s15, s15, (.LBB2_9558-.Lpost_getpc33450)>>32
	s_setpc_b64 s[14:15]
.LBB2_23896:
	v_cmp_ne_u16_e32 vcc, 0, v3
	s_andn2_b64 s[4:5], s[4:5], exec
	s_and_b64 s[8:9], vcc, exec
	v_mov_b32_e32 v6, 0
	s_or_b64 s[4:5], s[4:5], s[8:9]
	s_or_b64 exec, exec, s[6:7]
	s_and_saveexec_b64 s[6:7], s[4:5]
	s_cbranch_execz .LBB2_33451
; %bb.59735:
	s_getpc_b64 s[14:15]
.Lpost_getpc33451:
	s_add_u32 s14, s14, (.LBB2_9559-.Lpost_getpc33451)&4294967295
	s_addc_u32 s15, s15, (.LBB2_9559-.Lpost_getpc33451)>>32
	s_setpc_b64 s[14:15]
.LBB2_33451:
	s_getpc_b64 s[14:15]
.Lpost_getpc20309:
	s_add_u32 s14, s14, (.LBB2_9560-.Lpost_getpc20309)&4294967295
	s_addc_u32 s15, s15, (.LBB2_9560-.Lpost_getpc20309)>>32
	s_setpc_b64 s[14:15]
.LBB2_23897:
	s_movk_i32 s4, 0x80
	v_cmp_eq_u16_sdwa s[12:13], v8, s4 src0_sel:BYTE_3 src1_sel:DWORD
	s_mov_b64 s[4:5], -1
                                        ; implicit-def: $sgpr10
	s_and_saveexec_b64 s[8:9], s[12:13]
; %bb.23898:
	s_mov_b32 s10, 0x7f800001
	s_xor_b64 s[4:5], exec, -1
; %bb.23899:
	s_or_b64 exec, exec, s[8:9]
	s_and_b64 s[4:5], s[4:5], exec
	s_or_saveexec_b64 s[6:7], s[6:7]
	v_mov_b32_e32 v2, s10
	s_xor_b64 exec, exec, s[6:7]
	s_cbranch_execnz .LBB2_23900
; %bb.59737:
	s_getpc_b64 s[14:15]
.Lpost_getpc33452:
	s_add_u32 s14, s14, (.LBB2_9562-.Lpost_getpc33452)&4294967295
	s_addc_u32 s15, s15, (.LBB2_9562-.Lpost_getpc33452)>>32
	s_setpc_b64 s[14:15]
.LBB2_23900:
	v_mov_b32_e32 v2, 0
	v_cmp_ne_u16_sdwa s[8:9], v8, v2 src0_sel:BYTE_3 src1_sel:DWORD
	s_andn2_b64 s[4:5], s[4:5], exec
	s_and_b64 s[8:9], s[8:9], exec
	s_or_b64 s[4:5], s[4:5], s[8:9]
	s_or_b64 exec, exec, s[6:7]
	s_and_saveexec_b64 s[6:7], s[4:5]
	s_cbranch_execz .LBB2_33453
; %bb.59739:
	s_getpc_b64 s[14:15]
.Lpost_getpc33453:
	s_add_u32 s14, s14, (.LBB2_9563-.Lpost_getpc33453)&4294967295
	s_addc_u32 s15, s15, (.LBB2_9563-.Lpost_getpc33453)>>32
	s_setpc_b64 s[14:15]
.LBB2_33453:
	s_getpc_b64 s[14:15]
.Lpost_getpc20310:
	s_add_u32 s14, s14, (.LBB2_9564-.Lpost_getpc20310)&4294967295
	s_addc_u32 s15, s15, (.LBB2_9564-.Lpost_getpc20310)>>32
	s_setpc_b64 s[14:15]
.LBB2_23901:
	s_movk_i32 s4, 0x80
	v_cmp_eq_u16_sdwa s[12:13], v4, s4 src0_sel:BYTE_3 src1_sel:DWORD
	s_mov_b64 s[4:5], -1
                                        ; implicit-def: $sgpr10
	s_and_saveexec_b64 s[8:9], s[12:13]
; %bb.23902:
	s_mov_b32 s10, 0x7f800001
	s_xor_b64 s[4:5], exec, -1
; %bb.23903:
	s_or_b64 exec, exec, s[8:9]
	s_and_b64 s[4:5], s[4:5], exec
	s_or_saveexec_b64 s[6:7], s[6:7]
	v_mov_b32_e32 v3, s10
	s_xor_b64 exec, exec, s[6:7]
	s_cbranch_execnz .LBB2_23904
; %bb.59741:
	s_getpc_b64 s[14:15]
.Lpost_getpc33454:
	s_add_u32 s14, s14, (.LBB2_9566-.Lpost_getpc33454)&4294967295
	s_addc_u32 s15, s15, (.LBB2_9566-.Lpost_getpc33454)>>32
	s_setpc_b64 s[14:15]
.LBB2_23904:
	v_mov_b32_e32 v3, 0
	v_cmp_ne_u16_sdwa s[8:9], v4, v3 src0_sel:BYTE_3 src1_sel:DWORD
	s_andn2_b64 s[4:5], s[4:5], exec
	s_and_b64 s[8:9], s[8:9], exec
	s_or_b64 s[4:5], s[4:5], s[8:9]
	s_or_b64 exec, exec, s[6:7]
	s_and_saveexec_b64 s[6:7], s[4:5]
	s_cbranch_execz .LBB2_33455
; %bb.59743:
	s_getpc_b64 s[14:15]
.Lpost_getpc33455:
	s_add_u32 s14, s14, (.LBB2_9567-.Lpost_getpc33455)&4294967295
	s_addc_u32 s15, s15, (.LBB2_9567-.Lpost_getpc33455)>>32
	s_setpc_b64 s[14:15]
.LBB2_33455:
	s_getpc_b64 s[14:15]
.Lpost_getpc20311:
	s_add_u32 s14, s14, (.LBB2_9568-.Lpost_getpc20311)&4294967295
	s_addc_u32 s15, s15, (.LBB2_9568-.Lpost_getpc20311)>>32
	s_setpc_b64 s[14:15]
.LBB2_23905:
	s_movk_i32 s4, 0x80
	v_cmp_eq_u16_sdwa s[12:13], v9, s4 src0_sel:BYTE_0 src1_sel:DWORD
	s_mov_b64 s[4:5], -1
                                        ; implicit-def: $sgpr10
	s_and_saveexec_b64 s[8:9], s[12:13]
; %bb.23906:
	s_mov_b32 s10, 0x7f800001
	s_xor_b64 s[4:5], exec, -1
; %bb.23907:
	s_or_b64 exec, exec, s[8:9]
	s_and_b64 s[4:5], s[4:5], exec
	s_or_saveexec_b64 s[6:7], s[6:7]
	v_mov_b32_e32 v2, s10
	s_xor_b64 exec, exec, s[6:7]
	s_cbranch_execnz .LBB2_23908
; %bb.59745:
	s_getpc_b64 s[14:15]
.Lpost_getpc33456:
	s_add_u32 s14, s14, (.LBB2_9570-.Lpost_getpc33456)&4294967295
	s_addc_u32 s15, s15, (.LBB2_9570-.Lpost_getpc33456)>>32
	s_setpc_b64 s[14:15]
.LBB2_23908:
	v_mov_b32_e32 v2, 0
	v_cmp_ne_u16_sdwa s[8:9], v9, v2 src0_sel:BYTE_0 src1_sel:DWORD
	s_andn2_b64 s[4:5], s[4:5], exec
	s_and_b64 s[8:9], s[8:9], exec
	s_or_b64 s[4:5], s[4:5], s[8:9]
	s_or_b64 exec, exec, s[6:7]
	s_and_saveexec_b64 s[6:7], s[4:5]
	s_cbranch_execz .LBB2_33457
; %bb.59747:
	s_getpc_b64 s[14:15]
.Lpost_getpc33457:
	s_add_u32 s14, s14, (.LBB2_9571-.Lpost_getpc33457)&4294967295
	s_addc_u32 s15, s15, (.LBB2_9571-.Lpost_getpc33457)>>32
	s_setpc_b64 s[14:15]
.LBB2_33457:
	s_getpc_b64 s[14:15]
.Lpost_getpc20312:
	s_add_u32 s14, s14, (.LBB2_9572-.Lpost_getpc20312)&4294967295
	s_addc_u32 s15, s15, (.LBB2_9572-.Lpost_getpc20312)>>32
	s_setpc_b64 s[14:15]
.LBB2_23909:
	s_movk_i32 s4, 0x80
	v_cmp_eq_u16_sdwa s[12:13], v5, s4 src0_sel:BYTE_0 src1_sel:DWORD
	s_mov_b64 s[4:5], -1
                                        ; implicit-def: $sgpr10
	s_and_saveexec_b64 s[8:9], s[12:13]
; %bb.23910:
	s_mov_b32 s10, 0x7f800001
	s_xor_b64 s[4:5], exec, -1
; %bb.23911:
	s_or_b64 exec, exec, s[8:9]
	s_and_b64 s[4:5], s[4:5], exec
	s_or_saveexec_b64 s[6:7], s[6:7]
	v_mov_b32_e32 v3, s10
	s_xor_b64 exec, exec, s[6:7]
	s_cbranch_execnz .LBB2_23912
; %bb.59749:
	s_getpc_b64 s[14:15]
.Lpost_getpc33458:
	s_add_u32 s14, s14, (.LBB2_9574-.Lpost_getpc33458)&4294967295
	s_addc_u32 s15, s15, (.LBB2_9574-.Lpost_getpc33458)>>32
	s_setpc_b64 s[14:15]
.LBB2_23912:
	v_mov_b32_e32 v3, 0
	v_cmp_ne_u16_sdwa s[8:9], v5, v3 src0_sel:BYTE_0 src1_sel:DWORD
	s_andn2_b64 s[4:5], s[4:5], exec
	s_and_b64 s[8:9], s[8:9], exec
	s_or_b64 s[4:5], s[4:5], s[8:9]
	s_or_b64 exec, exec, s[6:7]
	s_and_saveexec_b64 s[6:7], s[4:5]
	s_cbranch_execz .LBB2_33459
; %bb.59751:
	s_getpc_b64 s[14:15]
.Lpost_getpc33459:
	s_add_u32 s14, s14, (.LBB2_9575-.Lpost_getpc33459)&4294967295
	s_addc_u32 s15, s15, (.LBB2_9575-.Lpost_getpc33459)>>32
	s_setpc_b64 s[14:15]
.LBB2_33459:
	s_getpc_b64 s[14:15]
.Lpost_getpc20313:
	s_add_u32 s14, s14, (.LBB2_9576-.Lpost_getpc20313)&4294967295
	s_addc_u32 s15, s15, (.LBB2_9576-.Lpost_getpc20313)>>32
	s_setpc_b64 s[14:15]
.LBB2_23913:
	s_movk_i32 s4, 0x80
	v_cmp_eq_u16_sdwa s[12:13], v3, s4 src0_sel:BYTE_0 src1_sel:DWORD
	s_mov_b64 s[4:5], -1
                                        ; implicit-def: $sgpr10
	s_and_saveexec_b64 s[8:9], s[12:13]
; %bb.23914:
	s_mov_b32 s10, 0x7f800001
	s_xor_b64 s[4:5], exec, -1
; %bb.23915:
	s_or_b64 exec, exec, s[8:9]
	s_and_b64 s[4:5], s[4:5], exec
	s_or_saveexec_b64 s[6:7], s[6:7]
	v_mov_b32_e32 v2, s10
	s_xor_b64 exec, exec, s[6:7]
	s_cbranch_execnz .LBB2_23916
; %bb.59753:
	s_getpc_b64 s[14:15]
.Lpost_getpc33460:
	s_add_u32 s14, s14, (.LBB2_9578-.Lpost_getpc33460)&4294967295
	s_addc_u32 s15, s15, (.LBB2_9578-.Lpost_getpc33460)>>32
	s_setpc_b64 s[14:15]
.LBB2_23916:
	v_mov_b32_e32 v2, 0
	v_cmp_ne_u16_sdwa s[8:9], v3, v2 src0_sel:BYTE_0 src1_sel:DWORD
	s_andn2_b64 s[4:5], s[4:5], exec
	s_and_b64 s[8:9], s[8:9], exec
	s_or_b64 s[4:5], s[4:5], s[8:9]
	s_or_b64 exec, exec, s[6:7]
	s_and_saveexec_b64 s[6:7], s[4:5]
	s_cbranch_execz .LBB2_33461
; %bb.59755:
	s_getpc_b64 s[14:15]
.Lpost_getpc33461:
	s_add_u32 s14, s14, (.LBB2_9579-.Lpost_getpc33461)&4294967295
	s_addc_u32 s15, s15, (.LBB2_9579-.Lpost_getpc33461)>>32
	s_setpc_b64 s[14:15]
.LBB2_33461:
	s_getpc_b64 s[14:15]
.Lpost_getpc20314:
	s_add_u32 s14, s14, (.LBB2_9580-.Lpost_getpc20314)&4294967295
	s_addc_u32 s15, s15, (.LBB2_9580-.Lpost_getpc20314)>>32
	s_setpc_b64 s[14:15]
.LBB2_23917:
	s_movk_i32 s4, 0x80
	v_cmp_eq_u16_sdwa s[12:13], v3, s4 src0_sel:BYTE_0 src1_sel:DWORD
	s_mov_b64 s[4:5], -1
                                        ; implicit-def: $sgpr10
	s_and_saveexec_b64 s[8:9], s[12:13]
; %bb.23918:
	s_mov_b32 s10, 0x7f800001
	s_xor_b64 s[4:5], exec, -1
; %bb.23919:
	s_or_b64 exec, exec, s[8:9]
	s_and_b64 s[4:5], s[4:5], exec
	s_or_saveexec_b64 s[6:7], s[6:7]
	v_mov_b32_e32 v4, s10
	s_xor_b64 exec, exec, s[6:7]
	s_cbranch_execnz .LBB2_23920
; %bb.59757:
	s_getpc_b64 s[14:15]
.Lpost_getpc33462:
	s_add_u32 s14, s14, (.LBB2_9582-.Lpost_getpc33462)&4294967295
	s_addc_u32 s15, s15, (.LBB2_9582-.Lpost_getpc33462)>>32
	s_setpc_b64 s[14:15]
.LBB2_23920:
	v_mov_b32_e32 v4, 0
	v_cmp_ne_u16_sdwa s[8:9], v3, v4 src0_sel:BYTE_0 src1_sel:DWORD
	s_andn2_b64 s[4:5], s[4:5], exec
	s_and_b64 s[8:9], s[8:9], exec
	s_or_b64 s[4:5], s[4:5], s[8:9]
	s_or_b64 exec, exec, s[6:7]
	s_and_saveexec_b64 s[6:7], s[4:5]
	s_cbranch_execz .LBB2_33463
; %bb.59759:
	s_getpc_b64 s[14:15]
.Lpost_getpc33463:
	s_add_u32 s14, s14, (.LBB2_9583-.Lpost_getpc33463)&4294967295
	s_addc_u32 s15, s15, (.LBB2_9583-.Lpost_getpc33463)>>32
	s_setpc_b64 s[14:15]
.LBB2_33463:
	s_getpc_b64 s[14:15]
.Lpost_getpc20315:
	s_add_u32 s14, s14, (.LBB2_9584-.Lpost_getpc20315)&4294967295
	s_addc_u32 s15, s15, (.LBB2_9584-.Lpost_getpc20315)>>32
	s_setpc_b64 s[14:15]
.LBB2_23921:
	s_movk_i32 s4, 0x80
	v_cmp_eq_u16_e32 vcc, s4, v3
	s_mov_b64 s[4:5], -1
                                        ; implicit-def: $sgpr10
	s_and_saveexec_b64 s[8:9], vcc
; %bb.23922:
	s_mov_b32 s10, 0x7f800001
	s_xor_b64 s[4:5], exec, -1
; %bb.23923:
	s_or_b64 exec, exec, s[8:9]
	s_and_b64 s[4:5], s[4:5], exec
                                        ; implicit-def: $vgpr3
	s_or_saveexec_b64 s[6:7], s[6:7]
	v_mov_b32_e32 v2, s10
	s_xor_b64 exec, exec, s[6:7]
	s_cbranch_execnz .LBB2_23924
; %bb.59761:
	s_getpc_b64 s[14:15]
.Lpost_getpc33464:
	s_add_u32 s14, s14, (.LBB2_9586-.Lpost_getpc33464)&4294967295
	s_addc_u32 s15, s15, (.LBB2_9586-.Lpost_getpc33464)>>32
	s_setpc_b64 s[14:15]
.LBB2_23924:
	v_cmp_ne_u16_e32 vcc, 0, v3
	s_andn2_b64 s[4:5], s[4:5], exec
	s_and_b64 s[8:9], vcc, exec
	v_mov_b32_e32 v2, 0
	s_or_b64 s[4:5], s[4:5], s[8:9]
	s_or_b64 exec, exec, s[6:7]
	s_and_saveexec_b64 s[6:7], s[4:5]
	s_cbranch_execz .LBB2_33465
; %bb.59763:
	s_getpc_b64 s[14:15]
.Lpost_getpc33465:
	s_add_u32 s14, s14, (.LBB2_9587-.Lpost_getpc33465)&4294967295
	s_addc_u32 s15, s15, (.LBB2_9587-.Lpost_getpc33465)>>32
	s_setpc_b64 s[14:15]
.LBB2_33465:
	s_getpc_b64 s[14:15]
.Lpost_getpc20316:
	s_add_u32 s14, s14, (.LBB2_9588-.Lpost_getpc20316)&4294967295
	s_addc_u32 s15, s15, (.LBB2_9588-.Lpost_getpc20316)>>32
	s_setpc_b64 s[14:15]
.LBB2_23925:
	s_movk_i32 s4, 0x80
	v_cmp_eq_u16_e32 vcc, s4, v3
	s_mov_b64 s[4:5], -1
                                        ; implicit-def: $sgpr10
	s_and_saveexec_b64 s[8:9], vcc
; %bb.23926:
	s_mov_b32 s10, 0x7f800001
	s_xor_b64 s[4:5], exec, -1
; %bb.23927:
	s_or_b64 exec, exec, s[8:9]
	s_and_b64 s[4:5], s[4:5], exec
                                        ; implicit-def: $vgpr3
	s_or_saveexec_b64 s[6:7], s[6:7]
	v_mov_b32_e32 v4, s10
	s_xor_b64 exec, exec, s[6:7]
	s_cbranch_execnz .LBB2_23928
; %bb.59765:
	s_getpc_b64 s[14:15]
.Lpost_getpc33466:
	s_add_u32 s14, s14, (.LBB2_9590-.Lpost_getpc33466)&4294967295
	s_addc_u32 s15, s15, (.LBB2_9590-.Lpost_getpc33466)>>32
	s_setpc_b64 s[14:15]
.LBB2_23928:
	v_cmp_ne_u16_e32 vcc, 0, v3
	s_andn2_b64 s[4:5], s[4:5], exec
	s_and_b64 s[8:9], vcc, exec
	v_mov_b32_e32 v4, 0
	s_or_b64 s[4:5], s[4:5], s[8:9]
	s_or_b64 exec, exec, s[6:7]
	s_and_saveexec_b64 s[6:7], s[4:5]
	s_cbranch_execz .LBB2_33467
; %bb.59767:
	s_getpc_b64 s[14:15]
.Lpost_getpc33467:
	s_add_u32 s14, s14, (.LBB2_9591-.Lpost_getpc33467)&4294967295
	s_addc_u32 s15, s15, (.LBB2_9591-.Lpost_getpc33467)>>32
	s_setpc_b64 s[14:15]
.LBB2_33467:
	s_getpc_b64 s[14:15]
.Lpost_getpc20317:
	s_add_u32 s14, s14, (.LBB2_9592-.Lpost_getpc20317)&4294967295
	s_addc_u32 s15, s15, (.LBB2_9592-.Lpost_getpc20317)>>32
	s_setpc_b64 s[14:15]
.LBB2_23929:
	s_movk_i32 s4, 0x80
	v_cmp_eq_u16_sdwa s[12:13], v9, s4 src0_sel:BYTE_3 src1_sel:DWORD
	s_mov_b64 s[4:5], -1
                                        ; implicit-def: $sgpr10
	s_and_saveexec_b64 s[8:9], s[12:13]
; %bb.23930:
	s_mov_b32 s10, 0x7f800001
	s_xor_b64 s[4:5], exec, -1
; %bb.23931:
	s_or_b64 exec, exec, s[8:9]
	s_and_b64 s[4:5], s[4:5], exec
	s_or_saveexec_b64 s[6:7], s[6:7]
	v_mov_b32_e32 v2, s10
	s_xor_b64 exec, exec, s[6:7]
	s_cbranch_execnz .LBB2_23932
; %bb.59769:
	s_getpc_b64 s[14:15]
.Lpost_getpc33468:
	s_add_u32 s14, s14, (.LBB2_9594-.Lpost_getpc33468)&4294967295
	s_addc_u32 s15, s15, (.LBB2_9594-.Lpost_getpc33468)>>32
	s_setpc_b64 s[14:15]
.LBB2_23932:
	v_mov_b32_e32 v2, 0
	v_cmp_ne_u16_sdwa s[8:9], v9, v2 src0_sel:BYTE_3 src1_sel:DWORD
	s_andn2_b64 s[4:5], s[4:5], exec
	s_and_b64 s[8:9], s[8:9], exec
	s_or_b64 s[4:5], s[4:5], s[8:9]
	s_or_b64 exec, exec, s[6:7]
	s_and_saveexec_b64 s[6:7], s[4:5]
	s_cbranch_execz .LBB2_33469
; %bb.59771:
	s_getpc_b64 s[14:15]
.Lpost_getpc33469:
	s_add_u32 s14, s14, (.LBB2_9595-.Lpost_getpc33469)&4294967295
	s_addc_u32 s15, s15, (.LBB2_9595-.Lpost_getpc33469)>>32
	s_setpc_b64 s[14:15]
.LBB2_33469:
	s_getpc_b64 s[14:15]
.Lpost_getpc20318:
	s_add_u32 s14, s14, (.LBB2_9596-.Lpost_getpc20318)&4294967295
	s_addc_u32 s15, s15, (.LBB2_9596-.Lpost_getpc20318)>>32
	s_setpc_b64 s[14:15]
.LBB2_23933:
	s_movk_i32 s4, 0x80
	v_cmp_eq_u16_sdwa s[12:13], v5, s4 src0_sel:BYTE_3 src1_sel:DWORD
	s_mov_b64 s[4:5], -1
                                        ; implicit-def: $sgpr10
	s_and_saveexec_b64 s[8:9], s[12:13]
; %bb.23934:
	s_mov_b32 s10, 0x7f800001
	s_xor_b64 s[4:5], exec, -1
; %bb.23935:
	s_or_b64 exec, exec, s[8:9]
	s_and_b64 s[4:5], s[4:5], exec
	s_or_saveexec_b64 s[6:7], s[6:7]
	v_mov_b32_e32 v3, s10
	s_xor_b64 exec, exec, s[6:7]
	s_cbranch_execnz .LBB2_23936
; %bb.59773:
	s_getpc_b64 s[14:15]
.Lpost_getpc33470:
	s_add_u32 s14, s14, (.LBB2_9598-.Lpost_getpc33470)&4294967295
	s_addc_u32 s15, s15, (.LBB2_9598-.Lpost_getpc33470)>>32
	s_setpc_b64 s[14:15]
.LBB2_23936:
	v_mov_b32_e32 v3, 0
	v_cmp_ne_u16_sdwa s[8:9], v5, v3 src0_sel:BYTE_3 src1_sel:DWORD
	s_andn2_b64 s[4:5], s[4:5], exec
	s_and_b64 s[8:9], s[8:9], exec
	s_or_b64 s[4:5], s[4:5], s[8:9]
	s_or_b64 exec, exec, s[6:7]
	s_and_saveexec_b64 s[6:7], s[4:5]
	s_cbranch_execz .LBB2_33471
; %bb.59775:
	s_getpc_b64 s[14:15]
.Lpost_getpc33471:
	s_add_u32 s14, s14, (.LBB2_9599-.Lpost_getpc33471)&4294967295
	s_addc_u32 s15, s15, (.LBB2_9599-.Lpost_getpc33471)>>32
	s_setpc_b64 s[14:15]
.LBB2_33471:
	s_getpc_b64 s[14:15]
.Lpost_getpc20319:
	s_add_u32 s14, s14, (.LBB2_9600-.Lpost_getpc20319)&4294967295
	s_addc_u32 s15, s15, (.LBB2_9600-.Lpost_getpc20319)>>32
	s_setpc_b64 s[14:15]
.LBB2_23937:
	s_movk_i32 s4, 0x80
	v_cmp_eq_u16_sdwa s[12:13], v6, s4 src0_sel:BYTE_0 src1_sel:DWORD
	s_mov_b64 s[4:5], -1
                                        ; implicit-def: $sgpr10
	s_and_saveexec_b64 s[8:9], s[12:13]
; %bb.23938:
	s_mov_b32 s10, 0x7f800001
	s_xor_b64 s[4:5], exec, -1
; %bb.23939:
	s_or_b64 exec, exec, s[8:9]
	s_and_b64 s[4:5], s[4:5], exec
	s_or_saveexec_b64 s[6:7], s[6:7]
	v_mov_b32_e32 v12, s10
	s_xor_b64 exec, exec, s[6:7]
	s_cbranch_execnz .LBB2_23940
; %bb.59777:
	s_getpc_b64 s[14:15]
.Lpost_getpc33472:
	s_add_u32 s14, s14, (.LBB2_9602-.Lpost_getpc33472)&4294967295
	s_addc_u32 s15, s15, (.LBB2_9602-.Lpost_getpc33472)>>32
	s_setpc_b64 s[14:15]
.LBB2_23940:
	v_mov_b32_e32 v12, 0
	v_cmp_ne_u16_sdwa s[8:9], v6, v12 src0_sel:BYTE_0 src1_sel:DWORD
	s_andn2_b64 s[4:5], s[4:5], exec
	s_and_b64 s[8:9], s[8:9], exec
	s_or_b64 s[4:5], s[4:5], s[8:9]
	s_or_b64 exec, exec, s[6:7]
	s_and_saveexec_b64 s[6:7], s[4:5]
	s_cbranch_execz .LBB2_33473
; %bb.59779:
	s_getpc_b64 s[14:15]
.Lpost_getpc33473:
	s_add_u32 s14, s14, (.LBB2_9603-.Lpost_getpc33473)&4294967295
	s_addc_u32 s15, s15, (.LBB2_9603-.Lpost_getpc33473)>>32
	s_setpc_b64 s[14:15]
.LBB2_33473:
	s_getpc_b64 s[14:15]
.Lpost_getpc20320:
	s_add_u32 s14, s14, (.LBB2_9604-.Lpost_getpc20320)&4294967295
	s_addc_u32 s15, s15, (.LBB2_9604-.Lpost_getpc20320)>>32
	s_setpc_b64 s[14:15]
.LBB2_23941:
	s_movk_i32 s4, 0x80
	v_cmp_eq_u16_sdwa s[12:13], v2, s4 src0_sel:BYTE_0 src1_sel:DWORD
	s_mov_b64 s[4:5], -1
                                        ; implicit-def: $sgpr10
	s_and_saveexec_b64 s[8:9], s[12:13]
; %bb.23942:
	s_mov_b32 s10, 0x7f800001
	s_xor_b64 s[4:5], exec, -1
; %bb.23943:
	s_or_b64 exec, exec, s[8:9]
	s_and_b64 s[4:5], s[4:5], exec
	s_or_saveexec_b64 s[6:7], s[6:7]
	v_mov_b32_e32 v13, s10
	s_xor_b64 exec, exec, s[6:7]
	s_cbranch_execnz .LBB2_23944
; %bb.59781:
	s_getpc_b64 s[14:15]
.Lpost_getpc33474:
	s_add_u32 s14, s14, (.LBB2_9606-.Lpost_getpc33474)&4294967295
	s_addc_u32 s15, s15, (.LBB2_9606-.Lpost_getpc33474)>>32
	s_setpc_b64 s[14:15]
.LBB2_23944:
	v_mov_b32_e32 v13, 0
	v_cmp_ne_u16_sdwa s[8:9], v2, v13 src0_sel:BYTE_0 src1_sel:DWORD
	s_andn2_b64 s[4:5], s[4:5], exec
	s_and_b64 s[8:9], s[8:9], exec
	s_or_b64 s[4:5], s[4:5], s[8:9]
	s_or_b64 exec, exec, s[6:7]
	s_and_saveexec_b64 s[6:7], s[4:5]
	s_cbranch_execz .LBB2_33475
; %bb.59783:
	s_getpc_b64 s[14:15]
.Lpost_getpc33475:
	s_add_u32 s14, s14, (.LBB2_9607-.Lpost_getpc33475)&4294967295
	s_addc_u32 s15, s15, (.LBB2_9607-.Lpost_getpc33475)>>32
	s_setpc_b64 s[14:15]
.LBB2_33475:
	s_getpc_b64 s[14:15]
.Lpost_getpc20321:
	s_add_u32 s14, s14, (.LBB2_9608-.Lpost_getpc20321)&4294967295
	s_addc_u32 s15, s15, (.LBB2_9608-.Lpost_getpc20321)>>32
	s_setpc_b64 s[14:15]
.LBB2_23945:
	s_movk_i32 s4, 0x80
	v_cmp_eq_u16_sdwa s[12:13], v13, s4 src0_sel:BYTE_0 src1_sel:DWORD
	s_mov_b64 s[4:5], -1
                                        ; implicit-def: $sgpr10
	s_and_saveexec_b64 s[8:9], s[12:13]
; %bb.23946:
	s_mov_b32 s10, 0x7f800001
	s_xor_b64 s[4:5], exec, -1
; %bb.23947:
	s_or_b64 exec, exec, s[8:9]
	s_and_b64 s[4:5], s[4:5], exec
	s_or_saveexec_b64 s[6:7], s[6:7]
	v_mov_b32_e32 v12, s10
	s_xor_b64 exec, exec, s[6:7]
	s_cbranch_execnz .LBB2_23948
; %bb.59785:
	s_getpc_b64 s[14:15]
.Lpost_getpc33476:
	s_add_u32 s14, s14, (.LBB2_9610-.Lpost_getpc33476)&4294967295
	s_addc_u32 s15, s15, (.LBB2_9610-.Lpost_getpc33476)>>32
	s_setpc_b64 s[14:15]
.LBB2_23948:
	v_mov_b32_e32 v12, 0
	v_cmp_ne_u16_sdwa s[8:9], v13, v12 src0_sel:BYTE_0 src1_sel:DWORD
	s_andn2_b64 s[4:5], s[4:5], exec
	s_and_b64 s[8:9], s[8:9], exec
	s_or_b64 s[4:5], s[4:5], s[8:9]
	s_or_b64 exec, exec, s[6:7]
	s_and_saveexec_b64 s[6:7], s[4:5]
	s_cbranch_execz .LBB2_33477
; %bb.59787:
	s_getpc_b64 s[14:15]
.Lpost_getpc33477:
	s_add_u32 s14, s14, (.LBB2_9611-.Lpost_getpc33477)&4294967295
	s_addc_u32 s15, s15, (.LBB2_9611-.Lpost_getpc33477)>>32
	s_setpc_b64 s[14:15]
.LBB2_33477:
	s_getpc_b64 s[14:15]
.Lpost_getpc20322:
	s_add_u32 s14, s14, (.LBB2_9612-.Lpost_getpc20322)&4294967295
	s_addc_u32 s15, s15, (.LBB2_9612-.Lpost_getpc20322)>>32
	s_setpc_b64 s[14:15]
.LBB2_23949:
	s_movk_i32 s4, 0x80
	v_cmp_eq_u16_sdwa s[12:13], v13, s4 src0_sel:BYTE_0 src1_sel:DWORD
	s_mov_b64 s[4:5], -1
                                        ; implicit-def: $sgpr10
	s_and_saveexec_b64 s[8:9], s[12:13]
; %bb.23950:
	s_mov_b32 s10, 0x7f800001
	s_xor_b64 s[4:5], exec, -1
; %bb.23951:
	s_or_b64 exec, exec, s[8:9]
	s_and_b64 s[4:5], s[4:5], exec
	s_or_saveexec_b64 s[6:7], s[6:7]
	v_mov_b32_e32 v14, s10
	s_xor_b64 exec, exec, s[6:7]
	s_cbranch_execnz .LBB2_23952
; %bb.59789:
	s_getpc_b64 s[14:15]
.Lpost_getpc33478:
	s_add_u32 s14, s14, (.LBB2_9614-.Lpost_getpc33478)&4294967295
	s_addc_u32 s15, s15, (.LBB2_9614-.Lpost_getpc33478)>>32
	s_setpc_b64 s[14:15]
.LBB2_23952:
	v_mov_b32_e32 v14, 0
	v_cmp_ne_u16_sdwa s[8:9], v13, v14 src0_sel:BYTE_0 src1_sel:DWORD
	s_andn2_b64 s[4:5], s[4:5], exec
	s_and_b64 s[8:9], s[8:9], exec
	s_or_b64 s[4:5], s[4:5], s[8:9]
	s_or_b64 exec, exec, s[6:7]
	s_and_saveexec_b64 s[6:7], s[4:5]
	s_cbranch_execz .LBB2_33479
; %bb.59791:
	s_getpc_b64 s[14:15]
.Lpost_getpc33479:
	s_add_u32 s14, s14, (.LBB2_9615-.Lpost_getpc33479)&4294967295
	s_addc_u32 s15, s15, (.LBB2_9615-.Lpost_getpc33479)>>32
	s_setpc_b64 s[14:15]
.LBB2_33479:
	s_getpc_b64 s[14:15]
.Lpost_getpc20323:
	s_add_u32 s14, s14, (.LBB2_9616-.Lpost_getpc20323)&4294967295
	s_addc_u32 s15, s15, (.LBB2_9616-.Lpost_getpc20323)>>32
	s_setpc_b64 s[14:15]
.LBB2_23953:
	s_movk_i32 s4, 0x80
	v_cmp_eq_u16_e32 vcc, s4, v13
	s_mov_b64 s[4:5], -1
                                        ; implicit-def: $sgpr10
	s_and_saveexec_b64 s[8:9], vcc
; %bb.23954:
	s_mov_b32 s10, 0x7f800001
	s_xor_b64 s[4:5], exec, -1
; %bb.23955:
	s_or_b64 exec, exec, s[8:9]
	s_and_b64 s[4:5], s[4:5], exec
                                        ; implicit-def: $vgpr13
	s_or_saveexec_b64 s[6:7], s[6:7]
	v_mov_b32_e32 v12, s10
	s_xor_b64 exec, exec, s[6:7]
	s_cbranch_execnz .LBB2_23956
; %bb.59793:
	s_getpc_b64 s[14:15]
.Lpost_getpc33480:
	s_add_u32 s14, s14, (.LBB2_9618-.Lpost_getpc33480)&4294967295
	s_addc_u32 s15, s15, (.LBB2_9618-.Lpost_getpc33480)>>32
	s_setpc_b64 s[14:15]
.LBB2_23956:
	v_cmp_ne_u16_e32 vcc, 0, v13
	s_andn2_b64 s[4:5], s[4:5], exec
	s_and_b64 s[8:9], vcc, exec
	v_mov_b32_e32 v12, 0
	s_or_b64 s[4:5], s[4:5], s[8:9]
	s_or_b64 exec, exec, s[6:7]
	s_and_saveexec_b64 s[6:7], s[4:5]
	s_cbranch_execz .LBB2_33481
; %bb.59795:
	s_getpc_b64 s[14:15]
.Lpost_getpc33481:
	s_add_u32 s14, s14, (.LBB2_9619-.Lpost_getpc33481)&4294967295
	s_addc_u32 s15, s15, (.LBB2_9619-.Lpost_getpc33481)>>32
	s_setpc_b64 s[14:15]
.LBB2_33481:
	s_getpc_b64 s[14:15]
.Lpost_getpc20324:
	s_add_u32 s14, s14, (.LBB2_9620-.Lpost_getpc20324)&4294967295
	s_addc_u32 s15, s15, (.LBB2_9620-.Lpost_getpc20324)>>32
	s_setpc_b64 s[14:15]
.LBB2_23957:
	s_movk_i32 s4, 0x80
	v_cmp_eq_u16_e32 vcc, s4, v13
	s_mov_b64 s[4:5], -1
                                        ; implicit-def: $sgpr10
	s_and_saveexec_b64 s[8:9], vcc
; %bb.23958:
	s_mov_b32 s10, 0x7f800001
	s_xor_b64 s[4:5], exec, -1
; %bb.23959:
	s_or_b64 exec, exec, s[8:9]
	s_and_b64 s[4:5], s[4:5], exec
                                        ; implicit-def: $vgpr13
	s_or_saveexec_b64 s[6:7], s[6:7]
	v_mov_b32_e32 v14, s10
	s_xor_b64 exec, exec, s[6:7]
	s_cbranch_execnz .LBB2_23960
; %bb.59797:
	s_getpc_b64 s[14:15]
.Lpost_getpc33482:
	s_add_u32 s14, s14, (.LBB2_9622-.Lpost_getpc33482)&4294967295
	s_addc_u32 s15, s15, (.LBB2_9622-.Lpost_getpc33482)>>32
	s_setpc_b64 s[14:15]
.LBB2_23960:
	v_cmp_ne_u16_e32 vcc, 0, v13
	s_andn2_b64 s[4:5], s[4:5], exec
	s_and_b64 s[8:9], vcc, exec
	v_mov_b32_e32 v14, 0
	s_or_b64 s[4:5], s[4:5], s[8:9]
	s_or_b64 exec, exec, s[6:7]
	s_and_saveexec_b64 s[6:7], s[4:5]
	s_cbranch_execz .LBB2_33483
; %bb.59799:
	s_getpc_b64 s[14:15]
.Lpost_getpc33483:
	s_add_u32 s14, s14, (.LBB2_9623-.Lpost_getpc33483)&4294967295
	s_addc_u32 s15, s15, (.LBB2_9623-.Lpost_getpc33483)>>32
	s_setpc_b64 s[14:15]
.LBB2_33483:
	s_getpc_b64 s[14:15]
.Lpost_getpc20325:
	s_add_u32 s14, s14, (.LBB2_9624-.Lpost_getpc20325)&4294967295
	s_addc_u32 s15, s15, (.LBB2_9624-.Lpost_getpc20325)>>32
	s_setpc_b64 s[14:15]
.LBB2_23961:
	s_movk_i32 s4, 0x80
	v_cmp_eq_u16_sdwa s[12:13], v6, s4 src0_sel:BYTE_3 src1_sel:DWORD
	s_mov_b64 s[4:5], -1
                                        ; implicit-def: $sgpr10
	s_and_saveexec_b64 s[8:9], s[12:13]
; %bb.23962:
	s_mov_b32 s10, 0x7f800001
	s_xor_b64 s[4:5], exec, -1
; %bb.23963:
	s_or_b64 exec, exec, s[8:9]
	s_and_b64 s[4:5], s[4:5], exec
	s_or_saveexec_b64 s[6:7], s[6:7]
	v_mov_b32_e32 v12, s10
	s_xor_b64 exec, exec, s[6:7]
	s_cbranch_execnz .LBB2_23964
; %bb.59801:
	s_getpc_b64 s[14:15]
.Lpost_getpc33484:
	s_add_u32 s14, s14, (.LBB2_9626-.Lpost_getpc33484)&4294967295
	s_addc_u32 s15, s15, (.LBB2_9626-.Lpost_getpc33484)>>32
	s_setpc_b64 s[14:15]
.LBB2_23964:
	v_mov_b32_e32 v12, 0
	v_cmp_ne_u16_sdwa s[8:9], v6, v12 src0_sel:BYTE_3 src1_sel:DWORD
	s_andn2_b64 s[4:5], s[4:5], exec
	s_and_b64 s[8:9], s[8:9], exec
	s_or_b64 s[4:5], s[4:5], s[8:9]
	s_or_b64 exec, exec, s[6:7]
	s_and_saveexec_b64 s[6:7], s[4:5]
	s_cbranch_execz .LBB2_33485
; %bb.59803:
	s_getpc_b64 s[14:15]
.Lpost_getpc33485:
	s_add_u32 s14, s14, (.LBB2_9627-.Lpost_getpc33485)&4294967295
	s_addc_u32 s15, s15, (.LBB2_9627-.Lpost_getpc33485)>>32
	s_setpc_b64 s[14:15]
.LBB2_33485:
	s_getpc_b64 s[14:15]
.Lpost_getpc20326:
	s_add_u32 s14, s14, (.LBB2_9628-.Lpost_getpc20326)&4294967295
	s_addc_u32 s15, s15, (.LBB2_9628-.Lpost_getpc20326)>>32
	s_setpc_b64 s[14:15]
.LBB2_23965:
	s_movk_i32 s4, 0x80
	v_cmp_eq_u16_sdwa s[12:13], v2, s4 src0_sel:BYTE_3 src1_sel:DWORD
	s_mov_b64 s[4:5], -1
                                        ; implicit-def: $sgpr10
	s_and_saveexec_b64 s[8:9], s[12:13]
; %bb.23966:
	s_mov_b32 s10, 0x7f800001
	s_xor_b64 s[4:5], exec, -1
; %bb.23967:
	s_or_b64 exec, exec, s[8:9]
	s_and_b64 s[4:5], s[4:5], exec
	s_or_saveexec_b64 s[6:7], s[6:7]
	v_mov_b32_e32 v6, s10
	s_xor_b64 exec, exec, s[6:7]
	s_cbranch_execnz .LBB2_23968
; %bb.59805:
	s_getpc_b64 s[14:15]
.Lpost_getpc33486:
	s_add_u32 s14, s14, (.LBB2_9630-.Lpost_getpc33486)&4294967295
	s_addc_u32 s15, s15, (.LBB2_9630-.Lpost_getpc33486)>>32
	s_setpc_b64 s[14:15]
.LBB2_23968:
	v_mov_b32_e32 v6, 0
	v_cmp_ne_u16_sdwa s[8:9], v2, v6 src0_sel:BYTE_3 src1_sel:DWORD
	s_andn2_b64 s[4:5], s[4:5], exec
	s_and_b64 s[8:9], s[8:9], exec
	s_or_b64 s[4:5], s[4:5], s[8:9]
	s_or_b64 exec, exec, s[6:7]
	s_and_saveexec_b64 s[6:7], s[4:5]
	s_cbranch_execz .LBB2_33487
; %bb.59807:
	s_getpc_b64 s[14:15]
.Lpost_getpc33487:
	s_add_u32 s14, s14, (.LBB2_9631-.Lpost_getpc33487)&4294967295
	s_addc_u32 s15, s15, (.LBB2_9631-.Lpost_getpc33487)>>32
	s_setpc_b64 s[14:15]
.LBB2_33487:
	s_getpc_b64 s[14:15]
.Lpost_getpc20327:
	s_add_u32 s14, s14, (.LBB2_9632-.Lpost_getpc20327)&4294967295
	s_addc_u32 s15, s15, (.LBB2_9632-.Lpost_getpc20327)>>32
	s_setpc_b64 s[14:15]
.LBB2_23969:
	s_movk_i32 s4, 0x80
	v_cmp_eq_u16_sdwa s[12:13], v7, s4 src0_sel:BYTE_0 src1_sel:DWORD
	s_mov_b64 s[4:5], -1
                                        ; implicit-def: $sgpr10
	s_and_saveexec_b64 s[8:9], s[12:13]
; %bb.23970:
	s_mov_b32 s10, 0x7f800001
	s_xor_b64 s[4:5], exec, -1
; %bb.23971:
	s_or_b64 exec, exec, s[8:9]
	s_and_b64 s[4:5], s[4:5], exec
	s_or_saveexec_b64 s[6:7], s[6:7]
	v_mov_b32_e32 v2, s10
	s_xor_b64 exec, exec, s[6:7]
	s_cbranch_execnz .LBB2_23972
; %bb.59809:
	s_getpc_b64 s[14:15]
.Lpost_getpc33488:
	s_add_u32 s14, s14, (.LBB2_9634-.Lpost_getpc33488)&4294967295
	s_addc_u32 s15, s15, (.LBB2_9634-.Lpost_getpc33488)>>32
	s_setpc_b64 s[14:15]
.LBB2_23972:
	v_mov_b32_e32 v2, 0
	v_cmp_ne_u16_sdwa s[8:9], v7, v2 src0_sel:BYTE_0 src1_sel:DWORD
	s_andn2_b64 s[4:5], s[4:5], exec
	s_and_b64 s[8:9], s[8:9], exec
	s_or_b64 s[4:5], s[4:5], s[8:9]
	s_or_b64 exec, exec, s[6:7]
	s_and_saveexec_b64 s[6:7], s[4:5]
	s_cbranch_execz .LBB2_33489
; %bb.59811:
	s_getpc_b64 s[14:15]
.Lpost_getpc33489:
	s_add_u32 s14, s14, (.LBB2_9635-.Lpost_getpc33489)&4294967295
	s_addc_u32 s15, s15, (.LBB2_9635-.Lpost_getpc33489)>>32
	s_setpc_b64 s[14:15]
.LBB2_33489:
	s_getpc_b64 s[14:15]
.Lpost_getpc20328:
	s_add_u32 s14, s14, (.LBB2_9636-.Lpost_getpc20328)&4294967295
	s_addc_u32 s15, s15, (.LBB2_9636-.Lpost_getpc20328)>>32
	s_setpc_b64 s[14:15]
.LBB2_23973:
	s_movk_i32 s4, 0x80
	v_cmp_eq_u16_sdwa s[12:13], v3, s4 src0_sel:BYTE_0 src1_sel:DWORD
	s_mov_b64 s[4:5], -1
                                        ; implicit-def: $sgpr10
	s_and_saveexec_b64 s[8:9], s[12:13]
; %bb.23974:
	s_mov_b32 s10, 0x7f800001
	s_xor_b64 s[4:5], exec, -1
; %bb.23975:
	s_or_b64 exec, exec, s[8:9]
	s_and_b64 s[4:5], s[4:5], exec
	s_or_saveexec_b64 s[6:7], s[6:7]
	v_mov_b32_e32 v6, s10
	s_xor_b64 exec, exec, s[6:7]
	s_cbranch_execnz .LBB2_23976
; %bb.59813:
	s_getpc_b64 s[14:15]
.Lpost_getpc33490:
	s_add_u32 s14, s14, (.LBB2_9638-.Lpost_getpc33490)&4294967295
	s_addc_u32 s15, s15, (.LBB2_9638-.Lpost_getpc33490)>>32
	s_setpc_b64 s[14:15]
.LBB2_23976:
	v_mov_b32_e32 v6, 0
	v_cmp_ne_u16_sdwa s[8:9], v3, v6 src0_sel:BYTE_0 src1_sel:DWORD
	s_andn2_b64 s[4:5], s[4:5], exec
	s_and_b64 s[8:9], s[8:9], exec
	s_or_b64 s[4:5], s[4:5], s[8:9]
	s_or_b64 exec, exec, s[6:7]
	s_and_saveexec_b64 s[6:7], s[4:5]
	s_cbranch_execz .LBB2_33491
; %bb.59815:
	s_getpc_b64 s[14:15]
.Lpost_getpc33491:
	s_add_u32 s14, s14, (.LBB2_9639-.Lpost_getpc33491)&4294967295
	s_addc_u32 s15, s15, (.LBB2_9639-.Lpost_getpc33491)>>32
	s_setpc_b64 s[14:15]
.LBB2_33491:
	s_getpc_b64 s[14:15]
.Lpost_getpc20329:
	s_add_u32 s14, s14, (.LBB2_9640-.Lpost_getpc20329)&4294967295
	s_addc_u32 s15, s15, (.LBB2_9640-.Lpost_getpc20329)>>32
	s_setpc_b64 s[14:15]
.LBB2_23977:
	s_movk_i32 s4, 0x80
	v_cmp_eq_u16_sdwa s[12:13], v6, s4 src0_sel:BYTE_0 src1_sel:DWORD
	s_mov_b64 s[4:5], -1
                                        ; implicit-def: $sgpr10
	s_and_saveexec_b64 s[8:9], s[12:13]
; %bb.23978:
	s_mov_b32 s10, 0x7f800001
	s_xor_b64 s[4:5], exec, -1
; %bb.23979:
	s_or_b64 exec, exec, s[8:9]
	s_and_b64 s[4:5], s[4:5], exec
	s_or_saveexec_b64 s[6:7], s[6:7]
	v_mov_b32_e32 v2, s10
	s_xor_b64 exec, exec, s[6:7]
	s_cbranch_execnz .LBB2_23980
; %bb.59817:
	s_getpc_b64 s[14:15]
.Lpost_getpc33492:
	s_add_u32 s14, s14, (.LBB2_9642-.Lpost_getpc33492)&4294967295
	s_addc_u32 s15, s15, (.LBB2_9642-.Lpost_getpc33492)>>32
	s_setpc_b64 s[14:15]
.LBB2_23980:
	v_mov_b32_e32 v2, 0
	v_cmp_ne_u16_sdwa s[8:9], v6, v2 src0_sel:BYTE_0 src1_sel:DWORD
	s_andn2_b64 s[4:5], s[4:5], exec
	s_and_b64 s[8:9], s[8:9], exec
	s_or_b64 s[4:5], s[4:5], s[8:9]
	s_or_b64 exec, exec, s[6:7]
	s_and_saveexec_b64 s[6:7], s[4:5]
	s_cbranch_execz .LBB2_33493
; %bb.59819:
	s_getpc_b64 s[14:15]
.Lpost_getpc33493:
	s_add_u32 s14, s14, (.LBB2_9643-.Lpost_getpc33493)&4294967295
	s_addc_u32 s15, s15, (.LBB2_9643-.Lpost_getpc33493)>>32
	s_setpc_b64 s[14:15]
.LBB2_33493:
	s_getpc_b64 s[14:15]
.Lpost_getpc20330:
	s_add_u32 s14, s14, (.LBB2_9644-.Lpost_getpc20330)&4294967295
	s_addc_u32 s15, s15, (.LBB2_9644-.Lpost_getpc20330)>>32
	s_setpc_b64 s[14:15]
.LBB2_23981:
	s_movk_i32 s4, 0x80
	v_cmp_eq_u16_sdwa s[12:13], v6, s4 src0_sel:BYTE_0 src1_sel:DWORD
	s_mov_b64 s[4:5], -1
                                        ; implicit-def: $sgpr10
	s_and_saveexec_b64 s[8:9], s[12:13]
; %bb.23982:
	s_mov_b32 s10, 0x7f800001
	s_xor_b64 s[4:5], exec, -1
; %bb.23983:
	s_or_b64 exec, exec, s[8:9]
	s_and_b64 s[4:5], s[4:5], exec
	s_or_saveexec_b64 s[6:7], s[6:7]
	v_mov_b32_e32 v12, s10
	s_xor_b64 exec, exec, s[6:7]
	s_cbranch_execnz .LBB2_23984
; %bb.59821:
	s_getpc_b64 s[14:15]
.Lpost_getpc33494:
	s_add_u32 s14, s14, (.LBB2_9646-.Lpost_getpc33494)&4294967295
	s_addc_u32 s15, s15, (.LBB2_9646-.Lpost_getpc33494)>>32
	s_setpc_b64 s[14:15]
.LBB2_23984:
	v_mov_b32_e32 v12, 0
	v_cmp_ne_u16_sdwa s[8:9], v6, v12 src0_sel:BYTE_0 src1_sel:DWORD
	s_andn2_b64 s[4:5], s[4:5], exec
	s_and_b64 s[8:9], s[8:9], exec
	s_or_b64 s[4:5], s[4:5], s[8:9]
	s_or_b64 exec, exec, s[6:7]
	s_and_saveexec_b64 s[6:7], s[4:5]
	s_cbranch_execz .LBB2_33495
; %bb.59823:
	s_getpc_b64 s[14:15]
.Lpost_getpc33495:
	s_add_u32 s14, s14, (.LBB2_9647-.Lpost_getpc33495)&4294967295
	s_addc_u32 s15, s15, (.LBB2_9647-.Lpost_getpc33495)>>32
	s_setpc_b64 s[14:15]
.LBB2_33495:
	s_getpc_b64 s[14:15]
.Lpost_getpc20331:
	s_add_u32 s14, s14, (.LBB2_9648-.Lpost_getpc20331)&4294967295
	s_addc_u32 s15, s15, (.LBB2_9648-.Lpost_getpc20331)>>32
	s_setpc_b64 s[14:15]
.LBB2_23985:
	s_movk_i32 s4, 0x80
	v_cmp_eq_u16_e32 vcc, s4, v6
	s_mov_b64 s[4:5], -1
                                        ; implicit-def: $sgpr10
	s_and_saveexec_b64 s[8:9], vcc
; %bb.23986:
	s_mov_b32 s10, 0x7f800001
	s_xor_b64 s[4:5], exec, -1
; %bb.23987:
	s_or_b64 exec, exec, s[8:9]
	s_and_b64 s[4:5], s[4:5], exec
                                        ; implicit-def: $vgpr6
	s_or_saveexec_b64 s[6:7], s[6:7]
	v_mov_b32_e32 v2, s10
	s_xor_b64 exec, exec, s[6:7]
	s_cbranch_execnz .LBB2_23988
; %bb.59825:
	s_getpc_b64 s[14:15]
.Lpost_getpc33496:
	s_add_u32 s14, s14, (.LBB2_9650-.Lpost_getpc33496)&4294967295
	s_addc_u32 s15, s15, (.LBB2_9650-.Lpost_getpc33496)>>32
	s_setpc_b64 s[14:15]
.LBB2_23988:
	v_cmp_ne_u16_e32 vcc, 0, v6
	s_andn2_b64 s[4:5], s[4:5], exec
	s_and_b64 s[8:9], vcc, exec
	v_mov_b32_e32 v2, 0
	s_or_b64 s[4:5], s[4:5], s[8:9]
	s_or_b64 exec, exec, s[6:7]
	s_and_saveexec_b64 s[6:7], s[4:5]
	s_cbranch_execz .LBB2_33497
; %bb.59827:
	s_getpc_b64 s[14:15]
.Lpost_getpc33497:
	s_add_u32 s14, s14, (.LBB2_9651-.Lpost_getpc33497)&4294967295
	s_addc_u32 s15, s15, (.LBB2_9651-.Lpost_getpc33497)>>32
	s_setpc_b64 s[14:15]
.LBB2_33497:
	s_getpc_b64 s[14:15]
.Lpost_getpc20332:
	s_add_u32 s14, s14, (.LBB2_9652-.Lpost_getpc20332)&4294967295
	s_addc_u32 s15, s15, (.LBB2_9652-.Lpost_getpc20332)>>32
	s_setpc_b64 s[14:15]
.LBB2_23989:
	s_movk_i32 s4, 0x80
	v_cmp_eq_u16_e32 vcc, s4, v6
	s_mov_b64 s[4:5], -1
                                        ; implicit-def: $sgpr10
	s_and_saveexec_b64 s[8:9], vcc
; %bb.23990:
	s_mov_b32 s10, 0x7f800001
	s_xor_b64 s[4:5], exec, -1
; %bb.23991:
	s_or_b64 exec, exec, s[8:9]
	s_and_b64 s[4:5], s[4:5], exec
                                        ; implicit-def: $vgpr6
	s_or_saveexec_b64 s[6:7], s[6:7]
	v_mov_b32_e32 v12, s10
	s_xor_b64 exec, exec, s[6:7]
	s_cbranch_execnz .LBB2_23992
; %bb.59829:
	s_getpc_b64 s[14:15]
.Lpost_getpc33498:
	s_add_u32 s14, s14, (.LBB2_9654-.Lpost_getpc33498)&4294967295
	s_addc_u32 s15, s15, (.LBB2_9654-.Lpost_getpc33498)>>32
	s_setpc_b64 s[14:15]
.LBB2_23992:
	v_cmp_ne_u16_e32 vcc, 0, v6
	s_andn2_b64 s[4:5], s[4:5], exec
	s_and_b64 s[8:9], vcc, exec
	v_mov_b32_e32 v12, 0
	s_or_b64 s[4:5], s[4:5], s[8:9]
	s_or_b64 exec, exec, s[6:7]
	s_and_saveexec_b64 s[6:7], s[4:5]
	s_cbranch_execz .LBB2_33499
; %bb.59831:
	s_getpc_b64 s[14:15]
.Lpost_getpc33499:
	s_add_u32 s14, s14, (.LBB2_9655-.Lpost_getpc33499)&4294967295
	s_addc_u32 s15, s15, (.LBB2_9655-.Lpost_getpc33499)>>32
	s_setpc_b64 s[14:15]
.LBB2_33499:
	s_getpc_b64 s[14:15]
.Lpost_getpc20333:
	s_add_u32 s14, s14, (.LBB2_9656-.Lpost_getpc20333)&4294967295
	s_addc_u32 s15, s15, (.LBB2_9656-.Lpost_getpc20333)>>32
	s_setpc_b64 s[14:15]
.LBB2_23993:
	s_movk_i32 s4, 0x80
	v_cmp_eq_u16_sdwa s[12:13], v7, s4 src0_sel:BYTE_3 src1_sel:DWORD
	s_mov_b64 s[4:5], -1
                                        ; implicit-def: $sgpr10
	s_and_saveexec_b64 s[8:9], s[12:13]
; %bb.23994:
	s_mov_b32 s10, 0x7f800001
	s_xor_b64 s[4:5], exec, -1
; %bb.23995:
	s_or_b64 exec, exec, s[8:9]
	s_and_b64 s[4:5], s[4:5], exec
	s_or_saveexec_b64 s[6:7], s[6:7]
	v_mov_b32_e32 v2, s10
	s_xor_b64 exec, exec, s[6:7]
	s_cbranch_execnz .LBB2_23996
; %bb.59833:
	s_getpc_b64 s[14:15]
.Lpost_getpc33500:
	s_add_u32 s14, s14, (.LBB2_9658-.Lpost_getpc33500)&4294967295
	s_addc_u32 s15, s15, (.LBB2_9658-.Lpost_getpc33500)>>32
	s_setpc_b64 s[14:15]
.LBB2_23996:
	v_mov_b32_e32 v2, 0
	v_cmp_ne_u16_sdwa s[8:9], v7, v2 src0_sel:BYTE_3 src1_sel:DWORD
	s_andn2_b64 s[4:5], s[4:5], exec
	s_and_b64 s[8:9], s[8:9], exec
	s_or_b64 s[4:5], s[4:5], s[8:9]
	s_or_b64 exec, exec, s[6:7]
	s_and_saveexec_b64 s[6:7], s[4:5]
	s_cbranch_execz .LBB2_33501
; %bb.59835:
	s_getpc_b64 s[14:15]
.Lpost_getpc33501:
	s_add_u32 s14, s14, (.LBB2_9659-.Lpost_getpc33501)&4294967295
	s_addc_u32 s15, s15, (.LBB2_9659-.Lpost_getpc33501)>>32
	s_setpc_b64 s[14:15]
.LBB2_33501:
	s_getpc_b64 s[14:15]
.Lpost_getpc20334:
	s_add_u32 s14, s14, (.LBB2_9660-.Lpost_getpc20334)&4294967295
	s_addc_u32 s15, s15, (.LBB2_9660-.Lpost_getpc20334)>>32
	s_setpc_b64 s[14:15]
.LBB2_23997:
	s_movk_i32 s4, 0x80
	v_cmp_eq_u16_sdwa s[12:13], v3, s4 src0_sel:BYTE_3 src1_sel:DWORD
	s_mov_b64 s[4:5], -1
                                        ; implicit-def: $sgpr10
	s_and_saveexec_b64 s[8:9], s[12:13]
; %bb.23998:
	s_mov_b32 s10, 0x7f800001
	s_xor_b64 s[4:5], exec, -1
; %bb.23999:
	s_or_b64 exec, exec, s[8:9]
	s_and_b64 s[4:5], s[4:5], exec
	s_or_saveexec_b64 s[6:7], s[6:7]
	v_mov_b32_e32 v6, s10
	s_xor_b64 exec, exec, s[6:7]
	s_cbranch_execnz .LBB2_24000
; %bb.59837:
	s_getpc_b64 s[14:15]
.Lpost_getpc33502:
	s_add_u32 s14, s14, (.LBB2_9662-.Lpost_getpc33502)&4294967295
	s_addc_u32 s15, s15, (.LBB2_9662-.Lpost_getpc33502)>>32
	s_setpc_b64 s[14:15]
.LBB2_24000:
	v_mov_b32_e32 v6, 0
	v_cmp_ne_u16_sdwa s[8:9], v3, v6 src0_sel:BYTE_3 src1_sel:DWORD
	s_andn2_b64 s[4:5], s[4:5], exec
	s_and_b64 s[8:9], s[8:9], exec
	s_or_b64 s[4:5], s[4:5], s[8:9]
	s_or_b64 exec, exec, s[6:7]
	s_and_saveexec_b64 s[6:7], s[4:5]
	s_cbranch_execz .LBB2_33503
; %bb.59839:
	s_getpc_b64 s[14:15]
.Lpost_getpc33503:
	s_add_u32 s14, s14, (.LBB2_9663-.Lpost_getpc33503)&4294967295
	s_addc_u32 s15, s15, (.LBB2_9663-.Lpost_getpc33503)>>32
	s_setpc_b64 s[14:15]
.LBB2_33503:
	s_getpc_b64 s[14:15]
.Lpost_getpc20335:
	s_add_u32 s14, s14, (.LBB2_9664-.Lpost_getpc20335)&4294967295
	s_addc_u32 s15, s15, (.LBB2_9664-.Lpost_getpc20335)>>32
	s_setpc_b64 s[14:15]
.LBB2_24001:
	s_movk_i32 s4, 0x80
	v_cmp_eq_u16_sdwa s[12:13], v8, s4 src0_sel:BYTE_0 src1_sel:DWORD
	s_mov_b64 s[4:5], -1
                                        ; implicit-def: $sgpr10
	s_and_saveexec_b64 s[8:9], s[12:13]
; %bb.24002:
	s_mov_b32 s10, 0x7f800001
	s_xor_b64 s[4:5], exec, -1
; %bb.24003:
	s_or_b64 exec, exec, s[8:9]
	s_and_b64 s[4:5], s[4:5], exec
	s_or_saveexec_b64 s[6:7], s[6:7]
	v_mov_b32_e32 v2, s10
	s_xor_b64 exec, exec, s[6:7]
	s_cbranch_execnz .LBB2_24004
; %bb.59841:
	s_getpc_b64 s[14:15]
.Lpost_getpc33504:
	s_add_u32 s14, s14, (.LBB2_9666-.Lpost_getpc33504)&4294967295
	s_addc_u32 s15, s15, (.LBB2_9666-.Lpost_getpc33504)>>32
	s_setpc_b64 s[14:15]
.LBB2_24004:
	v_mov_b32_e32 v2, 0
	v_cmp_ne_u16_sdwa s[8:9], v8, v2 src0_sel:BYTE_0 src1_sel:DWORD
	s_andn2_b64 s[4:5], s[4:5], exec
	s_and_b64 s[8:9], s[8:9], exec
	s_or_b64 s[4:5], s[4:5], s[8:9]
	s_or_b64 exec, exec, s[6:7]
	s_and_saveexec_b64 s[6:7], s[4:5]
	s_cbranch_execz .LBB2_33505
; %bb.59843:
	s_getpc_b64 s[14:15]
.Lpost_getpc33505:
	s_add_u32 s14, s14, (.LBB2_9667-.Lpost_getpc33505)&4294967295
	s_addc_u32 s15, s15, (.LBB2_9667-.Lpost_getpc33505)>>32
	s_setpc_b64 s[14:15]
.LBB2_33505:
	s_getpc_b64 s[14:15]
.Lpost_getpc20336:
	s_add_u32 s14, s14, (.LBB2_9668-.Lpost_getpc20336)&4294967295
	s_addc_u32 s15, s15, (.LBB2_9668-.Lpost_getpc20336)>>32
	s_setpc_b64 s[14:15]
.LBB2_24005:
	s_movk_i32 s4, 0x80
	v_cmp_eq_u16_sdwa s[12:13], v4, s4 src0_sel:BYTE_0 src1_sel:DWORD
	s_mov_b64 s[4:5], -1
                                        ; implicit-def: $sgpr10
	s_and_saveexec_b64 s[8:9], s[12:13]
; %bb.24006:
	s_mov_b32 s10, 0x7f800001
	s_xor_b64 s[4:5], exec, -1
; %bb.24007:
	s_or_b64 exec, exec, s[8:9]
	s_and_b64 s[4:5], s[4:5], exec
	s_or_saveexec_b64 s[6:7], s[6:7]
	v_mov_b32_e32 v3, s10
	s_xor_b64 exec, exec, s[6:7]
	s_cbranch_execnz .LBB2_24008
; %bb.59845:
	s_getpc_b64 s[14:15]
.Lpost_getpc33506:
	s_add_u32 s14, s14, (.LBB2_9670-.Lpost_getpc33506)&4294967295
	s_addc_u32 s15, s15, (.LBB2_9670-.Lpost_getpc33506)>>32
	s_setpc_b64 s[14:15]
.LBB2_24008:
	v_mov_b32_e32 v3, 0
	v_cmp_ne_u16_sdwa s[8:9], v4, v3 src0_sel:BYTE_0 src1_sel:DWORD
	s_andn2_b64 s[4:5], s[4:5], exec
	s_and_b64 s[8:9], s[8:9], exec
	s_or_b64 s[4:5], s[4:5], s[8:9]
	s_or_b64 exec, exec, s[6:7]
	s_and_saveexec_b64 s[6:7], s[4:5]
	s_cbranch_execz .LBB2_33507
; %bb.59847:
	s_getpc_b64 s[14:15]
.Lpost_getpc33507:
	s_add_u32 s14, s14, (.LBB2_9671-.Lpost_getpc33507)&4294967295
	s_addc_u32 s15, s15, (.LBB2_9671-.Lpost_getpc33507)>>32
	s_setpc_b64 s[14:15]
.LBB2_33507:
	s_getpc_b64 s[14:15]
.Lpost_getpc20337:
	s_add_u32 s14, s14, (.LBB2_9672-.Lpost_getpc20337)&4294967295
	s_addc_u32 s15, s15, (.LBB2_9672-.Lpost_getpc20337)>>32
	s_setpc_b64 s[14:15]
.LBB2_24009:
	s_movk_i32 s4, 0x80
	v_cmp_eq_u16_sdwa s[12:13], v3, s4 src0_sel:BYTE_0 src1_sel:DWORD
	s_mov_b64 s[4:5], -1
                                        ; implicit-def: $sgpr10
	s_and_saveexec_b64 s[8:9], s[12:13]
; %bb.24010:
	s_mov_b32 s10, 0x7f800001
	s_xor_b64 s[4:5], exec, -1
; %bb.24011:
	s_or_b64 exec, exec, s[8:9]
	s_and_b64 s[4:5], s[4:5], exec
	s_or_saveexec_b64 s[6:7], s[6:7]
	v_mov_b32_e32 v2, s10
	s_xor_b64 exec, exec, s[6:7]
	s_cbranch_execnz .LBB2_24012
; %bb.59849:
	s_getpc_b64 s[14:15]
.Lpost_getpc33508:
	s_add_u32 s14, s14, (.LBB2_9674-.Lpost_getpc33508)&4294967295
	s_addc_u32 s15, s15, (.LBB2_9674-.Lpost_getpc33508)>>32
	s_setpc_b64 s[14:15]
.LBB2_24012:
	v_mov_b32_e32 v2, 0
	v_cmp_ne_u16_sdwa s[8:9], v3, v2 src0_sel:BYTE_0 src1_sel:DWORD
	s_andn2_b64 s[4:5], s[4:5], exec
	s_and_b64 s[8:9], s[8:9], exec
	s_or_b64 s[4:5], s[4:5], s[8:9]
	s_or_b64 exec, exec, s[6:7]
	s_and_saveexec_b64 s[6:7], s[4:5]
	s_cbranch_execz .LBB2_33509
; %bb.59851:
	s_getpc_b64 s[14:15]
.Lpost_getpc33509:
	s_add_u32 s14, s14, (.LBB2_9675-.Lpost_getpc33509)&4294967295
	s_addc_u32 s15, s15, (.LBB2_9675-.Lpost_getpc33509)>>32
	s_setpc_b64 s[14:15]
.LBB2_33509:
	s_getpc_b64 s[14:15]
.Lpost_getpc20338:
	s_add_u32 s14, s14, (.LBB2_9676-.Lpost_getpc20338)&4294967295
	s_addc_u32 s15, s15, (.LBB2_9676-.Lpost_getpc20338)>>32
	s_setpc_b64 s[14:15]
.LBB2_24013:
	s_movk_i32 s4, 0x80
	v_cmp_eq_u16_sdwa s[12:13], v3, s4 src0_sel:BYTE_0 src1_sel:DWORD
	s_mov_b64 s[4:5], -1
                                        ; implicit-def: $sgpr10
	s_and_saveexec_b64 s[8:9], s[12:13]
; %bb.24014:
	s_mov_b32 s10, 0x7f800001
	s_xor_b64 s[4:5], exec, -1
; %bb.24015:
	s_or_b64 exec, exec, s[8:9]
	s_and_b64 s[4:5], s[4:5], exec
	s_or_saveexec_b64 s[6:7], s[6:7]
	v_mov_b32_e32 v6, s10
	s_xor_b64 exec, exec, s[6:7]
	s_cbranch_execnz .LBB2_24016
; %bb.59853:
	s_getpc_b64 s[14:15]
.Lpost_getpc33510:
	s_add_u32 s14, s14, (.LBB2_9678-.Lpost_getpc33510)&4294967295
	s_addc_u32 s15, s15, (.LBB2_9678-.Lpost_getpc33510)>>32
	s_setpc_b64 s[14:15]
.LBB2_24016:
	v_mov_b32_e32 v6, 0
	v_cmp_ne_u16_sdwa s[8:9], v3, v6 src0_sel:BYTE_0 src1_sel:DWORD
	s_andn2_b64 s[4:5], s[4:5], exec
	s_and_b64 s[8:9], s[8:9], exec
	s_or_b64 s[4:5], s[4:5], s[8:9]
	s_or_b64 exec, exec, s[6:7]
	s_and_saveexec_b64 s[6:7], s[4:5]
	s_cbranch_execz .LBB2_33511
; %bb.59855:
	s_getpc_b64 s[14:15]
.Lpost_getpc33511:
	s_add_u32 s14, s14, (.LBB2_9679-.Lpost_getpc33511)&4294967295
	s_addc_u32 s15, s15, (.LBB2_9679-.Lpost_getpc33511)>>32
	s_setpc_b64 s[14:15]
.LBB2_33511:
	s_getpc_b64 s[14:15]
.Lpost_getpc20339:
	s_add_u32 s14, s14, (.LBB2_9680-.Lpost_getpc20339)&4294967295
	s_addc_u32 s15, s15, (.LBB2_9680-.Lpost_getpc20339)>>32
	s_setpc_b64 s[14:15]
.LBB2_24017:
	s_movk_i32 s4, 0x80
	v_cmp_eq_u16_e32 vcc, s4, v3
	s_mov_b64 s[4:5], -1
                                        ; implicit-def: $sgpr10
	s_and_saveexec_b64 s[8:9], vcc
; %bb.24018:
	s_mov_b32 s10, 0x7f800001
	s_xor_b64 s[4:5], exec, -1
; %bb.24019:
	s_or_b64 exec, exec, s[8:9]
	s_and_b64 s[4:5], s[4:5], exec
                                        ; implicit-def: $vgpr3
	s_or_saveexec_b64 s[6:7], s[6:7]
	v_mov_b32_e32 v2, s10
	s_xor_b64 exec, exec, s[6:7]
	s_cbranch_execnz .LBB2_24020
; %bb.59857:
	s_getpc_b64 s[14:15]
.Lpost_getpc33512:
	s_add_u32 s14, s14, (.LBB2_9682-.Lpost_getpc33512)&4294967295
	s_addc_u32 s15, s15, (.LBB2_9682-.Lpost_getpc33512)>>32
	s_setpc_b64 s[14:15]
.LBB2_24020:
	v_cmp_ne_u16_e32 vcc, 0, v3
	s_andn2_b64 s[4:5], s[4:5], exec
	s_and_b64 s[8:9], vcc, exec
	v_mov_b32_e32 v2, 0
	s_or_b64 s[4:5], s[4:5], s[8:9]
	s_or_b64 exec, exec, s[6:7]
	s_and_saveexec_b64 s[6:7], s[4:5]
	s_cbranch_execz .LBB2_33513
; %bb.59859:
	s_getpc_b64 s[14:15]
.Lpost_getpc33513:
	s_add_u32 s14, s14, (.LBB2_9683-.Lpost_getpc33513)&4294967295
	s_addc_u32 s15, s15, (.LBB2_9683-.Lpost_getpc33513)>>32
	s_setpc_b64 s[14:15]
.LBB2_33513:
	s_getpc_b64 s[14:15]
.Lpost_getpc20340:
	s_add_u32 s14, s14, (.LBB2_9684-.Lpost_getpc20340)&4294967295
	s_addc_u32 s15, s15, (.LBB2_9684-.Lpost_getpc20340)>>32
	s_setpc_b64 s[14:15]
.LBB2_24021:
	s_movk_i32 s4, 0x80
	v_cmp_eq_u16_e32 vcc, s4, v3
	s_mov_b64 s[4:5], -1
                                        ; implicit-def: $sgpr10
	s_and_saveexec_b64 s[8:9], vcc
; %bb.24022:
	s_mov_b32 s10, 0x7f800001
	s_xor_b64 s[4:5], exec, -1
; %bb.24023:
	s_or_b64 exec, exec, s[8:9]
	s_and_b64 s[4:5], s[4:5], exec
                                        ; implicit-def: $vgpr3
	s_or_saveexec_b64 s[6:7], s[6:7]
	v_mov_b32_e32 v6, s10
	s_xor_b64 exec, exec, s[6:7]
	s_cbranch_execnz .LBB2_24024
; %bb.59861:
	s_getpc_b64 s[14:15]
.Lpost_getpc33514:
	s_add_u32 s14, s14, (.LBB2_9686-.Lpost_getpc33514)&4294967295
	s_addc_u32 s15, s15, (.LBB2_9686-.Lpost_getpc33514)>>32
	s_setpc_b64 s[14:15]
.LBB2_24024:
	v_cmp_ne_u16_e32 vcc, 0, v3
	s_andn2_b64 s[4:5], s[4:5], exec
	s_and_b64 s[8:9], vcc, exec
	v_mov_b32_e32 v6, 0
	s_or_b64 s[4:5], s[4:5], s[8:9]
	s_or_b64 exec, exec, s[6:7]
	s_and_saveexec_b64 s[6:7], s[4:5]
	s_cbranch_execz .LBB2_33515
; %bb.59863:
	s_getpc_b64 s[14:15]
.Lpost_getpc33515:
	s_add_u32 s14, s14, (.LBB2_9687-.Lpost_getpc33515)&4294967295
	s_addc_u32 s15, s15, (.LBB2_9687-.Lpost_getpc33515)>>32
	s_setpc_b64 s[14:15]
.LBB2_33515:
	s_getpc_b64 s[14:15]
.Lpost_getpc20341:
	s_add_u32 s14, s14, (.LBB2_9688-.Lpost_getpc20341)&4294967295
	s_addc_u32 s15, s15, (.LBB2_9688-.Lpost_getpc20341)>>32
	s_setpc_b64 s[14:15]
.LBB2_24025:
	s_movk_i32 s4, 0x80
	v_cmp_eq_u16_sdwa s[12:13], v8, s4 src0_sel:BYTE_3 src1_sel:DWORD
	s_mov_b64 s[4:5], -1
                                        ; implicit-def: $sgpr10
	s_and_saveexec_b64 s[8:9], s[12:13]
; %bb.24026:
	s_mov_b32 s10, 0x7f800001
	s_xor_b64 s[4:5], exec, -1
; %bb.24027:
	s_or_b64 exec, exec, s[8:9]
	s_and_b64 s[4:5], s[4:5], exec
	s_or_saveexec_b64 s[6:7], s[6:7]
	v_mov_b32_e32 v2, s10
	s_xor_b64 exec, exec, s[6:7]
	s_cbranch_execnz .LBB2_24028
; %bb.59865:
	s_getpc_b64 s[14:15]
.Lpost_getpc33516:
	s_add_u32 s14, s14, (.LBB2_9690-.Lpost_getpc33516)&4294967295
	s_addc_u32 s15, s15, (.LBB2_9690-.Lpost_getpc33516)>>32
	s_setpc_b64 s[14:15]
.LBB2_24028:
	v_mov_b32_e32 v2, 0
	v_cmp_ne_u16_sdwa s[8:9], v8, v2 src0_sel:BYTE_3 src1_sel:DWORD
	s_andn2_b64 s[4:5], s[4:5], exec
	s_and_b64 s[8:9], s[8:9], exec
	s_or_b64 s[4:5], s[4:5], s[8:9]
	s_or_b64 exec, exec, s[6:7]
	s_and_saveexec_b64 s[6:7], s[4:5]
	s_cbranch_execz .LBB2_33517
; %bb.59867:
	s_getpc_b64 s[14:15]
.Lpost_getpc33517:
	s_add_u32 s14, s14, (.LBB2_9691-.Lpost_getpc33517)&4294967295
	s_addc_u32 s15, s15, (.LBB2_9691-.Lpost_getpc33517)>>32
	s_setpc_b64 s[14:15]
.LBB2_33517:
	s_getpc_b64 s[14:15]
.Lpost_getpc20342:
	s_add_u32 s14, s14, (.LBB2_9692-.Lpost_getpc20342)&4294967295
	s_addc_u32 s15, s15, (.LBB2_9692-.Lpost_getpc20342)>>32
	s_setpc_b64 s[14:15]
.LBB2_24029:
	s_movk_i32 s4, 0x80
	v_cmp_eq_u16_sdwa s[12:13], v4, s4 src0_sel:BYTE_3 src1_sel:DWORD
	s_mov_b64 s[4:5], -1
                                        ; implicit-def: $sgpr10
	s_and_saveexec_b64 s[8:9], s[12:13]
; %bb.24030:
	s_mov_b32 s10, 0x7f800001
	s_xor_b64 s[4:5], exec, -1
; %bb.24031:
	s_or_b64 exec, exec, s[8:9]
	s_and_b64 s[4:5], s[4:5], exec
	s_or_saveexec_b64 s[6:7], s[6:7]
	v_mov_b32_e32 v3, s10
	s_xor_b64 exec, exec, s[6:7]
	s_cbranch_execnz .LBB2_24032
; %bb.59869:
	s_getpc_b64 s[14:15]
.Lpost_getpc33518:
	s_add_u32 s14, s14, (.LBB2_9694-.Lpost_getpc33518)&4294967295
	s_addc_u32 s15, s15, (.LBB2_9694-.Lpost_getpc33518)>>32
	s_setpc_b64 s[14:15]
.LBB2_24032:
	v_mov_b32_e32 v3, 0
	v_cmp_ne_u16_sdwa s[8:9], v4, v3 src0_sel:BYTE_3 src1_sel:DWORD
	s_andn2_b64 s[4:5], s[4:5], exec
	s_and_b64 s[8:9], s[8:9], exec
	s_or_b64 s[4:5], s[4:5], s[8:9]
	s_or_b64 exec, exec, s[6:7]
	s_and_saveexec_b64 s[6:7], s[4:5]
	s_cbranch_execz .LBB2_33519
; %bb.59871:
	s_getpc_b64 s[14:15]
.Lpost_getpc33519:
	s_add_u32 s14, s14, (.LBB2_9695-.Lpost_getpc33519)&4294967295
	s_addc_u32 s15, s15, (.LBB2_9695-.Lpost_getpc33519)>>32
	s_setpc_b64 s[14:15]
.LBB2_33519:
	s_getpc_b64 s[14:15]
.Lpost_getpc20343:
	s_add_u32 s14, s14, (.LBB2_9696-.Lpost_getpc20343)&4294967295
	s_addc_u32 s15, s15, (.LBB2_9696-.Lpost_getpc20343)>>32
	s_setpc_b64 s[14:15]
.LBB2_24033:
	s_movk_i32 s4, 0x80
	v_cmp_eq_u16_sdwa s[12:13], v9, s4 src0_sel:BYTE_0 src1_sel:DWORD
	s_mov_b64 s[4:5], -1
                                        ; implicit-def: $sgpr10
	s_and_saveexec_b64 s[8:9], s[12:13]
; %bb.24034:
	s_mov_b32 s10, 0x7f800001
	s_xor_b64 s[4:5], exec, -1
; %bb.24035:
	s_or_b64 exec, exec, s[8:9]
	s_and_b64 s[4:5], s[4:5], exec
	s_or_saveexec_b64 s[6:7], s[6:7]
	v_mov_b32_e32 v2, s10
	s_xor_b64 exec, exec, s[6:7]
	s_cbranch_execnz .LBB2_24036
; %bb.59873:
	s_getpc_b64 s[14:15]
.Lpost_getpc33520:
	s_add_u32 s14, s14, (.LBB2_9698-.Lpost_getpc33520)&4294967295
	s_addc_u32 s15, s15, (.LBB2_9698-.Lpost_getpc33520)>>32
	s_setpc_b64 s[14:15]
.LBB2_24036:
	v_mov_b32_e32 v2, 0
	v_cmp_ne_u16_sdwa s[8:9], v9, v2 src0_sel:BYTE_0 src1_sel:DWORD
	s_andn2_b64 s[4:5], s[4:5], exec
	s_and_b64 s[8:9], s[8:9], exec
	s_or_b64 s[4:5], s[4:5], s[8:9]
	s_or_b64 exec, exec, s[6:7]
	s_and_saveexec_b64 s[6:7], s[4:5]
	s_cbranch_execz .LBB2_33521
; %bb.59875:
	s_getpc_b64 s[14:15]
.Lpost_getpc33521:
	s_add_u32 s14, s14, (.LBB2_9699-.Lpost_getpc33521)&4294967295
	s_addc_u32 s15, s15, (.LBB2_9699-.Lpost_getpc33521)>>32
	s_setpc_b64 s[14:15]
.LBB2_33521:
	s_getpc_b64 s[14:15]
.Lpost_getpc20344:
	s_add_u32 s14, s14, (.LBB2_9700-.Lpost_getpc20344)&4294967295
	s_addc_u32 s15, s15, (.LBB2_9700-.Lpost_getpc20344)>>32
	s_setpc_b64 s[14:15]
.LBB2_24037:
	s_movk_i32 s4, 0x80
	v_cmp_eq_u16_sdwa s[12:13], v5, s4 src0_sel:BYTE_0 src1_sel:DWORD
	s_mov_b64 s[4:5], -1
                                        ; implicit-def: $sgpr10
	s_and_saveexec_b64 s[8:9], s[12:13]
; %bb.24038:
	s_mov_b32 s10, 0x7f800001
	s_xor_b64 s[4:5], exec, -1
; %bb.24039:
	s_or_b64 exec, exec, s[8:9]
	s_and_b64 s[4:5], s[4:5], exec
	s_or_saveexec_b64 s[6:7], s[6:7]
	v_mov_b32_e32 v3, s10
	s_xor_b64 exec, exec, s[6:7]
	s_cbranch_execnz .LBB2_24040
; %bb.59877:
	s_getpc_b64 s[14:15]
.Lpost_getpc33522:
	s_add_u32 s14, s14, (.LBB2_9702-.Lpost_getpc33522)&4294967295
	s_addc_u32 s15, s15, (.LBB2_9702-.Lpost_getpc33522)>>32
	s_setpc_b64 s[14:15]
.LBB2_24040:
	v_mov_b32_e32 v3, 0
	v_cmp_ne_u16_sdwa s[8:9], v5, v3 src0_sel:BYTE_0 src1_sel:DWORD
	s_andn2_b64 s[4:5], s[4:5], exec
	s_and_b64 s[8:9], s[8:9], exec
	s_or_b64 s[4:5], s[4:5], s[8:9]
	s_or_b64 exec, exec, s[6:7]
	s_and_saveexec_b64 s[6:7], s[4:5]
	s_cbranch_execz .LBB2_33523
; %bb.59879:
	s_getpc_b64 s[14:15]
.Lpost_getpc33523:
	s_add_u32 s14, s14, (.LBB2_9703-.Lpost_getpc33523)&4294967295
	s_addc_u32 s15, s15, (.LBB2_9703-.Lpost_getpc33523)>>32
	s_setpc_b64 s[14:15]
.LBB2_33523:
	s_getpc_b64 s[14:15]
.Lpost_getpc20345:
	s_add_u32 s14, s14, (.LBB2_9704-.Lpost_getpc20345)&4294967295
	s_addc_u32 s15, s15, (.LBB2_9704-.Lpost_getpc20345)>>32
	s_setpc_b64 s[14:15]
.LBB2_24041:
	s_movk_i32 s4, 0x80
	v_cmp_eq_u16_sdwa s[12:13], v3, s4 src0_sel:BYTE_0 src1_sel:DWORD
	s_mov_b64 s[4:5], -1
                                        ; implicit-def: $sgpr10
	s_and_saveexec_b64 s[8:9], s[12:13]
; %bb.24042:
	s_mov_b32 s10, 0x7f800001
	s_xor_b64 s[4:5], exec, -1
; %bb.24043:
	s_or_b64 exec, exec, s[8:9]
	s_and_b64 s[4:5], s[4:5], exec
	s_or_saveexec_b64 s[6:7], s[6:7]
	v_mov_b32_e32 v2, s10
	s_xor_b64 exec, exec, s[6:7]
	s_cbranch_execnz .LBB2_24044
; %bb.59881:
	s_getpc_b64 s[14:15]
.Lpost_getpc33524:
	s_add_u32 s14, s14, (.LBB2_9706-.Lpost_getpc33524)&4294967295
	s_addc_u32 s15, s15, (.LBB2_9706-.Lpost_getpc33524)>>32
	s_setpc_b64 s[14:15]
.LBB2_24044:
	v_mov_b32_e32 v2, 0
	v_cmp_ne_u16_sdwa s[8:9], v3, v2 src0_sel:BYTE_0 src1_sel:DWORD
	s_andn2_b64 s[4:5], s[4:5], exec
	s_and_b64 s[8:9], s[8:9], exec
	s_or_b64 s[4:5], s[4:5], s[8:9]
	s_or_b64 exec, exec, s[6:7]
	s_and_saveexec_b64 s[6:7], s[4:5]
	s_cbranch_execz .LBB2_33525
; %bb.59883:
	s_getpc_b64 s[14:15]
.Lpost_getpc33525:
	s_add_u32 s14, s14, (.LBB2_9707-.Lpost_getpc33525)&4294967295
	s_addc_u32 s15, s15, (.LBB2_9707-.Lpost_getpc33525)>>32
	s_setpc_b64 s[14:15]
.LBB2_33525:
	s_getpc_b64 s[14:15]
.Lpost_getpc20346:
	s_add_u32 s14, s14, (.LBB2_9708-.Lpost_getpc20346)&4294967295
	s_addc_u32 s15, s15, (.LBB2_9708-.Lpost_getpc20346)>>32
	s_setpc_b64 s[14:15]
.LBB2_24045:
	s_movk_i32 s4, 0x80
	v_cmp_eq_u16_sdwa s[12:13], v3, s4 src0_sel:BYTE_0 src1_sel:DWORD
	s_mov_b64 s[4:5], -1
                                        ; implicit-def: $sgpr10
	s_and_saveexec_b64 s[8:9], s[12:13]
; %bb.24046:
	s_mov_b32 s10, 0x7f800001
	s_xor_b64 s[4:5], exec, -1
; %bb.24047:
	s_or_b64 exec, exec, s[8:9]
	s_and_b64 s[4:5], s[4:5], exec
	s_or_saveexec_b64 s[6:7], s[6:7]
	v_mov_b32_e32 v4, s10
	s_xor_b64 exec, exec, s[6:7]
	s_cbranch_execnz .LBB2_24048
; %bb.59885:
	s_getpc_b64 s[14:15]
.Lpost_getpc33526:
	s_add_u32 s14, s14, (.LBB2_9710-.Lpost_getpc33526)&4294967295
	s_addc_u32 s15, s15, (.LBB2_9710-.Lpost_getpc33526)>>32
	s_setpc_b64 s[14:15]
.LBB2_24048:
	v_mov_b32_e32 v4, 0
	v_cmp_ne_u16_sdwa s[8:9], v3, v4 src0_sel:BYTE_0 src1_sel:DWORD
	s_andn2_b64 s[4:5], s[4:5], exec
	s_and_b64 s[8:9], s[8:9], exec
	s_or_b64 s[4:5], s[4:5], s[8:9]
	s_or_b64 exec, exec, s[6:7]
	s_and_saveexec_b64 s[6:7], s[4:5]
	s_cbranch_execz .LBB2_33527
; %bb.59887:
	s_getpc_b64 s[14:15]
.Lpost_getpc33527:
	s_add_u32 s14, s14, (.LBB2_9711-.Lpost_getpc33527)&4294967295
	s_addc_u32 s15, s15, (.LBB2_9711-.Lpost_getpc33527)>>32
	s_setpc_b64 s[14:15]
.LBB2_33527:
	s_getpc_b64 s[14:15]
.Lpost_getpc20347:
	s_add_u32 s14, s14, (.LBB2_9712-.Lpost_getpc20347)&4294967295
	s_addc_u32 s15, s15, (.LBB2_9712-.Lpost_getpc20347)>>32
	s_setpc_b64 s[14:15]
.LBB2_24049:
	s_movk_i32 s4, 0x80
	v_cmp_eq_u16_e32 vcc, s4, v3
	s_mov_b64 s[4:5], -1
                                        ; implicit-def: $sgpr10
	s_and_saveexec_b64 s[8:9], vcc
; %bb.24050:
	s_mov_b32 s10, 0x7f800001
	s_xor_b64 s[4:5], exec, -1
; %bb.24051:
	s_or_b64 exec, exec, s[8:9]
	s_and_b64 s[4:5], s[4:5], exec
                                        ; implicit-def: $vgpr3
	s_or_saveexec_b64 s[6:7], s[6:7]
	v_mov_b32_e32 v2, s10
	s_xor_b64 exec, exec, s[6:7]
	s_cbranch_execnz .LBB2_24052
; %bb.59889:
	s_getpc_b64 s[14:15]
.Lpost_getpc33528:
	s_add_u32 s14, s14, (.LBB2_9714-.Lpost_getpc33528)&4294967295
	s_addc_u32 s15, s15, (.LBB2_9714-.Lpost_getpc33528)>>32
	s_setpc_b64 s[14:15]
.LBB2_24052:
	v_cmp_ne_u16_e32 vcc, 0, v3
	s_andn2_b64 s[4:5], s[4:5], exec
	s_and_b64 s[8:9], vcc, exec
	v_mov_b32_e32 v2, 0
	s_or_b64 s[4:5], s[4:5], s[8:9]
	s_or_b64 exec, exec, s[6:7]
	s_and_saveexec_b64 s[6:7], s[4:5]
	s_cbranch_execz .LBB2_33529
; %bb.59891:
	s_getpc_b64 s[14:15]
.Lpost_getpc33529:
	s_add_u32 s14, s14, (.LBB2_9715-.Lpost_getpc33529)&4294967295
	s_addc_u32 s15, s15, (.LBB2_9715-.Lpost_getpc33529)>>32
	s_setpc_b64 s[14:15]
.LBB2_33529:
	s_getpc_b64 s[14:15]
.Lpost_getpc20348:
	s_add_u32 s14, s14, (.LBB2_9716-.Lpost_getpc20348)&4294967295
	s_addc_u32 s15, s15, (.LBB2_9716-.Lpost_getpc20348)>>32
	s_setpc_b64 s[14:15]
.LBB2_24053:
	s_movk_i32 s4, 0x80
	v_cmp_eq_u16_e32 vcc, s4, v3
	s_mov_b64 s[4:5], -1
                                        ; implicit-def: $sgpr10
	s_and_saveexec_b64 s[8:9], vcc
; %bb.24054:
	s_mov_b32 s10, 0x7f800001
	s_xor_b64 s[4:5], exec, -1
; %bb.24055:
	s_or_b64 exec, exec, s[8:9]
	s_and_b64 s[4:5], s[4:5], exec
                                        ; implicit-def: $vgpr3
	s_or_saveexec_b64 s[6:7], s[6:7]
	v_mov_b32_e32 v4, s10
	s_xor_b64 exec, exec, s[6:7]
	s_cbranch_execnz .LBB2_24056
; %bb.59893:
	s_getpc_b64 s[14:15]
.Lpost_getpc33530:
	s_add_u32 s14, s14, (.LBB2_9718-.Lpost_getpc33530)&4294967295
	s_addc_u32 s15, s15, (.LBB2_9718-.Lpost_getpc33530)>>32
	s_setpc_b64 s[14:15]
.LBB2_24056:
	v_cmp_ne_u16_e32 vcc, 0, v3
	s_andn2_b64 s[4:5], s[4:5], exec
	s_and_b64 s[8:9], vcc, exec
	v_mov_b32_e32 v4, 0
	s_or_b64 s[4:5], s[4:5], s[8:9]
	s_or_b64 exec, exec, s[6:7]
	s_and_saveexec_b64 s[6:7], s[4:5]
	s_cbranch_execz .LBB2_33531
; %bb.59895:
	s_getpc_b64 s[14:15]
.Lpost_getpc33531:
	s_add_u32 s14, s14, (.LBB2_9719-.Lpost_getpc33531)&4294967295
	s_addc_u32 s15, s15, (.LBB2_9719-.Lpost_getpc33531)>>32
	s_setpc_b64 s[14:15]
.LBB2_33531:
	s_getpc_b64 s[14:15]
.Lpost_getpc20349:
	s_add_u32 s14, s14, (.LBB2_9720-.Lpost_getpc20349)&4294967295
	s_addc_u32 s15, s15, (.LBB2_9720-.Lpost_getpc20349)>>32
	s_setpc_b64 s[14:15]
.LBB2_24057:
	s_movk_i32 s4, 0x80
	v_cmp_eq_u16_sdwa s[12:13], v9, s4 src0_sel:BYTE_3 src1_sel:DWORD
	s_mov_b64 s[4:5], -1
                                        ; implicit-def: $sgpr10
	s_and_saveexec_b64 s[8:9], s[12:13]
; %bb.24058:
	s_mov_b32 s10, 0x7f800001
	s_xor_b64 s[4:5], exec, -1
; %bb.24059:
	s_or_b64 exec, exec, s[8:9]
	s_and_b64 s[4:5], s[4:5], exec
	s_or_saveexec_b64 s[6:7], s[6:7]
	v_mov_b32_e32 v2, s10
	s_xor_b64 exec, exec, s[6:7]
	s_cbranch_execnz .LBB2_24060
; %bb.59897:
	s_getpc_b64 s[14:15]
.Lpost_getpc33532:
	s_add_u32 s14, s14, (.LBB2_9722-.Lpost_getpc33532)&4294967295
	s_addc_u32 s15, s15, (.LBB2_9722-.Lpost_getpc33532)>>32
	s_setpc_b64 s[14:15]
.LBB2_24060:
	v_mov_b32_e32 v2, 0
	v_cmp_ne_u16_sdwa s[8:9], v9, v2 src0_sel:BYTE_3 src1_sel:DWORD
	s_andn2_b64 s[4:5], s[4:5], exec
	s_and_b64 s[8:9], s[8:9], exec
	s_or_b64 s[4:5], s[4:5], s[8:9]
	s_or_b64 exec, exec, s[6:7]
	s_and_saveexec_b64 s[6:7], s[4:5]
	s_cbranch_execz .LBB2_33533
; %bb.59899:
	s_getpc_b64 s[14:15]
.Lpost_getpc33533:
	s_add_u32 s14, s14, (.LBB2_9723-.Lpost_getpc33533)&4294967295
	s_addc_u32 s15, s15, (.LBB2_9723-.Lpost_getpc33533)>>32
	s_setpc_b64 s[14:15]
.LBB2_33533:
	s_getpc_b64 s[14:15]
.Lpost_getpc20350:
	s_add_u32 s14, s14, (.LBB2_9724-.Lpost_getpc20350)&4294967295
	s_addc_u32 s15, s15, (.LBB2_9724-.Lpost_getpc20350)>>32
	s_setpc_b64 s[14:15]
.LBB2_24061:
	s_movk_i32 s4, 0x80
	v_cmp_eq_u16_sdwa s[12:13], v5, s4 src0_sel:BYTE_3 src1_sel:DWORD
	s_mov_b64 s[4:5], -1
                                        ; implicit-def: $sgpr10
	s_and_saveexec_b64 s[8:9], s[12:13]
; %bb.24062:
	s_mov_b32 s10, 0x7f800001
	s_xor_b64 s[4:5], exec, -1
; %bb.24063:
	s_or_b64 exec, exec, s[8:9]
	s_and_b64 s[4:5], s[4:5], exec
	s_or_saveexec_b64 s[6:7], s[6:7]
	v_mov_b32_e32 v3, s10
	s_xor_b64 exec, exec, s[6:7]
	s_cbranch_execnz .LBB2_24064
; %bb.59901:
	s_getpc_b64 s[14:15]
.Lpost_getpc33534:
	s_add_u32 s14, s14, (.LBB2_9726-.Lpost_getpc33534)&4294967295
	s_addc_u32 s15, s15, (.LBB2_9726-.Lpost_getpc33534)>>32
	s_setpc_b64 s[14:15]
.LBB2_24064:
	v_mov_b32_e32 v3, 0
	v_cmp_ne_u16_sdwa s[8:9], v5, v3 src0_sel:BYTE_3 src1_sel:DWORD
	s_andn2_b64 s[4:5], s[4:5], exec
	s_and_b64 s[8:9], s[8:9], exec
	s_or_b64 s[4:5], s[4:5], s[8:9]
	s_or_b64 exec, exec, s[6:7]
	s_and_saveexec_b64 s[6:7], s[4:5]
	s_cbranch_execz .LBB2_33535
; %bb.59903:
	s_getpc_b64 s[14:15]
.Lpost_getpc33535:
	s_add_u32 s14, s14, (.LBB2_9727-.Lpost_getpc33535)&4294967295
	s_addc_u32 s15, s15, (.LBB2_9727-.Lpost_getpc33535)>>32
	s_setpc_b64 s[14:15]
.LBB2_33535:
	s_getpc_b64 s[14:15]
.Lpost_getpc20351:
	s_add_u32 s14, s14, (.LBB2_9728-.Lpost_getpc20351)&4294967295
	s_addc_u32 s15, s15, (.LBB2_9728-.Lpost_getpc20351)>>32
	s_setpc_b64 s[14:15]
.LBB2_24065:
	s_movk_i32 s4, 0x80
	v_cmp_eq_u16_sdwa s[12:13], v6, s4 src0_sel:BYTE_0 src1_sel:DWORD
	s_mov_b64 s[4:5], -1
                                        ; implicit-def: $sgpr10
	s_and_saveexec_b64 s[8:9], s[12:13]
; %bb.24066:
	s_mov_b32 s10, 0x7f800001
	s_xor_b64 s[4:5], exec, -1
; %bb.24067:
	s_or_b64 exec, exec, s[8:9]
	s_and_b64 s[4:5], s[4:5], exec
	s_or_saveexec_b64 s[6:7], s[6:7]
	v_mov_b32_e32 v12, s10
	s_xor_b64 exec, exec, s[6:7]
	s_cbranch_execnz .LBB2_24068
; %bb.59905:
	s_getpc_b64 s[14:15]
.Lpost_getpc33536:
	s_add_u32 s14, s14, (.LBB2_9730-.Lpost_getpc33536)&4294967295
	s_addc_u32 s15, s15, (.LBB2_9730-.Lpost_getpc33536)>>32
	s_setpc_b64 s[14:15]
.LBB2_24068:
	v_mov_b32_e32 v12, 0
	v_cmp_ne_u16_sdwa s[8:9], v6, v12 src0_sel:BYTE_0 src1_sel:DWORD
	s_andn2_b64 s[4:5], s[4:5], exec
	s_and_b64 s[8:9], s[8:9], exec
	s_or_b64 s[4:5], s[4:5], s[8:9]
	s_or_b64 exec, exec, s[6:7]
	s_and_saveexec_b64 s[6:7], s[4:5]
	s_cbranch_execz .LBB2_33537
; %bb.59907:
	s_getpc_b64 s[14:15]
.Lpost_getpc33537:
	s_add_u32 s14, s14, (.LBB2_9731-.Lpost_getpc33537)&4294967295
	s_addc_u32 s15, s15, (.LBB2_9731-.Lpost_getpc33537)>>32
	s_setpc_b64 s[14:15]
.LBB2_33537:
	s_getpc_b64 s[14:15]
.Lpost_getpc20352:
	s_add_u32 s14, s14, (.LBB2_9732-.Lpost_getpc20352)&4294967295
	s_addc_u32 s15, s15, (.LBB2_9732-.Lpost_getpc20352)>>32
	s_setpc_b64 s[14:15]
.LBB2_24069:
	s_movk_i32 s4, 0x80
	v_cmp_eq_u16_sdwa s[12:13], v2, s4 src0_sel:BYTE_0 src1_sel:DWORD
	s_mov_b64 s[4:5], -1
                                        ; implicit-def: $sgpr10
	s_and_saveexec_b64 s[8:9], s[12:13]
; %bb.24070:
	s_mov_b32 s10, 0x7f800001
	s_xor_b64 s[4:5], exec, -1
; %bb.24071:
	s_or_b64 exec, exec, s[8:9]
	s_and_b64 s[4:5], s[4:5], exec
	s_or_saveexec_b64 s[6:7], s[6:7]
	v_mov_b32_e32 v13, s10
	s_xor_b64 exec, exec, s[6:7]
	s_cbranch_execnz .LBB2_24072
; %bb.59909:
	s_getpc_b64 s[14:15]
.Lpost_getpc33538:
	s_add_u32 s14, s14, (.LBB2_9734-.Lpost_getpc33538)&4294967295
	s_addc_u32 s15, s15, (.LBB2_9734-.Lpost_getpc33538)>>32
	s_setpc_b64 s[14:15]
.LBB2_24072:
	v_mov_b32_e32 v13, 0
	v_cmp_ne_u16_sdwa s[8:9], v2, v13 src0_sel:BYTE_0 src1_sel:DWORD
	s_andn2_b64 s[4:5], s[4:5], exec
	s_and_b64 s[8:9], s[8:9], exec
	s_or_b64 s[4:5], s[4:5], s[8:9]
	s_or_b64 exec, exec, s[6:7]
	s_and_saveexec_b64 s[6:7], s[4:5]
	s_cbranch_execz .LBB2_33539
; %bb.59911:
	s_getpc_b64 s[14:15]
.Lpost_getpc33539:
	s_add_u32 s14, s14, (.LBB2_9735-.Lpost_getpc33539)&4294967295
	s_addc_u32 s15, s15, (.LBB2_9735-.Lpost_getpc33539)>>32
	s_setpc_b64 s[14:15]
.LBB2_33539:
	s_getpc_b64 s[14:15]
.Lpost_getpc20353:
	s_add_u32 s14, s14, (.LBB2_9736-.Lpost_getpc20353)&4294967295
	s_addc_u32 s15, s15, (.LBB2_9736-.Lpost_getpc20353)>>32
	s_setpc_b64 s[14:15]
.LBB2_24073:
	s_movk_i32 s4, 0x80
	v_cmp_eq_u16_sdwa s[12:13], v13, s4 src0_sel:BYTE_0 src1_sel:DWORD
	s_mov_b64 s[4:5], -1
                                        ; implicit-def: $sgpr10
	s_and_saveexec_b64 s[8:9], s[12:13]
; %bb.24074:
	s_mov_b32 s10, 0x7f800001
	s_xor_b64 s[4:5], exec, -1
; %bb.24075:
	s_or_b64 exec, exec, s[8:9]
	s_and_b64 s[4:5], s[4:5], exec
	s_or_saveexec_b64 s[6:7], s[6:7]
	v_mov_b32_e32 v12, s10
	s_xor_b64 exec, exec, s[6:7]
	s_cbranch_execnz .LBB2_24076
; %bb.59913:
	s_getpc_b64 s[14:15]
.Lpost_getpc33540:
	s_add_u32 s14, s14, (.LBB2_9738-.Lpost_getpc33540)&4294967295
	s_addc_u32 s15, s15, (.LBB2_9738-.Lpost_getpc33540)>>32
	s_setpc_b64 s[14:15]
.LBB2_24076:
	v_mov_b32_e32 v12, 0
	v_cmp_ne_u16_sdwa s[8:9], v13, v12 src0_sel:BYTE_0 src1_sel:DWORD
	s_andn2_b64 s[4:5], s[4:5], exec
	s_and_b64 s[8:9], s[8:9], exec
	s_or_b64 s[4:5], s[4:5], s[8:9]
	s_or_b64 exec, exec, s[6:7]
	s_and_saveexec_b64 s[6:7], s[4:5]
	s_cbranch_execz .LBB2_33541
; %bb.59915:
	s_getpc_b64 s[14:15]
.Lpost_getpc33541:
	s_add_u32 s14, s14, (.LBB2_9739-.Lpost_getpc33541)&4294967295
	s_addc_u32 s15, s15, (.LBB2_9739-.Lpost_getpc33541)>>32
	s_setpc_b64 s[14:15]
.LBB2_33541:
	s_getpc_b64 s[14:15]
.Lpost_getpc20354:
	s_add_u32 s14, s14, (.LBB2_9740-.Lpost_getpc20354)&4294967295
	s_addc_u32 s15, s15, (.LBB2_9740-.Lpost_getpc20354)>>32
	s_setpc_b64 s[14:15]
.LBB2_24077:
	s_movk_i32 s4, 0x80
	v_cmp_eq_u16_sdwa s[12:13], v13, s4 src0_sel:BYTE_0 src1_sel:DWORD
	s_mov_b64 s[4:5], -1
                                        ; implicit-def: $sgpr10
	s_and_saveexec_b64 s[8:9], s[12:13]
; %bb.24078:
	s_mov_b32 s10, 0x7f800001
	s_xor_b64 s[4:5], exec, -1
; %bb.24079:
	s_or_b64 exec, exec, s[8:9]
	s_and_b64 s[4:5], s[4:5], exec
	s_or_saveexec_b64 s[6:7], s[6:7]
	v_mov_b32_e32 v14, s10
	s_xor_b64 exec, exec, s[6:7]
	s_cbranch_execnz .LBB2_24080
; %bb.59917:
	s_getpc_b64 s[14:15]
.Lpost_getpc33542:
	s_add_u32 s14, s14, (.LBB2_9742-.Lpost_getpc33542)&4294967295
	s_addc_u32 s15, s15, (.LBB2_9742-.Lpost_getpc33542)>>32
	s_setpc_b64 s[14:15]
.LBB2_24080:
	v_mov_b32_e32 v14, 0
	v_cmp_ne_u16_sdwa s[8:9], v13, v14 src0_sel:BYTE_0 src1_sel:DWORD
	s_andn2_b64 s[4:5], s[4:5], exec
	s_and_b64 s[8:9], s[8:9], exec
	s_or_b64 s[4:5], s[4:5], s[8:9]
	s_or_b64 exec, exec, s[6:7]
	s_and_saveexec_b64 s[6:7], s[4:5]
	s_cbranch_execz .LBB2_33543
; %bb.59919:
	s_getpc_b64 s[14:15]
.Lpost_getpc33543:
	s_add_u32 s14, s14, (.LBB2_9743-.Lpost_getpc33543)&4294967295
	s_addc_u32 s15, s15, (.LBB2_9743-.Lpost_getpc33543)>>32
	s_setpc_b64 s[14:15]
.LBB2_33543:
	s_getpc_b64 s[14:15]
.Lpost_getpc20355:
	s_add_u32 s14, s14, (.LBB2_9744-.Lpost_getpc20355)&4294967295
	s_addc_u32 s15, s15, (.LBB2_9744-.Lpost_getpc20355)>>32
	s_setpc_b64 s[14:15]
.LBB2_24081:
	s_movk_i32 s4, 0x80
	v_cmp_eq_u16_e32 vcc, s4, v13
	s_mov_b64 s[4:5], -1
                                        ; implicit-def: $sgpr10
	s_and_saveexec_b64 s[8:9], vcc
; %bb.24082:
	s_mov_b32 s10, 0x7f800001
	s_xor_b64 s[4:5], exec, -1
; %bb.24083:
	s_or_b64 exec, exec, s[8:9]
	s_and_b64 s[4:5], s[4:5], exec
                                        ; implicit-def: $vgpr13
	s_or_saveexec_b64 s[6:7], s[6:7]
	v_mov_b32_e32 v12, s10
	s_xor_b64 exec, exec, s[6:7]
	s_cbranch_execnz .LBB2_24084
; %bb.59921:
	s_getpc_b64 s[14:15]
.Lpost_getpc33544:
	s_add_u32 s14, s14, (.LBB2_9746-.Lpost_getpc33544)&4294967295
	s_addc_u32 s15, s15, (.LBB2_9746-.Lpost_getpc33544)>>32
	s_setpc_b64 s[14:15]
.LBB2_24084:
	v_cmp_ne_u16_e32 vcc, 0, v13
	s_andn2_b64 s[4:5], s[4:5], exec
	s_and_b64 s[8:9], vcc, exec
	v_mov_b32_e32 v12, 0
	s_or_b64 s[4:5], s[4:5], s[8:9]
	s_or_b64 exec, exec, s[6:7]
	s_and_saveexec_b64 s[6:7], s[4:5]
	s_cbranch_execz .LBB2_33545
; %bb.59923:
	s_getpc_b64 s[14:15]
.Lpost_getpc33545:
	s_add_u32 s14, s14, (.LBB2_9747-.Lpost_getpc33545)&4294967295
	s_addc_u32 s15, s15, (.LBB2_9747-.Lpost_getpc33545)>>32
	s_setpc_b64 s[14:15]
.LBB2_33545:
	s_getpc_b64 s[14:15]
.Lpost_getpc20356:
	s_add_u32 s14, s14, (.LBB2_9748-.Lpost_getpc20356)&4294967295
	s_addc_u32 s15, s15, (.LBB2_9748-.Lpost_getpc20356)>>32
	s_setpc_b64 s[14:15]
.LBB2_24085:
	s_movk_i32 s4, 0x80
	v_cmp_eq_u16_e32 vcc, s4, v13
	s_mov_b64 s[4:5], -1
                                        ; implicit-def: $sgpr10
	s_and_saveexec_b64 s[8:9], vcc
; %bb.24086:
	s_mov_b32 s10, 0x7f800001
	s_xor_b64 s[4:5], exec, -1
; %bb.24087:
	s_or_b64 exec, exec, s[8:9]
	s_and_b64 s[4:5], s[4:5], exec
                                        ; implicit-def: $vgpr13
	s_or_saveexec_b64 s[6:7], s[6:7]
	v_mov_b32_e32 v14, s10
	s_xor_b64 exec, exec, s[6:7]
	s_cbranch_execnz .LBB2_24088
; %bb.59925:
	s_getpc_b64 s[14:15]
.Lpost_getpc33546:
	s_add_u32 s14, s14, (.LBB2_9750-.Lpost_getpc33546)&4294967295
	s_addc_u32 s15, s15, (.LBB2_9750-.Lpost_getpc33546)>>32
	s_setpc_b64 s[14:15]
.LBB2_24088:
	v_cmp_ne_u16_e32 vcc, 0, v13
	s_andn2_b64 s[4:5], s[4:5], exec
	s_and_b64 s[8:9], vcc, exec
	v_mov_b32_e32 v14, 0
	s_or_b64 s[4:5], s[4:5], s[8:9]
	s_or_b64 exec, exec, s[6:7]
	s_and_saveexec_b64 s[6:7], s[4:5]
	s_cbranch_execz .LBB2_33547
; %bb.59927:
	s_getpc_b64 s[14:15]
.Lpost_getpc33547:
	s_add_u32 s14, s14, (.LBB2_9751-.Lpost_getpc33547)&4294967295
	s_addc_u32 s15, s15, (.LBB2_9751-.Lpost_getpc33547)>>32
	s_setpc_b64 s[14:15]
.LBB2_33547:
	s_getpc_b64 s[14:15]
.Lpost_getpc20357:
	s_add_u32 s14, s14, (.LBB2_9752-.Lpost_getpc20357)&4294967295
	s_addc_u32 s15, s15, (.LBB2_9752-.Lpost_getpc20357)>>32
	s_setpc_b64 s[14:15]
.LBB2_24089:
	s_movk_i32 s4, 0x80
	v_cmp_eq_u16_sdwa s[12:13], v6, s4 src0_sel:BYTE_3 src1_sel:DWORD
	s_mov_b64 s[4:5], -1
                                        ; implicit-def: $sgpr10
	s_and_saveexec_b64 s[8:9], s[12:13]
; %bb.24090:
	s_mov_b32 s10, 0x7f800001
	s_xor_b64 s[4:5], exec, -1
; %bb.24091:
	s_or_b64 exec, exec, s[8:9]
	s_and_b64 s[4:5], s[4:5], exec
	s_or_saveexec_b64 s[6:7], s[6:7]
	v_mov_b32_e32 v12, s10
	s_xor_b64 exec, exec, s[6:7]
	s_cbranch_execnz .LBB2_24092
; %bb.59929:
	s_getpc_b64 s[14:15]
.Lpost_getpc33548:
	s_add_u32 s14, s14, (.LBB2_9754-.Lpost_getpc33548)&4294967295
	s_addc_u32 s15, s15, (.LBB2_9754-.Lpost_getpc33548)>>32
	s_setpc_b64 s[14:15]
.LBB2_24092:
	v_mov_b32_e32 v12, 0
	v_cmp_ne_u16_sdwa s[8:9], v6, v12 src0_sel:BYTE_3 src1_sel:DWORD
	s_andn2_b64 s[4:5], s[4:5], exec
	s_and_b64 s[8:9], s[8:9], exec
	s_or_b64 s[4:5], s[4:5], s[8:9]
	s_or_b64 exec, exec, s[6:7]
	s_and_saveexec_b64 s[6:7], s[4:5]
	s_cbranch_execz .LBB2_33549
; %bb.59931:
	s_getpc_b64 s[14:15]
.Lpost_getpc33549:
	s_add_u32 s14, s14, (.LBB2_9755-.Lpost_getpc33549)&4294967295
	s_addc_u32 s15, s15, (.LBB2_9755-.Lpost_getpc33549)>>32
	s_setpc_b64 s[14:15]
.LBB2_33549:
	s_getpc_b64 s[14:15]
.Lpost_getpc20358:
	s_add_u32 s14, s14, (.LBB2_9756-.Lpost_getpc20358)&4294967295
	s_addc_u32 s15, s15, (.LBB2_9756-.Lpost_getpc20358)>>32
	s_setpc_b64 s[14:15]
.LBB2_24093:
	s_movk_i32 s4, 0x80
	v_cmp_eq_u16_sdwa s[12:13], v2, s4 src0_sel:BYTE_3 src1_sel:DWORD
	s_mov_b64 s[4:5], -1
                                        ; implicit-def: $sgpr10
	s_and_saveexec_b64 s[8:9], s[12:13]
; %bb.24094:
	s_mov_b32 s10, 0x7f800001
	s_xor_b64 s[4:5], exec, -1
; %bb.24095:
	s_or_b64 exec, exec, s[8:9]
	s_and_b64 s[4:5], s[4:5], exec
	s_or_saveexec_b64 s[6:7], s[6:7]
	v_mov_b32_e32 v6, s10
	s_xor_b64 exec, exec, s[6:7]
	s_cbranch_execnz .LBB2_24096
; %bb.59933:
	s_getpc_b64 s[14:15]
.Lpost_getpc33550:
	s_add_u32 s14, s14, (.LBB2_9758-.Lpost_getpc33550)&4294967295
	s_addc_u32 s15, s15, (.LBB2_9758-.Lpost_getpc33550)>>32
	s_setpc_b64 s[14:15]
.LBB2_24096:
	v_mov_b32_e32 v6, 0
	v_cmp_ne_u16_sdwa s[8:9], v2, v6 src0_sel:BYTE_3 src1_sel:DWORD
	s_andn2_b64 s[4:5], s[4:5], exec
	s_and_b64 s[8:9], s[8:9], exec
	s_or_b64 s[4:5], s[4:5], s[8:9]
	s_or_b64 exec, exec, s[6:7]
	s_and_saveexec_b64 s[6:7], s[4:5]
	s_cbranch_execz .LBB2_33551
; %bb.59935:
	s_getpc_b64 s[14:15]
.Lpost_getpc33551:
	s_add_u32 s14, s14, (.LBB2_9759-.Lpost_getpc33551)&4294967295
	s_addc_u32 s15, s15, (.LBB2_9759-.Lpost_getpc33551)>>32
	s_setpc_b64 s[14:15]
.LBB2_33551:
	s_getpc_b64 s[14:15]
.Lpost_getpc20359:
	s_add_u32 s14, s14, (.LBB2_9760-.Lpost_getpc20359)&4294967295
	s_addc_u32 s15, s15, (.LBB2_9760-.Lpost_getpc20359)>>32
	s_setpc_b64 s[14:15]
.LBB2_24097:
	s_movk_i32 s4, 0x80
	v_cmp_eq_u16_sdwa s[12:13], v7, s4 src0_sel:BYTE_0 src1_sel:DWORD
	s_mov_b64 s[4:5], -1
                                        ; implicit-def: $sgpr10
	s_and_saveexec_b64 s[8:9], s[12:13]
; %bb.24098:
	s_mov_b32 s10, 0x7f800001
	s_xor_b64 s[4:5], exec, -1
; %bb.24099:
	s_or_b64 exec, exec, s[8:9]
	s_and_b64 s[4:5], s[4:5], exec
	s_or_saveexec_b64 s[6:7], s[6:7]
	v_mov_b32_e32 v2, s10
	s_xor_b64 exec, exec, s[6:7]
	s_cbranch_execnz .LBB2_24100
; %bb.59937:
	s_getpc_b64 s[14:15]
.Lpost_getpc33552:
	s_add_u32 s14, s14, (.LBB2_9762-.Lpost_getpc33552)&4294967295
	s_addc_u32 s15, s15, (.LBB2_9762-.Lpost_getpc33552)>>32
	s_setpc_b64 s[14:15]
.LBB2_24100:
	v_mov_b32_e32 v2, 0
	v_cmp_ne_u16_sdwa s[8:9], v7, v2 src0_sel:BYTE_0 src1_sel:DWORD
	s_andn2_b64 s[4:5], s[4:5], exec
	s_and_b64 s[8:9], s[8:9], exec
	s_or_b64 s[4:5], s[4:5], s[8:9]
	s_or_b64 exec, exec, s[6:7]
	s_and_saveexec_b64 s[6:7], s[4:5]
	s_cbranch_execz .LBB2_33553
; %bb.59939:
	s_getpc_b64 s[14:15]
.Lpost_getpc33553:
	s_add_u32 s14, s14, (.LBB2_9763-.Lpost_getpc33553)&4294967295
	s_addc_u32 s15, s15, (.LBB2_9763-.Lpost_getpc33553)>>32
	s_setpc_b64 s[14:15]
.LBB2_33553:
	s_getpc_b64 s[14:15]
.Lpost_getpc20360:
	s_add_u32 s14, s14, (.LBB2_9764-.Lpost_getpc20360)&4294967295
	s_addc_u32 s15, s15, (.LBB2_9764-.Lpost_getpc20360)>>32
	s_setpc_b64 s[14:15]
.LBB2_24101:
	s_movk_i32 s4, 0x80
	v_cmp_eq_u16_sdwa s[12:13], v3, s4 src0_sel:BYTE_0 src1_sel:DWORD
	s_mov_b64 s[4:5], -1
                                        ; implicit-def: $sgpr10
	s_and_saveexec_b64 s[8:9], s[12:13]
; %bb.24102:
	s_mov_b32 s10, 0x7f800001
	s_xor_b64 s[4:5], exec, -1
; %bb.24103:
	s_or_b64 exec, exec, s[8:9]
	s_and_b64 s[4:5], s[4:5], exec
	s_or_saveexec_b64 s[6:7], s[6:7]
	v_mov_b32_e32 v6, s10
	s_xor_b64 exec, exec, s[6:7]
	s_cbranch_execnz .LBB2_24104
; %bb.59941:
	s_getpc_b64 s[14:15]
.Lpost_getpc33554:
	s_add_u32 s14, s14, (.LBB2_9766-.Lpost_getpc33554)&4294967295
	s_addc_u32 s15, s15, (.LBB2_9766-.Lpost_getpc33554)>>32
	s_setpc_b64 s[14:15]
.LBB2_24104:
	v_mov_b32_e32 v6, 0
	v_cmp_ne_u16_sdwa s[8:9], v3, v6 src0_sel:BYTE_0 src1_sel:DWORD
	s_andn2_b64 s[4:5], s[4:5], exec
	s_and_b64 s[8:9], s[8:9], exec
	s_or_b64 s[4:5], s[4:5], s[8:9]
	s_or_b64 exec, exec, s[6:7]
	s_and_saveexec_b64 s[6:7], s[4:5]
	s_cbranch_execz .LBB2_33555
; %bb.59943:
	s_getpc_b64 s[14:15]
.Lpost_getpc33555:
	s_add_u32 s14, s14, (.LBB2_9767-.Lpost_getpc33555)&4294967295
	s_addc_u32 s15, s15, (.LBB2_9767-.Lpost_getpc33555)>>32
	s_setpc_b64 s[14:15]
.LBB2_33555:
	s_getpc_b64 s[14:15]
.Lpost_getpc20361:
	s_add_u32 s14, s14, (.LBB2_9768-.Lpost_getpc20361)&4294967295
	s_addc_u32 s15, s15, (.LBB2_9768-.Lpost_getpc20361)>>32
	s_setpc_b64 s[14:15]
.LBB2_24105:
	s_movk_i32 s4, 0x80
	v_cmp_eq_u16_sdwa s[12:13], v6, s4 src0_sel:BYTE_0 src1_sel:DWORD
	s_mov_b64 s[4:5], -1
                                        ; implicit-def: $sgpr10
	s_and_saveexec_b64 s[8:9], s[12:13]
; %bb.24106:
	s_mov_b32 s10, 0x7f800001
	s_xor_b64 s[4:5], exec, -1
; %bb.24107:
	s_or_b64 exec, exec, s[8:9]
	s_and_b64 s[4:5], s[4:5], exec
	s_or_saveexec_b64 s[6:7], s[6:7]
	v_mov_b32_e32 v2, s10
	s_xor_b64 exec, exec, s[6:7]
	s_cbranch_execnz .LBB2_24108
; %bb.59945:
	s_getpc_b64 s[14:15]
.Lpost_getpc33556:
	s_add_u32 s14, s14, (.LBB2_9770-.Lpost_getpc33556)&4294967295
	s_addc_u32 s15, s15, (.LBB2_9770-.Lpost_getpc33556)>>32
	s_setpc_b64 s[14:15]
.LBB2_24108:
	v_mov_b32_e32 v2, 0
	v_cmp_ne_u16_sdwa s[8:9], v6, v2 src0_sel:BYTE_0 src1_sel:DWORD
	s_andn2_b64 s[4:5], s[4:5], exec
	s_and_b64 s[8:9], s[8:9], exec
	s_or_b64 s[4:5], s[4:5], s[8:9]
	s_or_b64 exec, exec, s[6:7]
	s_and_saveexec_b64 s[6:7], s[4:5]
	s_cbranch_execz .LBB2_33557
; %bb.59947:
	s_getpc_b64 s[14:15]
.Lpost_getpc33557:
	s_add_u32 s14, s14, (.LBB2_9771-.Lpost_getpc33557)&4294967295
	s_addc_u32 s15, s15, (.LBB2_9771-.Lpost_getpc33557)>>32
	s_setpc_b64 s[14:15]
.LBB2_33557:
	s_getpc_b64 s[14:15]
.Lpost_getpc20362:
	s_add_u32 s14, s14, (.LBB2_9772-.Lpost_getpc20362)&4294967295
	s_addc_u32 s15, s15, (.LBB2_9772-.Lpost_getpc20362)>>32
	s_setpc_b64 s[14:15]
.LBB2_24109:
	s_movk_i32 s4, 0x80
	v_cmp_eq_u16_sdwa s[12:13], v6, s4 src0_sel:BYTE_0 src1_sel:DWORD
	s_mov_b64 s[4:5], -1
                                        ; implicit-def: $sgpr10
	s_and_saveexec_b64 s[8:9], s[12:13]
; %bb.24110:
	s_mov_b32 s10, 0x7f800001
	s_xor_b64 s[4:5], exec, -1
; %bb.24111:
	s_or_b64 exec, exec, s[8:9]
	s_and_b64 s[4:5], s[4:5], exec
	s_or_saveexec_b64 s[6:7], s[6:7]
	v_mov_b32_e32 v12, s10
	s_xor_b64 exec, exec, s[6:7]
	s_cbranch_execnz .LBB2_24112
; %bb.59949:
	s_getpc_b64 s[14:15]
.Lpost_getpc33558:
	s_add_u32 s14, s14, (.LBB2_9774-.Lpost_getpc33558)&4294967295
	s_addc_u32 s15, s15, (.LBB2_9774-.Lpost_getpc33558)>>32
	s_setpc_b64 s[14:15]
.LBB2_24112:
	v_mov_b32_e32 v12, 0
	v_cmp_ne_u16_sdwa s[8:9], v6, v12 src0_sel:BYTE_0 src1_sel:DWORD
	s_andn2_b64 s[4:5], s[4:5], exec
	s_and_b64 s[8:9], s[8:9], exec
	s_or_b64 s[4:5], s[4:5], s[8:9]
	s_or_b64 exec, exec, s[6:7]
	s_and_saveexec_b64 s[6:7], s[4:5]
	s_cbranch_execz .LBB2_33559
; %bb.59951:
	s_getpc_b64 s[14:15]
.Lpost_getpc33559:
	s_add_u32 s14, s14, (.LBB2_9775-.Lpost_getpc33559)&4294967295
	s_addc_u32 s15, s15, (.LBB2_9775-.Lpost_getpc33559)>>32
	s_setpc_b64 s[14:15]
.LBB2_33559:
	s_getpc_b64 s[14:15]
.Lpost_getpc20363:
	s_add_u32 s14, s14, (.LBB2_9776-.Lpost_getpc20363)&4294967295
	s_addc_u32 s15, s15, (.LBB2_9776-.Lpost_getpc20363)>>32
	s_setpc_b64 s[14:15]
.LBB2_24113:
	s_movk_i32 s4, 0x80
	v_cmp_eq_u16_e32 vcc, s4, v6
	s_mov_b64 s[4:5], -1
                                        ; implicit-def: $sgpr10
	s_and_saveexec_b64 s[8:9], vcc
; %bb.24114:
	s_mov_b32 s10, 0x7f800001
	s_xor_b64 s[4:5], exec, -1
; %bb.24115:
	s_or_b64 exec, exec, s[8:9]
	s_and_b64 s[4:5], s[4:5], exec
                                        ; implicit-def: $vgpr6
	s_or_saveexec_b64 s[6:7], s[6:7]
	v_mov_b32_e32 v2, s10
	s_xor_b64 exec, exec, s[6:7]
	s_cbranch_execnz .LBB2_24116
; %bb.59953:
	s_getpc_b64 s[14:15]
.Lpost_getpc33560:
	s_add_u32 s14, s14, (.LBB2_9778-.Lpost_getpc33560)&4294967295
	s_addc_u32 s15, s15, (.LBB2_9778-.Lpost_getpc33560)>>32
	s_setpc_b64 s[14:15]
.LBB2_24116:
	v_cmp_ne_u16_e32 vcc, 0, v6
	s_andn2_b64 s[4:5], s[4:5], exec
	s_and_b64 s[8:9], vcc, exec
	v_mov_b32_e32 v2, 0
	s_or_b64 s[4:5], s[4:5], s[8:9]
	s_or_b64 exec, exec, s[6:7]
	s_and_saveexec_b64 s[6:7], s[4:5]
	s_cbranch_execz .LBB2_33561
; %bb.59955:
	s_getpc_b64 s[14:15]
.Lpost_getpc33561:
	s_add_u32 s14, s14, (.LBB2_9779-.Lpost_getpc33561)&4294967295
	s_addc_u32 s15, s15, (.LBB2_9779-.Lpost_getpc33561)>>32
	s_setpc_b64 s[14:15]
.LBB2_33561:
	s_getpc_b64 s[14:15]
.Lpost_getpc20364:
	s_add_u32 s14, s14, (.LBB2_9780-.Lpost_getpc20364)&4294967295
	s_addc_u32 s15, s15, (.LBB2_9780-.Lpost_getpc20364)>>32
	s_setpc_b64 s[14:15]
.LBB2_24117:
	s_movk_i32 s4, 0x80
	v_cmp_eq_u16_e32 vcc, s4, v6
	s_mov_b64 s[4:5], -1
                                        ; implicit-def: $sgpr10
	s_and_saveexec_b64 s[8:9], vcc
; %bb.24118:
	s_mov_b32 s10, 0x7f800001
	s_xor_b64 s[4:5], exec, -1
; %bb.24119:
	s_or_b64 exec, exec, s[8:9]
	s_and_b64 s[4:5], s[4:5], exec
                                        ; implicit-def: $vgpr6
	s_or_saveexec_b64 s[6:7], s[6:7]
	v_mov_b32_e32 v12, s10
	s_xor_b64 exec, exec, s[6:7]
	s_cbranch_execnz .LBB2_24120
; %bb.59957:
	s_getpc_b64 s[14:15]
.Lpost_getpc33562:
	s_add_u32 s14, s14, (.LBB2_9782-.Lpost_getpc33562)&4294967295
	s_addc_u32 s15, s15, (.LBB2_9782-.Lpost_getpc33562)>>32
	s_setpc_b64 s[14:15]
.LBB2_24120:
	v_cmp_ne_u16_e32 vcc, 0, v6
	s_andn2_b64 s[4:5], s[4:5], exec
	s_and_b64 s[8:9], vcc, exec
	v_mov_b32_e32 v12, 0
	s_or_b64 s[4:5], s[4:5], s[8:9]
	s_or_b64 exec, exec, s[6:7]
	s_and_saveexec_b64 s[6:7], s[4:5]
	s_cbranch_execz .LBB2_33563
; %bb.59959:
	s_getpc_b64 s[14:15]
.Lpost_getpc33563:
	s_add_u32 s14, s14, (.LBB2_9783-.Lpost_getpc33563)&4294967295
	s_addc_u32 s15, s15, (.LBB2_9783-.Lpost_getpc33563)>>32
	s_setpc_b64 s[14:15]
.LBB2_33563:
	s_getpc_b64 s[14:15]
.Lpost_getpc20365:
	s_add_u32 s14, s14, (.LBB2_9784-.Lpost_getpc20365)&4294967295
	s_addc_u32 s15, s15, (.LBB2_9784-.Lpost_getpc20365)>>32
	s_setpc_b64 s[14:15]
.LBB2_24121:
	s_movk_i32 s4, 0x80
	v_cmp_eq_u16_sdwa s[12:13], v7, s4 src0_sel:BYTE_3 src1_sel:DWORD
	s_mov_b64 s[4:5], -1
                                        ; implicit-def: $sgpr10
	s_and_saveexec_b64 s[8:9], s[12:13]
; %bb.24122:
	s_mov_b32 s10, 0x7f800001
	s_xor_b64 s[4:5], exec, -1
; %bb.24123:
	s_or_b64 exec, exec, s[8:9]
	s_and_b64 s[4:5], s[4:5], exec
	s_or_saveexec_b64 s[6:7], s[6:7]
	v_mov_b32_e32 v2, s10
	s_xor_b64 exec, exec, s[6:7]
	s_cbranch_execnz .LBB2_24124
; %bb.59961:
	s_getpc_b64 s[14:15]
.Lpost_getpc33564:
	s_add_u32 s14, s14, (.LBB2_9786-.Lpost_getpc33564)&4294967295
	s_addc_u32 s15, s15, (.LBB2_9786-.Lpost_getpc33564)>>32
	s_setpc_b64 s[14:15]
.LBB2_24124:
	v_mov_b32_e32 v2, 0
	v_cmp_ne_u16_sdwa s[8:9], v7, v2 src0_sel:BYTE_3 src1_sel:DWORD
	s_andn2_b64 s[4:5], s[4:5], exec
	s_and_b64 s[8:9], s[8:9], exec
	s_or_b64 s[4:5], s[4:5], s[8:9]
	s_or_b64 exec, exec, s[6:7]
	s_and_saveexec_b64 s[6:7], s[4:5]
	s_cbranch_execz .LBB2_33565
; %bb.59963:
	s_getpc_b64 s[14:15]
.Lpost_getpc33565:
	s_add_u32 s14, s14, (.LBB2_9787-.Lpost_getpc33565)&4294967295
	s_addc_u32 s15, s15, (.LBB2_9787-.Lpost_getpc33565)>>32
	s_setpc_b64 s[14:15]
.LBB2_33565:
	s_getpc_b64 s[14:15]
.Lpost_getpc20366:
	s_add_u32 s14, s14, (.LBB2_9788-.Lpost_getpc20366)&4294967295
	s_addc_u32 s15, s15, (.LBB2_9788-.Lpost_getpc20366)>>32
	s_setpc_b64 s[14:15]
.LBB2_24125:
	s_movk_i32 s4, 0x80
	v_cmp_eq_u16_sdwa s[12:13], v3, s4 src0_sel:BYTE_3 src1_sel:DWORD
	s_mov_b64 s[4:5], -1
                                        ; implicit-def: $sgpr10
	s_and_saveexec_b64 s[8:9], s[12:13]
; %bb.24126:
	s_mov_b32 s10, 0x7f800001
	s_xor_b64 s[4:5], exec, -1
; %bb.24127:
	s_or_b64 exec, exec, s[8:9]
	s_and_b64 s[4:5], s[4:5], exec
	s_or_saveexec_b64 s[6:7], s[6:7]
	v_mov_b32_e32 v6, s10
	s_xor_b64 exec, exec, s[6:7]
	s_cbranch_execnz .LBB2_24128
; %bb.59965:
	s_getpc_b64 s[14:15]
.Lpost_getpc33566:
	s_add_u32 s14, s14, (.LBB2_9790-.Lpost_getpc33566)&4294967295
	s_addc_u32 s15, s15, (.LBB2_9790-.Lpost_getpc33566)>>32
	s_setpc_b64 s[14:15]
.LBB2_24128:
	v_mov_b32_e32 v6, 0
	v_cmp_ne_u16_sdwa s[8:9], v3, v6 src0_sel:BYTE_3 src1_sel:DWORD
	s_andn2_b64 s[4:5], s[4:5], exec
	s_and_b64 s[8:9], s[8:9], exec
	s_or_b64 s[4:5], s[4:5], s[8:9]
	s_or_b64 exec, exec, s[6:7]
	s_and_saveexec_b64 s[6:7], s[4:5]
	s_cbranch_execz .LBB2_33567
; %bb.59967:
	s_getpc_b64 s[14:15]
.Lpost_getpc33567:
	s_add_u32 s14, s14, (.LBB2_9791-.Lpost_getpc33567)&4294967295
	s_addc_u32 s15, s15, (.LBB2_9791-.Lpost_getpc33567)>>32
	s_setpc_b64 s[14:15]
.LBB2_33567:
	s_getpc_b64 s[14:15]
.Lpost_getpc20367:
	s_add_u32 s14, s14, (.LBB2_9792-.Lpost_getpc20367)&4294967295
	s_addc_u32 s15, s15, (.LBB2_9792-.Lpost_getpc20367)>>32
	s_setpc_b64 s[14:15]
.LBB2_24129:
	s_movk_i32 s4, 0x80
	v_cmp_eq_u16_sdwa s[12:13], v8, s4 src0_sel:BYTE_0 src1_sel:DWORD
	s_mov_b64 s[4:5], -1
                                        ; implicit-def: $sgpr10
	s_and_saveexec_b64 s[8:9], s[12:13]
; %bb.24130:
	s_mov_b32 s10, 0x7f800001
	s_xor_b64 s[4:5], exec, -1
; %bb.24131:
	s_or_b64 exec, exec, s[8:9]
	s_and_b64 s[4:5], s[4:5], exec
	s_or_saveexec_b64 s[6:7], s[6:7]
	v_mov_b32_e32 v2, s10
	s_xor_b64 exec, exec, s[6:7]
	s_cbranch_execnz .LBB2_24132
; %bb.59969:
	s_getpc_b64 s[14:15]
.Lpost_getpc33568:
	s_add_u32 s14, s14, (.LBB2_9794-.Lpost_getpc33568)&4294967295
	s_addc_u32 s15, s15, (.LBB2_9794-.Lpost_getpc33568)>>32
	s_setpc_b64 s[14:15]
.LBB2_24132:
	v_mov_b32_e32 v2, 0
	v_cmp_ne_u16_sdwa s[8:9], v8, v2 src0_sel:BYTE_0 src1_sel:DWORD
	s_andn2_b64 s[4:5], s[4:5], exec
	s_and_b64 s[8:9], s[8:9], exec
	s_or_b64 s[4:5], s[4:5], s[8:9]
	s_or_b64 exec, exec, s[6:7]
	s_and_saveexec_b64 s[6:7], s[4:5]
	s_cbranch_execz .LBB2_33569
; %bb.59971:
	s_getpc_b64 s[14:15]
.Lpost_getpc33569:
	s_add_u32 s14, s14, (.LBB2_9795-.Lpost_getpc33569)&4294967295
	s_addc_u32 s15, s15, (.LBB2_9795-.Lpost_getpc33569)>>32
	s_setpc_b64 s[14:15]
.LBB2_33569:
	s_getpc_b64 s[14:15]
.Lpost_getpc20368:
	s_add_u32 s14, s14, (.LBB2_9796-.Lpost_getpc20368)&4294967295
	s_addc_u32 s15, s15, (.LBB2_9796-.Lpost_getpc20368)>>32
	s_setpc_b64 s[14:15]
.LBB2_24133:
	s_movk_i32 s4, 0x80
	v_cmp_eq_u16_sdwa s[12:13], v4, s4 src0_sel:BYTE_0 src1_sel:DWORD
	s_mov_b64 s[4:5], -1
                                        ; implicit-def: $sgpr10
	s_and_saveexec_b64 s[8:9], s[12:13]
; %bb.24134:
	s_mov_b32 s10, 0x7f800001
	s_xor_b64 s[4:5], exec, -1
; %bb.24135:
	s_or_b64 exec, exec, s[8:9]
	s_and_b64 s[4:5], s[4:5], exec
	s_or_saveexec_b64 s[6:7], s[6:7]
	v_mov_b32_e32 v3, s10
	s_xor_b64 exec, exec, s[6:7]
	s_cbranch_execnz .LBB2_24136
; %bb.59973:
	s_getpc_b64 s[14:15]
.Lpost_getpc33570:
	s_add_u32 s14, s14, (.LBB2_9798-.Lpost_getpc33570)&4294967295
	s_addc_u32 s15, s15, (.LBB2_9798-.Lpost_getpc33570)>>32
	s_setpc_b64 s[14:15]
.LBB2_24136:
	v_mov_b32_e32 v3, 0
	v_cmp_ne_u16_sdwa s[8:9], v4, v3 src0_sel:BYTE_0 src1_sel:DWORD
	s_andn2_b64 s[4:5], s[4:5], exec
	s_and_b64 s[8:9], s[8:9], exec
	s_or_b64 s[4:5], s[4:5], s[8:9]
	s_or_b64 exec, exec, s[6:7]
	s_and_saveexec_b64 s[6:7], s[4:5]
	s_cbranch_execz .LBB2_33571
; %bb.59975:
	s_getpc_b64 s[14:15]
.Lpost_getpc33571:
	s_add_u32 s14, s14, (.LBB2_9799-.Lpost_getpc33571)&4294967295
	s_addc_u32 s15, s15, (.LBB2_9799-.Lpost_getpc33571)>>32
	s_setpc_b64 s[14:15]
.LBB2_33571:
	s_getpc_b64 s[14:15]
.Lpost_getpc20369:
	s_add_u32 s14, s14, (.LBB2_9800-.Lpost_getpc20369)&4294967295
	s_addc_u32 s15, s15, (.LBB2_9800-.Lpost_getpc20369)>>32
	s_setpc_b64 s[14:15]
.LBB2_24137:
	s_movk_i32 s4, 0x80
	v_cmp_eq_u16_sdwa s[12:13], v3, s4 src0_sel:BYTE_0 src1_sel:DWORD
	s_mov_b64 s[4:5], -1
                                        ; implicit-def: $sgpr10
	s_and_saveexec_b64 s[8:9], s[12:13]
; %bb.24138:
	s_mov_b32 s10, 0x7f800001
	s_xor_b64 s[4:5], exec, -1
; %bb.24139:
	s_or_b64 exec, exec, s[8:9]
	s_and_b64 s[4:5], s[4:5], exec
	s_or_saveexec_b64 s[6:7], s[6:7]
	v_mov_b32_e32 v2, s10
	s_xor_b64 exec, exec, s[6:7]
	s_cbranch_execnz .LBB2_24140
; %bb.59977:
	s_getpc_b64 s[14:15]
.Lpost_getpc33572:
	s_add_u32 s14, s14, (.LBB2_9802-.Lpost_getpc33572)&4294967295
	s_addc_u32 s15, s15, (.LBB2_9802-.Lpost_getpc33572)>>32
	s_setpc_b64 s[14:15]
.LBB2_24140:
	v_mov_b32_e32 v2, 0
	v_cmp_ne_u16_sdwa s[8:9], v3, v2 src0_sel:BYTE_0 src1_sel:DWORD
	s_andn2_b64 s[4:5], s[4:5], exec
	s_and_b64 s[8:9], s[8:9], exec
	s_or_b64 s[4:5], s[4:5], s[8:9]
	s_or_b64 exec, exec, s[6:7]
	s_and_saveexec_b64 s[6:7], s[4:5]
	s_cbranch_execz .LBB2_33573
; %bb.59979:
	s_getpc_b64 s[14:15]
.Lpost_getpc33573:
	s_add_u32 s14, s14, (.LBB2_9803-.Lpost_getpc33573)&4294967295
	s_addc_u32 s15, s15, (.LBB2_9803-.Lpost_getpc33573)>>32
	s_setpc_b64 s[14:15]
.LBB2_33573:
	s_getpc_b64 s[14:15]
.Lpost_getpc20370:
	s_add_u32 s14, s14, (.LBB2_9804-.Lpost_getpc20370)&4294967295
	s_addc_u32 s15, s15, (.LBB2_9804-.Lpost_getpc20370)>>32
	s_setpc_b64 s[14:15]
.LBB2_24141:
	s_movk_i32 s4, 0x80
	v_cmp_eq_u16_sdwa s[12:13], v3, s4 src0_sel:BYTE_0 src1_sel:DWORD
	s_mov_b64 s[4:5], -1
                                        ; implicit-def: $sgpr10
	s_and_saveexec_b64 s[8:9], s[12:13]
; %bb.24142:
	s_mov_b32 s10, 0x7f800001
	s_xor_b64 s[4:5], exec, -1
; %bb.24143:
	s_or_b64 exec, exec, s[8:9]
	s_and_b64 s[4:5], s[4:5], exec
	s_or_saveexec_b64 s[6:7], s[6:7]
	v_mov_b32_e32 v6, s10
	s_xor_b64 exec, exec, s[6:7]
	s_cbranch_execnz .LBB2_24144
; %bb.59981:
	s_getpc_b64 s[14:15]
.Lpost_getpc33574:
	s_add_u32 s14, s14, (.LBB2_9806-.Lpost_getpc33574)&4294967295
	s_addc_u32 s15, s15, (.LBB2_9806-.Lpost_getpc33574)>>32
	s_setpc_b64 s[14:15]
.LBB2_24144:
	v_mov_b32_e32 v6, 0
	v_cmp_ne_u16_sdwa s[8:9], v3, v6 src0_sel:BYTE_0 src1_sel:DWORD
	s_andn2_b64 s[4:5], s[4:5], exec
	s_and_b64 s[8:9], s[8:9], exec
	s_or_b64 s[4:5], s[4:5], s[8:9]
	s_or_b64 exec, exec, s[6:7]
	s_and_saveexec_b64 s[6:7], s[4:5]
	s_cbranch_execz .LBB2_33575
; %bb.59983:
	s_getpc_b64 s[14:15]
.Lpost_getpc33575:
	s_add_u32 s14, s14, (.LBB2_9807-.Lpost_getpc33575)&4294967295
	s_addc_u32 s15, s15, (.LBB2_9807-.Lpost_getpc33575)>>32
	s_setpc_b64 s[14:15]
.LBB2_33575:
	s_getpc_b64 s[14:15]
.Lpost_getpc20371:
	s_add_u32 s14, s14, (.LBB2_9808-.Lpost_getpc20371)&4294967295
	s_addc_u32 s15, s15, (.LBB2_9808-.Lpost_getpc20371)>>32
	s_setpc_b64 s[14:15]
.LBB2_24145:
	s_movk_i32 s4, 0x80
	v_cmp_eq_u16_e32 vcc, s4, v3
	s_mov_b64 s[4:5], -1
                                        ; implicit-def: $sgpr10
	s_and_saveexec_b64 s[8:9], vcc
; %bb.24146:
	s_mov_b32 s10, 0x7f800001
	s_xor_b64 s[4:5], exec, -1
; %bb.24147:
	s_or_b64 exec, exec, s[8:9]
	s_and_b64 s[4:5], s[4:5], exec
                                        ; implicit-def: $vgpr3
	s_or_saveexec_b64 s[6:7], s[6:7]
	v_mov_b32_e32 v2, s10
	s_xor_b64 exec, exec, s[6:7]
	s_cbranch_execnz .LBB2_24148
; %bb.59985:
	s_getpc_b64 s[14:15]
.Lpost_getpc33576:
	s_add_u32 s14, s14, (.LBB2_9810-.Lpost_getpc33576)&4294967295
	s_addc_u32 s15, s15, (.LBB2_9810-.Lpost_getpc33576)>>32
	s_setpc_b64 s[14:15]
.LBB2_24148:
	v_cmp_ne_u16_e32 vcc, 0, v3
	s_andn2_b64 s[4:5], s[4:5], exec
	s_and_b64 s[8:9], vcc, exec
	v_mov_b32_e32 v2, 0
	s_or_b64 s[4:5], s[4:5], s[8:9]
	s_or_b64 exec, exec, s[6:7]
	s_and_saveexec_b64 s[6:7], s[4:5]
	s_cbranch_execz .LBB2_33577
; %bb.59987:
	s_getpc_b64 s[14:15]
.Lpost_getpc33577:
	s_add_u32 s14, s14, (.LBB2_9811-.Lpost_getpc33577)&4294967295
	s_addc_u32 s15, s15, (.LBB2_9811-.Lpost_getpc33577)>>32
	s_setpc_b64 s[14:15]
.LBB2_33577:
	s_getpc_b64 s[14:15]
.Lpost_getpc20372:
	s_add_u32 s14, s14, (.LBB2_9812-.Lpost_getpc20372)&4294967295
	s_addc_u32 s15, s15, (.LBB2_9812-.Lpost_getpc20372)>>32
	s_setpc_b64 s[14:15]
.LBB2_24149:
	s_movk_i32 s4, 0x80
	v_cmp_eq_u16_e32 vcc, s4, v3
	s_mov_b64 s[4:5], -1
                                        ; implicit-def: $sgpr10
	s_and_saveexec_b64 s[8:9], vcc
; %bb.24150:
	s_mov_b32 s10, 0x7f800001
	s_xor_b64 s[4:5], exec, -1
; %bb.24151:
	s_or_b64 exec, exec, s[8:9]
	s_and_b64 s[4:5], s[4:5], exec
                                        ; implicit-def: $vgpr3
	s_or_saveexec_b64 s[6:7], s[6:7]
	v_mov_b32_e32 v6, s10
	s_xor_b64 exec, exec, s[6:7]
	s_cbranch_execnz .LBB2_24152
; %bb.59989:
	s_getpc_b64 s[14:15]
.Lpost_getpc33578:
	s_add_u32 s14, s14, (.LBB2_9814-.Lpost_getpc33578)&4294967295
	s_addc_u32 s15, s15, (.LBB2_9814-.Lpost_getpc33578)>>32
	s_setpc_b64 s[14:15]
.LBB2_24152:
	v_cmp_ne_u16_e32 vcc, 0, v3
	s_andn2_b64 s[4:5], s[4:5], exec
	s_and_b64 s[8:9], vcc, exec
	v_mov_b32_e32 v6, 0
	s_or_b64 s[4:5], s[4:5], s[8:9]
	s_or_b64 exec, exec, s[6:7]
	s_and_saveexec_b64 s[6:7], s[4:5]
	s_cbranch_execz .LBB2_33579
; %bb.59991:
	s_getpc_b64 s[14:15]
.Lpost_getpc33579:
	s_add_u32 s14, s14, (.LBB2_9815-.Lpost_getpc33579)&4294967295
	s_addc_u32 s15, s15, (.LBB2_9815-.Lpost_getpc33579)>>32
	s_setpc_b64 s[14:15]
.LBB2_33579:
	s_getpc_b64 s[14:15]
.Lpost_getpc20373:
	s_add_u32 s14, s14, (.LBB2_9816-.Lpost_getpc20373)&4294967295
	s_addc_u32 s15, s15, (.LBB2_9816-.Lpost_getpc20373)>>32
	s_setpc_b64 s[14:15]
.LBB2_24153:
	s_movk_i32 s4, 0x80
	v_cmp_eq_u16_sdwa s[12:13], v8, s4 src0_sel:BYTE_3 src1_sel:DWORD
	s_mov_b64 s[4:5], -1
                                        ; implicit-def: $sgpr10
	s_and_saveexec_b64 s[8:9], s[12:13]
; %bb.24154:
	s_mov_b32 s10, 0x7f800001
	s_xor_b64 s[4:5], exec, -1
; %bb.24155:
	s_or_b64 exec, exec, s[8:9]
	s_and_b64 s[4:5], s[4:5], exec
	s_or_saveexec_b64 s[6:7], s[6:7]
	v_mov_b32_e32 v2, s10
	s_xor_b64 exec, exec, s[6:7]
	s_cbranch_execnz .LBB2_24156
; %bb.59993:
	s_getpc_b64 s[14:15]
.Lpost_getpc33580:
	s_add_u32 s14, s14, (.LBB2_9818-.Lpost_getpc33580)&4294967295
	s_addc_u32 s15, s15, (.LBB2_9818-.Lpost_getpc33580)>>32
	s_setpc_b64 s[14:15]
.LBB2_24156:
	v_mov_b32_e32 v2, 0
	v_cmp_ne_u16_sdwa s[8:9], v8, v2 src0_sel:BYTE_3 src1_sel:DWORD
	s_andn2_b64 s[4:5], s[4:5], exec
	s_and_b64 s[8:9], s[8:9], exec
	s_or_b64 s[4:5], s[4:5], s[8:9]
	s_or_b64 exec, exec, s[6:7]
	s_and_saveexec_b64 s[6:7], s[4:5]
	s_cbranch_execz .LBB2_33581
; %bb.59995:
	s_getpc_b64 s[14:15]
.Lpost_getpc33581:
	s_add_u32 s14, s14, (.LBB2_9819-.Lpost_getpc33581)&4294967295
	s_addc_u32 s15, s15, (.LBB2_9819-.Lpost_getpc33581)>>32
	s_setpc_b64 s[14:15]
.LBB2_33581:
	s_getpc_b64 s[14:15]
.Lpost_getpc20374:
	s_add_u32 s14, s14, (.LBB2_9820-.Lpost_getpc20374)&4294967295
	s_addc_u32 s15, s15, (.LBB2_9820-.Lpost_getpc20374)>>32
	s_setpc_b64 s[14:15]
.LBB2_24157:
	s_movk_i32 s4, 0x80
	v_cmp_eq_u16_sdwa s[12:13], v4, s4 src0_sel:BYTE_3 src1_sel:DWORD
	s_mov_b64 s[4:5], -1
                                        ; implicit-def: $sgpr10
	s_and_saveexec_b64 s[8:9], s[12:13]
; %bb.24158:
	s_mov_b32 s10, 0x7f800001
	s_xor_b64 s[4:5], exec, -1
; %bb.24159:
	s_or_b64 exec, exec, s[8:9]
	s_and_b64 s[4:5], s[4:5], exec
	s_or_saveexec_b64 s[6:7], s[6:7]
	v_mov_b32_e32 v3, s10
	s_xor_b64 exec, exec, s[6:7]
	s_cbranch_execnz .LBB2_24160
; %bb.59997:
	s_getpc_b64 s[14:15]
.Lpost_getpc33582:
	s_add_u32 s14, s14, (.LBB2_9822-.Lpost_getpc33582)&4294967295
	s_addc_u32 s15, s15, (.LBB2_9822-.Lpost_getpc33582)>>32
	s_setpc_b64 s[14:15]
.LBB2_24160:
	v_mov_b32_e32 v3, 0
	v_cmp_ne_u16_sdwa s[8:9], v4, v3 src0_sel:BYTE_3 src1_sel:DWORD
	s_andn2_b64 s[4:5], s[4:5], exec
	s_and_b64 s[8:9], s[8:9], exec
	s_or_b64 s[4:5], s[4:5], s[8:9]
	s_or_b64 exec, exec, s[6:7]
	s_and_saveexec_b64 s[6:7], s[4:5]
	s_cbranch_execz .LBB2_33583
; %bb.59999:
	s_getpc_b64 s[14:15]
.Lpost_getpc33583:
	s_add_u32 s14, s14, (.LBB2_9823-.Lpost_getpc33583)&4294967295
	s_addc_u32 s15, s15, (.LBB2_9823-.Lpost_getpc33583)>>32
	s_setpc_b64 s[14:15]
.LBB2_33583:
	s_getpc_b64 s[14:15]
.Lpost_getpc20375:
	s_add_u32 s14, s14, (.LBB2_9824-.Lpost_getpc20375)&4294967295
	s_addc_u32 s15, s15, (.LBB2_9824-.Lpost_getpc20375)>>32
	s_setpc_b64 s[14:15]
.LBB2_24161:
	s_movk_i32 s4, 0x80
	v_cmp_eq_u16_sdwa s[12:13], v9, s4 src0_sel:BYTE_0 src1_sel:DWORD
	s_mov_b64 s[4:5], -1
                                        ; implicit-def: $sgpr10
	s_and_saveexec_b64 s[8:9], s[12:13]
; %bb.24162:
	s_mov_b32 s10, 0x7f800001
	s_xor_b64 s[4:5], exec, -1
; %bb.24163:
	s_or_b64 exec, exec, s[8:9]
	s_and_b64 s[4:5], s[4:5], exec
	s_or_saveexec_b64 s[6:7], s[6:7]
	v_mov_b32_e32 v2, s10
	s_xor_b64 exec, exec, s[6:7]
	s_cbranch_execnz .LBB2_24164
; %bb.60001:
	s_getpc_b64 s[14:15]
.Lpost_getpc33584:
	s_add_u32 s14, s14, (.LBB2_9826-.Lpost_getpc33584)&4294967295
	s_addc_u32 s15, s15, (.LBB2_9826-.Lpost_getpc33584)>>32
	s_setpc_b64 s[14:15]
.LBB2_24164:
	v_mov_b32_e32 v2, 0
	v_cmp_ne_u16_sdwa s[8:9], v9, v2 src0_sel:BYTE_0 src1_sel:DWORD
	s_andn2_b64 s[4:5], s[4:5], exec
	s_and_b64 s[8:9], s[8:9], exec
	s_or_b64 s[4:5], s[4:5], s[8:9]
	s_or_b64 exec, exec, s[6:7]
	s_and_saveexec_b64 s[6:7], s[4:5]
	s_cbranch_execz .LBB2_33585
; %bb.60003:
	s_getpc_b64 s[14:15]
.Lpost_getpc33585:
	s_add_u32 s14, s14, (.LBB2_9827-.Lpost_getpc33585)&4294967295
	s_addc_u32 s15, s15, (.LBB2_9827-.Lpost_getpc33585)>>32
	s_setpc_b64 s[14:15]
.LBB2_33585:
	s_getpc_b64 s[14:15]
.Lpost_getpc20376:
	s_add_u32 s14, s14, (.LBB2_9828-.Lpost_getpc20376)&4294967295
	s_addc_u32 s15, s15, (.LBB2_9828-.Lpost_getpc20376)>>32
	s_setpc_b64 s[14:15]
.LBB2_24165:
	s_movk_i32 s4, 0x80
	v_cmp_eq_u16_sdwa s[12:13], v5, s4 src0_sel:BYTE_0 src1_sel:DWORD
	s_mov_b64 s[4:5], -1
                                        ; implicit-def: $sgpr10
	s_and_saveexec_b64 s[8:9], s[12:13]
; %bb.24166:
	s_mov_b32 s10, 0x7f800001
	s_xor_b64 s[4:5], exec, -1
; %bb.24167:
	s_or_b64 exec, exec, s[8:9]
	s_and_b64 s[4:5], s[4:5], exec
	s_or_saveexec_b64 s[6:7], s[6:7]
	v_mov_b32_e32 v3, s10
	s_xor_b64 exec, exec, s[6:7]
	s_cbranch_execnz .LBB2_24168
; %bb.60005:
	s_getpc_b64 s[14:15]
.Lpost_getpc33586:
	s_add_u32 s14, s14, (.LBB2_9830-.Lpost_getpc33586)&4294967295
	s_addc_u32 s15, s15, (.LBB2_9830-.Lpost_getpc33586)>>32
	s_setpc_b64 s[14:15]
.LBB2_24168:
	v_mov_b32_e32 v3, 0
	v_cmp_ne_u16_sdwa s[8:9], v5, v3 src0_sel:BYTE_0 src1_sel:DWORD
	s_andn2_b64 s[4:5], s[4:5], exec
	s_and_b64 s[8:9], s[8:9], exec
	s_or_b64 s[4:5], s[4:5], s[8:9]
	s_or_b64 exec, exec, s[6:7]
	s_and_saveexec_b64 s[6:7], s[4:5]
	s_cbranch_execz .LBB2_33587
; %bb.60007:
	s_getpc_b64 s[14:15]
.Lpost_getpc33587:
	s_add_u32 s14, s14, (.LBB2_9831-.Lpost_getpc33587)&4294967295
	s_addc_u32 s15, s15, (.LBB2_9831-.Lpost_getpc33587)>>32
	s_setpc_b64 s[14:15]
.LBB2_33587:
	s_getpc_b64 s[14:15]
.Lpost_getpc20377:
	s_add_u32 s14, s14, (.LBB2_9832-.Lpost_getpc20377)&4294967295
	s_addc_u32 s15, s15, (.LBB2_9832-.Lpost_getpc20377)>>32
	s_setpc_b64 s[14:15]
.LBB2_24169:
	s_movk_i32 s4, 0x80
	v_cmp_eq_u16_sdwa s[12:13], v3, s4 src0_sel:BYTE_0 src1_sel:DWORD
	s_mov_b64 s[4:5], -1
                                        ; implicit-def: $sgpr10
	s_and_saveexec_b64 s[8:9], s[12:13]
; %bb.24170:
	s_mov_b32 s10, 0x7f800001
	s_xor_b64 s[4:5], exec, -1
; %bb.24171:
	s_or_b64 exec, exec, s[8:9]
	s_and_b64 s[4:5], s[4:5], exec
	s_or_saveexec_b64 s[6:7], s[6:7]
	v_mov_b32_e32 v2, s10
	s_xor_b64 exec, exec, s[6:7]
	s_cbranch_execnz .LBB2_24172
; %bb.60009:
	s_getpc_b64 s[14:15]
.Lpost_getpc33588:
	s_add_u32 s14, s14, (.LBB2_9834-.Lpost_getpc33588)&4294967295
	s_addc_u32 s15, s15, (.LBB2_9834-.Lpost_getpc33588)>>32
	s_setpc_b64 s[14:15]
.LBB2_24172:
	v_mov_b32_e32 v2, 0
	v_cmp_ne_u16_sdwa s[8:9], v3, v2 src0_sel:BYTE_0 src1_sel:DWORD
	s_andn2_b64 s[4:5], s[4:5], exec
	s_and_b64 s[8:9], s[8:9], exec
	s_or_b64 s[4:5], s[4:5], s[8:9]
	s_or_b64 exec, exec, s[6:7]
	s_and_saveexec_b64 s[6:7], s[4:5]
	s_cbranch_execz .LBB2_33589
; %bb.60011:
	s_getpc_b64 s[14:15]
.Lpost_getpc33589:
	s_add_u32 s14, s14, (.LBB2_9835-.Lpost_getpc33589)&4294967295
	s_addc_u32 s15, s15, (.LBB2_9835-.Lpost_getpc33589)>>32
	s_setpc_b64 s[14:15]
.LBB2_33589:
	s_getpc_b64 s[14:15]
.Lpost_getpc20378:
	s_add_u32 s14, s14, (.LBB2_9836-.Lpost_getpc20378)&4294967295
	s_addc_u32 s15, s15, (.LBB2_9836-.Lpost_getpc20378)>>32
	s_setpc_b64 s[14:15]
.LBB2_24173:
	s_movk_i32 s4, 0x80
	v_cmp_eq_u16_sdwa s[12:13], v3, s4 src0_sel:BYTE_0 src1_sel:DWORD
	s_mov_b64 s[4:5], -1
                                        ; implicit-def: $sgpr10
	s_and_saveexec_b64 s[8:9], s[12:13]
; %bb.24174:
	s_mov_b32 s10, 0x7f800001
	s_xor_b64 s[4:5], exec, -1
; %bb.24175:
	s_or_b64 exec, exec, s[8:9]
	s_and_b64 s[4:5], s[4:5], exec
	s_or_saveexec_b64 s[6:7], s[6:7]
	v_mov_b32_e32 v4, s10
	s_xor_b64 exec, exec, s[6:7]
	s_cbranch_execnz .LBB2_24176
; %bb.60013:
	s_getpc_b64 s[14:15]
.Lpost_getpc33590:
	s_add_u32 s14, s14, (.LBB2_9838-.Lpost_getpc33590)&4294967295
	s_addc_u32 s15, s15, (.LBB2_9838-.Lpost_getpc33590)>>32
	s_setpc_b64 s[14:15]
.LBB2_24176:
	v_mov_b32_e32 v4, 0
	v_cmp_ne_u16_sdwa s[8:9], v3, v4 src0_sel:BYTE_0 src1_sel:DWORD
	s_andn2_b64 s[4:5], s[4:5], exec
	s_and_b64 s[8:9], s[8:9], exec
	s_or_b64 s[4:5], s[4:5], s[8:9]
	s_or_b64 exec, exec, s[6:7]
	s_and_saveexec_b64 s[6:7], s[4:5]
	s_cbranch_execz .LBB2_33591
; %bb.60015:
	s_getpc_b64 s[14:15]
.Lpost_getpc33591:
	s_add_u32 s14, s14, (.LBB2_9839-.Lpost_getpc33591)&4294967295
	s_addc_u32 s15, s15, (.LBB2_9839-.Lpost_getpc33591)>>32
	s_setpc_b64 s[14:15]
.LBB2_33591:
	s_getpc_b64 s[14:15]
.Lpost_getpc20379:
	s_add_u32 s14, s14, (.LBB2_9840-.Lpost_getpc20379)&4294967295
	s_addc_u32 s15, s15, (.LBB2_9840-.Lpost_getpc20379)>>32
	s_setpc_b64 s[14:15]
.LBB2_24177:
	s_movk_i32 s4, 0x80
	v_cmp_eq_u16_e32 vcc, s4, v3
	s_mov_b64 s[4:5], -1
                                        ; implicit-def: $sgpr10
	s_and_saveexec_b64 s[8:9], vcc
; %bb.24178:
	s_mov_b32 s10, 0x7f800001
	s_xor_b64 s[4:5], exec, -1
; %bb.24179:
	s_or_b64 exec, exec, s[8:9]
	s_and_b64 s[4:5], s[4:5], exec
                                        ; implicit-def: $vgpr3
	s_or_saveexec_b64 s[6:7], s[6:7]
	v_mov_b32_e32 v2, s10
	s_xor_b64 exec, exec, s[6:7]
	s_cbranch_execnz .LBB2_24180
; %bb.60017:
	s_getpc_b64 s[14:15]
.Lpost_getpc33592:
	s_add_u32 s14, s14, (.LBB2_9842-.Lpost_getpc33592)&4294967295
	s_addc_u32 s15, s15, (.LBB2_9842-.Lpost_getpc33592)>>32
	s_setpc_b64 s[14:15]
.LBB2_24180:
	v_cmp_ne_u16_e32 vcc, 0, v3
	s_andn2_b64 s[4:5], s[4:5], exec
	s_and_b64 s[8:9], vcc, exec
	v_mov_b32_e32 v2, 0
	s_or_b64 s[4:5], s[4:5], s[8:9]
	s_or_b64 exec, exec, s[6:7]
	s_and_saveexec_b64 s[6:7], s[4:5]
	s_cbranch_execz .LBB2_33593
; %bb.60019:
	s_getpc_b64 s[14:15]
.Lpost_getpc33593:
	s_add_u32 s14, s14, (.LBB2_9843-.Lpost_getpc33593)&4294967295
	s_addc_u32 s15, s15, (.LBB2_9843-.Lpost_getpc33593)>>32
	s_setpc_b64 s[14:15]
.LBB2_33593:
	s_getpc_b64 s[14:15]
.Lpost_getpc20380:
	s_add_u32 s14, s14, (.LBB2_9844-.Lpost_getpc20380)&4294967295
	s_addc_u32 s15, s15, (.LBB2_9844-.Lpost_getpc20380)>>32
	s_setpc_b64 s[14:15]
.LBB2_24181:
	s_movk_i32 s4, 0x80
	v_cmp_eq_u16_e32 vcc, s4, v3
	s_mov_b64 s[4:5], -1
                                        ; implicit-def: $sgpr10
	s_and_saveexec_b64 s[8:9], vcc
; %bb.24182:
	s_mov_b32 s10, 0x7f800001
	s_xor_b64 s[4:5], exec, -1
; %bb.24183:
	s_or_b64 exec, exec, s[8:9]
	s_and_b64 s[4:5], s[4:5], exec
                                        ; implicit-def: $vgpr3
	s_or_saveexec_b64 s[6:7], s[6:7]
	v_mov_b32_e32 v4, s10
	s_xor_b64 exec, exec, s[6:7]
	s_cbranch_execnz .LBB2_24184
; %bb.60021:
	s_getpc_b64 s[14:15]
.Lpost_getpc33594:
	s_add_u32 s14, s14, (.LBB2_9846-.Lpost_getpc33594)&4294967295
	s_addc_u32 s15, s15, (.LBB2_9846-.Lpost_getpc33594)>>32
	s_setpc_b64 s[14:15]
.LBB2_24184:
	v_cmp_ne_u16_e32 vcc, 0, v3
	s_andn2_b64 s[4:5], s[4:5], exec
	s_and_b64 s[8:9], vcc, exec
	v_mov_b32_e32 v4, 0
	s_or_b64 s[4:5], s[4:5], s[8:9]
	s_or_b64 exec, exec, s[6:7]
	s_and_saveexec_b64 s[6:7], s[4:5]
	s_cbranch_execz .LBB2_33595
; %bb.60023:
	s_getpc_b64 s[14:15]
.Lpost_getpc33595:
	s_add_u32 s14, s14, (.LBB2_9847-.Lpost_getpc33595)&4294967295
	s_addc_u32 s15, s15, (.LBB2_9847-.Lpost_getpc33595)>>32
	s_setpc_b64 s[14:15]
.LBB2_33595:
	s_getpc_b64 s[14:15]
.Lpost_getpc20381:
	s_add_u32 s14, s14, (.LBB2_9848-.Lpost_getpc20381)&4294967295
	s_addc_u32 s15, s15, (.LBB2_9848-.Lpost_getpc20381)>>32
	s_setpc_b64 s[14:15]
.LBB2_24185:
	s_movk_i32 s4, 0x80
	v_cmp_eq_u16_sdwa s[12:13], v9, s4 src0_sel:BYTE_3 src1_sel:DWORD
	s_mov_b64 s[4:5], -1
                                        ; implicit-def: $sgpr10
	s_and_saveexec_b64 s[8:9], s[12:13]
; %bb.24186:
	s_mov_b32 s10, 0x7f800001
	s_xor_b64 s[4:5], exec, -1
; %bb.24187:
	s_or_b64 exec, exec, s[8:9]
	s_and_b64 s[4:5], s[4:5], exec
	s_or_saveexec_b64 s[6:7], s[6:7]
	v_mov_b32_e32 v2, s10
	s_xor_b64 exec, exec, s[6:7]
	s_cbranch_execnz .LBB2_24188
; %bb.60025:
	s_getpc_b64 s[14:15]
.Lpost_getpc33596:
	s_add_u32 s14, s14, (.LBB2_9850-.Lpost_getpc33596)&4294967295
	s_addc_u32 s15, s15, (.LBB2_9850-.Lpost_getpc33596)>>32
	s_setpc_b64 s[14:15]
.LBB2_24188:
	v_mov_b32_e32 v2, 0
	v_cmp_ne_u16_sdwa s[8:9], v9, v2 src0_sel:BYTE_3 src1_sel:DWORD
	s_andn2_b64 s[4:5], s[4:5], exec
	s_and_b64 s[8:9], s[8:9], exec
	s_or_b64 s[4:5], s[4:5], s[8:9]
	s_or_b64 exec, exec, s[6:7]
	s_and_saveexec_b64 s[6:7], s[4:5]
	s_cbranch_execz .LBB2_33597
; %bb.60027:
	s_getpc_b64 s[14:15]
.Lpost_getpc33597:
	s_add_u32 s14, s14, (.LBB2_9851-.Lpost_getpc33597)&4294967295
	s_addc_u32 s15, s15, (.LBB2_9851-.Lpost_getpc33597)>>32
	s_setpc_b64 s[14:15]
.LBB2_33597:
	s_getpc_b64 s[14:15]
.Lpost_getpc20382:
	s_add_u32 s14, s14, (.LBB2_9852-.Lpost_getpc20382)&4294967295
	s_addc_u32 s15, s15, (.LBB2_9852-.Lpost_getpc20382)>>32
	s_setpc_b64 s[14:15]
.LBB2_24189:
	s_movk_i32 s4, 0x80
	v_cmp_eq_u16_sdwa s[12:13], v5, s4 src0_sel:BYTE_3 src1_sel:DWORD
	s_mov_b64 s[4:5], -1
                                        ; implicit-def: $sgpr10
	s_and_saveexec_b64 s[8:9], s[12:13]
; %bb.24190:
	s_mov_b32 s10, 0x7f800001
	s_xor_b64 s[4:5], exec, -1
; %bb.24191:
	s_or_b64 exec, exec, s[8:9]
	s_and_b64 s[4:5], s[4:5], exec
	s_or_saveexec_b64 s[6:7], s[6:7]
	v_mov_b32_e32 v3, s10
	s_xor_b64 exec, exec, s[6:7]
	s_cbranch_execnz .LBB2_24192
; %bb.60029:
	s_getpc_b64 s[14:15]
.Lpost_getpc33598:
	s_add_u32 s14, s14, (.LBB2_9854-.Lpost_getpc33598)&4294967295
	s_addc_u32 s15, s15, (.LBB2_9854-.Lpost_getpc33598)>>32
	s_setpc_b64 s[14:15]
.LBB2_24192:
	v_mov_b32_e32 v3, 0
	v_cmp_ne_u16_sdwa s[8:9], v5, v3 src0_sel:BYTE_3 src1_sel:DWORD
	s_andn2_b64 s[4:5], s[4:5], exec
	s_and_b64 s[8:9], s[8:9], exec
	s_or_b64 s[4:5], s[4:5], s[8:9]
	s_or_b64 exec, exec, s[6:7]
	s_and_saveexec_b64 s[6:7], s[4:5]
	s_cbranch_execz .LBB2_33599
; %bb.60031:
	s_getpc_b64 s[14:15]
.Lpost_getpc33599:
	s_add_u32 s14, s14, (.LBB2_9855-.Lpost_getpc33599)&4294967295
	s_addc_u32 s15, s15, (.LBB2_9855-.Lpost_getpc33599)>>32
	s_setpc_b64 s[14:15]
.LBB2_33599:
	s_getpc_b64 s[14:15]
.Lpost_getpc20383:
	s_add_u32 s14, s14, (.LBB2_9856-.Lpost_getpc20383)&4294967295
	s_addc_u32 s15, s15, (.LBB2_9856-.Lpost_getpc20383)>>32
	s_setpc_b64 s[14:15]
.LBB2_24193:
	s_movk_i32 s4, 0x80
	v_cmp_eq_u16_sdwa s[12:13], v6, s4 src0_sel:BYTE_0 src1_sel:DWORD
	s_mov_b64 s[4:5], -1
                                        ; implicit-def: $sgpr10
	s_and_saveexec_b64 s[8:9], s[12:13]
; %bb.24194:
	s_mov_b32 s10, 0x7f800001
	s_xor_b64 s[4:5], exec, -1
; %bb.24195:
	s_or_b64 exec, exec, s[8:9]
	s_and_b64 s[4:5], s[4:5], exec
	s_or_saveexec_b64 s[6:7], s[6:7]
	v_mov_b32_e32 v12, s10
	s_xor_b64 exec, exec, s[6:7]
	s_cbranch_execnz .LBB2_24196
; %bb.60033:
	s_getpc_b64 s[14:15]
.Lpost_getpc33600:
	s_add_u32 s14, s14, (.LBB2_9858-.Lpost_getpc33600)&4294967295
	s_addc_u32 s15, s15, (.LBB2_9858-.Lpost_getpc33600)>>32
	s_setpc_b64 s[14:15]
.LBB2_24196:
	v_mov_b32_e32 v12, 0
	v_cmp_ne_u16_sdwa s[8:9], v6, v12 src0_sel:BYTE_0 src1_sel:DWORD
	s_andn2_b64 s[4:5], s[4:5], exec
	s_and_b64 s[8:9], s[8:9], exec
	s_or_b64 s[4:5], s[4:5], s[8:9]
	s_or_b64 exec, exec, s[6:7]
	s_and_saveexec_b64 s[6:7], s[4:5]
	s_cbranch_execz .LBB2_33601
; %bb.60035:
	s_getpc_b64 s[14:15]
.Lpost_getpc33601:
	s_add_u32 s14, s14, (.LBB2_9859-.Lpost_getpc33601)&4294967295
	s_addc_u32 s15, s15, (.LBB2_9859-.Lpost_getpc33601)>>32
	s_setpc_b64 s[14:15]
.LBB2_33601:
	s_getpc_b64 s[14:15]
.Lpost_getpc20384:
	s_add_u32 s14, s14, (.LBB2_9860-.Lpost_getpc20384)&4294967295
	s_addc_u32 s15, s15, (.LBB2_9860-.Lpost_getpc20384)>>32
	s_setpc_b64 s[14:15]
.LBB2_24197:
	s_movk_i32 s4, 0x80
	v_cmp_eq_u16_sdwa s[12:13], v2, s4 src0_sel:BYTE_0 src1_sel:DWORD
	s_mov_b64 s[4:5], -1
                                        ; implicit-def: $sgpr10
	s_and_saveexec_b64 s[8:9], s[12:13]
; %bb.24198:
	s_mov_b32 s10, 0x7f800001
	s_xor_b64 s[4:5], exec, -1
; %bb.24199:
	s_or_b64 exec, exec, s[8:9]
	s_and_b64 s[4:5], s[4:5], exec
	s_or_saveexec_b64 s[6:7], s[6:7]
	v_mov_b32_e32 v13, s10
	s_xor_b64 exec, exec, s[6:7]
	s_cbranch_execnz .LBB2_24200
; %bb.60037:
	s_getpc_b64 s[14:15]
.Lpost_getpc33602:
	s_add_u32 s14, s14, (.LBB2_9862-.Lpost_getpc33602)&4294967295
	s_addc_u32 s15, s15, (.LBB2_9862-.Lpost_getpc33602)>>32
	s_setpc_b64 s[14:15]
.LBB2_24200:
	v_mov_b32_e32 v13, 0
	v_cmp_ne_u16_sdwa s[8:9], v2, v13 src0_sel:BYTE_0 src1_sel:DWORD
	s_andn2_b64 s[4:5], s[4:5], exec
	s_and_b64 s[8:9], s[8:9], exec
	s_or_b64 s[4:5], s[4:5], s[8:9]
	s_or_b64 exec, exec, s[6:7]
	s_and_saveexec_b64 s[6:7], s[4:5]
	s_cbranch_execz .LBB2_33603
; %bb.60039:
	s_getpc_b64 s[14:15]
.Lpost_getpc33603:
	s_add_u32 s14, s14, (.LBB2_9863-.Lpost_getpc33603)&4294967295
	s_addc_u32 s15, s15, (.LBB2_9863-.Lpost_getpc33603)>>32
	s_setpc_b64 s[14:15]
.LBB2_33603:
	s_getpc_b64 s[14:15]
.Lpost_getpc20385:
	s_add_u32 s14, s14, (.LBB2_9864-.Lpost_getpc20385)&4294967295
	s_addc_u32 s15, s15, (.LBB2_9864-.Lpost_getpc20385)>>32
	s_setpc_b64 s[14:15]
.LBB2_24201:
	s_movk_i32 s4, 0x80
	v_cmp_eq_u16_sdwa s[12:13], v13, s4 src0_sel:BYTE_0 src1_sel:DWORD
	s_mov_b64 s[4:5], -1
                                        ; implicit-def: $sgpr10
	s_and_saveexec_b64 s[8:9], s[12:13]
; %bb.24202:
	s_mov_b32 s10, 0x7f800001
	s_xor_b64 s[4:5], exec, -1
; %bb.24203:
	s_or_b64 exec, exec, s[8:9]
	s_and_b64 s[4:5], s[4:5], exec
	s_or_saveexec_b64 s[6:7], s[6:7]
	v_mov_b32_e32 v12, s10
	s_xor_b64 exec, exec, s[6:7]
	s_cbranch_execnz .LBB2_24204
; %bb.60041:
	s_getpc_b64 s[14:15]
.Lpost_getpc33604:
	s_add_u32 s14, s14, (.LBB2_9866-.Lpost_getpc33604)&4294967295
	s_addc_u32 s15, s15, (.LBB2_9866-.Lpost_getpc33604)>>32
	s_setpc_b64 s[14:15]
.LBB2_24204:
	v_mov_b32_e32 v12, 0
	v_cmp_ne_u16_sdwa s[8:9], v13, v12 src0_sel:BYTE_0 src1_sel:DWORD
	s_andn2_b64 s[4:5], s[4:5], exec
	s_and_b64 s[8:9], s[8:9], exec
	s_or_b64 s[4:5], s[4:5], s[8:9]
	s_or_b64 exec, exec, s[6:7]
	s_and_saveexec_b64 s[6:7], s[4:5]
	s_cbranch_execz .LBB2_33605
; %bb.60043:
	s_getpc_b64 s[14:15]
.Lpost_getpc33605:
	s_add_u32 s14, s14, (.LBB2_9867-.Lpost_getpc33605)&4294967295
	s_addc_u32 s15, s15, (.LBB2_9867-.Lpost_getpc33605)>>32
	s_setpc_b64 s[14:15]
.LBB2_33605:
	s_getpc_b64 s[14:15]
.Lpost_getpc20386:
	s_add_u32 s14, s14, (.LBB2_9868-.Lpost_getpc20386)&4294967295
	s_addc_u32 s15, s15, (.LBB2_9868-.Lpost_getpc20386)>>32
	s_setpc_b64 s[14:15]
.LBB2_24205:
	s_movk_i32 s4, 0x80
	v_cmp_eq_u16_sdwa s[12:13], v13, s4 src0_sel:BYTE_0 src1_sel:DWORD
	s_mov_b64 s[4:5], -1
                                        ; implicit-def: $sgpr10
	s_and_saveexec_b64 s[8:9], s[12:13]
; %bb.24206:
	s_mov_b32 s10, 0x7f800001
	s_xor_b64 s[4:5], exec, -1
; %bb.24207:
	s_or_b64 exec, exec, s[8:9]
	s_and_b64 s[4:5], s[4:5], exec
	s_or_saveexec_b64 s[6:7], s[6:7]
	v_mov_b32_e32 v14, s10
	s_xor_b64 exec, exec, s[6:7]
	s_cbranch_execnz .LBB2_24208
; %bb.60045:
	s_getpc_b64 s[14:15]
.Lpost_getpc33606:
	s_add_u32 s14, s14, (.LBB2_9870-.Lpost_getpc33606)&4294967295
	s_addc_u32 s15, s15, (.LBB2_9870-.Lpost_getpc33606)>>32
	s_setpc_b64 s[14:15]
.LBB2_24208:
	v_mov_b32_e32 v14, 0
	v_cmp_ne_u16_sdwa s[8:9], v13, v14 src0_sel:BYTE_0 src1_sel:DWORD
	s_andn2_b64 s[4:5], s[4:5], exec
	s_and_b64 s[8:9], s[8:9], exec
	s_or_b64 s[4:5], s[4:5], s[8:9]
	s_or_b64 exec, exec, s[6:7]
	s_and_saveexec_b64 s[6:7], s[4:5]
	s_cbranch_execz .LBB2_33607
; %bb.60047:
	s_getpc_b64 s[14:15]
.Lpost_getpc33607:
	s_add_u32 s14, s14, (.LBB2_9871-.Lpost_getpc33607)&4294967295
	s_addc_u32 s15, s15, (.LBB2_9871-.Lpost_getpc33607)>>32
	s_setpc_b64 s[14:15]
.LBB2_33607:
	s_getpc_b64 s[14:15]
.Lpost_getpc20387:
	s_add_u32 s14, s14, (.LBB2_9872-.Lpost_getpc20387)&4294967295
	s_addc_u32 s15, s15, (.LBB2_9872-.Lpost_getpc20387)>>32
	s_setpc_b64 s[14:15]
.LBB2_24209:
	s_movk_i32 s4, 0x80
	v_cmp_eq_u16_e32 vcc, s4, v13
	s_mov_b64 s[4:5], -1
                                        ; implicit-def: $sgpr10
	s_and_saveexec_b64 s[8:9], vcc
; %bb.24210:
	s_mov_b32 s10, 0x7f800001
	s_xor_b64 s[4:5], exec, -1
; %bb.24211:
	s_or_b64 exec, exec, s[8:9]
	s_and_b64 s[4:5], s[4:5], exec
                                        ; implicit-def: $vgpr13
	s_or_saveexec_b64 s[6:7], s[6:7]
	v_mov_b32_e32 v12, s10
	s_xor_b64 exec, exec, s[6:7]
	s_cbranch_execnz .LBB2_24212
; %bb.60049:
	s_getpc_b64 s[14:15]
.Lpost_getpc33608:
	s_add_u32 s14, s14, (.LBB2_9874-.Lpost_getpc33608)&4294967295
	s_addc_u32 s15, s15, (.LBB2_9874-.Lpost_getpc33608)>>32
	s_setpc_b64 s[14:15]
.LBB2_24212:
	v_cmp_ne_u16_e32 vcc, 0, v13
	s_andn2_b64 s[4:5], s[4:5], exec
	s_and_b64 s[8:9], vcc, exec
	v_mov_b32_e32 v12, 0
	s_or_b64 s[4:5], s[4:5], s[8:9]
	s_or_b64 exec, exec, s[6:7]
	s_and_saveexec_b64 s[6:7], s[4:5]
	s_cbranch_execz .LBB2_33609
; %bb.60051:
	s_getpc_b64 s[14:15]
.Lpost_getpc33609:
	s_add_u32 s14, s14, (.LBB2_9875-.Lpost_getpc33609)&4294967295
	s_addc_u32 s15, s15, (.LBB2_9875-.Lpost_getpc33609)>>32
	s_setpc_b64 s[14:15]
.LBB2_33609:
	s_getpc_b64 s[14:15]
.Lpost_getpc20388:
	s_add_u32 s14, s14, (.LBB2_9876-.Lpost_getpc20388)&4294967295
	s_addc_u32 s15, s15, (.LBB2_9876-.Lpost_getpc20388)>>32
	s_setpc_b64 s[14:15]
.LBB2_24213:
	s_movk_i32 s4, 0x80
	v_cmp_eq_u16_e32 vcc, s4, v13
	s_mov_b64 s[4:5], -1
                                        ; implicit-def: $sgpr10
	s_and_saveexec_b64 s[8:9], vcc
; %bb.24214:
	s_mov_b32 s10, 0x7f800001
	s_xor_b64 s[4:5], exec, -1
; %bb.24215:
	s_or_b64 exec, exec, s[8:9]
	s_and_b64 s[4:5], s[4:5], exec
                                        ; implicit-def: $vgpr13
	s_or_saveexec_b64 s[6:7], s[6:7]
	v_mov_b32_e32 v14, s10
	s_xor_b64 exec, exec, s[6:7]
	s_cbranch_execnz .LBB2_24216
; %bb.60053:
	s_getpc_b64 s[14:15]
.Lpost_getpc33610:
	s_add_u32 s14, s14, (.LBB2_9878-.Lpost_getpc33610)&4294967295
	s_addc_u32 s15, s15, (.LBB2_9878-.Lpost_getpc33610)>>32
	s_setpc_b64 s[14:15]
.LBB2_24216:
	v_cmp_ne_u16_e32 vcc, 0, v13
	s_andn2_b64 s[4:5], s[4:5], exec
	s_and_b64 s[8:9], vcc, exec
	v_mov_b32_e32 v14, 0
	s_or_b64 s[4:5], s[4:5], s[8:9]
	s_or_b64 exec, exec, s[6:7]
	s_and_saveexec_b64 s[6:7], s[4:5]
	s_cbranch_execz .LBB2_33611
; %bb.60055:
	s_getpc_b64 s[14:15]
.Lpost_getpc33611:
	s_add_u32 s14, s14, (.LBB2_9879-.Lpost_getpc33611)&4294967295
	s_addc_u32 s15, s15, (.LBB2_9879-.Lpost_getpc33611)>>32
	s_setpc_b64 s[14:15]
.LBB2_33611:
	s_getpc_b64 s[14:15]
.Lpost_getpc20389:
	s_add_u32 s14, s14, (.LBB2_9880-.Lpost_getpc20389)&4294967295
	s_addc_u32 s15, s15, (.LBB2_9880-.Lpost_getpc20389)>>32
	s_setpc_b64 s[14:15]
.LBB2_24217:
	s_movk_i32 s4, 0x80
	v_cmp_eq_u16_sdwa s[12:13], v6, s4 src0_sel:BYTE_3 src1_sel:DWORD
	s_mov_b64 s[4:5], -1
                                        ; implicit-def: $sgpr10
	s_and_saveexec_b64 s[8:9], s[12:13]
; %bb.24218:
	s_mov_b32 s10, 0x7f800001
	s_xor_b64 s[4:5], exec, -1
; %bb.24219:
	s_or_b64 exec, exec, s[8:9]
	s_and_b64 s[4:5], s[4:5], exec
	s_or_saveexec_b64 s[6:7], s[6:7]
	v_mov_b32_e32 v12, s10
	s_xor_b64 exec, exec, s[6:7]
	s_cbranch_execnz .LBB2_24220
; %bb.60057:
	s_getpc_b64 s[14:15]
.Lpost_getpc33612:
	s_add_u32 s14, s14, (.LBB2_9882-.Lpost_getpc33612)&4294967295
	s_addc_u32 s15, s15, (.LBB2_9882-.Lpost_getpc33612)>>32
	s_setpc_b64 s[14:15]
.LBB2_24220:
	v_mov_b32_e32 v12, 0
	v_cmp_ne_u16_sdwa s[8:9], v6, v12 src0_sel:BYTE_3 src1_sel:DWORD
	s_andn2_b64 s[4:5], s[4:5], exec
	s_and_b64 s[8:9], s[8:9], exec
	s_or_b64 s[4:5], s[4:5], s[8:9]
	s_or_b64 exec, exec, s[6:7]
	s_and_saveexec_b64 s[6:7], s[4:5]
	s_cbranch_execz .LBB2_33613
; %bb.60059:
	s_getpc_b64 s[14:15]
.Lpost_getpc33613:
	s_add_u32 s14, s14, (.LBB2_9883-.Lpost_getpc33613)&4294967295
	s_addc_u32 s15, s15, (.LBB2_9883-.Lpost_getpc33613)>>32
	s_setpc_b64 s[14:15]
.LBB2_33613:
	s_getpc_b64 s[14:15]
.Lpost_getpc20390:
	s_add_u32 s14, s14, (.LBB2_9884-.Lpost_getpc20390)&4294967295
	s_addc_u32 s15, s15, (.LBB2_9884-.Lpost_getpc20390)>>32
	s_setpc_b64 s[14:15]
.LBB2_24221:
	s_movk_i32 s4, 0x80
	v_cmp_eq_u16_sdwa s[12:13], v2, s4 src0_sel:BYTE_3 src1_sel:DWORD
	s_mov_b64 s[4:5], -1
                                        ; implicit-def: $sgpr10
	s_and_saveexec_b64 s[8:9], s[12:13]
; %bb.24222:
	s_mov_b32 s10, 0x7f800001
	s_xor_b64 s[4:5], exec, -1
; %bb.24223:
	s_or_b64 exec, exec, s[8:9]
	s_and_b64 s[4:5], s[4:5], exec
	s_or_saveexec_b64 s[6:7], s[6:7]
	v_mov_b32_e32 v6, s10
	s_xor_b64 exec, exec, s[6:7]
	s_cbranch_execnz .LBB2_24224
; %bb.60061:
	s_getpc_b64 s[14:15]
.Lpost_getpc33614:
	s_add_u32 s14, s14, (.LBB2_9886-.Lpost_getpc33614)&4294967295
	s_addc_u32 s15, s15, (.LBB2_9886-.Lpost_getpc33614)>>32
	s_setpc_b64 s[14:15]
.LBB2_24224:
	v_mov_b32_e32 v6, 0
	v_cmp_ne_u16_sdwa s[8:9], v2, v6 src0_sel:BYTE_3 src1_sel:DWORD
	s_andn2_b64 s[4:5], s[4:5], exec
	s_and_b64 s[8:9], s[8:9], exec
	s_or_b64 s[4:5], s[4:5], s[8:9]
	s_or_b64 exec, exec, s[6:7]
	s_and_saveexec_b64 s[6:7], s[4:5]
	s_cbranch_execz .LBB2_33615
; %bb.60063:
	s_getpc_b64 s[14:15]
.Lpost_getpc33615:
	s_add_u32 s14, s14, (.LBB2_9887-.Lpost_getpc33615)&4294967295
	s_addc_u32 s15, s15, (.LBB2_9887-.Lpost_getpc33615)>>32
	s_setpc_b64 s[14:15]
.LBB2_33615:
	s_getpc_b64 s[14:15]
.Lpost_getpc20391:
	s_add_u32 s14, s14, (.LBB2_9888-.Lpost_getpc20391)&4294967295
	s_addc_u32 s15, s15, (.LBB2_9888-.Lpost_getpc20391)>>32
	s_setpc_b64 s[14:15]
.LBB2_24225:
	s_movk_i32 s4, 0x80
	v_cmp_eq_u16_sdwa s[12:13], v7, s4 src0_sel:BYTE_0 src1_sel:DWORD
	s_mov_b64 s[4:5], -1
                                        ; implicit-def: $sgpr10
	s_and_saveexec_b64 s[8:9], s[12:13]
; %bb.24226:
	s_mov_b32 s10, 0x7f800001
	s_xor_b64 s[4:5], exec, -1
; %bb.24227:
	s_or_b64 exec, exec, s[8:9]
	s_and_b64 s[4:5], s[4:5], exec
	s_or_saveexec_b64 s[6:7], s[6:7]
	v_mov_b32_e32 v2, s10
	s_xor_b64 exec, exec, s[6:7]
	s_cbranch_execnz .LBB2_24228
; %bb.60065:
	s_getpc_b64 s[14:15]
.Lpost_getpc33616:
	s_add_u32 s14, s14, (.LBB2_9890-.Lpost_getpc33616)&4294967295
	s_addc_u32 s15, s15, (.LBB2_9890-.Lpost_getpc33616)>>32
	s_setpc_b64 s[14:15]
.LBB2_24228:
	v_mov_b32_e32 v2, 0
	v_cmp_ne_u16_sdwa s[8:9], v7, v2 src0_sel:BYTE_0 src1_sel:DWORD
	s_andn2_b64 s[4:5], s[4:5], exec
	s_and_b64 s[8:9], s[8:9], exec
	s_or_b64 s[4:5], s[4:5], s[8:9]
	s_or_b64 exec, exec, s[6:7]
	s_and_saveexec_b64 s[6:7], s[4:5]
	s_cbranch_execz .LBB2_33617
; %bb.60067:
	s_getpc_b64 s[14:15]
.Lpost_getpc33617:
	s_add_u32 s14, s14, (.LBB2_9891-.Lpost_getpc33617)&4294967295
	s_addc_u32 s15, s15, (.LBB2_9891-.Lpost_getpc33617)>>32
	s_setpc_b64 s[14:15]
.LBB2_33617:
	s_getpc_b64 s[14:15]
.Lpost_getpc20392:
	s_add_u32 s14, s14, (.LBB2_9892-.Lpost_getpc20392)&4294967295
	s_addc_u32 s15, s15, (.LBB2_9892-.Lpost_getpc20392)>>32
	s_setpc_b64 s[14:15]
.LBB2_24229:
	s_movk_i32 s4, 0x80
	v_cmp_eq_u16_sdwa s[12:13], v3, s4 src0_sel:BYTE_0 src1_sel:DWORD
	s_mov_b64 s[4:5], -1
                                        ; implicit-def: $sgpr10
	s_and_saveexec_b64 s[8:9], s[12:13]
; %bb.24230:
	s_mov_b32 s10, 0x7f800001
	s_xor_b64 s[4:5], exec, -1
; %bb.24231:
	s_or_b64 exec, exec, s[8:9]
	s_and_b64 s[4:5], s[4:5], exec
	s_or_saveexec_b64 s[6:7], s[6:7]
	v_mov_b32_e32 v6, s10
	s_xor_b64 exec, exec, s[6:7]
	s_cbranch_execnz .LBB2_24232
; %bb.60069:
	s_getpc_b64 s[14:15]
.Lpost_getpc33618:
	s_add_u32 s14, s14, (.LBB2_9894-.Lpost_getpc33618)&4294967295
	s_addc_u32 s15, s15, (.LBB2_9894-.Lpost_getpc33618)>>32
	s_setpc_b64 s[14:15]
.LBB2_24232:
	v_mov_b32_e32 v6, 0
	v_cmp_ne_u16_sdwa s[8:9], v3, v6 src0_sel:BYTE_0 src1_sel:DWORD
	s_andn2_b64 s[4:5], s[4:5], exec
	s_and_b64 s[8:9], s[8:9], exec
	s_or_b64 s[4:5], s[4:5], s[8:9]
	s_or_b64 exec, exec, s[6:7]
	s_and_saveexec_b64 s[6:7], s[4:5]
	s_cbranch_execz .LBB2_33619
; %bb.60071:
	s_getpc_b64 s[14:15]
.Lpost_getpc33619:
	s_add_u32 s14, s14, (.LBB2_9895-.Lpost_getpc33619)&4294967295
	s_addc_u32 s15, s15, (.LBB2_9895-.Lpost_getpc33619)>>32
	s_setpc_b64 s[14:15]
.LBB2_33619:
	s_getpc_b64 s[14:15]
.Lpost_getpc20393:
	s_add_u32 s14, s14, (.LBB2_9896-.Lpost_getpc20393)&4294967295
	s_addc_u32 s15, s15, (.LBB2_9896-.Lpost_getpc20393)>>32
	s_setpc_b64 s[14:15]
.LBB2_24233:
	s_movk_i32 s4, 0x80
	v_cmp_eq_u16_sdwa s[12:13], v6, s4 src0_sel:BYTE_0 src1_sel:DWORD
	s_mov_b64 s[4:5], -1
                                        ; implicit-def: $sgpr10
	s_and_saveexec_b64 s[8:9], s[12:13]
; %bb.24234:
	s_mov_b32 s10, 0x7f800001
	s_xor_b64 s[4:5], exec, -1
; %bb.24235:
	s_or_b64 exec, exec, s[8:9]
	s_and_b64 s[4:5], s[4:5], exec
	s_or_saveexec_b64 s[6:7], s[6:7]
	v_mov_b32_e32 v2, s10
	s_xor_b64 exec, exec, s[6:7]
	s_cbranch_execnz .LBB2_24236
; %bb.60073:
	s_getpc_b64 s[14:15]
.Lpost_getpc33620:
	s_add_u32 s14, s14, (.LBB2_9898-.Lpost_getpc33620)&4294967295
	s_addc_u32 s15, s15, (.LBB2_9898-.Lpost_getpc33620)>>32
	s_setpc_b64 s[14:15]
.LBB2_24236:
	v_mov_b32_e32 v2, 0
	v_cmp_ne_u16_sdwa s[8:9], v6, v2 src0_sel:BYTE_0 src1_sel:DWORD
	s_andn2_b64 s[4:5], s[4:5], exec
	s_and_b64 s[8:9], s[8:9], exec
	s_or_b64 s[4:5], s[4:5], s[8:9]
	s_or_b64 exec, exec, s[6:7]
	s_and_saveexec_b64 s[6:7], s[4:5]
	s_cbranch_execz .LBB2_33621
; %bb.60075:
	s_getpc_b64 s[14:15]
.Lpost_getpc33621:
	s_add_u32 s14, s14, (.LBB2_9899-.Lpost_getpc33621)&4294967295
	s_addc_u32 s15, s15, (.LBB2_9899-.Lpost_getpc33621)>>32
	s_setpc_b64 s[14:15]
.LBB2_33621:
	s_getpc_b64 s[14:15]
.Lpost_getpc20394:
	s_add_u32 s14, s14, (.LBB2_9900-.Lpost_getpc20394)&4294967295
	s_addc_u32 s15, s15, (.LBB2_9900-.Lpost_getpc20394)>>32
	s_setpc_b64 s[14:15]
.LBB2_24237:
	s_movk_i32 s4, 0x80
	v_cmp_eq_u16_sdwa s[12:13], v6, s4 src0_sel:BYTE_0 src1_sel:DWORD
	s_mov_b64 s[4:5], -1
                                        ; implicit-def: $sgpr10
	s_and_saveexec_b64 s[8:9], s[12:13]
; %bb.24238:
	s_mov_b32 s10, 0x7f800001
	s_xor_b64 s[4:5], exec, -1
; %bb.24239:
	s_or_b64 exec, exec, s[8:9]
	s_and_b64 s[4:5], s[4:5], exec
	s_or_saveexec_b64 s[6:7], s[6:7]
	v_mov_b32_e32 v12, s10
	s_xor_b64 exec, exec, s[6:7]
	s_cbranch_execnz .LBB2_24240
; %bb.60077:
	s_getpc_b64 s[14:15]
.Lpost_getpc33622:
	s_add_u32 s14, s14, (.LBB2_9902-.Lpost_getpc33622)&4294967295
	s_addc_u32 s15, s15, (.LBB2_9902-.Lpost_getpc33622)>>32
	s_setpc_b64 s[14:15]
.LBB2_24240:
	v_mov_b32_e32 v12, 0
	v_cmp_ne_u16_sdwa s[8:9], v6, v12 src0_sel:BYTE_0 src1_sel:DWORD
	s_andn2_b64 s[4:5], s[4:5], exec
	s_and_b64 s[8:9], s[8:9], exec
	s_or_b64 s[4:5], s[4:5], s[8:9]
	s_or_b64 exec, exec, s[6:7]
	s_and_saveexec_b64 s[6:7], s[4:5]
	s_cbranch_execz .LBB2_33623
; %bb.60079:
	s_getpc_b64 s[14:15]
.Lpost_getpc33623:
	s_add_u32 s14, s14, (.LBB2_9903-.Lpost_getpc33623)&4294967295
	s_addc_u32 s15, s15, (.LBB2_9903-.Lpost_getpc33623)>>32
	s_setpc_b64 s[14:15]
.LBB2_33623:
	s_getpc_b64 s[14:15]
.Lpost_getpc20395:
	s_add_u32 s14, s14, (.LBB2_9904-.Lpost_getpc20395)&4294967295
	s_addc_u32 s15, s15, (.LBB2_9904-.Lpost_getpc20395)>>32
	s_setpc_b64 s[14:15]
.LBB2_24241:
	s_movk_i32 s4, 0x80
	v_cmp_eq_u16_e32 vcc, s4, v6
	s_mov_b64 s[4:5], -1
                                        ; implicit-def: $sgpr10
	s_and_saveexec_b64 s[8:9], vcc
; %bb.24242:
	s_mov_b32 s10, 0x7f800001
	s_xor_b64 s[4:5], exec, -1
; %bb.24243:
	s_or_b64 exec, exec, s[8:9]
	s_and_b64 s[4:5], s[4:5], exec
                                        ; implicit-def: $vgpr6
	s_or_saveexec_b64 s[6:7], s[6:7]
	v_mov_b32_e32 v2, s10
	s_xor_b64 exec, exec, s[6:7]
	s_cbranch_execnz .LBB2_24244
; %bb.60081:
	s_getpc_b64 s[14:15]
.Lpost_getpc33624:
	s_add_u32 s14, s14, (.LBB2_9906-.Lpost_getpc33624)&4294967295
	s_addc_u32 s15, s15, (.LBB2_9906-.Lpost_getpc33624)>>32
	s_setpc_b64 s[14:15]
.LBB2_24244:
	v_cmp_ne_u16_e32 vcc, 0, v6
	s_andn2_b64 s[4:5], s[4:5], exec
	s_and_b64 s[8:9], vcc, exec
	v_mov_b32_e32 v2, 0
	s_or_b64 s[4:5], s[4:5], s[8:9]
	s_or_b64 exec, exec, s[6:7]
	s_and_saveexec_b64 s[6:7], s[4:5]
	s_cbranch_execz .LBB2_33625
; %bb.60083:
	s_getpc_b64 s[14:15]
.Lpost_getpc33625:
	s_add_u32 s14, s14, (.LBB2_9907-.Lpost_getpc33625)&4294967295
	s_addc_u32 s15, s15, (.LBB2_9907-.Lpost_getpc33625)>>32
	s_setpc_b64 s[14:15]
.LBB2_33625:
	s_getpc_b64 s[14:15]
.Lpost_getpc20396:
	s_add_u32 s14, s14, (.LBB2_9908-.Lpost_getpc20396)&4294967295
	s_addc_u32 s15, s15, (.LBB2_9908-.Lpost_getpc20396)>>32
	s_setpc_b64 s[14:15]
.LBB2_24245:
	s_movk_i32 s4, 0x80
	v_cmp_eq_u16_e32 vcc, s4, v6
	s_mov_b64 s[4:5], -1
                                        ; implicit-def: $sgpr10
	s_and_saveexec_b64 s[8:9], vcc
; %bb.24246:
	s_mov_b32 s10, 0x7f800001
	s_xor_b64 s[4:5], exec, -1
; %bb.24247:
	s_or_b64 exec, exec, s[8:9]
	s_and_b64 s[4:5], s[4:5], exec
                                        ; implicit-def: $vgpr6
	s_or_saveexec_b64 s[6:7], s[6:7]
	v_mov_b32_e32 v12, s10
	s_xor_b64 exec, exec, s[6:7]
	s_cbranch_execnz .LBB2_24248
; %bb.60085:
	s_getpc_b64 s[14:15]
.Lpost_getpc33626:
	s_add_u32 s14, s14, (.LBB2_9910-.Lpost_getpc33626)&4294967295
	s_addc_u32 s15, s15, (.LBB2_9910-.Lpost_getpc33626)>>32
	s_setpc_b64 s[14:15]
.LBB2_24248:
	v_cmp_ne_u16_e32 vcc, 0, v6
	s_andn2_b64 s[4:5], s[4:5], exec
	s_and_b64 s[8:9], vcc, exec
	v_mov_b32_e32 v12, 0
	s_or_b64 s[4:5], s[4:5], s[8:9]
	s_or_b64 exec, exec, s[6:7]
	s_and_saveexec_b64 s[6:7], s[4:5]
	s_cbranch_execz .LBB2_33627
; %bb.60087:
	s_getpc_b64 s[14:15]
.Lpost_getpc33627:
	s_add_u32 s14, s14, (.LBB2_9911-.Lpost_getpc33627)&4294967295
	s_addc_u32 s15, s15, (.LBB2_9911-.Lpost_getpc33627)>>32
	s_setpc_b64 s[14:15]
.LBB2_33627:
	s_getpc_b64 s[14:15]
.Lpost_getpc20397:
	s_add_u32 s14, s14, (.LBB2_9912-.Lpost_getpc20397)&4294967295
	s_addc_u32 s15, s15, (.LBB2_9912-.Lpost_getpc20397)>>32
	s_setpc_b64 s[14:15]
.LBB2_24249:
	s_movk_i32 s4, 0x80
	v_cmp_eq_u16_sdwa s[12:13], v7, s4 src0_sel:BYTE_3 src1_sel:DWORD
	s_mov_b64 s[4:5], -1
                                        ; implicit-def: $sgpr10
	s_and_saveexec_b64 s[8:9], s[12:13]
; %bb.24250:
	s_mov_b32 s10, 0x7f800001
	s_xor_b64 s[4:5], exec, -1
; %bb.24251:
	s_or_b64 exec, exec, s[8:9]
	s_and_b64 s[4:5], s[4:5], exec
	s_or_saveexec_b64 s[6:7], s[6:7]
	v_mov_b32_e32 v2, s10
	s_xor_b64 exec, exec, s[6:7]
	s_cbranch_execnz .LBB2_24252
; %bb.60089:
	s_getpc_b64 s[14:15]
.Lpost_getpc33628:
	s_add_u32 s14, s14, (.LBB2_9914-.Lpost_getpc33628)&4294967295
	s_addc_u32 s15, s15, (.LBB2_9914-.Lpost_getpc33628)>>32
	s_setpc_b64 s[14:15]
.LBB2_24252:
	v_mov_b32_e32 v2, 0
	v_cmp_ne_u16_sdwa s[8:9], v7, v2 src0_sel:BYTE_3 src1_sel:DWORD
	s_andn2_b64 s[4:5], s[4:5], exec
	s_and_b64 s[8:9], s[8:9], exec
	s_or_b64 s[4:5], s[4:5], s[8:9]
	s_or_b64 exec, exec, s[6:7]
	s_and_saveexec_b64 s[6:7], s[4:5]
	s_cbranch_execz .LBB2_33629
; %bb.60091:
	s_getpc_b64 s[14:15]
.Lpost_getpc33629:
	s_add_u32 s14, s14, (.LBB2_9915-.Lpost_getpc33629)&4294967295
	s_addc_u32 s15, s15, (.LBB2_9915-.Lpost_getpc33629)>>32
	s_setpc_b64 s[14:15]
.LBB2_33629:
	s_getpc_b64 s[14:15]
.Lpost_getpc20398:
	s_add_u32 s14, s14, (.LBB2_9916-.Lpost_getpc20398)&4294967295
	s_addc_u32 s15, s15, (.LBB2_9916-.Lpost_getpc20398)>>32
	s_setpc_b64 s[14:15]
.LBB2_24253:
	s_movk_i32 s4, 0x80
	v_cmp_eq_u16_sdwa s[12:13], v3, s4 src0_sel:BYTE_3 src1_sel:DWORD
	s_mov_b64 s[4:5], -1
                                        ; implicit-def: $sgpr10
	s_and_saveexec_b64 s[8:9], s[12:13]
; %bb.24254:
	s_mov_b32 s10, 0x7f800001
	s_xor_b64 s[4:5], exec, -1
; %bb.24255:
	s_or_b64 exec, exec, s[8:9]
	s_and_b64 s[4:5], s[4:5], exec
	s_or_saveexec_b64 s[6:7], s[6:7]
	v_mov_b32_e32 v6, s10
	s_xor_b64 exec, exec, s[6:7]
	s_cbranch_execnz .LBB2_24256
; %bb.60093:
	s_getpc_b64 s[14:15]
.Lpost_getpc33630:
	s_add_u32 s14, s14, (.LBB2_9918-.Lpost_getpc33630)&4294967295
	s_addc_u32 s15, s15, (.LBB2_9918-.Lpost_getpc33630)>>32
	s_setpc_b64 s[14:15]
.LBB2_24256:
	v_mov_b32_e32 v6, 0
	v_cmp_ne_u16_sdwa s[8:9], v3, v6 src0_sel:BYTE_3 src1_sel:DWORD
	s_andn2_b64 s[4:5], s[4:5], exec
	s_and_b64 s[8:9], s[8:9], exec
	s_or_b64 s[4:5], s[4:5], s[8:9]
	s_or_b64 exec, exec, s[6:7]
	s_and_saveexec_b64 s[6:7], s[4:5]
	s_cbranch_execz .LBB2_33631
; %bb.60095:
	s_getpc_b64 s[14:15]
.Lpost_getpc33631:
	s_add_u32 s14, s14, (.LBB2_9919-.Lpost_getpc33631)&4294967295
	s_addc_u32 s15, s15, (.LBB2_9919-.Lpost_getpc33631)>>32
	s_setpc_b64 s[14:15]
.LBB2_33631:
	s_getpc_b64 s[14:15]
.Lpost_getpc20399:
	s_add_u32 s14, s14, (.LBB2_9920-.Lpost_getpc20399)&4294967295
	s_addc_u32 s15, s15, (.LBB2_9920-.Lpost_getpc20399)>>32
	s_setpc_b64 s[14:15]
.LBB2_24257:
	s_movk_i32 s4, 0x80
	v_cmp_eq_u16_sdwa s[12:13], v8, s4 src0_sel:BYTE_0 src1_sel:DWORD
	s_mov_b64 s[4:5], -1
                                        ; implicit-def: $sgpr10
	s_and_saveexec_b64 s[8:9], s[12:13]
; %bb.24258:
	s_mov_b32 s10, 0x7f800001
	s_xor_b64 s[4:5], exec, -1
; %bb.24259:
	s_or_b64 exec, exec, s[8:9]
	s_and_b64 s[4:5], s[4:5], exec
	s_or_saveexec_b64 s[6:7], s[6:7]
	v_mov_b32_e32 v2, s10
	s_xor_b64 exec, exec, s[6:7]
	s_cbranch_execnz .LBB2_24260
; %bb.60097:
	s_getpc_b64 s[14:15]
.Lpost_getpc33632:
	s_add_u32 s14, s14, (.LBB2_9922-.Lpost_getpc33632)&4294967295
	s_addc_u32 s15, s15, (.LBB2_9922-.Lpost_getpc33632)>>32
	s_setpc_b64 s[14:15]
.LBB2_24260:
	v_mov_b32_e32 v2, 0
	v_cmp_ne_u16_sdwa s[8:9], v8, v2 src0_sel:BYTE_0 src1_sel:DWORD
	s_andn2_b64 s[4:5], s[4:5], exec
	s_and_b64 s[8:9], s[8:9], exec
	s_or_b64 s[4:5], s[4:5], s[8:9]
	s_or_b64 exec, exec, s[6:7]
	s_and_saveexec_b64 s[6:7], s[4:5]
	s_cbranch_execz .LBB2_33633
; %bb.60099:
	s_getpc_b64 s[14:15]
.Lpost_getpc33633:
	s_add_u32 s14, s14, (.LBB2_9923-.Lpost_getpc33633)&4294967295
	s_addc_u32 s15, s15, (.LBB2_9923-.Lpost_getpc33633)>>32
	s_setpc_b64 s[14:15]
.LBB2_33633:
	s_getpc_b64 s[14:15]
.Lpost_getpc20400:
	s_add_u32 s14, s14, (.LBB2_9924-.Lpost_getpc20400)&4294967295
	s_addc_u32 s15, s15, (.LBB2_9924-.Lpost_getpc20400)>>32
	s_setpc_b64 s[14:15]
.LBB2_24261:
	s_movk_i32 s4, 0x80
	v_cmp_eq_u16_sdwa s[12:13], v4, s4 src0_sel:BYTE_0 src1_sel:DWORD
	s_mov_b64 s[4:5], -1
                                        ; implicit-def: $sgpr10
	s_and_saveexec_b64 s[8:9], s[12:13]
; %bb.24262:
	s_mov_b32 s10, 0x7f800001
	s_xor_b64 s[4:5], exec, -1
; %bb.24263:
	s_or_b64 exec, exec, s[8:9]
	s_and_b64 s[4:5], s[4:5], exec
	s_or_saveexec_b64 s[6:7], s[6:7]
	v_mov_b32_e32 v3, s10
	s_xor_b64 exec, exec, s[6:7]
	s_cbranch_execnz .LBB2_24264
; %bb.60101:
	s_getpc_b64 s[14:15]
.Lpost_getpc33634:
	s_add_u32 s14, s14, (.LBB2_9926-.Lpost_getpc33634)&4294967295
	s_addc_u32 s15, s15, (.LBB2_9926-.Lpost_getpc33634)>>32
	s_setpc_b64 s[14:15]
.LBB2_24264:
	v_mov_b32_e32 v3, 0
	v_cmp_ne_u16_sdwa s[8:9], v4, v3 src0_sel:BYTE_0 src1_sel:DWORD
	s_andn2_b64 s[4:5], s[4:5], exec
	s_and_b64 s[8:9], s[8:9], exec
	s_or_b64 s[4:5], s[4:5], s[8:9]
	s_or_b64 exec, exec, s[6:7]
	s_and_saveexec_b64 s[6:7], s[4:5]
	s_cbranch_execz .LBB2_33635
; %bb.60103:
	s_getpc_b64 s[14:15]
.Lpost_getpc33635:
	s_add_u32 s14, s14, (.LBB2_9927-.Lpost_getpc33635)&4294967295
	s_addc_u32 s15, s15, (.LBB2_9927-.Lpost_getpc33635)>>32
	s_setpc_b64 s[14:15]
.LBB2_33635:
	s_getpc_b64 s[14:15]
.Lpost_getpc20401:
	s_add_u32 s14, s14, (.LBB2_9928-.Lpost_getpc20401)&4294967295
	s_addc_u32 s15, s15, (.LBB2_9928-.Lpost_getpc20401)>>32
	s_setpc_b64 s[14:15]
.LBB2_24265:
	s_movk_i32 s4, 0x80
	v_cmp_eq_u16_sdwa s[12:13], v3, s4 src0_sel:BYTE_0 src1_sel:DWORD
	s_mov_b64 s[4:5], -1
                                        ; implicit-def: $sgpr10
	s_and_saveexec_b64 s[8:9], s[12:13]
; %bb.24266:
	s_mov_b32 s10, 0x7f800001
	s_xor_b64 s[4:5], exec, -1
; %bb.24267:
	s_or_b64 exec, exec, s[8:9]
	s_and_b64 s[4:5], s[4:5], exec
	s_or_saveexec_b64 s[6:7], s[6:7]
	v_mov_b32_e32 v2, s10
	s_xor_b64 exec, exec, s[6:7]
	s_cbranch_execnz .LBB2_24268
; %bb.60105:
	s_getpc_b64 s[14:15]
.Lpost_getpc33636:
	s_add_u32 s14, s14, (.LBB2_9930-.Lpost_getpc33636)&4294967295
	s_addc_u32 s15, s15, (.LBB2_9930-.Lpost_getpc33636)>>32
	s_setpc_b64 s[14:15]
.LBB2_24268:
	v_mov_b32_e32 v2, 0
	v_cmp_ne_u16_sdwa s[8:9], v3, v2 src0_sel:BYTE_0 src1_sel:DWORD
	s_andn2_b64 s[4:5], s[4:5], exec
	s_and_b64 s[8:9], s[8:9], exec
	s_or_b64 s[4:5], s[4:5], s[8:9]
	s_or_b64 exec, exec, s[6:7]
	s_and_saveexec_b64 s[6:7], s[4:5]
	s_cbranch_execz .LBB2_33637
; %bb.60107:
	s_getpc_b64 s[14:15]
.Lpost_getpc33637:
	s_add_u32 s14, s14, (.LBB2_9931-.Lpost_getpc33637)&4294967295
	s_addc_u32 s15, s15, (.LBB2_9931-.Lpost_getpc33637)>>32
	s_setpc_b64 s[14:15]
.LBB2_33637:
	s_getpc_b64 s[14:15]
.Lpost_getpc20402:
	s_add_u32 s14, s14, (.LBB2_9932-.Lpost_getpc20402)&4294967295
	s_addc_u32 s15, s15, (.LBB2_9932-.Lpost_getpc20402)>>32
	s_setpc_b64 s[14:15]
.LBB2_24269:
	s_movk_i32 s4, 0x80
	v_cmp_eq_u16_sdwa s[12:13], v3, s4 src0_sel:BYTE_0 src1_sel:DWORD
	s_mov_b64 s[4:5], -1
                                        ; implicit-def: $sgpr10
	s_and_saveexec_b64 s[8:9], s[12:13]
; %bb.24270:
	s_mov_b32 s10, 0x7f800001
	s_xor_b64 s[4:5], exec, -1
; %bb.24271:
	s_or_b64 exec, exec, s[8:9]
	s_and_b64 s[4:5], s[4:5], exec
	s_or_saveexec_b64 s[6:7], s[6:7]
	v_mov_b32_e32 v6, s10
	s_xor_b64 exec, exec, s[6:7]
	s_cbranch_execnz .LBB2_24272
; %bb.60109:
	s_getpc_b64 s[14:15]
.Lpost_getpc33638:
	s_add_u32 s14, s14, (.LBB2_9934-.Lpost_getpc33638)&4294967295
	s_addc_u32 s15, s15, (.LBB2_9934-.Lpost_getpc33638)>>32
	s_setpc_b64 s[14:15]
.LBB2_24272:
	v_mov_b32_e32 v6, 0
	v_cmp_ne_u16_sdwa s[8:9], v3, v6 src0_sel:BYTE_0 src1_sel:DWORD
	s_andn2_b64 s[4:5], s[4:5], exec
	s_and_b64 s[8:9], s[8:9], exec
	s_or_b64 s[4:5], s[4:5], s[8:9]
	s_or_b64 exec, exec, s[6:7]
	s_and_saveexec_b64 s[6:7], s[4:5]
	s_cbranch_execz .LBB2_33639
; %bb.60111:
	s_getpc_b64 s[14:15]
.Lpost_getpc33639:
	s_add_u32 s14, s14, (.LBB2_9935-.Lpost_getpc33639)&4294967295
	s_addc_u32 s15, s15, (.LBB2_9935-.Lpost_getpc33639)>>32
	s_setpc_b64 s[14:15]
.LBB2_33639:
	s_getpc_b64 s[14:15]
.Lpost_getpc20403:
	s_add_u32 s14, s14, (.LBB2_9936-.Lpost_getpc20403)&4294967295
	s_addc_u32 s15, s15, (.LBB2_9936-.Lpost_getpc20403)>>32
	s_setpc_b64 s[14:15]
.LBB2_24273:
	s_movk_i32 s4, 0x80
	v_cmp_eq_u16_e32 vcc, s4, v3
	s_mov_b64 s[4:5], -1
                                        ; implicit-def: $sgpr10
	s_and_saveexec_b64 s[8:9], vcc
; %bb.24274:
	s_mov_b32 s10, 0x7f800001
	s_xor_b64 s[4:5], exec, -1
; %bb.24275:
	s_or_b64 exec, exec, s[8:9]
	s_and_b64 s[4:5], s[4:5], exec
                                        ; implicit-def: $vgpr3
	s_or_saveexec_b64 s[6:7], s[6:7]
	v_mov_b32_e32 v2, s10
	s_xor_b64 exec, exec, s[6:7]
	s_cbranch_execnz .LBB2_24276
; %bb.60113:
	s_getpc_b64 s[14:15]
.Lpost_getpc33640:
	s_add_u32 s14, s14, (.LBB2_9938-.Lpost_getpc33640)&4294967295
	s_addc_u32 s15, s15, (.LBB2_9938-.Lpost_getpc33640)>>32
	s_setpc_b64 s[14:15]
.LBB2_24276:
	v_cmp_ne_u16_e32 vcc, 0, v3
	s_andn2_b64 s[4:5], s[4:5], exec
	s_and_b64 s[8:9], vcc, exec
	v_mov_b32_e32 v2, 0
	s_or_b64 s[4:5], s[4:5], s[8:9]
	s_or_b64 exec, exec, s[6:7]
	s_and_saveexec_b64 s[6:7], s[4:5]
	s_cbranch_execz .LBB2_33641
; %bb.60115:
	s_getpc_b64 s[14:15]
.Lpost_getpc33641:
	s_add_u32 s14, s14, (.LBB2_9939-.Lpost_getpc33641)&4294967295
	s_addc_u32 s15, s15, (.LBB2_9939-.Lpost_getpc33641)>>32
	s_setpc_b64 s[14:15]
.LBB2_33641:
	s_getpc_b64 s[14:15]
.Lpost_getpc20404:
	s_add_u32 s14, s14, (.LBB2_9940-.Lpost_getpc20404)&4294967295
	s_addc_u32 s15, s15, (.LBB2_9940-.Lpost_getpc20404)>>32
	s_setpc_b64 s[14:15]
.LBB2_24277:
	s_movk_i32 s4, 0x80
	v_cmp_eq_u16_e32 vcc, s4, v3
	s_mov_b64 s[4:5], -1
                                        ; implicit-def: $sgpr10
	s_and_saveexec_b64 s[8:9], vcc
; %bb.24278:
	s_mov_b32 s10, 0x7f800001
	s_xor_b64 s[4:5], exec, -1
; %bb.24279:
	s_or_b64 exec, exec, s[8:9]
	s_and_b64 s[4:5], s[4:5], exec
                                        ; implicit-def: $vgpr3
	s_or_saveexec_b64 s[6:7], s[6:7]
	v_mov_b32_e32 v6, s10
	s_xor_b64 exec, exec, s[6:7]
	s_cbranch_execnz .LBB2_24280
; %bb.60117:
	s_getpc_b64 s[14:15]
.Lpost_getpc33642:
	s_add_u32 s14, s14, (.LBB2_9942-.Lpost_getpc33642)&4294967295
	s_addc_u32 s15, s15, (.LBB2_9942-.Lpost_getpc33642)>>32
	s_setpc_b64 s[14:15]
.LBB2_24280:
	v_cmp_ne_u16_e32 vcc, 0, v3
	s_andn2_b64 s[4:5], s[4:5], exec
	s_and_b64 s[8:9], vcc, exec
	v_mov_b32_e32 v6, 0
	s_or_b64 s[4:5], s[4:5], s[8:9]
	s_or_b64 exec, exec, s[6:7]
	s_and_saveexec_b64 s[6:7], s[4:5]
	s_cbranch_execz .LBB2_33643
; %bb.60119:
	s_getpc_b64 s[14:15]
.Lpost_getpc33643:
	s_add_u32 s14, s14, (.LBB2_9943-.Lpost_getpc33643)&4294967295
	s_addc_u32 s15, s15, (.LBB2_9943-.Lpost_getpc33643)>>32
	s_setpc_b64 s[14:15]
.LBB2_33643:
	s_getpc_b64 s[14:15]
.Lpost_getpc20405:
	s_add_u32 s14, s14, (.LBB2_9944-.Lpost_getpc20405)&4294967295
	s_addc_u32 s15, s15, (.LBB2_9944-.Lpost_getpc20405)>>32
	s_setpc_b64 s[14:15]
.LBB2_24281:
	s_movk_i32 s4, 0x80
	v_cmp_eq_u16_sdwa s[12:13], v8, s4 src0_sel:BYTE_3 src1_sel:DWORD
	s_mov_b64 s[4:5], -1
                                        ; implicit-def: $sgpr10
	s_and_saveexec_b64 s[8:9], s[12:13]
; %bb.24282:
	s_mov_b32 s10, 0x7f800001
	s_xor_b64 s[4:5], exec, -1
; %bb.24283:
	s_or_b64 exec, exec, s[8:9]
	s_and_b64 s[4:5], s[4:5], exec
	s_or_saveexec_b64 s[6:7], s[6:7]
	v_mov_b32_e32 v2, s10
	s_xor_b64 exec, exec, s[6:7]
	s_cbranch_execnz .LBB2_24284
; %bb.60121:
	s_getpc_b64 s[14:15]
.Lpost_getpc33644:
	s_add_u32 s14, s14, (.LBB2_9946-.Lpost_getpc33644)&4294967295
	s_addc_u32 s15, s15, (.LBB2_9946-.Lpost_getpc33644)>>32
	s_setpc_b64 s[14:15]
.LBB2_24284:
	v_mov_b32_e32 v2, 0
	v_cmp_ne_u16_sdwa s[8:9], v8, v2 src0_sel:BYTE_3 src1_sel:DWORD
	s_andn2_b64 s[4:5], s[4:5], exec
	s_and_b64 s[8:9], s[8:9], exec
	s_or_b64 s[4:5], s[4:5], s[8:9]
	s_or_b64 exec, exec, s[6:7]
	s_and_saveexec_b64 s[6:7], s[4:5]
	s_cbranch_execz .LBB2_33645
; %bb.60123:
	s_getpc_b64 s[14:15]
.Lpost_getpc33645:
	s_add_u32 s14, s14, (.LBB2_9947-.Lpost_getpc33645)&4294967295
	s_addc_u32 s15, s15, (.LBB2_9947-.Lpost_getpc33645)>>32
	s_setpc_b64 s[14:15]
.LBB2_33645:
	s_getpc_b64 s[14:15]
.Lpost_getpc20406:
	s_add_u32 s14, s14, (.LBB2_9948-.Lpost_getpc20406)&4294967295
	s_addc_u32 s15, s15, (.LBB2_9948-.Lpost_getpc20406)>>32
	s_setpc_b64 s[14:15]
.LBB2_24285:
	s_movk_i32 s4, 0x80
	v_cmp_eq_u16_sdwa s[12:13], v4, s4 src0_sel:BYTE_3 src1_sel:DWORD
	s_mov_b64 s[4:5], -1
                                        ; implicit-def: $sgpr10
	s_and_saveexec_b64 s[8:9], s[12:13]
; %bb.24286:
	s_mov_b32 s10, 0x7f800001
	s_xor_b64 s[4:5], exec, -1
; %bb.24287:
	s_or_b64 exec, exec, s[8:9]
	s_and_b64 s[4:5], s[4:5], exec
	s_or_saveexec_b64 s[6:7], s[6:7]
	v_mov_b32_e32 v3, s10
	s_xor_b64 exec, exec, s[6:7]
	s_cbranch_execnz .LBB2_24288
; %bb.60125:
	s_getpc_b64 s[14:15]
.Lpost_getpc33646:
	s_add_u32 s14, s14, (.LBB2_9950-.Lpost_getpc33646)&4294967295
	s_addc_u32 s15, s15, (.LBB2_9950-.Lpost_getpc33646)>>32
	s_setpc_b64 s[14:15]
.LBB2_24288:
	v_mov_b32_e32 v3, 0
	v_cmp_ne_u16_sdwa s[8:9], v4, v3 src0_sel:BYTE_3 src1_sel:DWORD
	s_andn2_b64 s[4:5], s[4:5], exec
	s_and_b64 s[8:9], s[8:9], exec
	s_or_b64 s[4:5], s[4:5], s[8:9]
	s_or_b64 exec, exec, s[6:7]
	s_and_saveexec_b64 s[6:7], s[4:5]
	s_cbranch_execz .LBB2_33647
; %bb.60127:
	s_getpc_b64 s[14:15]
.Lpost_getpc33647:
	s_add_u32 s14, s14, (.LBB2_9951-.Lpost_getpc33647)&4294967295
	s_addc_u32 s15, s15, (.LBB2_9951-.Lpost_getpc33647)>>32
	s_setpc_b64 s[14:15]
.LBB2_33647:
	s_getpc_b64 s[14:15]
.Lpost_getpc20407:
	s_add_u32 s14, s14, (.LBB2_9952-.Lpost_getpc20407)&4294967295
	s_addc_u32 s15, s15, (.LBB2_9952-.Lpost_getpc20407)>>32
	s_setpc_b64 s[14:15]
.LBB2_24289:
	s_movk_i32 s4, 0x80
	v_cmp_eq_u16_sdwa s[12:13], v9, s4 src0_sel:BYTE_0 src1_sel:DWORD
	s_mov_b64 s[4:5], -1
                                        ; implicit-def: $sgpr10
	s_and_saveexec_b64 s[8:9], s[12:13]
; %bb.24290:
	s_mov_b32 s10, 0x7f800001
	s_xor_b64 s[4:5], exec, -1
; %bb.24291:
	s_or_b64 exec, exec, s[8:9]
	s_and_b64 s[4:5], s[4:5], exec
	s_or_saveexec_b64 s[6:7], s[6:7]
	v_mov_b32_e32 v2, s10
	s_xor_b64 exec, exec, s[6:7]
	s_cbranch_execnz .LBB2_24292
; %bb.60129:
	s_getpc_b64 s[14:15]
.Lpost_getpc33648:
	s_add_u32 s14, s14, (.LBB2_9954-.Lpost_getpc33648)&4294967295
	s_addc_u32 s15, s15, (.LBB2_9954-.Lpost_getpc33648)>>32
	s_setpc_b64 s[14:15]
.LBB2_24292:
	v_mov_b32_e32 v2, 0
	v_cmp_ne_u16_sdwa s[8:9], v9, v2 src0_sel:BYTE_0 src1_sel:DWORD
	s_andn2_b64 s[4:5], s[4:5], exec
	s_and_b64 s[8:9], s[8:9], exec
	s_or_b64 s[4:5], s[4:5], s[8:9]
	s_or_b64 exec, exec, s[6:7]
	s_and_saveexec_b64 s[6:7], s[4:5]
	s_cbranch_execz .LBB2_33649
; %bb.60131:
	s_getpc_b64 s[14:15]
.Lpost_getpc33649:
	s_add_u32 s14, s14, (.LBB2_9955-.Lpost_getpc33649)&4294967295
	s_addc_u32 s15, s15, (.LBB2_9955-.Lpost_getpc33649)>>32
	s_setpc_b64 s[14:15]
.LBB2_33649:
	s_getpc_b64 s[14:15]
.Lpost_getpc20408:
	s_add_u32 s14, s14, (.LBB2_9956-.Lpost_getpc20408)&4294967295
	s_addc_u32 s15, s15, (.LBB2_9956-.Lpost_getpc20408)>>32
	s_setpc_b64 s[14:15]
.LBB2_24293:
	s_movk_i32 s4, 0x80
	v_cmp_eq_u16_sdwa s[12:13], v5, s4 src0_sel:BYTE_0 src1_sel:DWORD
	s_mov_b64 s[4:5], -1
                                        ; implicit-def: $sgpr10
	s_and_saveexec_b64 s[8:9], s[12:13]
; %bb.24294:
	s_mov_b32 s10, 0x7f800001
	s_xor_b64 s[4:5], exec, -1
; %bb.24295:
	s_or_b64 exec, exec, s[8:9]
	s_and_b64 s[4:5], s[4:5], exec
	s_or_saveexec_b64 s[6:7], s[6:7]
	v_mov_b32_e32 v3, s10
	s_xor_b64 exec, exec, s[6:7]
	s_cbranch_execnz .LBB2_24296
; %bb.60133:
	s_getpc_b64 s[14:15]
.Lpost_getpc33650:
	s_add_u32 s14, s14, (.LBB2_9958-.Lpost_getpc33650)&4294967295
	s_addc_u32 s15, s15, (.LBB2_9958-.Lpost_getpc33650)>>32
	s_setpc_b64 s[14:15]
.LBB2_24296:
	v_mov_b32_e32 v3, 0
	v_cmp_ne_u16_sdwa s[8:9], v5, v3 src0_sel:BYTE_0 src1_sel:DWORD
	s_andn2_b64 s[4:5], s[4:5], exec
	s_and_b64 s[8:9], s[8:9], exec
	s_or_b64 s[4:5], s[4:5], s[8:9]
	s_or_b64 exec, exec, s[6:7]
	s_and_saveexec_b64 s[6:7], s[4:5]
	s_cbranch_execz .LBB2_33651
; %bb.60135:
	s_getpc_b64 s[14:15]
.Lpost_getpc33651:
	s_add_u32 s14, s14, (.LBB2_9959-.Lpost_getpc33651)&4294967295
	s_addc_u32 s15, s15, (.LBB2_9959-.Lpost_getpc33651)>>32
	s_setpc_b64 s[14:15]
.LBB2_33651:
	s_getpc_b64 s[14:15]
.Lpost_getpc20409:
	s_add_u32 s14, s14, (.LBB2_9960-.Lpost_getpc20409)&4294967295
	s_addc_u32 s15, s15, (.LBB2_9960-.Lpost_getpc20409)>>32
	s_setpc_b64 s[14:15]
.LBB2_24297:
	s_movk_i32 s4, 0x80
	v_cmp_eq_u16_sdwa s[12:13], v3, s4 src0_sel:BYTE_0 src1_sel:DWORD
	s_mov_b64 s[4:5], -1
                                        ; implicit-def: $sgpr10
	s_and_saveexec_b64 s[8:9], s[12:13]
; %bb.24298:
	s_mov_b32 s10, 0x7f800001
	s_xor_b64 s[4:5], exec, -1
; %bb.24299:
	s_or_b64 exec, exec, s[8:9]
	s_and_b64 s[4:5], s[4:5], exec
	s_or_saveexec_b64 s[6:7], s[6:7]
	v_mov_b32_e32 v2, s10
	s_xor_b64 exec, exec, s[6:7]
	s_cbranch_execnz .LBB2_24300
; %bb.60137:
	s_getpc_b64 s[14:15]
.Lpost_getpc33652:
	s_add_u32 s14, s14, (.LBB2_9962-.Lpost_getpc33652)&4294967295
	s_addc_u32 s15, s15, (.LBB2_9962-.Lpost_getpc33652)>>32
	s_setpc_b64 s[14:15]
.LBB2_24300:
	v_mov_b32_e32 v2, 0
	v_cmp_ne_u16_sdwa s[8:9], v3, v2 src0_sel:BYTE_0 src1_sel:DWORD
	s_andn2_b64 s[4:5], s[4:5], exec
	s_and_b64 s[8:9], s[8:9], exec
	s_or_b64 s[4:5], s[4:5], s[8:9]
	s_or_b64 exec, exec, s[6:7]
	s_and_saveexec_b64 s[6:7], s[4:5]
	s_cbranch_execz .LBB2_33653
; %bb.60139:
	s_getpc_b64 s[14:15]
.Lpost_getpc33653:
	s_add_u32 s14, s14, (.LBB2_9963-.Lpost_getpc33653)&4294967295
	s_addc_u32 s15, s15, (.LBB2_9963-.Lpost_getpc33653)>>32
	s_setpc_b64 s[14:15]
.LBB2_33653:
	s_getpc_b64 s[14:15]
.Lpost_getpc20410:
	s_add_u32 s14, s14, (.LBB2_9964-.Lpost_getpc20410)&4294967295
	s_addc_u32 s15, s15, (.LBB2_9964-.Lpost_getpc20410)>>32
	s_setpc_b64 s[14:15]
.LBB2_24301:
	s_movk_i32 s4, 0x80
	v_cmp_eq_u16_sdwa s[12:13], v3, s4 src0_sel:BYTE_0 src1_sel:DWORD
	s_mov_b64 s[4:5], -1
                                        ; implicit-def: $sgpr10
	s_and_saveexec_b64 s[8:9], s[12:13]
; %bb.24302:
	s_mov_b32 s10, 0x7f800001
	s_xor_b64 s[4:5], exec, -1
; %bb.24303:
	s_or_b64 exec, exec, s[8:9]
	s_and_b64 s[4:5], s[4:5], exec
	s_or_saveexec_b64 s[6:7], s[6:7]
	v_mov_b32_e32 v4, s10
	s_xor_b64 exec, exec, s[6:7]
	s_cbranch_execnz .LBB2_24304
; %bb.60141:
	s_getpc_b64 s[14:15]
.Lpost_getpc33654:
	s_add_u32 s14, s14, (.LBB2_9966-.Lpost_getpc33654)&4294967295
	s_addc_u32 s15, s15, (.LBB2_9966-.Lpost_getpc33654)>>32
	s_setpc_b64 s[14:15]
.LBB2_24304:
	v_mov_b32_e32 v4, 0
	v_cmp_ne_u16_sdwa s[8:9], v3, v4 src0_sel:BYTE_0 src1_sel:DWORD
	s_andn2_b64 s[4:5], s[4:5], exec
	s_and_b64 s[8:9], s[8:9], exec
	s_or_b64 s[4:5], s[4:5], s[8:9]
	s_or_b64 exec, exec, s[6:7]
	s_and_saveexec_b64 s[6:7], s[4:5]
	s_cbranch_execz .LBB2_33655
; %bb.60143:
	s_getpc_b64 s[14:15]
.Lpost_getpc33655:
	s_add_u32 s14, s14, (.LBB2_9967-.Lpost_getpc33655)&4294967295
	s_addc_u32 s15, s15, (.LBB2_9967-.Lpost_getpc33655)>>32
	s_setpc_b64 s[14:15]
.LBB2_33655:
	s_getpc_b64 s[14:15]
.Lpost_getpc20411:
	s_add_u32 s14, s14, (.LBB2_9968-.Lpost_getpc20411)&4294967295
	s_addc_u32 s15, s15, (.LBB2_9968-.Lpost_getpc20411)>>32
	s_setpc_b64 s[14:15]
.LBB2_24305:
	s_movk_i32 s4, 0x80
	v_cmp_eq_u16_e32 vcc, s4, v3
	s_mov_b64 s[4:5], -1
                                        ; implicit-def: $sgpr10
	s_and_saveexec_b64 s[8:9], vcc
; %bb.24306:
	s_mov_b32 s10, 0x7f800001
	s_xor_b64 s[4:5], exec, -1
; %bb.24307:
	s_or_b64 exec, exec, s[8:9]
	s_and_b64 s[4:5], s[4:5], exec
                                        ; implicit-def: $vgpr3
	s_or_saveexec_b64 s[6:7], s[6:7]
	v_mov_b32_e32 v2, s10
	s_xor_b64 exec, exec, s[6:7]
	s_cbranch_execnz .LBB2_24308
; %bb.60145:
	s_getpc_b64 s[14:15]
.Lpost_getpc33656:
	s_add_u32 s14, s14, (.LBB2_9970-.Lpost_getpc33656)&4294967295
	s_addc_u32 s15, s15, (.LBB2_9970-.Lpost_getpc33656)>>32
	s_setpc_b64 s[14:15]
.LBB2_24308:
	v_cmp_ne_u16_e32 vcc, 0, v3
	s_andn2_b64 s[4:5], s[4:5], exec
	s_and_b64 s[8:9], vcc, exec
	v_mov_b32_e32 v2, 0
	s_or_b64 s[4:5], s[4:5], s[8:9]
	s_or_b64 exec, exec, s[6:7]
	s_and_saveexec_b64 s[6:7], s[4:5]
	s_cbranch_execz .LBB2_33657
; %bb.60147:
	s_getpc_b64 s[14:15]
.Lpost_getpc33657:
	s_add_u32 s14, s14, (.LBB2_9971-.Lpost_getpc33657)&4294967295
	s_addc_u32 s15, s15, (.LBB2_9971-.Lpost_getpc33657)>>32
	s_setpc_b64 s[14:15]
.LBB2_33657:
	s_getpc_b64 s[14:15]
.Lpost_getpc20412:
	s_add_u32 s14, s14, (.LBB2_9972-.Lpost_getpc20412)&4294967295
	s_addc_u32 s15, s15, (.LBB2_9972-.Lpost_getpc20412)>>32
	s_setpc_b64 s[14:15]
.LBB2_24309:
	s_movk_i32 s4, 0x80
	v_cmp_eq_u16_e32 vcc, s4, v3
	s_mov_b64 s[4:5], -1
                                        ; implicit-def: $sgpr10
	s_and_saveexec_b64 s[8:9], vcc
; %bb.24310:
	s_mov_b32 s10, 0x7f800001
	s_xor_b64 s[4:5], exec, -1
; %bb.24311:
	s_or_b64 exec, exec, s[8:9]
	s_and_b64 s[4:5], s[4:5], exec
                                        ; implicit-def: $vgpr3
	s_or_saveexec_b64 s[6:7], s[6:7]
	v_mov_b32_e32 v4, s10
	s_xor_b64 exec, exec, s[6:7]
	s_cbranch_execnz .LBB2_24312
; %bb.60149:
	s_getpc_b64 s[14:15]
.Lpost_getpc33658:
	s_add_u32 s14, s14, (.LBB2_9974-.Lpost_getpc33658)&4294967295
	s_addc_u32 s15, s15, (.LBB2_9974-.Lpost_getpc33658)>>32
	s_setpc_b64 s[14:15]
.LBB2_24312:
	v_cmp_ne_u16_e32 vcc, 0, v3
	s_andn2_b64 s[4:5], s[4:5], exec
	s_and_b64 s[8:9], vcc, exec
	v_mov_b32_e32 v4, 0
	s_or_b64 s[4:5], s[4:5], s[8:9]
	s_or_b64 exec, exec, s[6:7]
	s_and_saveexec_b64 s[6:7], s[4:5]
	s_cbranch_execz .LBB2_33659
; %bb.60151:
	s_getpc_b64 s[14:15]
.Lpost_getpc33659:
	s_add_u32 s14, s14, (.LBB2_9975-.Lpost_getpc33659)&4294967295
	s_addc_u32 s15, s15, (.LBB2_9975-.Lpost_getpc33659)>>32
	s_setpc_b64 s[14:15]
.LBB2_33659:
	s_getpc_b64 s[14:15]
.Lpost_getpc20413:
	s_add_u32 s14, s14, (.LBB2_9976-.Lpost_getpc20413)&4294967295
	s_addc_u32 s15, s15, (.LBB2_9976-.Lpost_getpc20413)>>32
	s_setpc_b64 s[14:15]
.LBB2_24313:
	s_movk_i32 s4, 0x80
	v_cmp_eq_u16_sdwa s[12:13], v9, s4 src0_sel:BYTE_3 src1_sel:DWORD
	s_mov_b64 s[4:5], -1
                                        ; implicit-def: $sgpr10
	s_and_saveexec_b64 s[8:9], s[12:13]
; %bb.24314:
	s_mov_b32 s10, 0x7f800001
	s_xor_b64 s[4:5], exec, -1
; %bb.24315:
	s_or_b64 exec, exec, s[8:9]
	s_and_b64 s[4:5], s[4:5], exec
	s_or_saveexec_b64 s[6:7], s[6:7]
	v_mov_b32_e32 v2, s10
	s_xor_b64 exec, exec, s[6:7]
	s_cbranch_execnz .LBB2_24316
; %bb.60153:
	s_getpc_b64 s[14:15]
.Lpost_getpc33660:
	s_add_u32 s14, s14, (.LBB2_9978-.Lpost_getpc33660)&4294967295
	s_addc_u32 s15, s15, (.LBB2_9978-.Lpost_getpc33660)>>32
	s_setpc_b64 s[14:15]
.LBB2_24316:
	v_mov_b32_e32 v2, 0
	v_cmp_ne_u16_sdwa s[8:9], v9, v2 src0_sel:BYTE_3 src1_sel:DWORD
	s_andn2_b64 s[4:5], s[4:5], exec
	s_and_b64 s[8:9], s[8:9], exec
	s_or_b64 s[4:5], s[4:5], s[8:9]
	s_or_b64 exec, exec, s[6:7]
	s_and_saveexec_b64 s[6:7], s[4:5]
	s_cbranch_execz .LBB2_33661
; %bb.60155:
	s_getpc_b64 s[14:15]
.Lpost_getpc33661:
	s_add_u32 s14, s14, (.LBB2_9979-.Lpost_getpc33661)&4294967295
	s_addc_u32 s15, s15, (.LBB2_9979-.Lpost_getpc33661)>>32
	s_setpc_b64 s[14:15]
.LBB2_33661:
	s_getpc_b64 s[14:15]
.Lpost_getpc20414:
	s_add_u32 s14, s14, (.LBB2_9980-.Lpost_getpc20414)&4294967295
	s_addc_u32 s15, s15, (.LBB2_9980-.Lpost_getpc20414)>>32
	s_setpc_b64 s[14:15]
.LBB2_24317:
	s_movk_i32 s4, 0x80
	v_cmp_eq_u16_sdwa s[12:13], v5, s4 src0_sel:BYTE_3 src1_sel:DWORD
	s_mov_b64 s[4:5], -1
                                        ; implicit-def: $sgpr10
	s_and_saveexec_b64 s[8:9], s[12:13]
; %bb.24318:
	s_mov_b32 s10, 0x7f800001
	s_xor_b64 s[4:5], exec, -1
; %bb.24319:
	s_or_b64 exec, exec, s[8:9]
	s_and_b64 s[4:5], s[4:5], exec
	s_or_saveexec_b64 s[6:7], s[6:7]
	v_mov_b32_e32 v3, s10
	s_xor_b64 exec, exec, s[6:7]
	s_cbranch_execnz .LBB2_24320
; %bb.60157:
	s_getpc_b64 s[14:15]
.Lpost_getpc33662:
	s_add_u32 s14, s14, (.LBB2_9982-.Lpost_getpc33662)&4294967295
	s_addc_u32 s15, s15, (.LBB2_9982-.Lpost_getpc33662)>>32
	s_setpc_b64 s[14:15]
.LBB2_24320:
	v_mov_b32_e32 v3, 0
	v_cmp_ne_u16_sdwa s[8:9], v5, v3 src0_sel:BYTE_3 src1_sel:DWORD
	s_andn2_b64 s[4:5], s[4:5], exec
	s_and_b64 s[8:9], s[8:9], exec
	s_or_b64 s[4:5], s[4:5], s[8:9]
	s_or_b64 exec, exec, s[6:7]
	s_and_saveexec_b64 s[6:7], s[4:5]
	s_cbranch_execz .LBB2_33663
; %bb.60159:
	s_getpc_b64 s[14:15]
.Lpost_getpc33663:
	s_add_u32 s14, s14, (.LBB2_9983-.Lpost_getpc33663)&4294967295
	s_addc_u32 s15, s15, (.LBB2_9983-.Lpost_getpc33663)>>32
	s_setpc_b64 s[14:15]
.LBB2_33663:
	s_getpc_b64 s[14:15]
.Lpost_getpc20415:
	s_add_u32 s14, s14, (.LBB2_9984-.Lpost_getpc20415)&4294967295
	s_addc_u32 s15, s15, (.LBB2_9984-.Lpost_getpc20415)>>32
	s_setpc_b64 s[14:15]
.LBB2_24321:
	s_movk_i32 s4, 0x80
	v_cmp_eq_u16_sdwa s[12:13], v6, s4 src0_sel:BYTE_0 src1_sel:DWORD
	s_mov_b64 s[4:5], -1
                                        ; implicit-def: $sgpr10
	s_and_saveexec_b64 s[8:9], s[12:13]
; %bb.24322:
	s_mov_b32 s10, 0x7f800001
	s_xor_b64 s[4:5], exec, -1
; %bb.24323:
	s_or_b64 exec, exec, s[8:9]
	s_and_b64 s[4:5], s[4:5], exec
	s_or_saveexec_b64 s[6:7], s[6:7]
	v_mov_b32_e32 v12, s10
	s_xor_b64 exec, exec, s[6:7]
	s_cbranch_execnz .LBB2_24324
; %bb.60161:
	s_getpc_b64 s[14:15]
.Lpost_getpc33664:
	s_add_u32 s14, s14, (.LBB2_9986-.Lpost_getpc33664)&4294967295
	s_addc_u32 s15, s15, (.LBB2_9986-.Lpost_getpc33664)>>32
	s_setpc_b64 s[14:15]
.LBB2_24324:
	v_mov_b32_e32 v12, 0
	v_cmp_ne_u16_sdwa s[8:9], v6, v12 src0_sel:BYTE_0 src1_sel:DWORD
	s_andn2_b64 s[4:5], s[4:5], exec
	s_and_b64 s[8:9], s[8:9], exec
	s_or_b64 s[4:5], s[4:5], s[8:9]
	s_or_b64 exec, exec, s[6:7]
	s_and_saveexec_b64 s[6:7], s[4:5]
	s_cbranch_execz .LBB2_33665
; %bb.60163:
	s_getpc_b64 s[14:15]
.Lpost_getpc33665:
	s_add_u32 s14, s14, (.LBB2_9987-.Lpost_getpc33665)&4294967295
	s_addc_u32 s15, s15, (.LBB2_9987-.Lpost_getpc33665)>>32
	s_setpc_b64 s[14:15]
.LBB2_33665:
	s_getpc_b64 s[14:15]
.Lpost_getpc20416:
	s_add_u32 s14, s14, (.LBB2_9988-.Lpost_getpc20416)&4294967295
	s_addc_u32 s15, s15, (.LBB2_9988-.Lpost_getpc20416)>>32
	s_setpc_b64 s[14:15]
.LBB2_24325:
	s_movk_i32 s4, 0x80
	v_cmp_eq_u16_sdwa s[12:13], v2, s4 src0_sel:BYTE_0 src1_sel:DWORD
	s_mov_b64 s[4:5], -1
                                        ; implicit-def: $sgpr10
	s_and_saveexec_b64 s[8:9], s[12:13]
; %bb.24326:
	s_mov_b32 s10, 0x7f800001
	s_xor_b64 s[4:5], exec, -1
; %bb.24327:
	s_or_b64 exec, exec, s[8:9]
	s_and_b64 s[4:5], s[4:5], exec
	s_or_saveexec_b64 s[6:7], s[6:7]
	v_mov_b32_e32 v13, s10
	s_xor_b64 exec, exec, s[6:7]
	s_cbranch_execnz .LBB2_24328
; %bb.60165:
	s_getpc_b64 s[14:15]
.Lpost_getpc33666:
	s_add_u32 s14, s14, (.LBB2_9990-.Lpost_getpc33666)&4294967295
	s_addc_u32 s15, s15, (.LBB2_9990-.Lpost_getpc33666)>>32
	s_setpc_b64 s[14:15]
.LBB2_24328:
	v_mov_b32_e32 v13, 0
	v_cmp_ne_u16_sdwa s[8:9], v2, v13 src0_sel:BYTE_0 src1_sel:DWORD
	s_andn2_b64 s[4:5], s[4:5], exec
	s_and_b64 s[8:9], s[8:9], exec
	s_or_b64 s[4:5], s[4:5], s[8:9]
	s_or_b64 exec, exec, s[6:7]
	s_and_saveexec_b64 s[6:7], s[4:5]
	s_cbranch_execz .LBB2_33667
; %bb.60167:
	s_getpc_b64 s[14:15]
.Lpost_getpc33667:
	s_add_u32 s14, s14, (.LBB2_9991-.Lpost_getpc33667)&4294967295
	s_addc_u32 s15, s15, (.LBB2_9991-.Lpost_getpc33667)>>32
	s_setpc_b64 s[14:15]
.LBB2_33667:
	s_getpc_b64 s[14:15]
.Lpost_getpc20417:
	s_add_u32 s14, s14, (.LBB2_9992-.Lpost_getpc20417)&4294967295
	s_addc_u32 s15, s15, (.LBB2_9992-.Lpost_getpc20417)>>32
	s_setpc_b64 s[14:15]
.LBB2_24329:
	s_movk_i32 s4, 0x80
	v_cmp_eq_u16_sdwa s[12:13], v13, s4 src0_sel:BYTE_0 src1_sel:DWORD
	s_mov_b64 s[4:5], -1
                                        ; implicit-def: $sgpr10
	s_and_saveexec_b64 s[8:9], s[12:13]
; %bb.24330:
	s_mov_b32 s10, 0x7f800001
	s_xor_b64 s[4:5], exec, -1
; %bb.24331:
	s_or_b64 exec, exec, s[8:9]
	s_and_b64 s[4:5], s[4:5], exec
	s_or_saveexec_b64 s[6:7], s[6:7]
	v_mov_b32_e32 v12, s10
	s_xor_b64 exec, exec, s[6:7]
	s_cbranch_execnz .LBB2_24332
; %bb.60169:
	s_getpc_b64 s[14:15]
.Lpost_getpc33668:
	s_add_u32 s14, s14, (.LBB2_9994-.Lpost_getpc33668)&4294967295
	s_addc_u32 s15, s15, (.LBB2_9994-.Lpost_getpc33668)>>32
	s_setpc_b64 s[14:15]
.LBB2_24332:
	v_mov_b32_e32 v12, 0
	v_cmp_ne_u16_sdwa s[8:9], v13, v12 src0_sel:BYTE_0 src1_sel:DWORD
	s_andn2_b64 s[4:5], s[4:5], exec
	s_and_b64 s[8:9], s[8:9], exec
	s_or_b64 s[4:5], s[4:5], s[8:9]
	s_or_b64 exec, exec, s[6:7]
	s_and_saveexec_b64 s[6:7], s[4:5]
	s_cbranch_execz .LBB2_33669
; %bb.60171:
	s_getpc_b64 s[14:15]
.Lpost_getpc33669:
	s_add_u32 s14, s14, (.LBB2_9995-.Lpost_getpc33669)&4294967295
	s_addc_u32 s15, s15, (.LBB2_9995-.Lpost_getpc33669)>>32
	s_setpc_b64 s[14:15]
.LBB2_33669:
	s_getpc_b64 s[14:15]
.Lpost_getpc20418:
	s_add_u32 s14, s14, (.LBB2_9996-.Lpost_getpc20418)&4294967295
	s_addc_u32 s15, s15, (.LBB2_9996-.Lpost_getpc20418)>>32
	s_setpc_b64 s[14:15]
.LBB2_24333:
	s_movk_i32 s4, 0x80
	v_cmp_eq_u16_sdwa s[12:13], v13, s4 src0_sel:BYTE_0 src1_sel:DWORD
	s_mov_b64 s[4:5], -1
                                        ; implicit-def: $sgpr10
	s_and_saveexec_b64 s[8:9], s[12:13]
; %bb.24334:
	s_mov_b32 s10, 0x7f800001
	s_xor_b64 s[4:5], exec, -1
; %bb.24335:
	s_or_b64 exec, exec, s[8:9]
	s_and_b64 s[4:5], s[4:5], exec
	s_or_saveexec_b64 s[6:7], s[6:7]
	v_mov_b32_e32 v14, s10
	s_xor_b64 exec, exec, s[6:7]
	s_cbranch_execnz .LBB2_24336
; %bb.60173:
	s_getpc_b64 s[14:15]
.Lpost_getpc33670:
	s_add_u32 s14, s14, (.LBB2_9998-.Lpost_getpc33670)&4294967295
	s_addc_u32 s15, s15, (.LBB2_9998-.Lpost_getpc33670)>>32
	s_setpc_b64 s[14:15]
.LBB2_24336:
	v_mov_b32_e32 v14, 0
	v_cmp_ne_u16_sdwa s[8:9], v13, v14 src0_sel:BYTE_0 src1_sel:DWORD
	s_andn2_b64 s[4:5], s[4:5], exec
	s_and_b64 s[8:9], s[8:9], exec
	s_or_b64 s[4:5], s[4:5], s[8:9]
	s_or_b64 exec, exec, s[6:7]
	s_and_saveexec_b64 s[6:7], s[4:5]
	s_cbranch_execz .LBB2_33671
; %bb.60175:
	s_getpc_b64 s[14:15]
.Lpost_getpc33671:
	s_add_u32 s14, s14, (.LBB2_9999-.Lpost_getpc33671)&4294967295
	s_addc_u32 s15, s15, (.LBB2_9999-.Lpost_getpc33671)>>32
	s_setpc_b64 s[14:15]
.LBB2_33671:
	s_getpc_b64 s[14:15]
.Lpost_getpc20419:
	s_add_u32 s14, s14, (.LBB2_10000-.Lpost_getpc20419)&4294967295
	s_addc_u32 s15, s15, (.LBB2_10000-.Lpost_getpc20419)>>32
	s_setpc_b64 s[14:15]
.LBB2_24337:
	s_movk_i32 s4, 0x80
	v_cmp_eq_u16_e32 vcc, s4, v13
	s_mov_b64 s[4:5], -1
                                        ; implicit-def: $sgpr10
	s_and_saveexec_b64 s[8:9], vcc
; %bb.24338:
	s_mov_b32 s10, 0x7f800001
	s_xor_b64 s[4:5], exec, -1
; %bb.24339:
	s_or_b64 exec, exec, s[8:9]
	s_and_b64 s[4:5], s[4:5], exec
                                        ; implicit-def: $vgpr13
	s_or_saveexec_b64 s[6:7], s[6:7]
	v_mov_b32_e32 v12, s10
	s_xor_b64 exec, exec, s[6:7]
	s_cbranch_execnz .LBB2_24340
; %bb.60177:
	s_getpc_b64 s[14:15]
.Lpost_getpc33672:
	s_add_u32 s14, s14, (.LBB2_10002-.Lpost_getpc33672)&4294967295
	s_addc_u32 s15, s15, (.LBB2_10002-.Lpost_getpc33672)>>32
	s_setpc_b64 s[14:15]
.LBB2_24340:
	v_cmp_ne_u16_e32 vcc, 0, v13
	s_andn2_b64 s[4:5], s[4:5], exec
	s_and_b64 s[8:9], vcc, exec
	v_mov_b32_e32 v12, 0
	s_or_b64 s[4:5], s[4:5], s[8:9]
	s_or_b64 exec, exec, s[6:7]
	s_and_saveexec_b64 s[6:7], s[4:5]
	s_cbranch_execz .LBB2_33673
; %bb.60179:
	s_getpc_b64 s[14:15]
.Lpost_getpc33673:
	s_add_u32 s14, s14, (.LBB2_10003-.Lpost_getpc33673)&4294967295
	s_addc_u32 s15, s15, (.LBB2_10003-.Lpost_getpc33673)>>32
	s_setpc_b64 s[14:15]
.LBB2_33673:
	s_getpc_b64 s[14:15]
.Lpost_getpc20420:
	s_add_u32 s14, s14, (.LBB2_10004-.Lpost_getpc20420)&4294967295
	s_addc_u32 s15, s15, (.LBB2_10004-.Lpost_getpc20420)>>32
	s_setpc_b64 s[14:15]
.LBB2_24341:
	s_movk_i32 s4, 0x80
	v_cmp_eq_u16_e32 vcc, s4, v13
	s_mov_b64 s[4:5], -1
                                        ; implicit-def: $sgpr10
	s_and_saveexec_b64 s[8:9], vcc
; %bb.24342:
	s_mov_b32 s10, 0x7f800001
	s_xor_b64 s[4:5], exec, -1
; %bb.24343:
	s_or_b64 exec, exec, s[8:9]
	s_and_b64 s[4:5], s[4:5], exec
                                        ; implicit-def: $vgpr13
	s_or_saveexec_b64 s[6:7], s[6:7]
	v_mov_b32_e32 v14, s10
	s_xor_b64 exec, exec, s[6:7]
	s_cbranch_execnz .LBB2_24344
; %bb.60181:
	s_getpc_b64 s[14:15]
.Lpost_getpc33674:
	s_add_u32 s14, s14, (.LBB2_10006-.Lpost_getpc33674)&4294967295
	s_addc_u32 s15, s15, (.LBB2_10006-.Lpost_getpc33674)>>32
	s_setpc_b64 s[14:15]
.LBB2_24344:
	v_cmp_ne_u16_e32 vcc, 0, v13
	s_andn2_b64 s[4:5], s[4:5], exec
	s_and_b64 s[8:9], vcc, exec
	v_mov_b32_e32 v14, 0
	s_or_b64 s[4:5], s[4:5], s[8:9]
	s_or_b64 exec, exec, s[6:7]
	s_and_saveexec_b64 s[6:7], s[4:5]
	s_cbranch_execz .LBB2_33675
; %bb.60183:
	s_getpc_b64 s[14:15]
.Lpost_getpc33675:
	s_add_u32 s14, s14, (.LBB2_10007-.Lpost_getpc33675)&4294967295
	s_addc_u32 s15, s15, (.LBB2_10007-.Lpost_getpc33675)>>32
	s_setpc_b64 s[14:15]
.LBB2_33675:
	s_getpc_b64 s[14:15]
.Lpost_getpc20421:
	s_add_u32 s14, s14, (.LBB2_10008-.Lpost_getpc20421)&4294967295
	s_addc_u32 s15, s15, (.LBB2_10008-.Lpost_getpc20421)>>32
	s_setpc_b64 s[14:15]
.LBB2_24345:
	s_movk_i32 s4, 0x80
	v_cmp_eq_u16_sdwa s[12:13], v6, s4 src0_sel:BYTE_3 src1_sel:DWORD
	s_mov_b64 s[4:5], -1
                                        ; implicit-def: $sgpr10
	s_and_saveexec_b64 s[8:9], s[12:13]
; %bb.24346:
	s_mov_b32 s10, 0x7f800001
	s_xor_b64 s[4:5], exec, -1
; %bb.24347:
	s_or_b64 exec, exec, s[8:9]
	s_and_b64 s[4:5], s[4:5], exec
	s_or_saveexec_b64 s[6:7], s[6:7]
	v_mov_b32_e32 v12, s10
	s_xor_b64 exec, exec, s[6:7]
	s_cbranch_execnz .LBB2_24348
; %bb.60185:
	s_getpc_b64 s[14:15]
.Lpost_getpc33676:
	s_add_u32 s14, s14, (.LBB2_10010-.Lpost_getpc33676)&4294967295
	s_addc_u32 s15, s15, (.LBB2_10010-.Lpost_getpc33676)>>32
	s_setpc_b64 s[14:15]
.LBB2_24348:
	v_mov_b32_e32 v12, 0
	v_cmp_ne_u16_sdwa s[8:9], v6, v12 src0_sel:BYTE_3 src1_sel:DWORD
	s_andn2_b64 s[4:5], s[4:5], exec
	s_and_b64 s[8:9], s[8:9], exec
	s_or_b64 s[4:5], s[4:5], s[8:9]
	s_or_b64 exec, exec, s[6:7]
	s_and_saveexec_b64 s[6:7], s[4:5]
	s_cbranch_execz .LBB2_33677
; %bb.60187:
	s_getpc_b64 s[14:15]
.Lpost_getpc33677:
	s_add_u32 s14, s14, (.LBB2_10011-.Lpost_getpc33677)&4294967295
	s_addc_u32 s15, s15, (.LBB2_10011-.Lpost_getpc33677)>>32
	s_setpc_b64 s[14:15]
.LBB2_33677:
	s_getpc_b64 s[14:15]
.Lpost_getpc20422:
	s_add_u32 s14, s14, (.LBB2_10012-.Lpost_getpc20422)&4294967295
	s_addc_u32 s15, s15, (.LBB2_10012-.Lpost_getpc20422)>>32
	s_setpc_b64 s[14:15]
.LBB2_24349:
	s_movk_i32 s4, 0x80
	v_cmp_eq_u16_sdwa s[12:13], v2, s4 src0_sel:BYTE_3 src1_sel:DWORD
	s_mov_b64 s[4:5], -1
                                        ; implicit-def: $sgpr10
	s_and_saveexec_b64 s[8:9], s[12:13]
; %bb.24350:
	s_mov_b32 s10, 0x7f800001
	s_xor_b64 s[4:5], exec, -1
; %bb.24351:
	s_or_b64 exec, exec, s[8:9]
	s_and_b64 s[4:5], s[4:5], exec
	s_or_saveexec_b64 s[6:7], s[6:7]
	v_mov_b32_e32 v6, s10
	s_xor_b64 exec, exec, s[6:7]
	s_cbranch_execnz .LBB2_24352
; %bb.60189:
	s_getpc_b64 s[14:15]
.Lpost_getpc33678:
	s_add_u32 s14, s14, (.LBB2_10014-.Lpost_getpc33678)&4294967295
	s_addc_u32 s15, s15, (.LBB2_10014-.Lpost_getpc33678)>>32
	s_setpc_b64 s[14:15]
.LBB2_24352:
	v_mov_b32_e32 v6, 0
	v_cmp_ne_u16_sdwa s[8:9], v2, v6 src0_sel:BYTE_3 src1_sel:DWORD
	s_andn2_b64 s[4:5], s[4:5], exec
	s_and_b64 s[8:9], s[8:9], exec
	s_or_b64 s[4:5], s[4:5], s[8:9]
	s_or_b64 exec, exec, s[6:7]
	s_and_saveexec_b64 s[6:7], s[4:5]
	s_cbranch_execz .LBB2_33679
; %bb.60191:
	s_getpc_b64 s[14:15]
.Lpost_getpc33679:
	s_add_u32 s14, s14, (.LBB2_10015-.Lpost_getpc33679)&4294967295
	s_addc_u32 s15, s15, (.LBB2_10015-.Lpost_getpc33679)>>32
	s_setpc_b64 s[14:15]
.LBB2_33679:
	s_getpc_b64 s[14:15]
.Lpost_getpc20423:
	s_add_u32 s14, s14, (.LBB2_10016-.Lpost_getpc20423)&4294967295
	s_addc_u32 s15, s15, (.LBB2_10016-.Lpost_getpc20423)>>32
	s_setpc_b64 s[14:15]
.LBB2_24353:
	s_movk_i32 s4, 0x80
	v_cmp_eq_u16_sdwa s[12:13], v7, s4 src0_sel:BYTE_0 src1_sel:DWORD
	s_mov_b64 s[4:5], -1
                                        ; implicit-def: $sgpr10
	s_and_saveexec_b64 s[8:9], s[12:13]
; %bb.24354:
	s_mov_b32 s10, 0x7f800001
	s_xor_b64 s[4:5], exec, -1
; %bb.24355:
	s_or_b64 exec, exec, s[8:9]
	s_and_b64 s[4:5], s[4:5], exec
	s_or_saveexec_b64 s[6:7], s[6:7]
	v_mov_b32_e32 v2, s10
	s_xor_b64 exec, exec, s[6:7]
	s_cbranch_execnz .LBB2_24356
; %bb.60193:
	s_getpc_b64 s[14:15]
.Lpost_getpc33680:
	s_add_u32 s14, s14, (.LBB2_10018-.Lpost_getpc33680)&4294967295
	s_addc_u32 s15, s15, (.LBB2_10018-.Lpost_getpc33680)>>32
	s_setpc_b64 s[14:15]
.LBB2_24356:
	v_mov_b32_e32 v2, 0
	v_cmp_ne_u16_sdwa s[8:9], v7, v2 src0_sel:BYTE_0 src1_sel:DWORD
	s_andn2_b64 s[4:5], s[4:5], exec
	s_and_b64 s[8:9], s[8:9], exec
	s_or_b64 s[4:5], s[4:5], s[8:9]
	s_or_b64 exec, exec, s[6:7]
	s_and_saveexec_b64 s[6:7], s[4:5]
	s_cbranch_execz .LBB2_33681
; %bb.60195:
	s_getpc_b64 s[14:15]
.Lpost_getpc33681:
	s_add_u32 s14, s14, (.LBB2_10019-.Lpost_getpc33681)&4294967295
	s_addc_u32 s15, s15, (.LBB2_10019-.Lpost_getpc33681)>>32
	s_setpc_b64 s[14:15]
.LBB2_33681:
	s_getpc_b64 s[14:15]
.Lpost_getpc20424:
	s_add_u32 s14, s14, (.LBB2_10020-.Lpost_getpc20424)&4294967295
	s_addc_u32 s15, s15, (.LBB2_10020-.Lpost_getpc20424)>>32
	s_setpc_b64 s[14:15]
.LBB2_24357:
	s_movk_i32 s4, 0x80
	v_cmp_eq_u16_sdwa s[12:13], v3, s4 src0_sel:BYTE_0 src1_sel:DWORD
	s_mov_b64 s[4:5], -1
                                        ; implicit-def: $sgpr10
	s_and_saveexec_b64 s[8:9], s[12:13]
; %bb.24358:
	s_mov_b32 s10, 0x7f800001
	s_xor_b64 s[4:5], exec, -1
; %bb.24359:
	s_or_b64 exec, exec, s[8:9]
	s_and_b64 s[4:5], s[4:5], exec
	s_or_saveexec_b64 s[6:7], s[6:7]
	v_mov_b32_e32 v6, s10
	s_xor_b64 exec, exec, s[6:7]
	s_cbranch_execnz .LBB2_24360
; %bb.60197:
	s_getpc_b64 s[14:15]
.Lpost_getpc33682:
	s_add_u32 s14, s14, (.LBB2_10022-.Lpost_getpc33682)&4294967295
	s_addc_u32 s15, s15, (.LBB2_10022-.Lpost_getpc33682)>>32
	s_setpc_b64 s[14:15]
.LBB2_24360:
	v_mov_b32_e32 v6, 0
	v_cmp_ne_u16_sdwa s[8:9], v3, v6 src0_sel:BYTE_0 src1_sel:DWORD
	s_andn2_b64 s[4:5], s[4:5], exec
	s_and_b64 s[8:9], s[8:9], exec
	s_or_b64 s[4:5], s[4:5], s[8:9]
	s_or_b64 exec, exec, s[6:7]
	s_and_saveexec_b64 s[6:7], s[4:5]
	s_cbranch_execz .LBB2_33683
; %bb.60199:
	s_getpc_b64 s[14:15]
.Lpost_getpc33683:
	s_add_u32 s14, s14, (.LBB2_10023-.Lpost_getpc33683)&4294967295
	s_addc_u32 s15, s15, (.LBB2_10023-.Lpost_getpc33683)>>32
	s_setpc_b64 s[14:15]
.LBB2_33683:
	s_getpc_b64 s[14:15]
.Lpost_getpc20425:
	s_add_u32 s14, s14, (.LBB2_10024-.Lpost_getpc20425)&4294967295
	s_addc_u32 s15, s15, (.LBB2_10024-.Lpost_getpc20425)>>32
	s_setpc_b64 s[14:15]
.LBB2_24361:
	s_movk_i32 s4, 0x80
	v_cmp_eq_u16_sdwa s[12:13], v6, s4 src0_sel:BYTE_0 src1_sel:DWORD
	s_mov_b64 s[4:5], -1
                                        ; implicit-def: $sgpr10
	s_and_saveexec_b64 s[8:9], s[12:13]
; %bb.24362:
	s_mov_b32 s10, 0x7f800001
	s_xor_b64 s[4:5], exec, -1
; %bb.24363:
	s_or_b64 exec, exec, s[8:9]
	s_and_b64 s[4:5], s[4:5], exec
	s_or_saveexec_b64 s[6:7], s[6:7]
	v_mov_b32_e32 v2, s10
	s_xor_b64 exec, exec, s[6:7]
	s_cbranch_execnz .LBB2_24364
; %bb.60201:
	s_getpc_b64 s[14:15]
.Lpost_getpc33684:
	s_add_u32 s14, s14, (.LBB2_10026-.Lpost_getpc33684)&4294967295
	s_addc_u32 s15, s15, (.LBB2_10026-.Lpost_getpc33684)>>32
	s_setpc_b64 s[14:15]
.LBB2_24364:
	v_mov_b32_e32 v2, 0
	v_cmp_ne_u16_sdwa s[8:9], v6, v2 src0_sel:BYTE_0 src1_sel:DWORD
	s_andn2_b64 s[4:5], s[4:5], exec
	s_and_b64 s[8:9], s[8:9], exec
	s_or_b64 s[4:5], s[4:5], s[8:9]
	s_or_b64 exec, exec, s[6:7]
	s_and_saveexec_b64 s[6:7], s[4:5]
	s_cbranch_execz .LBB2_33685
; %bb.60203:
	s_getpc_b64 s[14:15]
.Lpost_getpc33685:
	s_add_u32 s14, s14, (.LBB2_10027-.Lpost_getpc33685)&4294967295
	s_addc_u32 s15, s15, (.LBB2_10027-.Lpost_getpc33685)>>32
	s_setpc_b64 s[14:15]
.LBB2_33685:
	s_getpc_b64 s[14:15]
.Lpost_getpc20426:
	s_add_u32 s14, s14, (.LBB2_10028-.Lpost_getpc20426)&4294967295
	s_addc_u32 s15, s15, (.LBB2_10028-.Lpost_getpc20426)>>32
	s_setpc_b64 s[14:15]
.LBB2_24365:
	s_movk_i32 s4, 0x80
	v_cmp_eq_u16_sdwa s[12:13], v6, s4 src0_sel:BYTE_0 src1_sel:DWORD
	s_mov_b64 s[4:5], -1
                                        ; implicit-def: $sgpr10
	s_and_saveexec_b64 s[8:9], s[12:13]
; %bb.24366:
	s_mov_b32 s10, 0x7f800001
	s_xor_b64 s[4:5], exec, -1
; %bb.24367:
	s_or_b64 exec, exec, s[8:9]
	s_and_b64 s[4:5], s[4:5], exec
	s_or_saveexec_b64 s[6:7], s[6:7]
	v_mov_b32_e32 v12, s10
	s_xor_b64 exec, exec, s[6:7]
	s_cbranch_execnz .LBB2_24368
; %bb.60205:
	s_getpc_b64 s[14:15]
.Lpost_getpc33686:
	s_add_u32 s14, s14, (.LBB2_10030-.Lpost_getpc33686)&4294967295
	s_addc_u32 s15, s15, (.LBB2_10030-.Lpost_getpc33686)>>32
	s_setpc_b64 s[14:15]
.LBB2_24368:
	v_mov_b32_e32 v12, 0
	v_cmp_ne_u16_sdwa s[8:9], v6, v12 src0_sel:BYTE_0 src1_sel:DWORD
	s_andn2_b64 s[4:5], s[4:5], exec
	s_and_b64 s[8:9], s[8:9], exec
	s_or_b64 s[4:5], s[4:5], s[8:9]
	s_or_b64 exec, exec, s[6:7]
	s_and_saveexec_b64 s[6:7], s[4:5]
	s_cbranch_execz .LBB2_33687
; %bb.60207:
	s_getpc_b64 s[14:15]
.Lpost_getpc33687:
	s_add_u32 s14, s14, (.LBB2_10031-.Lpost_getpc33687)&4294967295
	s_addc_u32 s15, s15, (.LBB2_10031-.Lpost_getpc33687)>>32
	s_setpc_b64 s[14:15]
.LBB2_33687:
	s_getpc_b64 s[14:15]
.Lpost_getpc20427:
	s_add_u32 s14, s14, (.LBB2_10032-.Lpost_getpc20427)&4294967295
	s_addc_u32 s15, s15, (.LBB2_10032-.Lpost_getpc20427)>>32
	s_setpc_b64 s[14:15]
.LBB2_24369:
	s_movk_i32 s4, 0x80
	v_cmp_eq_u16_e32 vcc, s4, v6
	s_mov_b64 s[4:5], -1
                                        ; implicit-def: $sgpr10
	s_and_saveexec_b64 s[8:9], vcc
; %bb.24370:
	s_mov_b32 s10, 0x7f800001
	s_xor_b64 s[4:5], exec, -1
; %bb.24371:
	s_or_b64 exec, exec, s[8:9]
	s_and_b64 s[4:5], s[4:5], exec
                                        ; implicit-def: $vgpr6
	s_or_saveexec_b64 s[6:7], s[6:7]
	v_mov_b32_e32 v2, s10
	s_xor_b64 exec, exec, s[6:7]
	s_cbranch_execnz .LBB2_24372
; %bb.60209:
	s_getpc_b64 s[14:15]
.Lpost_getpc33688:
	s_add_u32 s14, s14, (.LBB2_10034-.Lpost_getpc33688)&4294967295
	s_addc_u32 s15, s15, (.LBB2_10034-.Lpost_getpc33688)>>32
	s_setpc_b64 s[14:15]
.LBB2_24372:
	v_cmp_ne_u16_e32 vcc, 0, v6
	s_andn2_b64 s[4:5], s[4:5], exec
	s_and_b64 s[8:9], vcc, exec
	v_mov_b32_e32 v2, 0
	s_or_b64 s[4:5], s[4:5], s[8:9]
	s_or_b64 exec, exec, s[6:7]
	s_and_saveexec_b64 s[6:7], s[4:5]
	s_cbranch_execz .LBB2_33689
; %bb.60211:
	s_getpc_b64 s[14:15]
.Lpost_getpc33689:
	s_add_u32 s14, s14, (.LBB2_10035-.Lpost_getpc33689)&4294967295
	s_addc_u32 s15, s15, (.LBB2_10035-.Lpost_getpc33689)>>32
	s_setpc_b64 s[14:15]
.LBB2_33689:
	s_getpc_b64 s[14:15]
.Lpost_getpc20428:
	s_add_u32 s14, s14, (.LBB2_10036-.Lpost_getpc20428)&4294967295
	s_addc_u32 s15, s15, (.LBB2_10036-.Lpost_getpc20428)>>32
	s_setpc_b64 s[14:15]
.LBB2_24373:
	s_movk_i32 s4, 0x80
	v_cmp_eq_u16_e32 vcc, s4, v6
	s_mov_b64 s[4:5], -1
                                        ; implicit-def: $sgpr10
	s_and_saveexec_b64 s[8:9], vcc
; %bb.24374:
	s_mov_b32 s10, 0x7f800001
	s_xor_b64 s[4:5], exec, -1
; %bb.24375:
	s_or_b64 exec, exec, s[8:9]
	s_and_b64 s[4:5], s[4:5], exec
                                        ; implicit-def: $vgpr6
	s_or_saveexec_b64 s[6:7], s[6:7]
	v_mov_b32_e32 v12, s10
	s_xor_b64 exec, exec, s[6:7]
	s_cbranch_execnz .LBB2_24376
; %bb.60213:
	s_getpc_b64 s[14:15]
.Lpost_getpc33690:
	s_add_u32 s14, s14, (.LBB2_10038-.Lpost_getpc33690)&4294967295
	s_addc_u32 s15, s15, (.LBB2_10038-.Lpost_getpc33690)>>32
	s_setpc_b64 s[14:15]
.LBB2_24376:
	v_cmp_ne_u16_e32 vcc, 0, v6
	s_andn2_b64 s[4:5], s[4:5], exec
	s_and_b64 s[8:9], vcc, exec
	v_mov_b32_e32 v12, 0
	s_or_b64 s[4:5], s[4:5], s[8:9]
	s_or_b64 exec, exec, s[6:7]
	s_and_saveexec_b64 s[6:7], s[4:5]
	s_cbranch_execz .LBB2_33691
; %bb.60215:
	s_getpc_b64 s[14:15]
.Lpost_getpc33691:
	s_add_u32 s14, s14, (.LBB2_10039-.Lpost_getpc33691)&4294967295
	s_addc_u32 s15, s15, (.LBB2_10039-.Lpost_getpc33691)>>32
	s_setpc_b64 s[14:15]
.LBB2_33691:
	s_getpc_b64 s[14:15]
.Lpost_getpc20429:
	s_add_u32 s14, s14, (.LBB2_10040-.Lpost_getpc20429)&4294967295
	s_addc_u32 s15, s15, (.LBB2_10040-.Lpost_getpc20429)>>32
	s_setpc_b64 s[14:15]
.LBB2_24377:
	s_movk_i32 s4, 0x80
	v_cmp_eq_u16_sdwa s[12:13], v7, s4 src0_sel:BYTE_3 src1_sel:DWORD
	s_mov_b64 s[4:5], -1
                                        ; implicit-def: $sgpr10
	s_and_saveexec_b64 s[8:9], s[12:13]
; %bb.24378:
	s_mov_b32 s10, 0x7f800001
	s_xor_b64 s[4:5], exec, -1
; %bb.24379:
	s_or_b64 exec, exec, s[8:9]
	s_and_b64 s[4:5], s[4:5], exec
	s_or_saveexec_b64 s[6:7], s[6:7]
	v_mov_b32_e32 v2, s10
	s_xor_b64 exec, exec, s[6:7]
	s_cbranch_execnz .LBB2_24380
; %bb.60217:
	s_getpc_b64 s[14:15]
.Lpost_getpc33692:
	s_add_u32 s14, s14, (.LBB2_10042-.Lpost_getpc33692)&4294967295
	s_addc_u32 s15, s15, (.LBB2_10042-.Lpost_getpc33692)>>32
	s_setpc_b64 s[14:15]
.LBB2_24380:
	v_mov_b32_e32 v2, 0
	v_cmp_ne_u16_sdwa s[8:9], v7, v2 src0_sel:BYTE_3 src1_sel:DWORD
	s_andn2_b64 s[4:5], s[4:5], exec
	s_and_b64 s[8:9], s[8:9], exec
	s_or_b64 s[4:5], s[4:5], s[8:9]
	s_or_b64 exec, exec, s[6:7]
	s_and_saveexec_b64 s[6:7], s[4:5]
	s_cbranch_execz .LBB2_33693
; %bb.60219:
	s_getpc_b64 s[14:15]
.Lpost_getpc33693:
	s_add_u32 s14, s14, (.LBB2_10043-.Lpost_getpc33693)&4294967295
	s_addc_u32 s15, s15, (.LBB2_10043-.Lpost_getpc33693)>>32
	s_setpc_b64 s[14:15]
.LBB2_33693:
	s_getpc_b64 s[14:15]
.Lpost_getpc20430:
	s_add_u32 s14, s14, (.LBB2_10044-.Lpost_getpc20430)&4294967295
	s_addc_u32 s15, s15, (.LBB2_10044-.Lpost_getpc20430)>>32
	s_setpc_b64 s[14:15]
.LBB2_24381:
	s_movk_i32 s4, 0x80
	v_cmp_eq_u16_sdwa s[12:13], v3, s4 src0_sel:BYTE_3 src1_sel:DWORD
	s_mov_b64 s[4:5], -1
                                        ; implicit-def: $sgpr10
	s_and_saveexec_b64 s[8:9], s[12:13]
; %bb.24382:
	s_mov_b32 s10, 0x7f800001
	s_xor_b64 s[4:5], exec, -1
; %bb.24383:
	s_or_b64 exec, exec, s[8:9]
	s_and_b64 s[4:5], s[4:5], exec
	s_or_saveexec_b64 s[6:7], s[6:7]
	v_mov_b32_e32 v6, s10
	s_xor_b64 exec, exec, s[6:7]
	s_cbranch_execnz .LBB2_24384
; %bb.60221:
	s_getpc_b64 s[14:15]
.Lpost_getpc33694:
	s_add_u32 s14, s14, (.LBB2_10046-.Lpost_getpc33694)&4294967295
	s_addc_u32 s15, s15, (.LBB2_10046-.Lpost_getpc33694)>>32
	s_setpc_b64 s[14:15]
.LBB2_24384:
	v_mov_b32_e32 v6, 0
	v_cmp_ne_u16_sdwa s[8:9], v3, v6 src0_sel:BYTE_3 src1_sel:DWORD
	s_andn2_b64 s[4:5], s[4:5], exec
	s_and_b64 s[8:9], s[8:9], exec
	s_or_b64 s[4:5], s[4:5], s[8:9]
	s_or_b64 exec, exec, s[6:7]
	s_and_saveexec_b64 s[6:7], s[4:5]
	s_cbranch_execz .LBB2_33695
; %bb.60223:
	s_getpc_b64 s[14:15]
.Lpost_getpc33695:
	s_add_u32 s14, s14, (.LBB2_10047-.Lpost_getpc33695)&4294967295
	s_addc_u32 s15, s15, (.LBB2_10047-.Lpost_getpc33695)>>32
	s_setpc_b64 s[14:15]
.LBB2_33695:
	s_getpc_b64 s[14:15]
.Lpost_getpc20431:
	s_add_u32 s14, s14, (.LBB2_10048-.Lpost_getpc20431)&4294967295
	s_addc_u32 s15, s15, (.LBB2_10048-.Lpost_getpc20431)>>32
	s_setpc_b64 s[14:15]
.LBB2_24385:
	s_movk_i32 s4, 0x80
	v_cmp_eq_u16_sdwa s[12:13], v8, s4 src0_sel:BYTE_0 src1_sel:DWORD
	s_mov_b64 s[4:5], -1
                                        ; implicit-def: $sgpr10
	s_and_saveexec_b64 s[8:9], s[12:13]
; %bb.24386:
	s_mov_b32 s10, 0x7f800001
	s_xor_b64 s[4:5], exec, -1
; %bb.24387:
	s_or_b64 exec, exec, s[8:9]
	s_and_b64 s[4:5], s[4:5], exec
	s_or_saveexec_b64 s[6:7], s[6:7]
	v_mov_b32_e32 v2, s10
	s_xor_b64 exec, exec, s[6:7]
	s_cbranch_execnz .LBB2_24388
; %bb.60225:
	s_getpc_b64 s[14:15]
.Lpost_getpc33696:
	s_add_u32 s14, s14, (.LBB2_10050-.Lpost_getpc33696)&4294967295
	s_addc_u32 s15, s15, (.LBB2_10050-.Lpost_getpc33696)>>32
	s_setpc_b64 s[14:15]
.LBB2_24388:
	v_mov_b32_e32 v2, 0
	v_cmp_ne_u16_sdwa s[8:9], v8, v2 src0_sel:BYTE_0 src1_sel:DWORD
	s_andn2_b64 s[4:5], s[4:5], exec
	s_and_b64 s[8:9], s[8:9], exec
	s_or_b64 s[4:5], s[4:5], s[8:9]
	s_or_b64 exec, exec, s[6:7]
	s_and_saveexec_b64 s[6:7], s[4:5]
	s_cbranch_execz .LBB2_33697
; %bb.60227:
	s_getpc_b64 s[14:15]
.Lpost_getpc33697:
	s_add_u32 s14, s14, (.LBB2_10051-.Lpost_getpc33697)&4294967295
	s_addc_u32 s15, s15, (.LBB2_10051-.Lpost_getpc33697)>>32
	s_setpc_b64 s[14:15]
.LBB2_33697:
	s_getpc_b64 s[14:15]
.Lpost_getpc20432:
	s_add_u32 s14, s14, (.LBB2_10052-.Lpost_getpc20432)&4294967295
	s_addc_u32 s15, s15, (.LBB2_10052-.Lpost_getpc20432)>>32
	s_setpc_b64 s[14:15]
.LBB2_24389:
	s_movk_i32 s4, 0x80
	v_cmp_eq_u16_sdwa s[12:13], v4, s4 src0_sel:BYTE_0 src1_sel:DWORD
	s_mov_b64 s[4:5], -1
                                        ; implicit-def: $sgpr10
	s_and_saveexec_b64 s[8:9], s[12:13]
; %bb.24390:
	s_mov_b32 s10, 0x7f800001
	s_xor_b64 s[4:5], exec, -1
; %bb.24391:
	s_or_b64 exec, exec, s[8:9]
	s_and_b64 s[4:5], s[4:5], exec
	s_or_saveexec_b64 s[6:7], s[6:7]
	v_mov_b32_e32 v3, s10
	s_xor_b64 exec, exec, s[6:7]
	s_cbranch_execnz .LBB2_24392
; %bb.60229:
	s_getpc_b64 s[14:15]
.Lpost_getpc33698:
	s_add_u32 s14, s14, (.LBB2_10054-.Lpost_getpc33698)&4294967295
	s_addc_u32 s15, s15, (.LBB2_10054-.Lpost_getpc33698)>>32
	s_setpc_b64 s[14:15]
.LBB2_24392:
	v_mov_b32_e32 v3, 0
	v_cmp_ne_u16_sdwa s[8:9], v4, v3 src0_sel:BYTE_0 src1_sel:DWORD
	s_andn2_b64 s[4:5], s[4:5], exec
	s_and_b64 s[8:9], s[8:9], exec
	s_or_b64 s[4:5], s[4:5], s[8:9]
	s_or_b64 exec, exec, s[6:7]
	s_and_saveexec_b64 s[6:7], s[4:5]
	s_cbranch_execz .LBB2_33699
; %bb.60231:
	s_getpc_b64 s[14:15]
.Lpost_getpc33699:
	s_add_u32 s14, s14, (.LBB2_10055-.Lpost_getpc33699)&4294967295
	s_addc_u32 s15, s15, (.LBB2_10055-.Lpost_getpc33699)>>32
	s_setpc_b64 s[14:15]
.LBB2_33699:
	s_getpc_b64 s[14:15]
.Lpost_getpc20433:
	s_add_u32 s14, s14, (.LBB2_10056-.Lpost_getpc20433)&4294967295
	s_addc_u32 s15, s15, (.LBB2_10056-.Lpost_getpc20433)>>32
	s_setpc_b64 s[14:15]
.LBB2_24393:
	s_movk_i32 s4, 0x80
	v_cmp_eq_u16_sdwa s[12:13], v3, s4 src0_sel:BYTE_0 src1_sel:DWORD
	s_mov_b64 s[4:5], -1
                                        ; implicit-def: $sgpr10
	s_and_saveexec_b64 s[8:9], s[12:13]
; %bb.24394:
	s_mov_b32 s10, 0x7f800001
	s_xor_b64 s[4:5], exec, -1
; %bb.24395:
	s_or_b64 exec, exec, s[8:9]
	s_and_b64 s[4:5], s[4:5], exec
	s_or_saveexec_b64 s[6:7], s[6:7]
	v_mov_b32_e32 v2, s10
	s_xor_b64 exec, exec, s[6:7]
	s_cbranch_execnz .LBB2_24396
; %bb.60233:
	s_getpc_b64 s[14:15]
.Lpost_getpc33700:
	s_add_u32 s14, s14, (.LBB2_10058-.Lpost_getpc33700)&4294967295
	s_addc_u32 s15, s15, (.LBB2_10058-.Lpost_getpc33700)>>32
	s_setpc_b64 s[14:15]
.LBB2_24396:
	v_mov_b32_e32 v2, 0
	v_cmp_ne_u16_sdwa s[8:9], v3, v2 src0_sel:BYTE_0 src1_sel:DWORD
	s_andn2_b64 s[4:5], s[4:5], exec
	s_and_b64 s[8:9], s[8:9], exec
	s_or_b64 s[4:5], s[4:5], s[8:9]
	s_or_b64 exec, exec, s[6:7]
	s_and_saveexec_b64 s[6:7], s[4:5]
	s_cbranch_execz .LBB2_33701
; %bb.60235:
	s_getpc_b64 s[14:15]
.Lpost_getpc33701:
	s_add_u32 s14, s14, (.LBB2_10059-.Lpost_getpc33701)&4294967295
	s_addc_u32 s15, s15, (.LBB2_10059-.Lpost_getpc33701)>>32
	s_setpc_b64 s[14:15]
.LBB2_33701:
	s_getpc_b64 s[14:15]
.Lpost_getpc20434:
	s_add_u32 s14, s14, (.LBB2_10060-.Lpost_getpc20434)&4294967295
	s_addc_u32 s15, s15, (.LBB2_10060-.Lpost_getpc20434)>>32
	s_setpc_b64 s[14:15]
.LBB2_24397:
	s_movk_i32 s4, 0x80
	v_cmp_eq_u16_sdwa s[12:13], v3, s4 src0_sel:BYTE_0 src1_sel:DWORD
	s_mov_b64 s[4:5], -1
                                        ; implicit-def: $sgpr10
	s_and_saveexec_b64 s[8:9], s[12:13]
; %bb.24398:
	s_mov_b32 s10, 0x7f800001
	s_xor_b64 s[4:5], exec, -1
; %bb.24399:
	s_or_b64 exec, exec, s[8:9]
	s_and_b64 s[4:5], s[4:5], exec
	s_or_saveexec_b64 s[6:7], s[6:7]
	v_mov_b32_e32 v6, s10
	s_xor_b64 exec, exec, s[6:7]
	s_cbranch_execnz .LBB2_24400
; %bb.60237:
	s_getpc_b64 s[14:15]
.Lpost_getpc33702:
	s_add_u32 s14, s14, (.LBB2_10062-.Lpost_getpc33702)&4294967295
	s_addc_u32 s15, s15, (.LBB2_10062-.Lpost_getpc33702)>>32
	s_setpc_b64 s[14:15]
.LBB2_24400:
	v_mov_b32_e32 v6, 0
	v_cmp_ne_u16_sdwa s[8:9], v3, v6 src0_sel:BYTE_0 src1_sel:DWORD
	s_andn2_b64 s[4:5], s[4:5], exec
	s_and_b64 s[8:9], s[8:9], exec
	s_or_b64 s[4:5], s[4:5], s[8:9]
	s_or_b64 exec, exec, s[6:7]
	s_and_saveexec_b64 s[6:7], s[4:5]
	s_cbranch_execz .LBB2_33703
; %bb.60239:
	s_getpc_b64 s[14:15]
.Lpost_getpc33703:
	s_add_u32 s14, s14, (.LBB2_10063-.Lpost_getpc33703)&4294967295
	s_addc_u32 s15, s15, (.LBB2_10063-.Lpost_getpc33703)>>32
	s_setpc_b64 s[14:15]
.LBB2_33703:
	s_getpc_b64 s[14:15]
.Lpost_getpc20435:
	s_add_u32 s14, s14, (.LBB2_10064-.Lpost_getpc20435)&4294967295
	s_addc_u32 s15, s15, (.LBB2_10064-.Lpost_getpc20435)>>32
	s_setpc_b64 s[14:15]
.LBB2_24401:
	s_movk_i32 s4, 0x80
	v_cmp_eq_u16_e32 vcc, s4, v3
	s_mov_b64 s[4:5], -1
                                        ; implicit-def: $sgpr10
	s_and_saveexec_b64 s[8:9], vcc
; %bb.24402:
	s_mov_b32 s10, 0x7f800001
	s_xor_b64 s[4:5], exec, -1
; %bb.24403:
	s_or_b64 exec, exec, s[8:9]
	s_and_b64 s[4:5], s[4:5], exec
                                        ; implicit-def: $vgpr3
	s_or_saveexec_b64 s[6:7], s[6:7]
	v_mov_b32_e32 v2, s10
	s_xor_b64 exec, exec, s[6:7]
	s_cbranch_execnz .LBB2_24404
; %bb.60241:
	s_getpc_b64 s[14:15]
.Lpost_getpc33704:
	s_add_u32 s14, s14, (.LBB2_10066-.Lpost_getpc33704)&4294967295
	s_addc_u32 s15, s15, (.LBB2_10066-.Lpost_getpc33704)>>32
	s_setpc_b64 s[14:15]
.LBB2_24404:
	v_cmp_ne_u16_e32 vcc, 0, v3
	s_andn2_b64 s[4:5], s[4:5], exec
	s_and_b64 s[8:9], vcc, exec
	v_mov_b32_e32 v2, 0
	s_or_b64 s[4:5], s[4:5], s[8:9]
	s_or_b64 exec, exec, s[6:7]
	s_and_saveexec_b64 s[6:7], s[4:5]
	s_cbranch_execz .LBB2_33705
; %bb.60243:
	s_getpc_b64 s[14:15]
.Lpost_getpc33705:
	s_add_u32 s14, s14, (.LBB2_10067-.Lpost_getpc33705)&4294967295
	s_addc_u32 s15, s15, (.LBB2_10067-.Lpost_getpc33705)>>32
	s_setpc_b64 s[14:15]
.LBB2_33705:
	s_getpc_b64 s[14:15]
.Lpost_getpc20436:
	s_add_u32 s14, s14, (.LBB2_10068-.Lpost_getpc20436)&4294967295
	s_addc_u32 s15, s15, (.LBB2_10068-.Lpost_getpc20436)>>32
	s_setpc_b64 s[14:15]
.LBB2_24405:
	s_movk_i32 s4, 0x80
	v_cmp_eq_u16_e32 vcc, s4, v3
	s_mov_b64 s[4:5], -1
                                        ; implicit-def: $sgpr10
	s_and_saveexec_b64 s[8:9], vcc
; %bb.24406:
	s_mov_b32 s10, 0x7f800001
	s_xor_b64 s[4:5], exec, -1
; %bb.24407:
	s_or_b64 exec, exec, s[8:9]
	s_and_b64 s[4:5], s[4:5], exec
                                        ; implicit-def: $vgpr3
	s_or_saveexec_b64 s[6:7], s[6:7]
	v_mov_b32_e32 v6, s10
	s_xor_b64 exec, exec, s[6:7]
	s_cbranch_execnz .LBB2_24408
; %bb.60245:
	s_getpc_b64 s[14:15]
.Lpost_getpc33706:
	s_add_u32 s14, s14, (.LBB2_10070-.Lpost_getpc33706)&4294967295
	s_addc_u32 s15, s15, (.LBB2_10070-.Lpost_getpc33706)>>32
	s_setpc_b64 s[14:15]
.LBB2_24408:
	v_cmp_ne_u16_e32 vcc, 0, v3
	s_andn2_b64 s[4:5], s[4:5], exec
	s_and_b64 s[8:9], vcc, exec
	v_mov_b32_e32 v6, 0
	s_or_b64 s[4:5], s[4:5], s[8:9]
	s_or_b64 exec, exec, s[6:7]
	s_and_saveexec_b64 s[6:7], s[4:5]
	s_cbranch_execz .LBB2_33707
; %bb.60247:
	s_getpc_b64 s[14:15]
.Lpost_getpc33707:
	s_add_u32 s14, s14, (.LBB2_10071-.Lpost_getpc33707)&4294967295
	s_addc_u32 s15, s15, (.LBB2_10071-.Lpost_getpc33707)>>32
	s_setpc_b64 s[14:15]
.LBB2_33707:
	s_getpc_b64 s[14:15]
.Lpost_getpc20437:
	s_add_u32 s14, s14, (.LBB2_10072-.Lpost_getpc20437)&4294967295
	s_addc_u32 s15, s15, (.LBB2_10072-.Lpost_getpc20437)>>32
	s_setpc_b64 s[14:15]
.LBB2_24409:
	s_movk_i32 s4, 0x80
	v_cmp_eq_u16_sdwa s[12:13], v8, s4 src0_sel:BYTE_3 src1_sel:DWORD
	s_mov_b64 s[4:5], -1
                                        ; implicit-def: $sgpr10
	s_and_saveexec_b64 s[8:9], s[12:13]
; %bb.24410:
	s_mov_b32 s10, 0x7f800001
	s_xor_b64 s[4:5], exec, -1
; %bb.24411:
	s_or_b64 exec, exec, s[8:9]
	s_and_b64 s[4:5], s[4:5], exec
	s_or_saveexec_b64 s[6:7], s[6:7]
	v_mov_b32_e32 v2, s10
	s_xor_b64 exec, exec, s[6:7]
	s_cbranch_execnz .LBB2_24412
; %bb.60249:
	s_getpc_b64 s[14:15]
.Lpost_getpc33708:
	s_add_u32 s14, s14, (.LBB2_10074-.Lpost_getpc33708)&4294967295
	s_addc_u32 s15, s15, (.LBB2_10074-.Lpost_getpc33708)>>32
	s_setpc_b64 s[14:15]
.LBB2_24412:
	v_mov_b32_e32 v2, 0
	v_cmp_ne_u16_sdwa s[8:9], v8, v2 src0_sel:BYTE_3 src1_sel:DWORD
	s_andn2_b64 s[4:5], s[4:5], exec
	s_and_b64 s[8:9], s[8:9], exec
	s_or_b64 s[4:5], s[4:5], s[8:9]
	s_or_b64 exec, exec, s[6:7]
	s_and_saveexec_b64 s[6:7], s[4:5]
	s_cbranch_execz .LBB2_33709
; %bb.60251:
	s_getpc_b64 s[14:15]
.Lpost_getpc33709:
	s_add_u32 s14, s14, (.LBB2_10075-.Lpost_getpc33709)&4294967295
	s_addc_u32 s15, s15, (.LBB2_10075-.Lpost_getpc33709)>>32
	s_setpc_b64 s[14:15]
.LBB2_33709:
	s_getpc_b64 s[14:15]
.Lpost_getpc20438:
	s_add_u32 s14, s14, (.LBB2_10076-.Lpost_getpc20438)&4294967295
	s_addc_u32 s15, s15, (.LBB2_10076-.Lpost_getpc20438)>>32
	s_setpc_b64 s[14:15]
.LBB2_24413:
	s_movk_i32 s4, 0x80
	v_cmp_eq_u16_sdwa s[12:13], v4, s4 src0_sel:BYTE_3 src1_sel:DWORD
	s_mov_b64 s[4:5], -1
                                        ; implicit-def: $sgpr10
	s_and_saveexec_b64 s[8:9], s[12:13]
; %bb.24414:
	s_mov_b32 s10, 0x7f800001
	s_xor_b64 s[4:5], exec, -1
; %bb.24415:
	s_or_b64 exec, exec, s[8:9]
	s_and_b64 s[4:5], s[4:5], exec
	s_or_saveexec_b64 s[6:7], s[6:7]
	v_mov_b32_e32 v3, s10
	s_xor_b64 exec, exec, s[6:7]
	s_cbranch_execnz .LBB2_24416
; %bb.60253:
	s_getpc_b64 s[14:15]
.Lpost_getpc33710:
	s_add_u32 s14, s14, (.LBB2_10078-.Lpost_getpc33710)&4294967295
	s_addc_u32 s15, s15, (.LBB2_10078-.Lpost_getpc33710)>>32
	s_setpc_b64 s[14:15]
.LBB2_24416:
	v_mov_b32_e32 v3, 0
	v_cmp_ne_u16_sdwa s[8:9], v4, v3 src0_sel:BYTE_3 src1_sel:DWORD
	s_andn2_b64 s[4:5], s[4:5], exec
	s_and_b64 s[8:9], s[8:9], exec
	s_or_b64 s[4:5], s[4:5], s[8:9]
	s_or_b64 exec, exec, s[6:7]
	s_and_saveexec_b64 s[6:7], s[4:5]
	s_cbranch_execz .LBB2_33711
; %bb.60255:
	s_getpc_b64 s[14:15]
.Lpost_getpc33711:
	s_add_u32 s14, s14, (.LBB2_10079-.Lpost_getpc33711)&4294967295
	s_addc_u32 s15, s15, (.LBB2_10079-.Lpost_getpc33711)>>32
	s_setpc_b64 s[14:15]
.LBB2_33711:
	s_getpc_b64 s[14:15]
.Lpost_getpc20439:
	s_add_u32 s14, s14, (.LBB2_10080-.Lpost_getpc20439)&4294967295
	s_addc_u32 s15, s15, (.LBB2_10080-.Lpost_getpc20439)>>32
	s_setpc_b64 s[14:15]
.LBB2_24417:
	s_movk_i32 s4, 0x80
	v_cmp_eq_u16_sdwa s[12:13], v9, s4 src0_sel:BYTE_0 src1_sel:DWORD
	s_mov_b64 s[4:5], -1
                                        ; implicit-def: $sgpr10
	s_and_saveexec_b64 s[8:9], s[12:13]
; %bb.24418:
	s_mov_b32 s10, 0x7f800001
	s_xor_b64 s[4:5], exec, -1
; %bb.24419:
	s_or_b64 exec, exec, s[8:9]
	s_and_b64 s[4:5], s[4:5], exec
	s_or_saveexec_b64 s[6:7], s[6:7]
	v_mov_b32_e32 v2, s10
	s_xor_b64 exec, exec, s[6:7]
	s_cbranch_execnz .LBB2_24420
; %bb.60257:
	s_getpc_b64 s[14:15]
.Lpost_getpc33712:
	s_add_u32 s14, s14, (.LBB2_10082-.Lpost_getpc33712)&4294967295
	s_addc_u32 s15, s15, (.LBB2_10082-.Lpost_getpc33712)>>32
	s_setpc_b64 s[14:15]
.LBB2_24420:
	v_mov_b32_e32 v2, 0
	v_cmp_ne_u16_sdwa s[8:9], v9, v2 src0_sel:BYTE_0 src1_sel:DWORD
	s_andn2_b64 s[4:5], s[4:5], exec
	s_and_b64 s[8:9], s[8:9], exec
	s_or_b64 s[4:5], s[4:5], s[8:9]
	s_or_b64 exec, exec, s[6:7]
	s_and_saveexec_b64 s[6:7], s[4:5]
	s_cbranch_execz .LBB2_33713
; %bb.60259:
	s_getpc_b64 s[14:15]
.Lpost_getpc33713:
	s_add_u32 s14, s14, (.LBB2_10083-.Lpost_getpc33713)&4294967295
	s_addc_u32 s15, s15, (.LBB2_10083-.Lpost_getpc33713)>>32
	s_setpc_b64 s[14:15]
.LBB2_33713:
	s_getpc_b64 s[14:15]
.Lpost_getpc20440:
	s_add_u32 s14, s14, (.LBB2_10084-.Lpost_getpc20440)&4294967295
	s_addc_u32 s15, s15, (.LBB2_10084-.Lpost_getpc20440)>>32
	s_setpc_b64 s[14:15]
.LBB2_24421:
	s_movk_i32 s4, 0x80
	v_cmp_eq_u16_sdwa s[12:13], v5, s4 src0_sel:BYTE_0 src1_sel:DWORD
	s_mov_b64 s[4:5], -1
                                        ; implicit-def: $sgpr10
	s_and_saveexec_b64 s[8:9], s[12:13]
; %bb.24422:
	s_mov_b32 s10, 0x7f800001
	s_xor_b64 s[4:5], exec, -1
; %bb.24423:
	s_or_b64 exec, exec, s[8:9]
	s_and_b64 s[4:5], s[4:5], exec
	s_or_saveexec_b64 s[6:7], s[6:7]
	v_mov_b32_e32 v3, s10
	s_xor_b64 exec, exec, s[6:7]
	s_cbranch_execnz .LBB2_24424
; %bb.60261:
	s_getpc_b64 s[14:15]
.Lpost_getpc33714:
	s_add_u32 s14, s14, (.LBB2_10086-.Lpost_getpc33714)&4294967295
	s_addc_u32 s15, s15, (.LBB2_10086-.Lpost_getpc33714)>>32
	s_setpc_b64 s[14:15]
.LBB2_24424:
	v_mov_b32_e32 v3, 0
	v_cmp_ne_u16_sdwa s[8:9], v5, v3 src0_sel:BYTE_0 src1_sel:DWORD
	s_andn2_b64 s[4:5], s[4:5], exec
	s_and_b64 s[8:9], s[8:9], exec
	s_or_b64 s[4:5], s[4:5], s[8:9]
	s_or_b64 exec, exec, s[6:7]
	s_and_saveexec_b64 s[6:7], s[4:5]
	s_cbranch_execz .LBB2_33715
; %bb.60263:
	s_getpc_b64 s[14:15]
.Lpost_getpc33715:
	s_add_u32 s14, s14, (.LBB2_10087-.Lpost_getpc33715)&4294967295
	s_addc_u32 s15, s15, (.LBB2_10087-.Lpost_getpc33715)>>32
	s_setpc_b64 s[14:15]
.LBB2_33715:
	s_getpc_b64 s[14:15]
.Lpost_getpc20441:
	s_add_u32 s14, s14, (.LBB2_10088-.Lpost_getpc20441)&4294967295
	s_addc_u32 s15, s15, (.LBB2_10088-.Lpost_getpc20441)>>32
	s_setpc_b64 s[14:15]
.LBB2_24425:
	s_movk_i32 s4, 0x80
	v_cmp_eq_u16_sdwa s[12:13], v3, s4 src0_sel:BYTE_0 src1_sel:DWORD
	s_mov_b64 s[4:5], -1
                                        ; implicit-def: $sgpr10
	s_and_saveexec_b64 s[8:9], s[12:13]
; %bb.24426:
	s_mov_b32 s10, 0x7f800001
	s_xor_b64 s[4:5], exec, -1
; %bb.24427:
	s_or_b64 exec, exec, s[8:9]
	s_and_b64 s[4:5], s[4:5], exec
	s_or_saveexec_b64 s[6:7], s[6:7]
	v_mov_b32_e32 v2, s10
	s_xor_b64 exec, exec, s[6:7]
	s_cbranch_execnz .LBB2_24428
; %bb.60265:
	s_getpc_b64 s[14:15]
.Lpost_getpc33716:
	s_add_u32 s14, s14, (.LBB2_10090-.Lpost_getpc33716)&4294967295
	s_addc_u32 s15, s15, (.LBB2_10090-.Lpost_getpc33716)>>32
	s_setpc_b64 s[14:15]
.LBB2_24428:
	v_mov_b32_e32 v2, 0
	v_cmp_ne_u16_sdwa s[8:9], v3, v2 src0_sel:BYTE_0 src1_sel:DWORD
	s_andn2_b64 s[4:5], s[4:5], exec
	s_and_b64 s[8:9], s[8:9], exec
	s_or_b64 s[4:5], s[4:5], s[8:9]
	s_or_b64 exec, exec, s[6:7]
	s_and_saveexec_b64 s[6:7], s[4:5]
	s_cbranch_execz .LBB2_33717
; %bb.60267:
	s_getpc_b64 s[14:15]
.Lpost_getpc33717:
	s_add_u32 s14, s14, (.LBB2_10091-.Lpost_getpc33717)&4294967295
	s_addc_u32 s15, s15, (.LBB2_10091-.Lpost_getpc33717)>>32
	s_setpc_b64 s[14:15]
.LBB2_33717:
	s_getpc_b64 s[14:15]
.Lpost_getpc20442:
	s_add_u32 s14, s14, (.LBB2_10092-.Lpost_getpc20442)&4294967295
	s_addc_u32 s15, s15, (.LBB2_10092-.Lpost_getpc20442)>>32
	s_setpc_b64 s[14:15]
.LBB2_24429:
	s_movk_i32 s4, 0x80
	v_cmp_eq_u16_sdwa s[12:13], v3, s4 src0_sel:BYTE_0 src1_sel:DWORD
	s_mov_b64 s[4:5], -1
                                        ; implicit-def: $sgpr10
	s_and_saveexec_b64 s[8:9], s[12:13]
; %bb.24430:
	s_mov_b32 s10, 0x7f800001
	s_xor_b64 s[4:5], exec, -1
; %bb.24431:
	s_or_b64 exec, exec, s[8:9]
	s_and_b64 s[4:5], s[4:5], exec
	s_or_saveexec_b64 s[6:7], s[6:7]
	v_mov_b32_e32 v4, s10
	s_xor_b64 exec, exec, s[6:7]
	s_cbranch_execnz .LBB2_24432
; %bb.60269:
	s_getpc_b64 s[14:15]
.Lpost_getpc33718:
	s_add_u32 s14, s14, (.LBB2_10094-.Lpost_getpc33718)&4294967295
	s_addc_u32 s15, s15, (.LBB2_10094-.Lpost_getpc33718)>>32
	s_setpc_b64 s[14:15]
.LBB2_24432:
	v_mov_b32_e32 v4, 0
	v_cmp_ne_u16_sdwa s[8:9], v3, v4 src0_sel:BYTE_0 src1_sel:DWORD
	s_andn2_b64 s[4:5], s[4:5], exec
	s_and_b64 s[8:9], s[8:9], exec
	s_or_b64 s[4:5], s[4:5], s[8:9]
	s_or_b64 exec, exec, s[6:7]
	s_and_saveexec_b64 s[6:7], s[4:5]
	s_cbranch_execz .LBB2_33719
; %bb.60271:
	s_getpc_b64 s[14:15]
.Lpost_getpc33719:
	s_add_u32 s14, s14, (.LBB2_10095-.Lpost_getpc33719)&4294967295
	s_addc_u32 s15, s15, (.LBB2_10095-.Lpost_getpc33719)>>32
	s_setpc_b64 s[14:15]
.LBB2_33719:
	s_getpc_b64 s[14:15]
.Lpost_getpc20443:
	s_add_u32 s14, s14, (.LBB2_10096-.Lpost_getpc20443)&4294967295
	s_addc_u32 s15, s15, (.LBB2_10096-.Lpost_getpc20443)>>32
	s_setpc_b64 s[14:15]
.LBB2_24433:
	s_movk_i32 s4, 0x80
	v_cmp_eq_u16_e32 vcc, s4, v3
	s_mov_b64 s[4:5], -1
                                        ; implicit-def: $sgpr10
	s_and_saveexec_b64 s[8:9], vcc
; %bb.24434:
	s_mov_b32 s10, 0x7f800001
	s_xor_b64 s[4:5], exec, -1
; %bb.24435:
	s_or_b64 exec, exec, s[8:9]
	s_and_b64 s[4:5], s[4:5], exec
                                        ; implicit-def: $vgpr3
	s_or_saveexec_b64 s[6:7], s[6:7]
	v_mov_b32_e32 v2, s10
	s_xor_b64 exec, exec, s[6:7]
	s_cbranch_execnz .LBB2_24436
; %bb.60273:
	s_getpc_b64 s[14:15]
.Lpost_getpc33720:
	s_add_u32 s14, s14, (.LBB2_10098-.Lpost_getpc33720)&4294967295
	s_addc_u32 s15, s15, (.LBB2_10098-.Lpost_getpc33720)>>32
	s_setpc_b64 s[14:15]
.LBB2_24436:
	v_cmp_ne_u16_e32 vcc, 0, v3
	s_andn2_b64 s[4:5], s[4:5], exec
	s_and_b64 s[8:9], vcc, exec
	v_mov_b32_e32 v2, 0
	s_or_b64 s[4:5], s[4:5], s[8:9]
	s_or_b64 exec, exec, s[6:7]
	s_and_saveexec_b64 s[6:7], s[4:5]
	s_cbranch_execz .LBB2_33721
; %bb.60275:
	s_getpc_b64 s[14:15]
.Lpost_getpc33721:
	s_add_u32 s14, s14, (.LBB2_10099-.Lpost_getpc33721)&4294967295
	s_addc_u32 s15, s15, (.LBB2_10099-.Lpost_getpc33721)>>32
	s_setpc_b64 s[14:15]
.LBB2_33721:
	s_getpc_b64 s[14:15]
.Lpost_getpc20444:
	s_add_u32 s14, s14, (.LBB2_10100-.Lpost_getpc20444)&4294967295
	s_addc_u32 s15, s15, (.LBB2_10100-.Lpost_getpc20444)>>32
	s_setpc_b64 s[14:15]
.LBB2_24437:
	s_movk_i32 s4, 0x80
	v_cmp_eq_u16_e32 vcc, s4, v3
	s_mov_b64 s[4:5], -1
                                        ; implicit-def: $sgpr10
	s_and_saveexec_b64 s[8:9], vcc
; %bb.24438:
	s_mov_b32 s10, 0x7f800001
	s_xor_b64 s[4:5], exec, -1
; %bb.24439:
	s_or_b64 exec, exec, s[8:9]
	s_and_b64 s[4:5], s[4:5], exec
                                        ; implicit-def: $vgpr3
	s_or_saveexec_b64 s[6:7], s[6:7]
	v_mov_b32_e32 v4, s10
	s_xor_b64 exec, exec, s[6:7]
	s_cbranch_execnz .LBB2_24440
; %bb.60277:
	s_getpc_b64 s[14:15]
.Lpost_getpc33722:
	s_add_u32 s14, s14, (.LBB2_10102-.Lpost_getpc33722)&4294967295
	s_addc_u32 s15, s15, (.LBB2_10102-.Lpost_getpc33722)>>32
	s_setpc_b64 s[14:15]
.LBB2_24440:
	v_cmp_ne_u16_e32 vcc, 0, v3
	s_andn2_b64 s[4:5], s[4:5], exec
	s_and_b64 s[8:9], vcc, exec
	v_mov_b32_e32 v4, 0
	s_or_b64 s[4:5], s[4:5], s[8:9]
	s_or_b64 exec, exec, s[6:7]
	s_and_saveexec_b64 s[6:7], s[4:5]
	s_cbranch_execz .LBB2_33723
; %bb.60279:
	s_getpc_b64 s[14:15]
.Lpost_getpc33723:
	s_add_u32 s14, s14, (.LBB2_10103-.Lpost_getpc33723)&4294967295
	s_addc_u32 s15, s15, (.LBB2_10103-.Lpost_getpc33723)>>32
	s_setpc_b64 s[14:15]
.LBB2_33723:
	s_getpc_b64 s[14:15]
.Lpost_getpc20445:
	s_add_u32 s14, s14, (.LBB2_10104-.Lpost_getpc20445)&4294967295
	s_addc_u32 s15, s15, (.LBB2_10104-.Lpost_getpc20445)>>32
	s_setpc_b64 s[14:15]
.LBB2_24441:
	s_movk_i32 s4, 0x80
	v_cmp_eq_u16_sdwa s[12:13], v9, s4 src0_sel:BYTE_3 src1_sel:DWORD
	s_mov_b64 s[4:5], -1
                                        ; implicit-def: $sgpr10
	s_and_saveexec_b64 s[8:9], s[12:13]
; %bb.24442:
	s_mov_b32 s10, 0x7f800001
	s_xor_b64 s[4:5], exec, -1
; %bb.24443:
	s_or_b64 exec, exec, s[8:9]
	s_and_b64 s[4:5], s[4:5], exec
	s_or_saveexec_b64 s[6:7], s[6:7]
	v_mov_b32_e32 v2, s10
	s_xor_b64 exec, exec, s[6:7]
	s_cbranch_execnz .LBB2_24444
; %bb.60281:
	s_getpc_b64 s[14:15]
.Lpost_getpc33724:
	s_add_u32 s14, s14, (.LBB2_10106-.Lpost_getpc33724)&4294967295
	s_addc_u32 s15, s15, (.LBB2_10106-.Lpost_getpc33724)>>32
	s_setpc_b64 s[14:15]
.LBB2_24444:
	v_mov_b32_e32 v2, 0
	v_cmp_ne_u16_sdwa s[8:9], v9, v2 src0_sel:BYTE_3 src1_sel:DWORD
	s_andn2_b64 s[4:5], s[4:5], exec
	s_and_b64 s[8:9], s[8:9], exec
	s_or_b64 s[4:5], s[4:5], s[8:9]
	s_or_b64 exec, exec, s[6:7]
	s_and_saveexec_b64 s[6:7], s[4:5]
	s_cbranch_execz .LBB2_33725
; %bb.60283:
	s_getpc_b64 s[14:15]
.Lpost_getpc33725:
	s_add_u32 s14, s14, (.LBB2_10107-.Lpost_getpc33725)&4294967295
	s_addc_u32 s15, s15, (.LBB2_10107-.Lpost_getpc33725)>>32
	s_setpc_b64 s[14:15]
.LBB2_33725:
	s_getpc_b64 s[14:15]
.Lpost_getpc20446:
	s_add_u32 s14, s14, (.LBB2_10108-.Lpost_getpc20446)&4294967295
	s_addc_u32 s15, s15, (.LBB2_10108-.Lpost_getpc20446)>>32
	s_setpc_b64 s[14:15]
.LBB2_24445:
	s_movk_i32 s4, 0x80
	v_cmp_eq_u16_sdwa s[12:13], v5, s4 src0_sel:BYTE_3 src1_sel:DWORD
	s_mov_b64 s[4:5], -1
                                        ; implicit-def: $sgpr10
	s_and_saveexec_b64 s[8:9], s[12:13]
; %bb.24446:
	s_mov_b32 s10, 0x7f800001
	s_xor_b64 s[4:5], exec, -1
; %bb.24447:
	s_or_b64 exec, exec, s[8:9]
	s_and_b64 s[4:5], s[4:5], exec
	s_or_saveexec_b64 s[6:7], s[6:7]
	v_mov_b32_e32 v3, s10
	s_xor_b64 exec, exec, s[6:7]
	s_cbranch_execnz .LBB2_24448
; %bb.60285:
	s_getpc_b64 s[14:15]
.Lpost_getpc33726:
	s_add_u32 s14, s14, (.LBB2_10110-.Lpost_getpc33726)&4294967295
	s_addc_u32 s15, s15, (.LBB2_10110-.Lpost_getpc33726)>>32
	s_setpc_b64 s[14:15]
.LBB2_24448:
	v_mov_b32_e32 v3, 0
	v_cmp_ne_u16_sdwa s[8:9], v5, v3 src0_sel:BYTE_3 src1_sel:DWORD
	s_andn2_b64 s[4:5], s[4:5], exec
	s_and_b64 s[8:9], s[8:9], exec
	s_or_b64 s[4:5], s[4:5], s[8:9]
	s_or_b64 exec, exec, s[6:7]
	s_and_saveexec_b64 s[6:7], s[4:5]
	s_cbranch_execz .LBB2_33727
; %bb.60287:
	s_getpc_b64 s[14:15]
.Lpost_getpc33727:
	s_add_u32 s14, s14, (.LBB2_10111-.Lpost_getpc33727)&4294967295
	s_addc_u32 s15, s15, (.LBB2_10111-.Lpost_getpc33727)>>32
	s_setpc_b64 s[14:15]
.LBB2_33727:
	s_getpc_b64 s[14:15]
.Lpost_getpc20447:
	s_add_u32 s14, s14, (.LBB2_10112-.Lpost_getpc20447)&4294967295
	s_addc_u32 s15, s15, (.LBB2_10112-.Lpost_getpc20447)>>32
	s_setpc_b64 s[14:15]
.LBB2_24449:
	s_movk_i32 s4, 0x80
	v_cmp_eq_u16_sdwa s[12:13], v6, s4 src0_sel:BYTE_0 src1_sel:DWORD
	s_mov_b64 s[4:5], -1
                                        ; implicit-def: $sgpr10
	s_and_saveexec_b64 s[8:9], s[12:13]
; %bb.24450:
	s_mov_b32 s10, 0x7f800001
	s_xor_b64 s[4:5], exec, -1
; %bb.24451:
	s_or_b64 exec, exec, s[8:9]
	s_and_b64 s[4:5], s[4:5], exec
	s_or_saveexec_b64 s[6:7], s[6:7]
	v_mov_b32_e32 v12, s10
	s_xor_b64 exec, exec, s[6:7]
	s_cbranch_execnz .LBB2_24452
; %bb.60289:
	s_getpc_b64 s[14:15]
.Lpost_getpc33728:
	s_add_u32 s14, s14, (.LBB2_10114-.Lpost_getpc33728)&4294967295
	s_addc_u32 s15, s15, (.LBB2_10114-.Lpost_getpc33728)>>32
	s_setpc_b64 s[14:15]
.LBB2_24452:
	v_mov_b32_e32 v12, 0
	v_cmp_ne_u16_sdwa s[8:9], v6, v12 src0_sel:BYTE_0 src1_sel:DWORD
	s_andn2_b64 s[4:5], s[4:5], exec
	s_and_b64 s[8:9], s[8:9], exec
	s_or_b64 s[4:5], s[4:5], s[8:9]
	s_or_b64 exec, exec, s[6:7]
	s_and_saveexec_b64 s[6:7], s[4:5]
	s_cbranch_execz .LBB2_33729
; %bb.60291:
	s_getpc_b64 s[14:15]
.Lpost_getpc33729:
	s_add_u32 s14, s14, (.LBB2_10115-.Lpost_getpc33729)&4294967295
	s_addc_u32 s15, s15, (.LBB2_10115-.Lpost_getpc33729)>>32
	s_setpc_b64 s[14:15]
.LBB2_33729:
	s_getpc_b64 s[14:15]
.Lpost_getpc20448:
	s_add_u32 s14, s14, (.LBB2_10116-.Lpost_getpc20448)&4294967295
	s_addc_u32 s15, s15, (.LBB2_10116-.Lpost_getpc20448)>>32
	s_setpc_b64 s[14:15]
.LBB2_24453:
	s_movk_i32 s4, 0x80
	v_cmp_eq_u16_sdwa s[12:13], v2, s4 src0_sel:BYTE_0 src1_sel:DWORD
	s_mov_b64 s[4:5], -1
                                        ; implicit-def: $sgpr10
	s_and_saveexec_b64 s[8:9], s[12:13]
; %bb.24454:
	s_mov_b32 s10, 0x7f800001
	s_xor_b64 s[4:5], exec, -1
; %bb.24455:
	s_or_b64 exec, exec, s[8:9]
	s_and_b64 s[4:5], s[4:5], exec
	s_or_saveexec_b64 s[6:7], s[6:7]
	v_mov_b32_e32 v13, s10
	s_xor_b64 exec, exec, s[6:7]
	s_cbranch_execnz .LBB2_24456
; %bb.60293:
	s_getpc_b64 s[14:15]
.Lpost_getpc33730:
	s_add_u32 s14, s14, (.LBB2_10118-.Lpost_getpc33730)&4294967295
	s_addc_u32 s15, s15, (.LBB2_10118-.Lpost_getpc33730)>>32
	s_setpc_b64 s[14:15]
.LBB2_24456:
	v_mov_b32_e32 v13, 0
	v_cmp_ne_u16_sdwa s[8:9], v2, v13 src0_sel:BYTE_0 src1_sel:DWORD
	s_andn2_b64 s[4:5], s[4:5], exec
	s_and_b64 s[8:9], s[8:9], exec
	s_or_b64 s[4:5], s[4:5], s[8:9]
	s_or_b64 exec, exec, s[6:7]
	s_and_saveexec_b64 s[6:7], s[4:5]
	s_cbranch_execz .LBB2_33731
; %bb.60295:
	s_getpc_b64 s[14:15]
.Lpost_getpc33731:
	s_add_u32 s14, s14, (.LBB2_10119-.Lpost_getpc33731)&4294967295
	s_addc_u32 s15, s15, (.LBB2_10119-.Lpost_getpc33731)>>32
	s_setpc_b64 s[14:15]
.LBB2_33731:
	s_getpc_b64 s[14:15]
.Lpost_getpc20449:
	s_add_u32 s14, s14, (.LBB2_10120-.Lpost_getpc20449)&4294967295
	s_addc_u32 s15, s15, (.LBB2_10120-.Lpost_getpc20449)>>32
	s_setpc_b64 s[14:15]
.LBB2_24457:
	s_movk_i32 s4, 0x80
	v_cmp_eq_u16_sdwa s[12:13], v13, s4 src0_sel:BYTE_0 src1_sel:DWORD
	s_mov_b64 s[4:5], -1
                                        ; implicit-def: $sgpr10
	s_and_saveexec_b64 s[8:9], s[12:13]
; %bb.24458:
	s_mov_b32 s10, 0x7f800001
	s_xor_b64 s[4:5], exec, -1
; %bb.24459:
	s_or_b64 exec, exec, s[8:9]
	s_and_b64 s[4:5], s[4:5], exec
	s_or_saveexec_b64 s[6:7], s[6:7]
	v_mov_b32_e32 v12, s10
	s_xor_b64 exec, exec, s[6:7]
	s_cbranch_execnz .LBB2_24460
; %bb.60297:
	s_getpc_b64 s[14:15]
.Lpost_getpc33732:
	s_add_u32 s14, s14, (.LBB2_10122-.Lpost_getpc33732)&4294967295
	s_addc_u32 s15, s15, (.LBB2_10122-.Lpost_getpc33732)>>32
	s_setpc_b64 s[14:15]
.LBB2_24460:
	v_mov_b32_e32 v12, 0
	v_cmp_ne_u16_sdwa s[8:9], v13, v12 src0_sel:BYTE_0 src1_sel:DWORD
	s_andn2_b64 s[4:5], s[4:5], exec
	s_and_b64 s[8:9], s[8:9], exec
	s_or_b64 s[4:5], s[4:5], s[8:9]
	s_or_b64 exec, exec, s[6:7]
	s_and_saveexec_b64 s[6:7], s[4:5]
	s_cbranch_execz .LBB2_33733
; %bb.60299:
	s_getpc_b64 s[14:15]
.Lpost_getpc33733:
	s_add_u32 s14, s14, (.LBB2_10123-.Lpost_getpc33733)&4294967295
	s_addc_u32 s15, s15, (.LBB2_10123-.Lpost_getpc33733)>>32
	s_setpc_b64 s[14:15]
.LBB2_33733:
	s_getpc_b64 s[14:15]
.Lpost_getpc20450:
	s_add_u32 s14, s14, (.LBB2_10124-.Lpost_getpc20450)&4294967295
	s_addc_u32 s15, s15, (.LBB2_10124-.Lpost_getpc20450)>>32
	s_setpc_b64 s[14:15]
.LBB2_24461:
	s_movk_i32 s4, 0x80
	v_cmp_eq_u16_sdwa s[12:13], v13, s4 src0_sel:BYTE_0 src1_sel:DWORD
	s_mov_b64 s[4:5], -1
                                        ; implicit-def: $sgpr10
	s_and_saveexec_b64 s[8:9], s[12:13]
; %bb.24462:
	s_mov_b32 s10, 0x7f800001
	s_xor_b64 s[4:5], exec, -1
; %bb.24463:
	s_or_b64 exec, exec, s[8:9]
	s_and_b64 s[4:5], s[4:5], exec
	s_or_saveexec_b64 s[6:7], s[6:7]
	v_mov_b32_e32 v14, s10
	s_xor_b64 exec, exec, s[6:7]
	s_cbranch_execnz .LBB2_24464
; %bb.60301:
	s_getpc_b64 s[14:15]
.Lpost_getpc33734:
	s_add_u32 s14, s14, (.LBB2_10126-.Lpost_getpc33734)&4294967295
	s_addc_u32 s15, s15, (.LBB2_10126-.Lpost_getpc33734)>>32
	s_setpc_b64 s[14:15]
.LBB2_24464:
	v_mov_b32_e32 v14, 0
	v_cmp_ne_u16_sdwa s[8:9], v13, v14 src0_sel:BYTE_0 src1_sel:DWORD
	s_andn2_b64 s[4:5], s[4:5], exec
	s_and_b64 s[8:9], s[8:9], exec
	s_or_b64 s[4:5], s[4:5], s[8:9]
	s_or_b64 exec, exec, s[6:7]
	s_and_saveexec_b64 s[6:7], s[4:5]
	s_cbranch_execz .LBB2_33735
; %bb.60303:
	s_getpc_b64 s[14:15]
.Lpost_getpc33735:
	s_add_u32 s14, s14, (.LBB2_10127-.Lpost_getpc33735)&4294967295
	s_addc_u32 s15, s15, (.LBB2_10127-.Lpost_getpc33735)>>32
	s_setpc_b64 s[14:15]
.LBB2_33735:
	s_getpc_b64 s[14:15]
.Lpost_getpc20451:
	s_add_u32 s14, s14, (.LBB2_10128-.Lpost_getpc20451)&4294967295
	s_addc_u32 s15, s15, (.LBB2_10128-.Lpost_getpc20451)>>32
	s_setpc_b64 s[14:15]
.LBB2_24465:
	s_movk_i32 s4, 0x80
	v_cmp_eq_u16_e32 vcc, s4, v13
	s_mov_b64 s[4:5], -1
                                        ; implicit-def: $sgpr10
	s_and_saveexec_b64 s[8:9], vcc
; %bb.24466:
	s_mov_b32 s10, 0x7f800001
	s_xor_b64 s[4:5], exec, -1
; %bb.24467:
	s_or_b64 exec, exec, s[8:9]
	s_and_b64 s[4:5], s[4:5], exec
                                        ; implicit-def: $vgpr13
	s_or_saveexec_b64 s[6:7], s[6:7]
	v_mov_b32_e32 v12, s10
	s_xor_b64 exec, exec, s[6:7]
	s_cbranch_execnz .LBB2_24468
; %bb.60305:
	s_getpc_b64 s[14:15]
.Lpost_getpc33736:
	s_add_u32 s14, s14, (.LBB2_10130-.Lpost_getpc33736)&4294967295
	s_addc_u32 s15, s15, (.LBB2_10130-.Lpost_getpc33736)>>32
	s_setpc_b64 s[14:15]
.LBB2_24468:
	v_cmp_ne_u16_e32 vcc, 0, v13
	s_andn2_b64 s[4:5], s[4:5], exec
	s_and_b64 s[8:9], vcc, exec
	v_mov_b32_e32 v12, 0
	s_or_b64 s[4:5], s[4:5], s[8:9]
	s_or_b64 exec, exec, s[6:7]
	s_and_saveexec_b64 s[6:7], s[4:5]
	s_cbranch_execz .LBB2_33737
; %bb.60307:
	s_getpc_b64 s[14:15]
.Lpost_getpc33737:
	s_add_u32 s14, s14, (.LBB2_10131-.Lpost_getpc33737)&4294967295
	s_addc_u32 s15, s15, (.LBB2_10131-.Lpost_getpc33737)>>32
	s_setpc_b64 s[14:15]
.LBB2_33737:
	s_getpc_b64 s[14:15]
.Lpost_getpc20452:
	s_add_u32 s14, s14, (.LBB2_10132-.Lpost_getpc20452)&4294967295
	s_addc_u32 s15, s15, (.LBB2_10132-.Lpost_getpc20452)>>32
	s_setpc_b64 s[14:15]
.LBB2_24469:
	s_movk_i32 s4, 0x80
	v_cmp_eq_u16_e32 vcc, s4, v13
	s_mov_b64 s[4:5], -1
                                        ; implicit-def: $sgpr10
	s_and_saveexec_b64 s[8:9], vcc
; %bb.24470:
	s_mov_b32 s10, 0x7f800001
	s_xor_b64 s[4:5], exec, -1
; %bb.24471:
	s_or_b64 exec, exec, s[8:9]
	s_and_b64 s[4:5], s[4:5], exec
                                        ; implicit-def: $vgpr13
	s_or_saveexec_b64 s[6:7], s[6:7]
	v_mov_b32_e32 v14, s10
	s_xor_b64 exec, exec, s[6:7]
	s_cbranch_execnz .LBB2_24472
; %bb.60309:
	s_getpc_b64 s[14:15]
.Lpost_getpc33738:
	s_add_u32 s14, s14, (.LBB2_10134-.Lpost_getpc33738)&4294967295
	s_addc_u32 s15, s15, (.LBB2_10134-.Lpost_getpc33738)>>32
	s_setpc_b64 s[14:15]
.LBB2_24472:
	v_cmp_ne_u16_e32 vcc, 0, v13
	s_andn2_b64 s[4:5], s[4:5], exec
	s_and_b64 s[8:9], vcc, exec
	v_mov_b32_e32 v14, 0
	s_or_b64 s[4:5], s[4:5], s[8:9]
	s_or_b64 exec, exec, s[6:7]
	s_and_saveexec_b64 s[6:7], s[4:5]
	s_cbranch_execz .LBB2_33739
; %bb.60311:
	s_getpc_b64 s[14:15]
.Lpost_getpc33739:
	s_add_u32 s14, s14, (.LBB2_10135-.Lpost_getpc33739)&4294967295
	s_addc_u32 s15, s15, (.LBB2_10135-.Lpost_getpc33739)>>32
	s_setpc_b64 s[14:15]
.LBB2_33739:
	s_getpc_b64 s[14:15]
.Lpost_getpc20453:
	s_add_u32 s14, s14, (.LBB2_10136-.Lpost_getpc20453)&4294967295
	s_addc_u32 s15, s15, (.LBB2_10136-.Lpost_getpc20453)>>32
	s_setpc_b64 s[14:15]
.LBB2_24473:
	s_movk_i32 s4, 0x80
	v_cmp_eq_u16_sdwa s[12:13], v6, s4 src0_sel:BYTE_3 src1_sel:DWORD
	s_mov_b64 s[4:5], -1
                                        ; implicit-def: $sgpr10
	s_and_saveexec_b64 s[8:9], s[12:13]
; %bb.24474:
	s_mov_b32 s10, 0x7f800001
	s_xor_b64 s[4:5], exec, -1
; %bb.24475:
	s_or_b64 exec, exec, s[8:9]
	s_and_b64 s[4:5], s[4:5], exec
	s_or_saveexec_b64 s[6:7], s[6:7]
	v_mov_b32_e32 v12, s10
	s_xor_b64 exec, exec, s[6:7]
	s_cbranch_execnz .LBB2_24476
; %bb.60313:
	s_getpc_b64 s[14:15]
.Lpost_getpc33740:
	s_add_u32 s14, s14, (.LBB2_10138-.Lpost_getpc33740)&4294967295
	s_addc_u32 s15, s15, (.LBB2_10138-.Lpost_getpc33740)>>32
	s_setpc_b64 s[14:15]
.LBB2_24476:
	v_mov_b32_e32 v12, 0
	v_cmp_ne_u16_sdwa s[8:9], v6, v12 src0_sel:BYTE_3 src1_sel:DWORD
	s_andn2_b64 s[4:5], s[4:5], exec
	s_and_b64 s[8:9], s[8:9], exec
	s_or_b64 s[4:5], s[4:5], s[8:9]
	s_or_b64 exec, exec, s[6:7]
	s_and_saveexec_b64 s[6:7], s[4:5]
	s_cbranch_execz .LBB2_33741
; %bb.60315:
	s_getpc_b64 s[14:15]
.Lpost_getpc33741:
	s_add_u32 s14, s14, (.LBB2_10139-.Lpost_getpc33741)&4294967295
	s_addc_u32 s15, s15, (.LBB2_10139-.Lpost_getpc33741)>>32
	s_setpc_b64 s[14:15]
.LBB2_33741:
	s_getpc_b64 s[14:15]
.Lpost_getpc20454:
	s_add_u32 s14, s14, (.LBB2_10140-.Lpost_getpc20454)&4294967295
	s_addc_u32 s15, s15, (.LBB2_10140-.Lpost_getpc20454)>>32
	s_setpc_b64 s[14:15]
.LBB2_24477:
	s_movk_i32 s4, 0x80
	v_cmp_eq_u16_sdwa s[12:13], v2, s4 src0_sel:BYTE_3 src1_sel:DWORD
	s_mov_b64 s[4:5], -1
                                        ; implicit-def: $sgpr10
	s_and_saveexec_b64 s[8:9], s[12:13]
; %bb.24478:
	s_mov_b32 s10, 0x7f800001
	s_xor_b64 s[4:5], exec, -1
; %bb.24479:
	s_or_b64 exec, exec, s[8:9]
	s_and_b64 s[4:5], s[4:5], exec
	s_or_saveexec_b64 s[6:7], s[6:7]
	v_mov_b32_e32 v6, s10
	s_xor_b64 exec, exec, s[6:7]
	s_cbranch_execnz .LBB2_24480
; %bb.60317:
	s_getpc_b64 s[14:15]
.Lpost_getpc33742:
	s_add_u32 s14, s14, (.LBB2_10142-.Lpost_getpc33742)&4294967295
	s_addc_u32 s15, s15, (.LBB2_10142-.Lpost_getpc33742)>>32
	s_setpc_b64 s[14:15]
.LBB2_24480:
	v_mov_b32_e32 v6, 0
	v_cmp_ne_u16_sdwa s[8:9], v2, v6 src0_sel:BYTE_3 src1_sel:DWORD
	s_andn2_b64 s[4:5], s[4:5], exec
	s_and_b64 s[8:9], s[8:9], exec
	s_or_b64 s[4:5], s[4:5], s[8:9]
	s_or_b64 exec, exec, s[6:7]
	s_and_saveexec_b64 s[6:7], s[4:5]
	s_cbranch_execz .LBB2_33743
; %bb.60319:
	s_getpc_b64 s[14:15]
.Lpost_getpc33743:
	s_add_u32 s14, s14, (.LBB2_10143-.Lpost_getpc33743)&4294967295
	s_addc_u32 s15, s15, (.LBB2_10143-.Lpost_getpc33743)>>32
	s_setpc_b64 s[14:15]
.LBB2_33743:
	s_getpc_b64 s[14:15]
.Lpost_getpc20455:
	s_add_u32 s14, s14, (.LBB2_10144-.Lpost_getpc20455)&4294967295
	s_addc_u32 s15, s15, (.LBB2_10144-.Lpost_getpc20455)>>32
	s_setpc_b64 s[14:15]
.LBB2_24481:
	s_movk_i32 s4, 0x80
	v_cmp_eq_u16_sdwa s[12:13], v7, s4 src0_sel:BYTE_0 src1_sel:DWORD
	s_mov_b64 s[4:5], -1
                                        ; implicit-def: $sgpr10
	s_and_saveexec_b64 s[8:9], s[12:13]
; %bb.24482:
	s_mov_b32 s10, 0x7f800001
	s_xor_b64 s[4:5], exec, -1
; %bb.24483:
	s_or_b64 exec, exec, s[8:9]
	s_and_b64 s[4:5], s[4:5], exec
	s_or_saveexec_b64 s[6:7], s[6:7]
	v_mov_b32_e32 v2, s10
	s_xor_b64 exec, exec, s[6:7]
	s_cbranch_execnz .LBB2_24484
; %bb.60321:
	s_getpc_b64 s[14:15]
.Lpost_getpc33744:
	s_add_u32 s14, s14, (.LBB2_10146-.Lpost_getpc33744)&4294967295
	s_addc_u32 s15, s15, (.LBB2_10146-.Lpost_getpc33744)>>32
	s_setpc_b64 s[14:15]
.LBB2_24484:
	v_mov_b32_e32 v2, 0
	v_cmp_ne_u16_sdwa s[8:9], v7, v2 src0_sel:BYTE_0 src1_sel:DWORD
	s_andn2_b64 s[4:5], s[4:5], exec
	s_and_b64 s[8:9], s[8:9], exec
	s_or_b64 s[4:5], s[4:5], s[8:9]
	s_or_b64 exec, exec, s[6:7]
	s_and_saveexec_b64 s[6:7], s[4:5]
	s_cbranch_execz .LBB2_33745
; %bb.60323:
	s_getpc_b64 s[14:15]
.Lpost_getpc33745:
	s_add_u32 s14, s14, (.LBB2_10147-.Lpost_getpc33745)&4294967295
	s_addc_u32 s15, s15, (.LBB2_10147-.Lpost_getpc33745)>>32
	s_setpc_b64 s[14:15]
.LBB2_33745:
	s_getpc_b64 s[14:15]
.Lpost_getpc20456:
	s_add_u32 s14, s14, (.LBB2_10148-.Lpost_getpc20456)&4294967295
	s_addc_u32 s15, s15, (.LBB2_10148-.Lpost_getpc20456)>>32
	s_setpc_b64 s[14:15]
.LBB2_24485:
	s_movk_i32 s4, 0x80
	v_cmp_eq_u16_sdwa s[12:13], v3, s4 src0_sel:BYTE_0 src1_sel:DWORD
	s_mov_b64 s[4:5], -1
                                        ; implicit-def: $sgpr10
	s_and_saveexec_b64 s[8:9], s[12:13]
; %bb.24486:
	s_mov_b32 s10, 0x7f800001
	s_xor_b64 s[4:5], exec, -1
; %bb.24487:
	s_or_b64 exec, exec, s[8:9]
	s_and_b64 s[4:5], s[4:5], exec
	s_or_saveexec_b64 s[6:7], s[6:7]
	v_mov_b32_e32 v6, s10
	s_xor_b64 exec, exec, s[6:7]
	s_cbranch_execnz .LBB2_24488
; %bb.60325:
	s_getpc_b64 s[14:15]
.Lpost_getpc33746:
	s_add_u32 s14, s14, (.LBB2_10150-.Lpost_getpc33746)&4294967295
	s_addc_u32 s15, s15, (.LBB2_10150-.Lpost_getpc33746)>>32
	s_setpc_b64 s[14:15]
.LBB2_24488:
	v_mov_b32_e32 v6, 0
	v_cmp_ne_u16_sdwa s[8:9], v3, v6 src0_sel:BYTE_0 src1_sel:DWORD
	s_andn2_b64 s[4:5], s[4:5], exec
	s_and_b64 s[8:9], s[8:9], exec
	s_or_b64 s[4:5], s[4:5], s[8:9]
	s_or_b64 exec, exec, s[6:7]
	s_and_saveexec_b64 s[6:7], s[4:5]
	s_cbranch_execz .LBB2_33747
; %bb.60327:
	s_getpc_b64 s[14:15]
.Lpost_getpc33747:
	s_add_u32 s14, s14, (.LBB2_10151-.Lpost_getpc33747)&4294967295
	s_addc_u32 s15, s15, (.LBB2_10151-.Lpost_getpc33747)>>32
	s_setpc_b64 s[14:15]
.LBB2_33747:
	s_getpc_b64 s[14:15]
.Lpost_getpc20457:
	s_add_u32 s14, s14, (.LBB2_10152-.Lpost_getpc20457)&4294967295
	s_addc_u32 s15, s15, (.LBB2_10152-.Lpost_getpc20457)>>32
	s_setpc_b64 s[14:15]
.LBB2_24489:
	s_movk_i32 s4, 0x80
	v_cmp_eq_u16_sdwa s[12:13], v6, s4 src0_sel:BYTE_0 src1_sel:DWORD
	s_mov_b64 s[4:5], -1
                                        ; implicit-def: $sgpr10
	s_and_saveexec_b64 s[8:9], s[12:13]
; %bb.24490:
	s_mov_b32 s10, 0x7f800001
	s_xor_b64 s[4:5], exec, -1
; %bb.24491:
	s_or_b64 exec, exec, s[8:9]
	s_and_b64 s[4:5], s[4:5], exec
	s_or_saveexec_b64 s[6:7], s[6:7]
	v_mov_b32_e32 v2, s10
	s_xor_b64 exec, exec, s[6:7]
	s_cbranch_execnz .LBB2_24492
; %bb.60329:
	s_getpc_b64 s[14:15]
.Lpost_getpc33748:
	s_add_u32 s14, s14, (.LBB2_10154-.Lpost_getpc33748)&4294967295
	s_addc_u32 s15, s15, (.LBB2_10154-.Lpost_getpc33748)>>32
	s_setpc_b64 s[14:15]
.LBB2_24492:
	v_mov_b32_e32 v2, 0
	v_cmp_ne_u16_sdwa s[8:9], v6, v2 src0_sel:BYTE_0 src1_sel:DWORD
	s_andn2_b64 s[4:5], s[4:5], exec
	s_and_b64 s[8:9], s[8:9], exec
	s_or_b64 s[4:5], s[4:5], s[8:9]
	s_or_b64 exec, exec, s[6:7]
	s_and_saveexec_b64 s[6:7], s[4:5]
	s_cbranch_execz .LBB2_33749
; %bb.60331:
	s_getpc_b64 s[14:15]
.Lpost_getpc33749:
	s_add_u32 s14, s14, (.LBB2_10155-.Lpost_getpc33749)&4294967295
	s_addc_u32 s15, s15, (.LBB2_10155-.Lpost_getpc33749)>>32
	s_setpc_b64 s[14:15]
.LBB2_33749:
	s_getpc_b64 s[14:15]
.Lpost_getpc20458:
	s_add_u32 s14, s14, (.LBB2_10156-.Lpost_getpc20458)&4294967295
	s_addc_u32 s15, s15, (.LBB2_10156-.Lpost_getpc20458)>>32
	s_setpc_b64 s[14:15]
.LBB2_24493:
	s_movk_i32 s4, 0x80
	v_cmp_eq_u16_sdwa s[12:13], v6, s4 src0_sel:BYTE_0 src1_sel:DWORD
	s_mov_b64 s[4:5], -1
                                        ; implicit-def: $sgpr10
	s_and_saveexec_b64 s[8:9], s[12:13]
; %bb.24494:
	s_mov_b32 s10, 0x7f800001
	s_xor_b64 s[4:5], exec, -1
; %bb.24495:
	s_or_b64 exec, exec, s[8:9]
	s_and_b64 s[4:5], s[4:5], exec
	s_or_saveexec_b64 s[6:7], s[6:7]
	v_mov_b32_e32 v12, s10
	s_xor_b64 exec, exec, s[6:7]
	s_cbranch_execnz .LBB2_24496
; %bb.60333:
	s_getpc_b64 s[14:15]
.Lpost_getpc33750:
	s_add_u32 s14, s14, (.LBB2_10158-.Lpost_getpc33750)&4294967295
	s_addc_u32 s15, s15, (.LBB2_10158-.Lpost_getpc33750)>>32
	s_setpc_b64 s[14:15]
.LBB2_24496:
	v_mov_b32_e32 v12, 0
	v_cmp_ne_u16_sdwa s[8:9], v6, v12 src0_sel:BYTE_0 src1_sel:DWORD
	s_andn2_b64 s[4:5], s[4:5], exec
	s_and_b64 s[8:9], s[8:9], exec
	s_or_b64 s[4:5], s[4:5], s[8:9]
	s_or_b64 exec, exec, s[6:7]
	s_and_saveexec_b64 s[6:7], s[4:5]
	s_cbranch_execz .LBB2_33751
; %bb.60335:
	s_getpc_b64 s[14:15]
.Lpost_getpc33751:
	s_add_u32 s14, s14, (.LBB2_10159-.Lpost_getpc33751)&4294967295
	s_addc_u32 s15, s15, (.LBB2_10159-.Lpost_getpc33751)>>32
	s_setpc_b64 s[14:15]
.LBB2_33751:
	s_getpc_b64 s[14:15]
.Lpost_getpc20459:
	s_add_u32 s14, s14, (.LBB2_10160-.Lpost_getpc20459)&4294967295
	s_addc_u32 s15, s15, (.LBB2_10160-.Lpost_getpc20459)>>32
	s_setpc_b64 s[14:15]
.LBB2_24497:
	s_movk_i32 s4, 0x80
	v_cmp_eq_u16_e32 vcc, s4, v6
	s_mov_b64 s[4:5], -1
                                        ; implicit-def: $sgpr10
	s_and_saveexec_b64 s[8:9], vcc
; %bb.24498:
	s_mov_b32 s10, 0x7f800001
	s_xor_b64 s[4:5], exec, -1
; %bb.24499:
	s_or_b64 exec, exec, s[8:9]
	s_and_b64 s[4:5], s[4:5], exec
                                        ; implicit-def: $vgpr6
	s_or_saveexec_b64 s[6:7], s[6:7]
	v_mov_b32_e32 v2, s10
	s_xor_b64 exec, exec, s[6:7]
	s_cbranch_execnz .LBB2_24500
; %bb.60337:
	s_getpc_b64 s[14:15]
.Lpost_getpc33752:
	s_add_u32 s14, s14, (.LBB2_10162-.Lpost_getpc33752)&4294967295
	s_addc_u32 s15, s15, (.LBB2_10162-.Lpost_getpc33752)>>32
	s_setpc_b64 s[14:15]
.LBB2_24500:
	v_cmp_ne_u16_e32 vcc, 0, v6
	s_andn2_b64 s[4:5], s[4:5], exec
	s_and_b64 s[8:9], vcc, exec
	v_mov_b32_e32 v2, 0
	s_or_b64 s[4:5], s[4:5], s[8:9]
	s_or_b64 exec, exec, s[6:7]
	s_and_saveexec_b64 s[6:7], s[4:5]
	s_cbranch_execz .LBB2_33753
; %bb.60339:
	s_getpc_b64 s[14:15]
.Lpost_getpc33753:
	s_add_u32 s14, s14, (.LBB2_10163-.Lpost_getpc33753)&4294967295
	s_addc_u32 s15, s15, (.LBB2_10163-.Lpost_getpc33753)>>32
	s_setpc_b64 s[14:15]
.LBB2_33753:
	s_getpc_b64 s[14:15]
.Lpost_getpc20460:
	s_add_u32 s14, s14, (.LBB2_10164-.Lpost_getpc20460)&4294967295
	s_addc_u32 s15, s15, (.LBB2_10164-.Lpost_getpc20460)>>32
	s_setpc_b64 s[14:15]
.LBB2_24501:
	s_movk_i32 s4, 0x80
	v_cmp_eq_u16_e32 vcc, s4, v6
	s_mov_b64 s[4:5], -1
                                        ; implicit-def: $sgpr10
	s_and_saveexec_b64 s[8:9], vcc
; %bb.24502:
	s_mov_b32 s10, 0x7f800001
	s_xor_b64 s[4:5], exec, -1
; %bb.24503:
	s_or_b64 exec, exec, s[8:9]
	s_and_b64 s[4:5], s[4:5], exec
                                        ; implicit-def: $vgpr6
	s_or_saveexec_b64 s[6:7], s[6:7]
	v_mov_b32_e32 v12, s10
	s_xor_b64 exec, exec, s[6:7]
	s_cbranch_execnz .LBB2_24504
; %bb.60341:
	s_getpc_b64 s[14:15]
.Lpost_getpc33754:
	s_add_u32 s14, s14, (.LBB2_10166-.Lpost_getpc33754)&4294967295
	s_addc_u32 s15, s15, (.LBB2_10166-.Lpost_getpc33754)>>32
	s_setpc_b64 s[14:15]
.LBB2_24504:
	v_cmp_ne_u16_e32 vcc, 0, v6
	s_andn2_b64 s[4:5], s[4:5], exec
	s_and_b64 s[8:9], vcc, exec
	v_mov_b32_e32 v12, 0
	s_or_b64 s[4:5], s[4:5], s[8:9]
	s_or_b64 exec, exec, s[6:7]
	s_and_saveexec_b64 s[6:7], s[4:5]
	s_cbranch_execz .LBB2_33755
; %bb.60343:
	s_getpc_b64 s[14:15]
.Lpost_getpc33755:
	s_add_u32 s14, s14, (.LBB2_10167-.Lpost_getpc33755)&4294967295
	s_addc_u32 s15, s15, (.LBB2_10167-.Lpost_getpc33755)>>32
	s_setpc_b64 s[14:15]
.LBB2_33755:
	s_getpc_b64 s[14:15]
.Lpost_getpc20461:
	s_add_u32 s14, s14, (.LBB2_10168-.Lpost_getpc20461)&4294967295
	s_addc_u32 s15, s15, (.LBB2_10168-.Lpost_getpc20461)>>32
	s_setpc_b64 s[14:15]
.LBB2_24505:
	s_movk_i32 s4, 0x80
	v_cmp_eq_u16_sdwa s[12:13], v7, s4 src0_sel:BYTE_3 src1_sel:DWORD
	s_mov_b64 s[4:5], -1
                                        ; implicit-def: $sgpr10
	s_and_saveexec_b64 s[8:9], s[12:13]
; %bb.24506:
	s_mov_b32 s10, 0x7f800001
	s_xor_b64 s[4:5], exec, -1
; %bb.24507:
	s_or_b64 exec, exec, s[8:9]
	s_and_b64 s[4:5], s[4:5], exec
	s_or_saveexec_b64 s[6:7], s[6:7]
	v_mov_b32_e32 v2, s10
	s_xor_b64 exec, exec, s[6:7]
	s_cbranch_execnz .LBB2_24508
; %bb.60345:
	s_getpc_b64 s[14:15]
.Lpost_getpc33756:
	s_add_u32 s14, s14, (.LBB2_10170-.Lpost_getpc33756)&4294967295
	s_addc_u32 s15, s15, (.LBB2_10170-.Lpost_getpc33756)>>32
	s_setpc_b64 s[14:15]
.LBB2_24508:
	v_mov_b32_e32 v2, 0
	v_cmp_ne_u16_sdwa s[8:9], v7, v2 src0_sel:BYTE_3 src1_sel:DWORD
	s_andn2_b64 s[4:5], s[4:5], exec
	s_and_b64 s[8:9], s[8:9], exec
	s_or_b64 s[4:5], s[4:5], s[8:9]
	s_or_b64 exec, exec, s[6:7]
	s_and_saveexec_b64 s[6:7], s[4:5]
	s_cbranch_execz .LBB2_33757
; %bb.60347:
	s_getpc_b64 s[14:15]
.Lpost_getpc33757:
	s_add_u32 s14, s14, (.LBB2_10171-.Lpost_getpc33757)&4294967295
	s_addc_u32 s15, s15, (.LBB2_10171-.Lpost_getpc33757)>>32
	s_setpc_b64 s[14:15]
.LBB2_33757:
	s_getpc_b64 s[14:15]
.Lpost_getpc20462:
	s_add_u32 s14, s14, (.LBB2_10172-.Lpost_getpc20462)&4294967295
	s_addc_u32 s15, s15, (.LBB2_10172-.Lpost_getpc20462)>>32
	s_setpc_b64 s[14:15]
.LBB2_24509:
	s_movk_i32 s4, 0x80
	v_cmp_eq_u16_sdwa s[12:13], v3, s4 src0_sel:BYTE_3 src1_sel:DWORD
	s_mov_b64 s[4:5], -1
                                        ; implicit-def: $sgpr10
	s_and_saveexec_b64 s[8:9], s[12:13]
; %bb.24510:
	s_mov_b32 s10, 0x7f800001
	s_xor_b64 s[4:5], exec, -1
; %bb.24511:
	s_or_b64 exec, exec, s[8:9]
	s_and_b64 s[4:5], s[4:5], exec
	s_or_saveexec_b64 s[6:7], s[6:7]
	v_mov_b32_e32 v6, s10
	s_xor_b64 exec, exec, s[6:7]
	s_cbranch_execnz .LBB2_24512
; %bb.60349:
	s_getpc_b64 s[14:15]
.Lpost_getpc33758:
	s_add_u32 s14, s14, (.LBB2_10174-.Lpost_getpc33758)&4294967295
	s_addc_u32 s15, s15, (.LBB2_10174-.Lpost_getpc33758)>>32
	s_setpc_b64 s[14:15]
.LBB2_24512:
	v_mov_b32_e32 v6, 0
	v_cmp_ne_u16_sdwa s[8:9], v3, v6 src0_sel:BYTE_3 src1_sel:DWORD
	s_andn2_b64 s[4:5], s[4:5], exec
	s_and_b64 s[8:9], s[8:9], exec
	s_or_b64 s[4:5], s[4:5], s[8:9]
	s_or_b64 exec, exec, s[6:7]
	s_and_saveexec_b64 s[6:7], s[4:5]
	s_cbranch_execz .LBB2_33759
; %bb.60351:
	s_getpc_b64 s[14:15]
.Lpost_getpc33759:
	s_add_u32 s14, s14, (.LBB2_10175-.Lpost_getpc33759)&4294967295
	s_addc_u32 s15, s15, (.LBB2_10175-.Lpost_getpc33759)>>32
	s_setpc_b64 s[14:15]
.LBB2_33759:
	s_getpc_b64 s[14:15]
.Lpost_getpc20463:
	s_add_u32 s14, s14, (.LBB2_10176-.Lpost_getpc20463)&4294967295
	s_addc_u32 s15, s15, (.LBB2_10176-.Lpost_getpc20463)>>32
	s_setpc_b64 s[14:15]
.LBB2_24513:
	s_movk_i32 s4, 0x80
	v_cmp_eq_u16_sdwa s[12:13], v8, s4 src0_sel:BYTE_0 src1_sel:DWORD
	s_mov_b64 s[4:5], -1
                                        ; implicit-def: $sgpr10
	s_and_saveexec_b64 s[8:9], s[12:13]
; %bb.24514:
	s_mov_b32 s10, 0x7f800001
	s_xor_b64 s[4:5], exec, -1
; %bb.24515:
	s_or_b64 exec, exec, s[8:9]
	s_and_b64 s[4:5], s[4:5], exec
	s_or_saveexec_b64 s[6:7], s[6:7]
	v_mov_b32_e32 v2, s10
	s_xor_b64 exec, exec, s[6:7]
	s_cbranch_execnz .LBB2_24516
; %bb.60353:
	s_getpc_b64 s[14:15]
.Lpost_getpc33760:
	s_add_u32 s14, s14, (.LBB2_10178-.Lpost_getpc33760)&4294967295
	s_addc_u32 s15, s15, (.LBB2_10178-.Lpost_getpc33760)>>32
	s_setpc_b64 s[14:15]
.LBB2_24516:
	v_mov_b32_e32 v2, 0
	v_cmp_ne_u16_sdwa s[8:9], v8, v2 src0_sel:BYTE_0 src1_sel:DWORD
	s_andn2_b64 s[4:5], s[4:5], exec
	s_and_b64 s[8:9], s[8:9], exec
	s_or_b64 s[4:5], s[4:5], s[8:9]
	s_or_b64 exec, exec, s[6:7]
	s_and_saveexec_b64 s[6:7], s[4:5]
	s_cbranch_execz .LBB2_33761
; %bb.60355:
	s_getpc_b64 s[14:15]
.Lpost_getpc33761:
	s_add_u32 s14, s14, (.LBB2_10179-.Lpost_getpc33761)&4294967295
	s_addc_u32 s15, s15, (.LBB2_10179-.Lpost_getpc33761)>>32
	s_setpc_b64 s[14:15]
.LBB2_33761:
	s_getpc_b64 s[14:15]
.Lpost_getpc20464:
	s_add_u32 s14, s14, (.LBB2_10180-.Lpost_getpc20464)&4294967295
	s_addc_u32 s15, s15, (.LBB2_10180-.Lpost_getpc20464)>>32
	s_setpc_b64 s[14:15]
.LBB2_24517:
	s_movk_i32 s4, 0x80
	v_cmp_eq_u16_sdwa s[12:13], v4, s4 src0_sel:BYTE_0 src1_sel:DWORD
	s_mov_b64 s[4:5], -1
                                        ; implicit-def: $sgpr10
	s_and_saveexec_b64 s[8:9], s[12:13]
; %bb.24518:
	s_mov_b32 s10, 0x7f800001
	s_xor_b64 s[4:5], exec, -1
; %bb.24519:
	s_or_b64 exec, exec, s[8:9]
	s_and_b64 s[4:5], s[4:5], exec
	s_or_saveexec_b64 s[6:7], s[6:7]
	v_mov_b32_e32 v3, s10
	s_xor_b64 exec, exec, s[6:7]
	s_cbranch_execnz .LBB2_24520
; %bb.60357:
	s_getpc_b64 s[14:15]
.Lpost_getpc33762:
	s_add_u32 s14, s14, (.LBB2_10182-.Lpost_getpc33762)&4294967295
	s_addc_u32 s15, s15, (.LBB2_10182-.Lpost_getpc33762)>>32
	s_setpc_b64 s[14:15]
.LBB2_24520:
	v_mov_b32_e32 v3, 0
	v_cmp_ne_u16_sdwa s[8:9], v4, v3 src0_sel:BYTE_0 src1_sel:DWORD
	s_andn2_b64 s[4:5], s[4:5], exec
	s_and_b64 s[8:9], s[8:9], exec
	s_or_b64 s[4:5], s[4:5], s[8:9]
	s_or_b64 exec, exec, s[6:7]
	s_and_saveexec_b64 s[6:7], s[4:5]
	s_cbranch_execz .LBB2_33763
; %bb.60359:
	s_getpc_b64 s[14:15]
.Lpost_getpc33763:
	s_add_u32 s14, s14, (.LBB2_10183-.Lpost_getpc33763)&4294967295
	s_addc_u32 s15, s15, (.LBB2_10183-.Lpost_getpc33763)>>32
	s_setpc_b64 s[14:15]
.LBB2_33763:
	s_getpc_b64 s[14:15]
.Lpost_getpc20465:
	s_add_u32 s14, s14, (.LBB2_10184-.Lpost_getpc20465)&4294967295
	s_addc_u32 s15, s15, (.LBB2_10184-.Lpost_getpc20465)>>32
	s_setpc_b64 s[14:15]
.LBB2_24521:
	s_movk_i32 s4, 0x80
	v_cmp_eq_u16_sdwa s[12:13], v3, s4 src0_sel:BYTE_0 src1_sel:DWORD
	s_mov_b64 s[4:5], -1
                                        ; implicit-def: $sgpr10
	s_and_saveexec_b64 s[8:9], s[12:13]
; %bb.24522:
	s_mov_b32 s10, 0x7f800001
	s_xor_b64 s[4:5], exec, -1
; %bb.24523:
	s_or_b64 exec, exec, s[8:9]
	s_and_b64 s[4:5], s[4:5], exec
	s_or_saveexec_b64 s[6:7], s[6:7]
	v_mov_b32_e32 v2, s10
	s_xor_b64 exec, exec, s[6:7]
	s_cbranch_execnz .LBB2_24524
; %bb.60361:
	s_getpc_b64 s[14:15]
.Lpost_getpc33764:
	s_add_u32 s14, s14, (.LBB2_10186-.Lpost_getpc33764)&4294967295
	s_addc_u32 s15, s15, (.LBB2_10186-.Lpost_getpc33764)>>32
	s_setpc_b64 s[14:15]
.LBB2_24524:
	v_mov_b32_e32 v2, 0
	v_cmp_ne_u16_sdwa s[8:9], v3, v2 src0_sel:BYTE_0 src1_sel:DWORD
	s_andn2_b64 s[4:5], s[4:5], exec
	s_and_b64 s[8:9], s[8:9], exec
	s_or_b64 s[4:5], s[4:5], s[8:9]
	s_or_b64 exec, exec, s[6:7]
	s_and_saveexec_b64 s[6:7], s[4:5]
	s_cbranch_execz .LBB2_33765
; %bb.60363:
	s_getpc_b64 s[14:15]
.Lpost_getpc33765:
	s_add_u32 s14, s14, (.LBB2_10187-.Lpost_getpc33765)&4294967295
	s_addc_u32 s15, s15, (.LBB2_10187-.Lpost_getpc33765)>>32
	s_setpc_b64 s[14:15]
.LBB2_33765:
	s_getpc_b64 s[14:15]
.Lpost_getpc20466:
	s_add_u32 s14, s14, (.LBB2_10188-.Lpost_getpc20466)&4294967295
	s_addc_u32 s15, s15, (.LBB2_10188-.Lpost_getpc20466)>>32
	s_setpc_b64 s[14:15]
.LBB2_24525:
	s_movk_i32 s4, 0x80
	v_cmp_eq_u16_sdwa s[12:13], v3, s4 src0_sel:BYTE_0 src1_sel:DWORD
	s_mov_b64 s[4:5], -1
                                        ; implicit-def: $sgpr10
	s_and_saveexec_b64 s[8:9], s[12:13]
; %bb.24526:
	s_mov_b32 s10, 0x7f800001
	s_xor_b64 s[4:5], exec, -1
; %bb.24527:
	s_or_b64 exec, exec, s[8:9]
	s_and_b64 s[4:5], s[4:5], exec
	s_or_saveexec_b64 s[6:7], s[6:7]
	v_mov_b32_e32 v6, s10
	s_xor_b64 exec, exec, s[6:7]
	s_cbranch_execnz .LBB2_24528
; %bb.60365:
	s_getpc_b64 s[14:15]
.Lpost_getpc33766:
	s_add_u32 s14, s14, (.LBB2_10190-.Lpost_getpc33766)&4294967295
	s_addc_u32 s15, s15, (.LBB2_10190-.Lpost_getpc33766)>>32
	s_setpc_b64 s[14:15]
.LBB2_24528:
	v_mov_b32_e32 v6, 0
	v_cmp_ne_u16_sdwa s[8:9], v3, v6 src0_sel:BYTE_0 src1_sel:DWORD
	s_andn2_b64 s[4:5], s[4:5], exec
	s_and_b64 s[8:9], s[8:9], exec
	s_or_b64 s[4:5], s[4:5], s[8:9]
	s_or_b64 exec, exec, s[6:7]
	s_and_saveexec_b64 s[6:7], s[4:5]
	s_cbranch_execz .LBB2_33767
; %bb.60367:
	s_getpc_b64 s[14:15]
.Lpost_getpc33767:
	s_add_u32 s14, s14, (.LBB2_10191-.Lpost_getpc33767)&4294967295
	s_addc_u32 s15, s15, (.LBB2_10191-.Lpost_getpc33767)>>32
	s_setpc_b64 s[14:15]
.LBB2_33767:
	s_getpc_b64 s[14:15]
.Lpost_getpc20467:
	s_add_u32 s14, s14, (.LBB2_10192-.Lpost_getpc20467)&4294967295
	s_addc_u32 s15, s15, (.LBB2_10192-.Lpost_getpc20467)>>32
	s_setpc_b64 s[14:15]
.LBB2_24529:
	s_movk_i32 s4, 0x80
	v_cmp_eq_u16_e32 vcc, s4, v3
	s_mov_b64 s[4:5], -1
                                        ; implicit-def: $sgpr10
	s_and_saveexec_b64 s[8:9], vcc
; %bb.24530:
	s_mov_b32 s10, 0x7f800001
	s_xor_b64 s[4:5], exec, -1
; %bb.24531:
	s_or_b64 exec, exec, s[8:9]
	s_and_b64 s[4:5], s[4:5], exec
                                        ; implicit-def: $vgpr3
	s_or_saveexec_b64 s[6:7], s[6:7]
	v_mov_b32_e32 v2, s10
	s_xor_b64 exec, exec, s[6:7]
	s_cbranch_execnz .LBB2_24532
; %bb.60369:
	s_getpc_b64 s[14:15]
.Lpost_getpc33768:
	s_add_u32 s14, s14, (.LBB2_10194-.Lpost_getpc33768)&4294967295
	s_addc_u32 s15, s15, (.LBB2_10194-.Lpost_getpc33768)>>32
	s_setpc_b64 s[14:15]
.LBB2_24532:
	v_cmp_ne_u16_e32 vcc, 0, v3
	s_andn2_b64 s[4:5], s[4:5], exec
	s_and_b64 s[8:9], vcc, exec
	v_mov_b32_e32 v2, 0
	s_or_b64 s[4:5], s[4:5], s[8:9]
	s_or_b64 exec, exec, s[6:7]
	s_and_saveexec_b64 s[6:7], s[4:5]
	s_cbranch_execz .LBB2_33769
; %bb.60371:
	s_getpc_b64 s[14:15]
.Lpost_getpc33769:
	s_add_u32 s14, s14, (.LBB2_10195-.Lpost_getpc33769)&4294967295
	s_addc_u32 s15, s15, (.LBB2_10195-.Lpost_getpc33769)>>32
	s_setpc_b64 s[14:15]
.LBB2_33769:
	s_getpc_b64 s[14:15]
.Lpost_getpc20468:
	s_add_u32 s14, s14, (.LBB2_10196-.Lpost_getpc20468)&4294967295
	s_addc_u32 s15, s15, (.LBB2_10196-.Lpost_getpc20468)>>32
	s_setpc_b64 s[14:15]
.LBB2_24533:
	s_movk_i32 s4, 0x80
	v_cmp_eq_u16_e32 vcc, s4, v3
	s_mov_b64 s[4:5], -1
                                        ; implicit-def: $sgpr10
	s_and_saveexec_b64 s[8:9], vcc
; %bb.24534:
	s_mov_b32 s10, 0x7f800001
	s_xor_b64 s[4:5], exec, -1
; %bb.24535:
	s_or_b64 exec, exec, s[8:9]
	s_and_b64 s[4:5], s[4:5], exec
                                        ; implicit-def: $vgpr3
	s_or_saveexec_b64 s[6:7], s[6:7]
	v_mov_b32_e32 v6, s10
	s_xor_b64 exec, exec, s[6:7]
	s_cbranch_execnz .LBB2_24536
; %bb.60373:
	s_getpc_b64 s[14:15]
.Lpost_getpc33770:
	s_add_u32 s14, s14, (.LBB2_10198-.Lpost_getpc33770)&4294967295
	s_addc_u32 s15, s15, (.LBB2_10198-.Lpost_getpc33770)>>32
	s_setpc_b64 s[14:15]
.LBB2_24536:
	v_cmp_ne_u16_e32 vcc, 0, v3
	s_andn2_b64 s[4:5], s[4:5], exec
	s_and_b64 s[8:9], vcc, exec
	v_mov_b32_e32 v6, 0
	s_or_b64 s[4:5], s[4:5], s[8:9]
	s_or_b64 exec, exec, s[6:7]
	s_and_saveexec_b64 s[6:7], s[4:5]
	s_cbranch_execz .LBB2_33771
; %bb.60375:
	s_getpc_b64 s[14:15]
.Lpost_getpc33771:
	s_add_u32 s14, s14, (.LBB2_10199-.Lpost_getpc33771)&4294967295
	s_addc_u32 s15, s15, (.LBB2_10199-.Lpost_getpc33771)>>32
	s_setpc_b64 s[14:15]
.LBB2_33771:
	s_getpc_b64 s[14:15]
.Lpost_getpc20469:
	s_add_u32 s14, s14, (.LBB2_10200-.Lpost_getpc20469)&4294967295
	s_addc_u32 s15, s15, (.LBB2_10200-.Lpost_getpc20469)>>32
	s_setpc_b64 s[14:15]
.LBB2_24537:
	s_movk_i32 s4, 0x80
	v_cmp_eq_u16_sdwa s[12:13], v8, s4 src0_sel:BYTE_3 src1_sel:DWORD
	s_mov_b64 s[4:5], -1
                                        ; implicit-def: $sgpr10
	s_and_saveexec_b64 s[8:9], s[12:13]
; %bb.24538:
	s_mov_b32 s10, 0x7f800001
	s_xor_b64 s[4:5], exec, -1
; %bb.24539:
	s_or_b64 exec, exec, s[8:9]
	s_and_b64 s[4:5], s[4:5], exec
	s_or_saveexec_b64 s[6:7], s[6:7]
	v_mov_b32_e32 v2, s10
	s_xor_b64 exec, exec, s[6:7]
	s_cbranch_execnz .LBB2_24540
; %bb.60377:
	s_getpc_b64 s[14:15]
.Lpost_getpc33772:
	s_add_u32 s14, s14, (.LBB2_10202-.Lpost_getpc33772)&4294967295
	s_addc_u32 s15, s15, (.LBB2_10202-.Lpost_getpc33772)>>32
	s_setpc_b64 s[14:15]
.LBB2_24540:
	v_mov_b32_e32 v2, 0
	v_cmp_ne_u16_sdwa s[8:9], v8, v2 src0_sel:BYTE_3 src1_sel:DWORD
	s_andn2_b64 s[4:5], s[4:5], exec
	s_and_b64 s[8:9], s[8:9], exec
	s_or_b64 s[4:5], s[4:5], s[8:9]
	s_or_b64 exec, exec, s[6:7]
	s_and_saveexec_b64 s[6:7], s[4:5]
	s_cbranch_execz .LBB2_33773
; %bb.60379:
	s_getpc_b64 s[14:15]
.Lpost_getpc33773:
	s_add_u32 s14, s14, (.LBB2_10203-.Lpost_getpc33773)&4294967295
	s_addc_u32 s15, s15, (.LBB2_10203-.Lpost_getpc33773)>>32
	s_setpc_b64 s[14:15]
.LBB2_33773:
	s_getpc_b64 s[14:15]
.Lpost_getpc20470:
	s_add_u32 s14, s14, (.LBB2_10204-.Lpost_getpc20470)&4294967295
	s_addc_u32 s15, s15, (.LBB2_10204-.Lpost_getpc20470)>>32
	s_setpc_b64 s[14:15]
.LBB2_24541:
	s_movk_i32 s4, 0x80
	v_cmp_eq_u16_sdwa s[12:13], v4, s4 src0_sel:BYTE_3 src1_sel:DWORD
	s_mov_b64 s[4:5], -1
                                        ; implicit-def: $sgpr10
	s_and_saveexec_b64 s[8:9], s[12:13]
; %bb.24542:
	s_mov_b32 s10, 0x7f800001
	s_xor_b64 s[4:5], exec, -1
; %bb.24543:
	s_or_b64 exec, exec, s[8:9]
	s_and_b64 s[4:5], s[4:5], exec
	s_or_saveexec_b64 s[6:7], s[6:7]
	v_mov_b32_e32 v3, s10
	s_xor_b64 exec, exec, s[6:7]
	s_cbranch_execnz .LBB2_24544
; %bb.60381:
	s_getpc_b64 s[14:15]
.Lpost_getpc33774:
	s_add_u32 s14, s14, (.LBB2_10206-.Lpost_getpc33774)&4294967295
	s_addc_u32 s15, s15, (.LBB2_10206-.Lpost_getpc33774)>>32
	s_setpc_b64 s[14:15]
.LBB2_24544:
	v_mov_b32_e32 v3, 0
	v_cmp_ne_u16_sdwa s[8:9], v4, v3 src0_sel:BYTE_3 src1_sel:DWORD
	s_andn2_b64 s[4:5], s[4:5], exec
	s_and_b64 s[8:9], s[8:9], exec
	s_or_b64 s[4:5], s[4:5], s[8:9]
	s_or_b64 exec, exec, s[6:7]
	s_and_saveexec_b64 s[6:7], s[4:5]
	s_cbranch_execz .LBB2_33775
; %bb.60383:
	s_getpc_b64 s[14:15]
.Lpost_getpc33775:
	s_add_u32 s14, s14, (.LBB2_10207-.Lpost_getpc33775)&4294967295
	s_addc_u32 s15, s15, (.LBB2_10207-.Lpost_getpc33775)>>32
	s_setpc_b64 s[14:15]
.LBB2_33775:
	s_getpc_b64 s[14:15]
.Lpost_getpc20471:
	s_add_u32 s14, s14, (.LBB2_10208-.Lpost_getpc20471)&4294967295
	s_addc_u32 s15, s15, (.LBB2_10208-.Lpost_getpc20471)>>32
	s_setpc_b64 s[14:15]
.LBB2_24545:
	s_movk_i32 s4, 0x80
	v_cmp_eq_u16_sdwa s[12:13], v9, s4 src0_sel:BYTE_0 src1_sel:DWORD
	s_mov_b64 s[4:5], -1
                                        ; implicit-def: $sgpr10
	s_and_saveexec_b64 s[8:9], s[12:13]
; %bb.24546:
	s_mov_b32 s10, 0x7f800001
	s_xor_b64 s[4:5], exec, -1
; %bb.24547:
	s_or_b64 exec, exec, s[8:9]
	s_and_b64 s[4:5], s[4:5], exec
	s_or_saveexec_b64 s[6:7], s[6:7]
	v_mov_b32_e32 v2, s10
	s_xor_b64 exec, exec, s[6:7]
	s_cbranch_execnz .LBB2_24548
; %bb.60385:
	s_getpc_b64 s[14:15]
.Lpost_getpc33776:
	s_add_u32 s14, s14, (.LBB2_10210-.Lpost_getpc33776)&4294967295
	s_addc_u32 s15, s15, (.LBB2_10210-.Lpost_getpc33776)>>32
	s_setpc_b64 s[14:15]
.LBB2_24548:
	v_mov_b32_e32 v2, 0
	v_cmp_ne_u16_sdwa s[8:9], v9, v2 src0_sel:BYTE_0 src1_sel:DWORD
	s_andn2_b64 s[4:5], s[4:5], exec
	s_and_b64 s[8:9], s[8:9], exec
	s_or_b64 s[4:5], s[4:5], s[8:9]
	s_or_b64 exec, exec, s[6:7]
	s_and_saveexec_b64 s[6:7], s[4:5]
	s_cbranch_execz .LBB2_33777
; %bb.60387:
	s_getpc_b64 s[14:15]
.Lpost_getpc33777:
	s_add_u32 s14, s14, (.LBB2_10211-.Lpost_getpc33777)&4294967295
	s_addc_u32 s15, s15, (.LBB2_10211-.Lpost_getpc33777)>>32
	s_setpc_b64 s[14:15]
.LBB2_33777:
	s_getpc_b64 s[14:15]
.Lpost_getpc20472:
	s_add_u32 s14, s14, (.LBB2_10212-.Lpost_getpc20472)&4294967295
	s_addc_u32 s15, s15, (.LBB2_10212-.Lpost_getpc20472)>>32
	s_setpc_b64 s[14:15]
.LBB2_24549:
	s_movk_i32 s4, 0x80
	v_cmp_eq_u16_sdwa s[12:13], v5, s4 src0_sel:BYTE_0 src1_sel:DWORD
	s_mov_b64 s[4:5], -1
                                        ; implicit-def: $sgpr10
	s_and_saveexec_b64 s[8:9], s[12:13]
; %bb.24550:
	s_mov_b32 s10, 0x7f800001
	s_xor_b64 s[4:5], exec, -1
; %bb.24551:
	s_or_b64 exec, exec, s[8:9]
	s_and_b64 s[4:5], s[4:5], exec
	s_or_saveexec_b64 s[6:7], s[6:7]
	v_mov_b32_e32 v3, s10
	s_xor_b64 exec, exec, s[6:7]
	s_cbranch_execnz .LBB2_24552
; %bb.60389:
	s_getpc_b64 s[14:15]
.Lpost_getpc33778:
	s_add_u32 s14, s14, (.LBB2_10214-.Lpost_getpc33778)&4294967295
	s_addc_u32 s15, s15, (.LBB2_10214-.Lpost_getpc33778)>>32
	s_setpc_b64 s[14:15]
.LBB2_24552:
	v_mov_b32_e32 v3, 0
	v_cmp_ne_u16_sdwa s[8:9], v5, v3 src0_sel:BYTE_0 src1_sel:DWORD
	s_andn2_b64 s[4:5], s[4:5], exec
	s_and_b64 s[8:9], s[8:9], exec
	s_or_b64 s[4:5], s[4:5], s[8:9]
	s_or_b64 exec, exec, s[6:7]
	s_and_saveexec_b64 s[6:7], s[4:5]
	s_cbranch_execz .LBB2_33779
; %bb.60391:
	s_getpc_b64 s[14:15]
.Lpost_getpc33779:
	s_add_u32 s14, s14, (.LBB2_10215-.Lpost_getpc33779)&4294967295
	s_addc_u32 s15, s15, (.LBB2_10215-.Lpost_getpc33779)>>32
	s_setpc_b64 s[14:15]
.LBB2_33779:
	s_getpc_b64 s[14:15]
.Lpost_getpc20473:
	s_add_u32 s14, s14, (.LBB2_10216-.Lpost_getpc20473)&4294967295
	s_addc_u32 s15, s15, (.LBB2_10216-.Lpost_getpc20473)>>32
	s_setpc_b64 s[14:15]
.LBB2_24553:
	s_movk_i32 s4, 0x80
	v_cmp_eq_u16_sdwa s[12:13], v3, s4 src0_sel:BYTE_0 src1_sel:DWORD
	s_mov_b64 s[4:5], -1
                                        ; implicit-def: $sgpr10
	s_and_saveexec_b64 s[8:9], s[12:13]
; %bb.24554:
	s_mov_b32 s10, 0x7f800001
	s_xor_b64 s[4:5], exec, -1
; %bb.24555:
	s_or_b64 exec, exec, s[8:9]
	s_and_b64 s[4:5], s[4:5], exec
	s_or_saveexec_b64 s[6:7], s[6:7]
	v_mov_b32_e32 v2, s10
	s_xor_b64 exec, exec, s[6:7]
	s_cbranch_execnz .LBB2_24556
; %bb.60393:
	s_getpc_b64 s[14:15]
.Lpost_getpc33780:
	s_add_u32 s14, s14, (.LBB2_10218-.Lpost_getpc33780)&4294967295
	s_addc_u32 s15, s15, (.LBB2_10218-.Lpost_getpc33780)>>32
	s_setpc_b64 s[14:15]
.LBB2_24556:
	v_mov_b32_e32 v2, 0
	v_cmp_ne_u16_sdwa s[8:9], v3, v2 src0_sel:BYTE_0 src1_sel:DWORD
	s_andn2_b64 s[4:5], s[4:5], exec
	s_and_b64 s[8:9], s[8:9], exec
	s_or_b64 s[4:5], s[4:5], s[8:9]
	s_or_b64 exec, exec, s[6:7]
	s_and_saveexec_b64 s[6:7], s[4:5]
	s_cbranch_execz .LBB2_33781
; %bb.60395:
	s_getpc_b64 s[14:15]
.Lpost_getpc33781:
	s_add_u32 s14, s14, (.LBB2_10219-.Lpost_getpc33781)&4294967295
	s_addc_u32 s15, s15, (.LBB2_10219-.Lpost_getpc33781)>>32
	s_setpc_b64 s[14:15]
.LBB2_33781:
	s_getpc_b64 s[14:15]
.Lpost_getpc20474:
	s_add_u32 s14, s14, (.LBB2_10220-.Lpost_getpc20474)&4294967295
	s_addc_u32 s15, s15, (.LBB2_10220-.Lpost_getpc20474)>>32
	s_setpc_b64 s[14:15]
.LBB2_24557:
	s_movk_i32 s4, 0x80
	v_cmp_eq_u16_sdwa s[12:13], v3, s4 src0_sel:BYTE_0 src1_sel:DWORD
	s_mov_b64 s[4:5], -1
                                        ; implicit-def: $sgpr10
	s_and_saveexec_b64 s[8:9], s[12:13]
; %bb.24558:
	s_mov_b32 s10, 0x7f800001
	s_xor_b64 s[4:5], exec, -1
; %bb.24559:
	s_or_b64 exec, exec, s[8:9]
	s_and_b64 s[4:5], s[4:5], exec
	s_or_saveexec_b64 s[6:7], s[6:7]
	v_mov_b32_e32 v4, s10
	s_xor_b64 exec, exec, s[6:7]
	s_cbranch_execnz .LBB2_24560
; %bb.60397:
	s_getpc_b64 s[14:15]
.Lpost_getpc33782:
	s_add_u32 s14, s14, (.LBB2_10222-.Lpost_getpc33782)&4294967295
	s_addc_u32 s15, s15, (.LBB2_10222-.Lpost_getpc33782)>>32
	s_setpc_b64 s[14:15]
.LBB2_24560:
	v_mov_b32_e32 v4, 0
	v_cmp_ne_u16_sdwa s[8:9], v3, v4 src0_sel:BYTE_0 src1_sel:DWORD
	s_andn2_b64 s[4:5], s[4:5], exec
	s_and_b64 s[8:9], s[8:9], exec
	s_or_b64 s[4:5], s[4:5], s[8:9]
	s_or_b64 exec, exec, s[6:7]
	s_and_saveexec_b64 s[6:7], s[4:5]
	s_cbranch_execz .LBB2_33783
; %bb.60399:
	s_getpc_b64 s[14:15]
.Lpost_getpc33783:
	s_add_u32 s14, s14, (.LBB2_10223-.Lpost_getpc33783)&4294967295
	s_addc_u32 s15, s15, (.LBB2_10223-.Lpost_getpc33783)>>32
	s_setpc_b64 s[14:15]
.LBB2_33783:
	s_getpc_b64 s[14:15]
.Lpost_getpc20475:
	s_add_u32 s14, s14, (.LBB2_10224-.Lpost_getpc20475)&4294967295
	s_addc_u32 s15, s15, (.LBB2_10224-.Lpost_getpc20475)>>32
	s_setpc_b64 s[14:15]
.LBB2_24561:
	s_movk_i32 s4, 0x80
	v_cmp_eq_u16_e32 vcc, s4, v3
	s_mov_b64 s[4:5], -1
                                        ; implicit-def: $sgpr10
	s_and_saveexec_b64 s[8:9], vcc
; %bb.24562:
	s_mov_b32 s10, 0x7f800001
	s_xor_b64 s[4:5], exec, -1
; %bb.24563:
	s_or_b64 exec, exec, s[8:9]
	s_and_b64 s[4:5], s[4:5], exec
                                        ; implicit-def: $vgpr3
	s_or_saveexec_b64 s[6:7], s[6:7]
	v_mov_b32_e32 v2, s10
	s_xor_b64 exec, exec, s[6:7]
	s_cbranch_execnz .LBB2_24564
; %bb.60401:
	s_getpc_b64 s[14:15]
.Lpost_getpc33784:
	s_add_u32 s14, s14, (.LBB2_10226-.Lpost_getpc33784)&4294967295
	s_addc_u32 s15, s15, (.LBB2_10226-.Lpost_getpc33784)>>32
	s_setpc_b64 s[14:15]
.LBB2_24564:
	v_cmp_ne_u16_e32 vcc, 0, v3
	s_andn2_b64 s[4:5], s[4:5], exec
	s_and_b64 s[8:9], vcc, exec
	v_mov_b32_e32 v2, 0
	s_or_b64 s[4:5], s[4:5], s[8:9]
	s_or_b64 exec, exec, s[6:7]
	s_and_saveexec_b64 s[6:7], s[4:5]
	s_cbranch_execz .LBB2_33785
; %bb.60403:
	s_getpc_b64 s[14:15]
.Lpost_getpc33785:
	s_add_u32 s14, s14, (.LBB2_10227-.Lpost_getpc33785)&4294967295
	s_addc_u32 s15, s15, (.LBB2_10227-.Lpost_getpc33785)>>32
	s_setpc_b64 s[14:15]
.LBB2_33785:
	s_getpc_b64 s[14:15]
.Lpost_getpc20476:
	s_add_u32 s14, s14, (.LBB2_10228-.Lpost_getpc20476)&4294967295
	s_addc_u32 s15, s15, (.LBB2_10228-.Lpost_getpc20476)>>32
	s_setpc_b64 s[14:15]
.LBB2_24565:
	s_movk_i32 s4, 0x80
	v_cmp_eq_u16_e32 vcc, s4, v3
	s_mov_b64 s[4:5], -1
                                        ; implicit-def: $sgpr10
	s_and_saveexec_b64 s[8:9], vcc
; %bb.24566:
	s_mov_b32 s10, 0x7f800001
	s_xor_b64 s[4:5], exec, -1
; %bb.24567:
	s_or_b64 exec, exec, s[8:9]
	s_and_b64 s[4:5], s[4:5], exec
                                        ; implicit-def: $vgpr3
	s_or_saveexec_b64 s[6:7], s[6:7]
	v_mov_b32_e32 v4, s10
	s_xor_b64 exec, exec, s[6:7]
	s_cbranch_execnz .LBB2_24568
; %bb.60405:
	s_getpc_b64 s[14:15]
.Lpost_getpc33786:
	s_add_u32 s14, s14, (.LBB2_10230-.Lpost_getpc33786)&4294967295
	s_addc_u32 s15, s15, (.LBB2_10230-.Lpost_getpc33786)>>32
	s_setpc_b64 s[14:15]
.LBB2_24568:
	v_cmp_ne_u16_e32 vcc, 0, v3
	s_andn2_b64 s[4:5], s[4:5], exec
	s_and_b64 s[8:9], vcc, exec
	v_mov_b32_e32 v4, 0
	s_or_b64 s[4:5], s[4:5], s[8:9]
	s_or_b64 exec, exec, s[6:7]
	s_and_saveexec_b64 s[6:7], s[4:5]
	s_cbranch_execz .LBB2_33787
; %bb.60407:
	s_getpc_b64 s[14:15]
.Lpost_getpc33787:
	s_add_u32 s14, s14, (.LBB2_10231-.Lpost_getpc33787)&4294967295
	s_addc_u32 s15, s15, (.LBB2_10231-.Lpost_getpc33787)>>32
	s_setpc_b64 s[14:15]
.LBB2_33787:
	s_getpc_b64 s[14:15]
.Lpost_getpc20477:
	s_add_u32 s14, s14, (.LBB2_10232-.Lpost_getpc20477)&4294967295
	s_addc_u32 s15, s15, (.LBB2_10232-.Lpost_getpc20477)>>32
	s_setpc_b64 s[14:15]
.LBB2_24569:
	s_movk_i32 s4, 0x80
	v_cmp_eq_u16_sdwa s[12:13], v9, s4 src0_sel:BYTE_3 src1_sel:DWORD
	s_mov_b64 s[4:5], -1
                                        ; implicit-def: $sgpr10
	s_and_saveexec_b64 s[8:9], s[12:13]
; %bb.24570:
	s_mov_b32 s10, 0x7f800001
	s_xor_b64 s[4:5], exec, -1
; %bb.24571:
	s_or_b64 exec, exec, s[8:9]
	s_and_b64 s[4:5], s[4:5], exec
	s_or_saveexec_b64 s[6:7], s[6:7]
	v_mov_b32_e32 v2, s10
	s_xor_b64 exec, exec, s[6:7]
	s_cbranch_execnz .LBB2_24572
; %bb.60409:
	s_getpc_b64 s[14:15]
.Lpost_getpc33788:
	s_add_u32 s14, s14, (.LBB2_10234-.Lpost_getpc33788)&4294967295
	s_addc_u32 s15, s15, (.LBB2_10234-.Lpost_getpc33788)>>32
	s_setpc_b64 s[14:15]
.LBB2_24572:
	v_mov_b32_e32 v2, 0
	v_cmp_ne_u16_sdwa s[8:9], v9, v2 src0_sel:BYTE_3 src1_sel:DWORD
	s_andn2_b64 s[4:5], s[4:5], exec
	s_and_b64 s[8:9], s[8:9], exec
	s_or_b64 s[4:5], s[4:5], s[8:9]
	s_or_b64 exec, exec, s[6:7]
	s_and_saveexec_b64 s[6:7], s[4:5]
	s_cbranch_execz .LBB2_33789
; %bb.60411:
	s_getpc_b64 s[14:15]
.Lpost_getpc33789:
	s_add_u32 s14, s14, (.LBB2_10235-.Lpost_getpc33789)&4294967295
	s_addc_u32 s15, s15, (.LBB2_10235-.Lpost_getpc33789)>>32
	s_setpc_b64 s[14:15]
.LBB2_33789:
	s_getpc_b64 s[14:15]
.Lpost_getpc20478:
	s_add_u32 s14, s14, (.LBB2_10236-.Lpost_getpc20478)&4294967295
	s_addc_u32 s15, s15, (.LBB2_10236-.Lpost_getpc20478)>>32
	s_setpc_b64 s[14:15]
.LBB2_24573:
	s_movk_i32 s4, 0x80
	v_cmp_eq_u16_sdwa s[12:13], v5, s4 src0_sel:BYTE_3 src1_sel:DWORD
	s_mov_b64 s[4:5], -1
                                        ; implicit-def: $sgpr10
	s_and_saveexec_b64 s[8:9], s[12:13]
; %bb.24574:
	s_mov_b32 s10, 0x7f800001
	s_xor_b64 s[4:5], exec, -1
; %bb.24575:
	s_or_b64 exec, exec, s[8:9]
	s_and_b64 s[4:5], s[4:5], exec
	s_or_saveexec_b64 s[6:7], s[6:7]
	v_mov_b32_e32 v3, s10
	s_xor_b64 exec, exec, s[6:7]
	s_cbranch_execnz .LBB2_24576
; %bb.60413:
	s_getpc_b64 s[14:15]
.Lpost_getpc33790:
	s_add_u32 s14, s14, (.LBB2_10238-.Lpost_getpc33790)&4294967295
	s_addc_u32 s15, s15, (.LBB2_10238-.Lpost_getpc33790)>>32
	s_setpc_b64 s[14:15]
.LBB2_24576:
	v_mov_b32_e32 v3, 0
	v_cmp_ne_u16_sdwa s[8:9], v5, v3 src0_sel:BYTE_3 src1_sel:DWORD
	s_andn2_b64 s[4:5], s[4:5], exec
	s_and_b64 s[8:9], s[8:9], exec
	s_or_b64 s[4:5], s[4:5], s[8:9]
	s_or_b64 exec, exec, s[6:7]
	s_and_saveexec_b64 s[6:7], s[4:5]
	s_cbranch_execz .LBB2_33791
; %bb.60415:
	s_getpc_b64 s[14:15]
.Lpost_getpc33791:
	s_add_u32 s14, s14, (.LBB2_10239-.Lpost_getpc33791)&4294967295
	s_addc_u32 s15, s15, (.LBB2_10239-.Lpost_getpc33791)>>32
	s_setpc_b64 s[14:15]
.LBB2_33791:
	s_getpc_b64 s[14:15]
.Lpost_getpc20479:
	s_add_u32 s14, s14, (.LBB2_10240-.Lpost_getpc20479)&4294967295
	s_addc_u32 s15, s15, (.LBB2_10240-.Lpost_getpc20479)>>32
	s_setpc_b64 s[14:15]
.LBB2_24577:
	s_movk_i32 s4, 0x80
	v_cmp_eq_u16_sdwa s[12:13], v6, s4 src0_sel:BYTE_0 src1_sel:DWORD
	s_mov_b64 s[4:5], -1
                                        ; implicit-def: $sgpr10
	s_and_saveexec_b64 s[8:9], s[12:13]
; %bb.24578:
	s_mov_b32 s10, 0x7f800001
	s_xor_b64 s[4:5], exec, -1
; %bb.24579:
	s_or_b64 exec, exec, s[8:9]
	s_and_b64 s[4:5], s[4:5], exec
	s_or_saveexec_b64 s[6:7], s[6:7]
	v_mov_b32_e32 v12, s10
	s_xor_b64 exec, exec, s[6:7]
	s_cbranch_execnz .LBB2_24580
; %bb.60417:
	s_getpc_b64 s[14:15]
.Lpost_getpc33792:
	s_add_u32 s14, s14, (.LBB2_10242-.Lpost_getpc33792)&4294967295
	s_addc_u32 s15, s15, (.LBB2_10242-.Lpost_getpc33792)>>32
	s_setpc_b64 s[14:15]
.LBB2_24580:
	v_mov_b32_e32 v12, 0
	v_cmp_ne_u16_sdwa s[8:9], v6, v12 src0_sel:BYTE_0 src1_sel:DWORD
	s_andn2_b64 s[4:5], s[4:5], exec
	s_and_b64 s[8:9], s[8:9], exec
	s_or_b64 s[4:5], s[4:5], s[8:9]
	s_or_b64 exec, exec, s[6:7]
	s_and_saveexec_b64 s[6:7], s[4:5]
	s_cbranch_execz .LBB2_33793
; %bb.60419:
	s_getpc_b64 s[14:15]
.Lpost_getpc33793:
	s_add_u32 s14, s14, (.LBB2_10243-.Lpost_getpc33793)&4294967295
	s_addc_u32 s15, s15, (.LBB2_10243-.Lpost_getpc33793)>>32
	s_setpc_b64 s[14:15]
.LBB2_33793:
	s_getpc_b64 s[14:15]
.Lpost_getpc20480:
	s_add_u32 s14, s14, (.LBB2_10244-.Lpost_getpc20480)&4294967295
	s_addc_u32 s15, s15, (.LBB2_10244-.Lpost_getpc20480)>>32
	s_setpc_b64 s[14:15]
.LBB2_24581:
	s_movk_i32 s4, 0x80
	v_cmp_eq_u16_sdwa s[12:13], v2, s4 src0_sel:BYTE_0 src1_sel:DWORD
	s_mov_b64 s[4:5], -1
                                        ; implicit-def: $sgpr10
	s_and_saveexec_b64 s[8:9], s[12:13]
; %bb.24582:
	s_mov_b32 s10, 0x7f800001
	s_xor_b64 s[4:5], exec, -1
; %bb.24583:
	s_or_b64 exec, exec, s[8:9]
	s_and_b64 s[4:5], s[4:5], exec
	s_or_saveexec_b64 s[6:7], s[6:7]
	v_mov_b32_e32 v13, s10
	s_xor_b64 exec, exec, s[6:7]
	s_cbranch_execnz .LBB2_24584
; %bb.60421:
	s_getpc_b64 s[14:15]
.Lpost_getpc33794:
	s_add_u32 s14, s14, (.LBB2_10246-.Lpost_getpc33794)&4294967295
	s_addc_u32 s15, s15, (.LBB2_10246-.Lpost_getpc33794)>>32
	s_setpc_b64 s[14:15]
.LBB2_24584:
	v_mov_b32_e32 v13, 0
	v_cmp_ne_u16_sdwa s[8:9], v2, v13 src0_sel:BYTE_0 src1_sel:DWORD
	s_andn2_b64 s[4:5], s[4:5], exec
	s_and_b64 s[8:9], s[8:9], exec
	s_or_b64 s[4:5], s[4:5], s[8:9]
	s_or_b64 exec, exec, s[6:7]
	s_and_saveexec_b64 s[6:7], s[4:5]
	s_cbranch_execz .LBB2_33795
; %bb.60423:
	s_getpc_b64 s[14:15]
.Lpost_getpc33795:
	s_add_u32 s14, s14, (.LBB2_10247-.Lpost_getpc33795)&4294967295
	s_addc_u32 s15, s15, (.LBB2_10247-.Lpost_getpc33795)>>32
	s_setpc_b64 s[14:15]
.LBB2_33795:
	s_getpc_b64 s[14:15]
.Lpost_getpc20481:
	s_add_u32 s14, s14, (.LBB2_10248-.Lpost_getpc20481)&4294967295
	s_addc_u32 s15, s15, (.LBB2_10248-.Lpost_getpc20481)>>32
	s_setpc_b64 s[14:15]
.LBB2_24585:
	s_movk_i32 s4, 0x80
	v_cmp_eq_u16_sdwa s[12:13], v13, s4 src0_sel:BYTE_0 src1_sel:DWORD
	s_mov_b64 s[4:5], -1
                                        ; implicit-def: $sgpr10
	s_and_saveexec_b64 s[8:9], s[12:13]
; %bb.24586:
	s_mov_b32 s10, 0x7f800001
	s_xor_b64 s[4:5], exec, -1
; %bb.24587:
	s_or_b64 exec, exec, s[8:9]
	s_and_b64 s[4:5], s[4:5], exec
	s_or_saveexec_b64 s[6:7], s[6:7]
	v_mov_b32_e32 v12, s10
	s_xor_b64 exec, exec, s[6:7]
	s_cbranch_execnz .LBB2_24588
; %bb.60425:
	s_getpc_b64 s[14:15]
.Lpost_getpc33796:
	s_add_u32 s14, s14, (.LBB2_10250-.Lpost_getpc33796)&4294967295
	s_addc_u32 s15, s15, (.LBB2_10250-.Lpost_getpc33796)>>32
	s_setpc_b64 s[14:15]
.LBB2_24588:
	v_mov_b32_e32 v12, 0
	v_cmp_ne_u16_sdwa s[8:9], v13, v12 src0_sel:BYTE_0 src1_sel:DWORD
	s_andn2_b64 s[4:5], s[4:5], exec
	s_and_b64 s[8:9], s[8:9], exec
	s_or_b64 s[4:5], s[4:5], s[8:9]
	s_or_b64 exec, exec, s[6:7]
	s_and_saveexec_b64 s[6:7], s[4:5]
	s_cbranch_execz .LBB2_33797
; %bb.60427:
	s_getpc_b64 s[14:15]
.Lpost_getpc33797:
	s_add_u32 s14, s14, (.LBB2_10251-.Lpost_getpc33797)&4294967295
	s_addc_u32 s15, s15, (.LBB2_10251-.Lpost_getpc33797)>>32
	s_setpc_b64 s[14:15]
.LBB2_33797:
	s_getpc_b64 s[14:15]
.Lpost_getpc20482:
	s_add_u32 s14, s14, (.LBB2_10252-.Lpost_getpc20482)&4294967295
	s_addc_u32 s15, s15, (.LBB2_10252-.Lpost_getpc20482)>>32
	s_setpc_b64 s[14:15]
.LBB2_24589:
	s_movk_i32 s4, 0x80
	v_cmp_eq_u16_sdwa s[12:13], v13, s4 src0_sel:BYTE_0 src1_sel:DWORD
	s_mov_b64 s[4:5], -1
                                        ; implicit-def: $sgpr10
	s_and_saveexec_b64 s[8:9], s[12:13]
; %bb.24590:
	s_mov_b32 s10, 0x7f800001
	s_xor_b64 s[4:5], exec, -1
; %bb.24591:
	s_or_b64 exec, exec, s[8:9]
	s_and_b64 s[4:5], s[4:5], exec
	s_or_saveexec_b64 s[6:7], s[6:7]
	v_mov_b32_e32 v14, s10
	s_xor_b64 exec, exec, s[6:7]
	s_cbranch_execnz .LBB2_24592
; %bb.60429:
	s_getpc_b64 s[14:15]
.Lpost_getpc33798:
	s_add_u32 s14, s14, (.LBB2_10254-.Lpost_getpc33798)&4294967295
	s_addc_u32 s15, s15, (.LBB2_10254-.Lpost_getpc33798)>>32
	s_setpc_b64 s[14:15]
.LBB2_24592:
	v_mov_b32_e32 v14, 0
	v_cmp_ne_u16_sdwa s[8:9], v13, v14 src0_sel:BYTE_0 src1_sel:DWORD
	s_andn2_b64 s[4:5], s[4:5], exec
	s_and_b64 s[8:9], s[8:9], exec
	s_or_b64 s[4:5], s[4:5], s[8:9]
	s_or_b64 exec, exec, s[6:7]
	s_and_saveexec_b64 s[6:7], s[4:5]
	s_cbranch_execz .LBB2_33799
; %bb.60431:
	s_getpc_b64 s[14:15]
.Lpost_getpc33799:
	s_add_u32 s14, s14, (.LBB2_10255-.Lpost_getpc33799)&4294967295
	s_addc_u32 s15, s15, (.LBB2_10255-.Lpost_getpc33799)>>32
	s_setpc_b64 s[14:15]
.LBB2_33799:
	s_getpc_b64 s[14:15]
.Lpost_getpc20483:
	s_add_u32 s14, s14, (.LBB2_10256-.Lpost_getpc20483)&4294967295
	s_addc_u32 s15, s15, (.LBB2_10256-.Lpost_getpc20483)>>32
	s_setpc_b64 s[14:15]
.LBB2_24593:
	s_movk_i32 s4, 0x80
	v_cmp_eq_u16_e32 vcc, s4, v13
	s_mov_b64 s[4:5], -1
                                        ; implicit-def: $sgpr10
	s_and_saveexec_b64 s[8:9], vcc
; %bb.24594:
	s_mov_b32 s10, 0x7f800001
	s_xor_b64 s[4:5], exec, -1
; %bb.24595:
	s_or_b64 exec, exec, s[8:9]
	s_and_b64 s[4:5], s[4:5], exec
                                        ; implicit-def: $vgpr13
	s_or_saveexec_b64 s[6:7], s[6:7]
	v_mov_b32_e32 v12, s10
	s_xor_b64 exec, exec, s[6:7]
	s_cbranch_execnz .LBB2_24596
; %bb.60433:
	s_getpc_b64 s[14:15]
.Lpost_getpc33800:
	s_add_u32 s14, s14, (.LBB2_10258-.Lpost_getpc33800)&4294967295
	s_addc_u32 s15, s15, (.LBB2_10258-.Lpost_getpc33800)>>32
	s_setpc_b64 s[14:15]
.LBB2_24596:
	v_cmp_ne_u16_e32 vcc, 0, v13
	s_andn2_b64 s[4:5], s[4:5], exec
	s_and_b64 s[8:9], vcc, exec
	v_mov_b32_e32 v12, 0
	s_or_b64 s[4:5], s[4:5], s[8:9]
	s_or_b64 exec, exec, s[6:7]
	s_and_saveexec_b64 s[6:7], s[4:5]
	s_cbranch_execz .LBB2_33801
; %bb.60435:
	s_getpc_b64 s[14:15]
.Lpost_getpc33801:
	s_add_u32 s14, s14, (.LBB2_10259-.Lpost_getpc33801)&4294967295
	s_addc_u32 s15, s15, (.LBB2_10259-.Lpost_getpc33801)>>32
	s_setpc_b64 s[14:15]
.LBB2_33801:
	s_getpc_b64 s[14:15]
.Lpost_getpc20484:
	s_add_u32 s14, s14, (.LBB2_10260-.Lpost_getpc20484)&4294967295
	s_addc_u32 s15, s15, (.LBB2_10260-.Lpost_getpc20484)>>32
	s_setpc_b64 s[14:15]
.LBB2_24597:
	s_movk_i32 s4, 0x80
	v_cmp_eq_u16_e32 vcc, s4, v13
	s_mov_b64 s[4:5], -1
                                        ; implicit-def: $sgpr10
	s_and_saveexec_b64 s[8:9], vcc
; %bb.24598:
	s_mov_b32 s10, 0x7f800001
	s_xor_b64 s[4:5], exec, -1
; %bb.24599:
	s_or_b64 exec, exec, s[8:9]
	s_and_b64 s[4:5], s[4:5], exec
                                        ; implicit-def: $vgpr13
	s_or_saveexec_b64 s[6:7], s[6:7]
	v_mov_b32_e32 v14, s10
	s_xor_b64 exec, exec, s[6:7]
	s_cbranch_execnz .LBB2_24600
; %bb.60437:
	s_getpc_b64 s[14:15]
.Lpost_getpc33802:
	s_add_u32 s14, s14, (.LBB2_10262-.Lpost_getpc33802)&4294967295
	s_addc_u32 s15, s15, (.LBB2_10262-.Lpost_getpc33802)>>32
	s_setpc_b64 s[14:15]
.LBB2_24600:
	v_cmp_ne_u16_e32 vcc, 0, v13
	s_andn2_b64 s[4:5], s[4:5], exec
	s_and_b64 s[8:9], vcc, exec
	v_mov_b32_e32 v14, 0
	s_or_b64 s[4:5], s[4:5], s[8:9]
	s_or_b64 exec, exec, s[6:7]
	s_and_saveexec_b64 s[6:7], s[4:5]
	s_cbranch_execz .LBB2_33803
; %bb.60439:
	s_getpc_b64 s[14:15]
.Lpost_getpc33803:
	s_add_u32 s14, s14, (.LBB2_10263-.Lpost_getpc33803)&4294967295
	s_addc_u32 s15, s15, (.LBB2_10263-.Lpost_getpc33803)>>32
	s_setpc_b64 s[14:15]
.LBB2_33803:
	s_getpc_b64 s[14:15]
.Lpost_getpc20485:
	s_add_u32 s14, s14, (.LBB2_10264-.Lpost_getpc20485)&4294967295
	s_addc_u32 s15, s15, (.LBB2_10264-.Lpost_getpc20485)>>32
	s_setpc_b64 s[14:15]
.LBB2_24601:
	s_movk_i32 s4, 0x80
	v_cmp_eq_u16_sdwa s[12:13], v6, s4 src0_sel:BYTE_3 src1_sel:DWORD
	s_mov_b64 s[4:5], -1
                                        ; implicit-def: $sgpr10
	s_and_saveexec_b64 s[8:9], s[12:13]
; %bb.24602:
	s_mov_b32 s10, 0x7f800001
	s_xor_b64 s[4:5], exec, -1
; %bb.24603:
	s_or_b64 exec, exec, s[8:9]
	s_and_b64 s[4:5], s[4:5], exec
	s_or_saveexec_b64 s[6:7], s[6:7]
	v_mov_b32_e32 v12, s10
	s_xor_b64 exec, exec, s[6:7]
	s_cbranch_execnz .LBB2_24604
; %bb.60441:
	s_getpc_b64 s[14:15]
.Lpost_getpc33804:
	s_add_u32 s14, s14, (.LBB2_10266-.Lpost_getpc33804)&4294967295
	s_addc_u32 s15, s15, (.LBB2_10266-.Lpost_getpc33804)>>32
	s_setpc_b64 s[14:15]
.LBB2_24604:
	v_mov_b32_e32 v12, 0
	v_cmp_ne_u16_sdwa s[8:9], v6, v12 src0_sel:BYTE_3 src1_sel:DWORD
	s_andn2_b64 s[4:5], s[4:5], exec
	s_and_b64 s[8:9], s[8:9], exec
	s_or_b64 s[4:5], s[4:5], s[8:9]
	s_or_b64 exec, exec, s[6:7]
	s_and_saveexec_b64 s[6:7], s[4:5]
	s_cbranch_execz .LBB2_33805
; %bb.60443:
	s_getpc_b64 s[14:15]
.Lpost_getpc33805:
	s_add_u32 s14, s14, (.LBB2_10267-.Lpost_getpc33805)&4294967295
	s_addc_u32 s15, s15, (.LBB2_10267-.Lpost_getpc33805)>>32
	s_setpc_b64 s[14:15]
.LBB2_33805:
	s_getpc_b64 s[14:15]
.Lpost_getpc20486:
	s_add_u32 s14, s14, (.LBB2_10268-.Lpost_getpc20486)&4294967295
	s_addc_u32 s15, s15, (.LBB2_10268-.Lpost_getpc20486)>>32
	s_setpc_b64 s[14:15]
.LBB2_24605:
	s_movk_i32 s4, 0x80
	v_cmp_eq_u16_sdwa s[12:13], v2, s4 src0_sel:BYTE_3 src1_sel:DWORD
	s_mov_b64 s[4:5], -1
                                        ; implicit-def: $sgpr10
	s_and_saveexec_b64 s[8:9], s[12:13]
; %bb.24606:
	s_mov_b32 s10, 0x7f800001
	s_xor_b64 s[4:5], exec, -1
; %bb.24607:
	s_or_b64 exec, exec, s[8:9]
	s_and_b64 s[4:5], s[4:5], exec
	s_or_saveexec_b64 s[6:7], s[6:7]
	v_mov_b32_e32 v6, s10
	s_xor_b64 exec, exec, s[6:7]
	s_cbranch_execnz .LBB2_24608
; %bb.60445:
	s_getpc_b64 s[14:15]
.Lpost_getpc33806:
	s_add_u32 s14, s14, (.LBB2_10270-.Lpost_getpc33806)&4294967295
	s_addc_u32 s15, s15, (.LBB2_10270-.Lpost_getpc33806)>>32
	s_setpc_b64 s[14:15]
.LBB2_24608:
	v_mov_b32_e32 v6, 0
	v_cmp_ne_u16_sdwa s[8:9], v2, v6 src0_sel:BYTE_3 src1_sel:DWORD
	s_andn2_b64 s[4:5], s[4:5], exec
	s_and_b64 s[8:9], s[8:9], exec
	s_or_b64 s[4:5], s[4:5], s[8:9]
	s_or_b64 exec, exec, s[6:7]
	s_and_saveexec_b64 s[6:7], s[4:5]
	s_cbranch_execz .LBB2_33807
; %bb.60447:
	s_getpc_b64 s[14:15]
.Lpost_getpc33807:
	s_add_u32 s14, s14, (.LBB2_10271-.Lpost_getpc33807)&4294967295
	s_addc_u32 s15, s15, (.LBB2_10271-.Lpost_getpc33807)>>32
	s_setpc_b64 s[14:15]
.LBB2_33807:
	s_getpc_b64 s[14:15]
.Lpost_getpc20487:
	s_add_u32 s14, s14, (.LBB2_10272-.Lpost_getpc20487)&4294967295
	s_addc_u32 s15, s15, (.LBB2_10272-.Lpost_getpc20487)>>32
	s_setpc_b64 s[14:15]
.LBB2_24609:
	s_movk_i32 s4, 0x80
	v_cmp_eq_u16_sdwa s[12:13], v7, s4 src0_sel:BYTE_0 src1_sel:DWORD
	s_mov_b64 s[4:5], -1
                                        ; implicit-def: $sgpr10
	s_and_saveexec_b64 s[8:9], s[12:13]
; %bb.24610:
	s_mov_b32 s10, 0x7f800001
	s_xor_b64 s[4:5], exec, -1
; %bb.24611:
	s_or_b64 exec, exec, s[8:9]
	s_and_b64 s[4:5], s[4:5], exec
	s_or_saveexec_b64 s[6:7], s[6:7]
	v_mov_b32_e32 v2, s10
	s_xor_b64 exec, exec, s[6:7]
	s_cbranch_execnz .LBB2_24612
; %bb.60449:
	s_getpc_b64 s[14:15]
.Lpost_getpc33808:
	s_add_u32 s14, s14, (.LBB2_10274-.Lpost_getpc33808)&4294967295
	s_addc_u32 s15, s15, (.LBB2_10274-.Lpost_getpc33808)>>32
	s_setpc_b64 s[14:15]
.LBB2_24612:
	v_mov_b32_e32 v2, 0
	v_cmp_ne_u16_sdwa s[8:9], v7, v2 src0_sel:BYTE_0 src1_sel:DWORD
	s_andn2_b64 s[4:5], s[4:5], exec
	s_and_b64 s[8:9], s[8:9], exec
	s_or_b64 s[4:5], s[4:5], s[8:9]
	s_or_b64 exec, exec, s[6:7]
	s_and_saveexec_b64 s[6:7], s[4:5]
	s_cbranch_execz .LBB2_33809
; %bb.60451:
	s_getpc_b64 s[14:15]
.Lpost_getpc33809:
	s_add_u32 s14, s14, (.LBB2_10275-.Lpost_getpc33809)&4294967295
	s_addc_u32 s15, s15, (.LBB2_10275-.Lpost_getpc33809)>>32
	s_setpc_b64 s[14:15]
.LBB2_33809:
	s_getpc_b64 s[14:15]
.Lpost_getpc20488:
	s_add_u32 s14, s14, (.LBB2_10276-.Lpost_getpc20488)&4294967295
	s_addc_u32 s15, s15, (.LBB2_10276-.Lpost_getpc20488)>>32
	s_setpc_b64 s[14:15]
.LBB2_24613:
	s_movk_i32 s4, 0x80
	v_cmp_eq_u16_sdwa s[12:13], v3, s4 src0_sel:BYTE_0 src1_sel:DWORD
	s_mov_b64 s[4:5], -1
                                        ; implicit-def: $sgpr10
	s_and_saveexec_b64 s[8:9], s[12:13]
; %bb.24614:
	s_mov_b32 s10, 0x7f800001
	s_xor_b64 s[4:5], exec, -1
; %bb.24615:
	s_or_b64 exec, exec, s[8:9]
	s_and_b64 s[4:5], s[4:5], exec
	s_or_saveexec_b64 s[6:7], s[6:7]
	v_mov_b32_e32 v6, s10
	s_xor_b64 exec, exec, s[6:7]
	s_cbranch_execnz .LBB2_24616
; %bb.60453:
	s_getpc_b64 s[14:15]
.Lpost_getpc33810:
	s_add_u32 s14, s14, (.LBB2_10278-.Lpost_getpc33810)&4294967295
	s_addc_u32 s15, s15, (.LBB2_10278-.Lpost_getpc33810)>>32
	s_setpc_b64 s[14:15]
.LBB2_24616:
	v_mov_b32_e32 v6, 0
	v_cmp_ne_u16_sdwa s[8:9], v3, v6 src0_sel:BYTE_0 src1_sel:DWORD
	s_andn2_b64 s[4:5], s[4:5], exec
	s_and_b64 s[8:9], s[8:9], exec
	s_or_b64 s[4:5], s[4:5], s[8:9]
	s_or_b64 exec, exec, s[6:7]
	s_and_saveexec_b64 s[6:7], s[4:5]
	s_cbranch_execz .LBB2_33811
; %bb.60455:
	s_getpc_b64 s[14:15]
.Lpost_getpc33811:
	s_add_u32 s14, s14, (.LBB2_10279-.Lpost_getpc33811)&4294967295
	s_addc_u32 s15, s15, (.LBB2_10279-.Lpost_getpc33811)>>32
	s_setpc_b64 s[14:15]
.LBB2_33811:
	s_getpc_b64 s[14:15]
.Lpost_getpc20489:
	s_add_u32 s14, s14, (.LBB2_10280-.Lpost_getpc20489)&4294967295
	s_addc_u32 s15, s15, (.LBB2_10280-.Lpost_getpc20489)>>32
	s_setpc_b64 s[14:15]
.LBB2_24617:
	s_movk_i32 s4, 0x80
	v_cmp_eq_u16_sdwa s[12:13], v6, s4 src0_sel:BYTE_0 src1_sel:DWORD
	s_mov_b64 s[4:5], -1
                                        ; implicit-def: $sgpr10
	s_and_saveexec_b64 s[8:9], s[12:13]
; %bb.24618:
	s_mov_b32 s10, 0x7f800001
	s_xor_b64 s[4:5], exec, -1
; %bb.24619:
	s_or_b64 exec, exec, s[8:9]
	s_and_b64 s[4:5], s[4:5], exec
	s_or_saveexec_b64 s[6:7], s[6:7]
	v_mov_b32_e32 v2, s10
	s_xor_b64 exec, exec, s[6:7]
	s_cbranch_execnz .LBB2_24620
; %bb.60457:
	s_getpc_b64 s[14:15]
.Lpost_getpc33812:
	s_add_u32 s14, s14, (.LBB2_10282-.Lpost_getpc33812)&4294967295
	s_addc_u32 s15, s15, (.LBB2_10282-.Lpost_getpc33812)>>32
	s_setpc_b64 s[14:15]
.LBB2_24620:
	v_mov_b32_e32 v2, 0
	v_cmp_ne_u16_sdwa s[8:9], v6, v2 src0_sel:BYTE_0 src1_sel:DWORD
	s_andn2_b64 s[4:5], s[4:5], exec
	s_and_b64 s[8:9], s[8:9], exec
	s_or_b64 s[4:5], s[4:5], s[8:9]
	s_or_b64 exec, exec, s[6:7]
	s_and_saveexec_b64 s[6:7], s[4:5]
	s_cbranch_execz .LBB2_33813
; %bb.60459:
	s_getpc_b64 s[14:15]
.Lpost_getpc33813:
	s_add_u32 s14, s14, (.LBB2_10283-.Lpost_getpc33813)&4294967295
	s_addc_u32 s15, s15, (.LBB2_10283-.Lpost_getpc33813)>>32
	s_setpc_b64 s[14:15]
.LBB2_33813:
	s_getpc_b64 s[14:15]
.Lpost_getpc20490:
	s_add_u32 s14, s14, (.LBB2_10284-.Lpost_getpc20490)&4294967295
	s_addc_u32 s15, s15, (.LBB2_10284-.Lpost_getpc20490)>>32
	s_setpc_b64 s[14:15]
.LBB2_24621:
	s_movk_i32 s4, 0x80
	v_cmp_eq_u16_sdwa s[12:13], v6, s4 src0_sel:BYTE_0 src1_sel:DWORD
	s_mov_b64 s[4:5], -1
                                        ; implicit-def: $sgpr10
	s_and_saveexec_b64 s[8:9], s[12:13]
; %bb.24622:
	s_mov_b32 s10, 0x7f800001
	s_xor_b64 s[4:5], exec, -1
; %bb.24623:
	s_or_b64 exec, exec, s[8:9]
	s_and_b64 s[4:5], s[4:5], exec
	s_or_saveexec_b64 s[6:7], s[6:7]
	v_mov_b32_e32 v12, s10
	s_xor_b64 exec, exec, s[6:7]
	s_cbranch_execnz .LBB2_24624
; %bb.60461:
	s_getpc_b64 s[14:15]
.Lpost_getpc33814:
	s_add_u32 s14, s14, (.LBB2_10286-.Lpost_getpc33814)&4294967295
	s_addc_u32 s15, s15, (.LBB2_10286-.Lpost_getpc33814)>>32
	s_setpc_b64 s[14:15]
.LBB2_24624:
	v_mov_b32_e32 v12, 0
	v_cmp_ne_u16_sdwa s[8:9], v6, v12 src0_sel:BYTE_0 src1_sel:DWORD
	s_andn2_b64 s[4:5], s[4:5], exec
	s_and_b64 s[8:9], s[8:9], exec
	s_or_b64 s[4:5], s[4:5], s[8:9]
	s_or_b64 exec, exec, s[6:7]
	s_and_saveexec_b64 s[6:7], s[4:5]
	s_cbranch_execz .LBB2_33815
; %bb.60463:
	s_getpc_b64 s[14:15]
.Lpost_getpc33815:
	s_add_u32 s14, s14, (.LBB2_10287-.Lpost_getpc33815)&4294967295
	s_addc_u32 s15, s15, (.LBB2_10287-.Lpost_getpc33815)>>32
	s_setpc_b64 s[14:15]
.LBB2_33815:
	s_getpc_b64 s[14:15]
.Lpost_getpc20491:
	s_add_u32 s14, s14, (.LBB2_10288-.Lpost_getpc20491)&4294967295
	s_addc_u32 s15, s15, (.LBB2_10288-.Lpost_getpc20491)>>32
	s_setpc_b64 s[14:15]
.LBB2_24625:
	s_movk_i32 s4, 0x80
	v_cmp_eq_u16_e32 vcc, s4, v6
	s_mov_b64 s[4:5], -1
                                        ; implicit-def: $sgpr10
	s_and_saveexec_b64 s[8:9], vcc
; %bb.24626:
	s_mov_b32 s10, 0x7f800001
	s_xor_b64 s[4:5], exec, -1
; %bb.24627:
	s_or_b64 exec, exec, s[8:9]
	s_and_b64 s[4:5], s[4:5], exec
                                        ; implicit-def: $vgpr6
	s_or_saveexec_b64 s[6:7], s[6:7]
	v_mov_b32_e32 v2, s10
	s_xor_b64 exec, exec, s[6:7]
	s_cbranch_execnz .LBB2_24628
; %bb.60465:
	s_getpc_b64 s[14:15]
.Lpost_getpc33816:
	s_add_u32 s14, s14, (.LBB2_10290-.Lpost_getpc33816)&4294967295
	s_addc_u32 s15, s15, (.LBB2_10290-.Lpost_getpc33816)>>32
	s_setpc_b64 s[14:15]
.LBB2_24628:
	v_cmp_ne_u16_e32 vcc, 0, v6
	s_andn2_b64 s[4:5], s[4:5], exec
	s_and_b64 s[8:9], vcc, exec
	v_mov_b32_e32 v2, 0
	s_or_b64 s[4:5], s[4:5], s[8:9]
	s_or_b64 exec, exec, s[6:7]
	s_and_saveexec_b64 s[6:7], s[4:5]
	s_cbranch_execz .LBB2_33817
; %bb.60467:
	s_getpc_b64 s[14:15]
.Lpost_getpc33817:
	s_add_u32 s14, s14, (.LBB2_10291-.Lpost_getpc33817)&4294967295
	s_addc_u32 s15, s15, (.LBB2_10291-.Lpost_getpc33817)>>32
	s_setpc_b64 s[14:15]
.LBB2_33817:
	s_getpc_b64 s[14:15]
.Lpost_getpc20492:
	s_add_u32 s14, s14, (.LBB2_10292-.Lpost_getpc20492)&4294967295
	s_addc_u32 s15, s15, (.LBB2_10292-.Lpost_getpc20492)>>32
	s_setpc_b64 s[14:15]
.LBB2_24629:
	s_movk_i32 s4, 0x80
	v_cmp_eq_u16_e32 vcc, s4, v6
	s_mov_b64 s[4:5], -1
                                        ; implicit-def: $sgpr10
	s_and_saveexec_b64 s[8:9], vcc
; %bb.24630:
	s_mov_b32 s10, 0x7f800001
	s_xor_b64 s[4:5], exec, -1
; %bb.24631:
	s_or_b64 exec, exec, s[8:9]
	s_and_b64 s[4:5], s[4:5], exec
                                        ; implicit-def: $vgpr6
	s_or_saveexec_b64 s[6:7], s[6:7]
	v_mov_b32_e32 v12, s10
	s_xor_b64 exec, exec, s[6:7]
	s_cbranch_execnz .LBB2_24632
; %bb.60469:
	s_getpc_b64 s[14:15]
.Lpost_getpc33818:
	s_add_u32 s14, s14, (.LBB2_10294-.Lpost_getpc33818)&4294967295
	s_addc_u32 s15, s15, (.LBB2_10294-.Lpost_getpc33818)>>32
	s_setpc_b64 s[14:15]
.LBB2_24632:
	v_cmp_ne_u16_e32 vcc, 0, v6
	s_andn2_b64 s[4:5], s[4:5], exec
	s_and_b64 s[8:9], vcc, exec
	v_mov_b32_e32 v12, 0
	s_or_b64 s[4:5], s[4:5], s[8:9]
	s_or_b64 exec, exec, s[6:7]
	s_and_saveexec_b64 s[6:7], s[4:5]
	s_cbranch_execz .LBB2_33819
; %bb.60471:
	s_getpc_b64 s[14:15]
.Lpost_getpc33819:
	s_add_u32 s14, s14, (.LBB2_10295-.Lpost_getpc33819)&4294967295
	s_addc_u32 s15, s15, (.LBB2_10295-.Lpost_getpc33819)>>32
	s_setpc_b64 s[14:15]
.LBB2_33819:
	s_getpc_b64 s[14:15]
.Lpost_getpc20493:
	s_add_u32 s14, s14, (.LBB2_10296-.Lpost_getpc20493)&4294967295
	s_addc_u32 s15, s15, (.LBB2_10296-.Lpost_getpc20493)>>32
	s_setpc_b64 s[14:15]
.LBB2_24633:
	s_movk_i32 s4, 0x80
	v_cmp_eq_u16_sdwa s[12:13], v7, s4 src0_sel:BYTE_3 src1_sel:DWORD
	s_mov_b64 s[4:5], -1
                                        ; implicit-def: $sgpr10
	s_and_saveexec_b64 s[8:9], s[12:13]
; %bb.24634:
	s_mov_b32 s10, 0x7f800001
	s_xor_b64 s[4:5], exec, -1
; %bb.24635:
	s_or_b64 exec, exec, s[8:9]
	s_and_b64 s[4:5], s[4:5], exec
	s_or_saveexec_b64 s[6:7], s[6:7]
	v_mov_b32_e32 v2, s10
	s_xor_b64 exec, exec, s[6:7]
	s_cbranch_execnz .LBB2_24636
; %bb.60473:
	s_getpc_b64 s[14:15]
.Lpost_getpc33820:
	s_add_u32 s14, s14, (.LBB2_10298-.Lpost_getpc33820)&4294967295
	s_addc_u32 s15, s15, (.LBB2_10298-.Lpost_getpc33820)>>32
	s_setpc_b64 s[14:15]
.LBB2_24636:
	v_mov_b32_e32 v2, 0
	v_cmp_ne_u16_sdwa s[8:9], v7, v2 src0_sel:BYTE_3 src1_sel:DWORD
	s_andn2_b64 s[4:5], s[4:5], exec
	s_and_b64 s[8:9], s[8:9], exec
	s_or_b64 s[4:5], s[4:5], s[8:9]
	s_or_b64 exec, exec, s[6:7]
	s_and_saveexec_b64 s[6:7], s[4:5]
	s_cbranch_execz .LBB2_33821
; %bb.60475:
	s_getpc_b64 s[14:15]
.Lpost_getpc33821:
	s_add_u32 s14, s14, (.LBB2_10299-.Lpost_getpc33821)&4294967295
	s_addc_u32 s15, s15, (.LBB2_10299-.Lpost_getpc33821)>>32
	s_setpc_b64 s[14:15]
.LBB2_33821:
	s_getpc_b64 s[14:15]
.Lpost_getpc20494:
	s_add_u32 s14, s14, (.LBB2_10300-.Lpost_getpc20494)&4294967295
	s_addc_u32 s15, s15, (.LBB2_10300-.Lpost_getpc20494)>>32
	s_setpc_b64 s[14:15]
.LBB2_24637:
	s_movk_i32 s4, 0x80
	v_cmp_eq_u16_sdwa s[12:13], v3, s4 src0_sel:BYTE_3 src1_sel:DWORD
	s_mov_b64 s[4:5], -1
                                        ; implicit-def: $sgpr10
	s_and_saveexec_b64 s[8:9], s[12:13]
; %bb.24638:
	s_mov_b32 s10, 0x7f800001
	s_xor_b64 s[4:5], exec, -1
; %bb.24639:
	s_or_b64 exec, exec, s[8:9]
	s_and_b64 s[4:5], s[4:5], exec
	s_or_saveexec_b64 s[6:7], s[6:7]
	v_mov_b32_e32 v6, s10
	s_xor_b64 exec, exec, s[6:7]
	s_cbranch_execnz .LBB2_24640
; %bb.60477:
	s_getpc_b64 s[14:15]
.Lpost_getpc33822:
	s_add_u32 s14, s14, (.LBB2_10302-.Lpost_getpc33822)&4294967295
	s_addc_u32 s15, s15, (.LBB2_10302-.Lpost_getpc33822)>>32
	s_setpc_b64 s[14:15]
.LBB2_24640:
	v_mov_b32_e32 v6, 0
	v_cmp_ne_u16_sdwa s[8:9], v3, v6 src0_sel:BYTE_3 src1_sel:DWORD
	s_andn2_b64 s[4:5], s[4:5], exec
	s_and_b64 s[8:9], s[8:9], exec
	s_or_b64 s[4:5], s[4:5], s[8:9]
	s_or_b64 exec, exec, s[6:7]
	s_and_saveexec_b64 s[6:7], s[4:5]
	s_cbranch_execz .LBB2_33823
; %bb.60479:
	s_getpc_b64 s[14:15]
.Lpost_getpc33823:
	s_add_u32 s14, s14, (.LBB2_10303-.Lpost_getpc33823)&4294967295
	s_addc_u32 s15, s15, (.LBB2_10303-.Lpost_getpc33823)>>32
	s_setpc_b64 s[14:15]
.LBB2_33823:
	s_getpc_b64 s[14:15]
.Lpost_getpc20495:
	s_add_u32 s14, s14, (.LBB2_10304-.Lpost_getpc20495)&4294967295
	s_addc_u32 s15, s15, (.LBB2_10304-.Lpost_getpc20495)>>32
	s_setpc_b64 s[14:15]
.LBB2_24641:
	s_movk_i32 s4, 0x80
	v_cmp_eq_u16_sdwa s[12:13], v8, s4 src0_sel:BYTE_0 src1_sel:DWORD
	s_mov_b64 s[4:5], -1
                                        ; implicit-def: $sgpr10
	s_and_saveexec_b64 s[8:9], s[12:13]
; %bb.24642:
	s_mov_b32 s10, 0x7f800001
	s_xor_b64 s[4:5], exec, -1
; %bb.24643:
	s_or_b64 exec, exec, s[8:9]
	s_and_b64 s[4:5], s[4:5], exec
	s_or_saveexec_b64 s[6:7], s[6:7]
	v_mov_b32_e32 v2, s10
	s_xor_b64 exec, exec, s[6:7]
	s_cbranch_execnz .LBB2_24644
; %bb.60481:
	s_getpc_b64 s[14:15]
.Lpost_getpc33824:
	s_add_u32 s14, s14, (.LBB2_10306-.Lpost_getpc33824)&4294967295
	s_addc_u32 s15, s15, (.LBB2_10306-.Lpost_getpc33824)>>32
	s_setpc_b64 s[14:15]
.LBB2_24644:
	v_mov_b32_e32 v2, 0
	v_cmp_ne_u16_sdwa s[8:9], v8, v2 src0_sel:BYTE_0 src1_sel:DWORD
	s_andn2_b64 s[4:5], s[4:5], exec
	s_and_b64 s[8:9], s[8:9], exec
	s_or_b64 s[4:5], s[4:5], s[8:9]
	s_or_b64 exec, exec, s[6:7]
	s_and_saveexec_b64 s[6:7], s[4:5]
	s_cbranch_execz .LBB2_33825
; %bb.60483:
	s_getpc_b64 s[14:15]
.Lpost_getpc33825:
	s_add_u32 s14, s14, (.LBB2_10307-.Lpost_getpc33825)&4294967295
	s_addc_u32 s15, s15, (.LBB2_10307-.Lpost_getpc33825)>>32
	s_setpc_b64 s[14:15]
.LBB2_33825:
	s_getpc_b64 s[14:15]
.Lpost_getpc20496:
	s_add_u32 s14, s14, (.LBB2_10308-.Lpost_getpc20496)&4294967295
	s_addc_u32 s15, s15, (.LBB2_10308-.Lpost_getpc20496)>>32
	s_setpc_b64 s[14:15]
.LBB2_24645:
	s_movk_i32 s4, 0x80
	v_cmp_eq_u16_sdwa s[12:13], v4, s4 src0_sel:BYTE_0 src1_sel:DWORD
	s_mov_b64 s[4:5], -1
                                        ; implicit-def: $sgpr10
	s_and_saveexec_b64 s[8:9], s[12:13]
; %bb.24646:
	s_mov_b32 s10, 0x7f800001
	s_xor_b64 s[4:5], exec, -1
; %bb.24647:
	s_or_b64 exec, exec, s[8:9]
	s_and_b64 s[4:5], s[4:5], exec
	s_or_saveexec_b64 s[6:7], s[6:7]
	v_mov_b32_e32 v3, s10
	s_xor_b64 exec, exec, s[6:7]
	s_cbranch_execnz .LBB2_24648
; %bb.60485:
	s_getpc_b64 s[14:15]
.Lpost_getpc33826:
	s_add_u32 s14, s14, (.LBB2_10310-.Lpost_getpc33826)&4294967295
	s_addc_u32 s15, s15, (.LBB2_10310-.Lpost_getpc33826)>>32
	s_setpc_b64 s[14:15]
.LBB2_24648:
	v_mov_b32_e32 v3, 0
	v_cmp_ne_u16_sdwa s[8:9], v4, v3 src0_sel:BYTE_0 src1_sel:DWORD
	s_andn2_b64 s[4:5], s[4:5], exec
	s_and_b64 s[8:9], s[8:9], exec
	s_or_b64 s[4:5], s[4:5], s[8:9]
	s_or_b64 exec, exec, s[6:7]
	s_and_saveexec_b64 s[6:7], s[4:5]
	s_cbranch_execz .LBB2_33827
; %bb.60487:
	s_getpc_b64 s[14:15]
.Lpost_getpc33827:
	s_add_u32 s14, s14, (.LBB2_10311-.Lpost_getpc33827)&4294967295
	s_addc_u32 s15, s15, (.LBB2_10311-.Lpost_getpc33827)>>32
	s_setpc_b64 s[14:15]
.LBB2_33827:
	s_getpc_b64 s[14:15]
.Lpost_getpc20497:
	s_add_u32 s14, s14, (.LBB2_10312-.Lpost_getpc20497)&4294967295
	s_addc_u32 s15, s15, (.LBB2_10312-.Lpost_getpc20497)>>32
	s_setpc_b64 s[14:15]
.LBB2_24649:
	s_movk_i32 s4, 0x80
	v_cmp_eq_u16_sdwa s[12:13], v3, s4 src0_sel:BYTE_0 src1_sel:DWORD
	s_mov_b64 s[4:5], -1
                                        ; implicit-def: $sgpr10
	s_and_saveexec_b64 s[8:9], s[12:13]
; %bb.24650:
	s_mov_b32 s10, 0x7f800001
	s_xor_b64 s[4:5], exec, -1
; %bb.24651:
	s_or_b64 exec, exec, s[8:9]
	s_and_b64 s[4:5], s[4:5], exec
	s_or_saveexec_b64 s[6:7], s[6:7]
	v_mov_b32_e32 v2, s10
	s_xor_b64 exec, exec, s[6:7]
	s_cbranch_execnz .LBB2_24652
; %bb.60489:
	s_getpc_b64 s[14:15]
.Lpost_getpc33828:
	s_add_u32 s14, s14, (.LBB2_10314-.Lpost_getpc33828)&4294967295
	s_addc_u32 s15, s15, (.LBB2_10314-.Lpost_getpc33828)>>32
	s_setpc_b64 s[14:15]
.LBB2_24652:
	v_mov_b32_e32 v2, 0
	v_cmp_ne_u16_sdwa s[8:9], v3, v2 src0_sel:BYTE_0 src1_sel:DWORD
	s_andn2_b64 s[4:5], s[4:5], exec
	s_and_b64 s[8:9], s[8:9], exec
	s_or_b64 s[4:5], s[4:5], s[8:9]
	s_or_b64 exec, exec, s[6:7]
	s_and_saveexec_b64 s[6:7], s[4:5]
	s_cbranch_execz .LBB2_33829
; %bb.60491:
	s_getpc_b64 s[14:15]
.Lpost_getpc33829:
	s_add_u32 s14, s14, (.LBB2_10315-.Lpost_getpc33829)&4294967295
	s_addc_u32 s15, s15, (.LBB2_10315-.Lpost_getpc33829)>>32
	s_setpc_b64 s[14:15]
.LBB2_33829:
	s_getpc_b64 s[14:15]
.Lpost_getpc20498:
	s_add_u32 s14, s14, (.LBB2_10316-.Lpost_getpc20498)&4294967295
	s_addc_u32 s15, s15, (.LBB2_10316-.Lpost_getpc20498)>>32
	s_setpc_b64 s[14:15]
.LBB2_24653:
	s_movk_i32 s4, 0x80
	v_cmp_eq_u16_sdwa s[12:13], v3, s4 src0_sel:BYTE_0 src1_sel:DWORD
	s_mov_b64 s[4:5], -1
                                        ; implicit-def: $sgpr10
	s_and_saveexec_b64 s[8:9], s[12:13]
; %bb.24654:
	s_mov_b32 s10, 0x7f800001
	s_xor_b64 s[4:5], exec, -1
; %bb.24655:
	s_or_b64 exec, exec, s[8:9]
	s_and_b64 s[4:5], s[4:5], exec
	s_or_saveexec_b64 s[6:7], s[6:7]
	v_mov_b32_e32 v6, s10
	s_xor_b64 exec, exec, s[6:7]
	s_cbranch_execnz .LBB2_24656
; %bb.60493:
	s_getpc_b64 s[14:15]
.Lpost_getpc33830:
	s_add_u32 s14, s14, (.LBB2_10318-.Lpost_getpc33830)&4294967295
	s_addc_u32 s15, s15, (.LBB2_10318-.Lpost_getpc33830)>>32
	s_setpc_b64 s[14:15]
.LBB2_24656:
	v_mov_b32_e32 v6, 0
	v_cmp_ne_u16_sdwa s[8:9], v3, v6 src0_sel:BYTE_0 src1_sel:DWORD
	s_andn2_b64 s[4:5], s[4:5], exec
	s_and_b64 s[8:9], s[8:9], exec
	s_or_b64 s[4:5], s[4:5], s[8:9]
	s_or_b64 exec, exec, s[6:7]
	s_and_saveexec_b64 s[6:7], s[4:5]
	s_cbranch_execz .LBB2_33831
; %bb.60495:
	s_getpc_b64 s[14:15]
.Lpost_getpc33831:
	s_add_u32 s14, s14, (.LBB2_10319-.Lpost_getpc33831)&4294967295
	s_addc_u32 s15, s15, (.LBB2_10319-.Lpost_getpc33831)>>32
	s_setpc_b64 s[14:15]
.LBB2_33831:
	s_getpc_b64 s[14:15]
.Lpost_getpc20499:
	s_add_u32 s14, s14, (.LBB2_10320-.Lpost_getpc20499)&4294967295
	s_addc_u32 s15, s15, (.LBB2_10320-.Lpost_getpc20499)>>32
	s_setpc_b64 s[14:15]
.LBB2_24657:
	s_movk_i32 s4, 0x80
	v_cmp_eq_u16_e32 vcc, s4, v3
	s_mov_b64 s[4:5], -1
                                        ; implicit-def: $sgpr10
	s_and_saveexec_b64 s[8:9], vcc
; %bb.24658:
	s_mov_b32 s10, 0x7f800001
	s_xor_b64 s[4:5], exec, -1
; %bb.24659:
	s_or_b64 exec, exec, s[8:9]
	s_and_b64 s[4:5], s[4:5], exec
                                        ; implicit-def: $vgpr3
	s_or_saveexec_b64 s[6:7], s[6:7]
	v_mov_b32_e32 v2, s10
	s_xor_b64 exec, exec, s[6:7]
	s_cbranch_execnz .LBB2_24660
; %bb.60497:
	s_getpc_b64 s[14:15]
.Lpost_getpc33832:
	s_add_u32 s14, s14, (.LBB2_10322-.Lpost_getpc33832)&4294967295
	s_addc_u32 s15, s15, (.LBB2_10322-.Lpost_getpc33832)>>32
	s_setpc_b64 s[14:15]
.LBB2_24660:
	v_cmp_ne_u16_e32 vcc, 0, v3
	s_andn2_b64 s[4:5], s[4:5], exec
	s_and_b64 s[8:9], vcc, exec
	v_mov_b32_e32 v2, 0
	s_or_b64 s[4:5], s[4:5], s[8:9]
	s_or_b64 exec, exec, s[6:7]
	s_and_saveexec_b64 s[6:7], s[4:5]
	s_cbranch_execz .LBB2_33833
; %bb.60499:
	s_getpc_b64 s[14:15]
.Lpost_getpc33833:
	s_add_u32 s14, s14, (.LBB2_10323-.Lpost_getpc33833)&4294967295
	s_addc_u32 s15, s15, (.LBB2_10323-.Lpost_getpc33833)>>32
	s_setpc_b64 s[14:15]
.LBB2_33833:
	s_getpc_b64 s[14:15]
.Lpost_getpc20500:
	s_add_u32 s14, s14, (.LBB2_10324-.Lpost_getpc20500)&4294967295
	s_addc_u32 s15, s15, (.LBB2_10324-.Lpost_getpc20500)>>32
	s_setpc_b64 s[14:15]
.LBB2_24661:
	s_movk_i32 s4, 0x80
	v_cmp_eq_u16_e32 vcc, s4, v3
	s_mov_b64 s[4:5], -1
                                        ; implicit-def: $sgpr10
	s_and_saveexec_b64 s[8:9], vcc
; %bb.24662:
	s_mov_b32 s10, 0x7f800001
	s_xor_b64 s[4:5], exec, -1
; %bb.24663:
	s_or_b64 exec, exec, s[8:9]
	s_and_b64 s[4:5], s[4:5], exec
                                        ; implicit-def: $vgpr3
	s_or_saveexec_b64 s[6:7], s[6:7]
	v_mov_b32_e32 v6, s10
	s_xor_b64 exec, exec, s[6:7]
	s_cbranch_execnz .LBB2_24664
; %bb.60501:
	s_getpc_b64 s[14:15]
.Lpost_getpc33834:
	s_add_u32 s14, s14, (.LBB2_10326-.Lpost_getpc33834)&4294967295
	s_addc_u32 s15, s15, (.LBB2_10326-.Lpost_getpc33834)>>32
	s_setpc_b64 s[14:15]
.LBB2_24664:
	v_cmp_ne_u16_e32 vcc, 0, v3
	s_andn2_b64 s[4:5], s[4:5], exec
	s_and_b64 s[8:9], vcc, exec
	v_mov_b32_e32 v6, 0
	s_or_b64 s[4:5], s[4:5], s[8:9]
	s_or_b64 exec, exec, s[6:7]
	s_and_saveexec_b64 s[6:7], s[4:5]
	s_cbranch_execz .LBB2_33835
; %bb.60503:
	s_getpc_b64 s[14:15]
.Lpost_getpc33835:
	s_add_u32 s14, s14, (.LBB2_10327-.Lpost_getpc33835)&4294967295
	s_addc_u32 s15, s15, (.LBB2_10327-.Lpost_getpc33835)>>32
	s_setpc_b64 s[14:15]
.LBB2_33835:
	s_getpc_b64 s[14:15]
.Lpost_getpc20501:
	s_add_u32 s14, s14, (.LBB2_10328-.Lpost_getpc20501)&4294967295
	s_addc_u32 s15, s15, (.LBB2_10328-.Lpost_getpc20501)>>32
	s_setpc_b64 s[14:15]
.LBB2_24665:
	s_movk_i32 s4, 0x80
	v_cmp_eq_u16_sdwa s[12:13], v8, s4 src0_sel:BYTE_3 src1_sel:DWORD
	s_mov_b64 s[4:5], -1
                                        ; implicit-def: $sgpr10
	s_and_saveexec_b64 s[8:9], s[12:13]
; %bb.24666:
	s_mov_b32 s10, 0x7f800001
	s_xor_b64 s[4:5], exec, -1
; %bb.24667:
	s_or_b64 exec, exec, s[8:9]
	s_and_b64 s[4:5], s[4:5], exec
	s_or_saveexec_b64 s[6:7], s[6:7]
	v_mov_b32_e32 v2, s10
	s_xor_b64 exec, exec, s[6:7]
	s_cbranch_execnz .LBB2_24668
; %bb.60505:
	s_getpc_b64 s[14:15]
.Lpost_getpc33836:
	s_add_u32 s14, s14, (.LBB2_10330-.Lpost_getpc33836)&4294967295
	s_addc_u32 s15, s15, (.LBB2_10330-.Lpost_getpc33836)>>32
	s_setpc_b64 s[14:15]
.LBB2_24668:
	v_mov_b32_e32 v2, 0
	v_cmp_ne_u16_sdwa s[8:9], v8, v2 src0_sel:BYTE_3 src1_sel:DWORD
	s_andn2_b64 s[4:5], s[4:5], exec
	s_and_b64 s[8:9], s[8:9], exec
	s_or_b64 s[4:5], s[4:5], s[8:9]
	s_or_b64 exec, exec, s[6:7]
	s_and_saveexec_b64 s[6:7], s[4:5]
	s_cbranch_execz .LBB2_33837
; %bb.60507:
	s_getpc_b64 s[14:15]
.Lpost_getpc33837:
	s_add_u32 s14, s14, (.LBB2_10331-.Lpost_getpc33837)&4294967295
	s_addc_u32 s15, s15, (.LBB2_10331-.Lpost_getpc33837)>>32
	s_setpc_b64 s[14:15]
.LBB2_33837:
	s_getpc_b64 s[14:15]
.Lpost_getpc20502:
	s_add_u32 s14, s14, (.LBB2_10332-.Lpost_getpc20502)&4294967295
	s_addc_u32 s15, s15, (.LBB2_10332-.Lpost_getpc20502)>>32
	s_setpc_b64 s[14:15]
.LBB2_24669:
	s_movk_i32 s4, 0x80
	v_cmp_eq_u16_sdwa s[12:13], v4, s4 src0_sel:BYTE_3 src1_sel:DWORD
	s_mov_b64 s[4:5], -1
                                        ; implicit-def: $sgpr10
	s_and_saveexec_b64 s[8:9], s[12:13]
; %bb.24670:
	s_mov_b32 s10, 0x7f800001
	s_xor_b64 s[4:5], exec, -1
; %bb.24671:
	s_or_b64 exec, exec, s[8:9]
	s_and_b64 s[4:5], s[4:5], exec
	s_or_saveexec_b64 s[6:7], s[6:7]
	v_mov_b32_e32 v3, s10
	s_xor_b64 exec, exec, s[6:7]
	s_cbranch_execnz .LBB2_24672
; %bb.60509:
	s_getpc_b64 s[14:15]
.Lpost_getpc33838:
	s_add_u32 s14, s14, (.LBB2_10334-.Lpost_getpc33838)&4294967295
	s_addc_u32 s15, s15, (.LBB2_10334-.Lpost_getpc33838)>>32
	s_setpc_b64 s[14:15]
.LBB2_24672:
	v_mov_b32_e32 v3, 0
	v_cmp_ne_u16_sdwa s[8:9], v4, v3 src0_sel:BYTE_3 src1_sel:DWORD
	s_andn2_b64 s[4:5], s[4:5], exec
	s_and_b64 s[8:9], s[8:9], exec
	s_or_b64 s[4:5], s[4:5], s[8:9]
	s_or_b64 exec, exec, s[6:7]
	s_and_saveexec_b64 s[6:7], s[4:5]
	s_cbranch_execz .LBB2_33839
; %bb.60511:
	s_getpc_b64 s[14:15]
.Lpost_getpc33839:
	s_add_u32 s14, s14, (.LBB2_10335-.Lpost_getpc33839)&4294967295
	s_addc_u32 s15, s15, (.LBB2_10335-.Lpost_getpc33839)>>32
	s_setpc_b64 s[14:15]
.LBB2_33839:
	s_getpc_b64 s[14:15]
.Lpost_getpc20503:
	s_add_u32 s14, s14, (.LBB2_10336-.Lpost_getpc20503)&4294967295
	s_addc_u32 s15, s15, (.LBB2_10336-.Lpost_getpc20503)>>32
	s_setpc_b64 s[14:15]
.LBB2_24673:
	s_movk_i32 s4, 0x80
	v_cmp_eq_u16_sdwa s[12:13], v9, s4 src0_sel:BYTE_0 src1_sel:DWORD
	s_mov_b64 s[4:5], -1
                                        ; implicit-def: $sgpr10
	s_and_saveexec_b64 s[8:9], s[12:13]
; %bb.24674:
	s_mov_b32 s10, 0x7f800001
	s_xor_b64 s[4:5], exec, -1
; %bb.24675:
	s_or_b64 exec, exec, s[8:9]
	s_and_b64 s[4:5], s[4:5], exec
	s_or_saveexec_b64 s[6:7], s[6:7]
	v_mov_b32_e32 v2, s10
	s_xor_b64 exec, exec, s[6:7]
	s_cbranch_execnz .LBB2_24676
; %bb.60513:
	s_getpc_b64 s[14:15]
.Lpost_getpc33840:
	s_add_u32 s14, s14, (.LBB2_10338-.Lpost_getpc33840)&4294967295
	s_addc_u32 s15, s15, (.LBB2_10338-.Lpost_getpc33840)>>32
	s_setpc_b64 s[14:15]
.LBB2_24676:
	v_mov_b32_e32 v2, 0
	v_cmp_ne_u16_sdwa s[8:9], v9, v2 src0_sel:BYTE_0 src1_sel:DWORD
	s_andn2_b64 s[4:5], s[4:5], exec
	s_and_b64 s[8:9], s[8:9], exec
	s_or_b64 s[4:5], s[4:5], s[8:9]
	s_or_b64 exec, exec, s[6:7]
	s_and_saveexec_b64 s[6:7], s[4:5]
	s_cbranch_execz .LBB2_33841
; %bb.60515:
	s_getpc_b64 s[14:15]
.Lpost_getpc33841:
	s_add_u32 s14, s14, (.LBB2_10339-.Lpost_getpc33841)&4294967295
	s_addc_u32 s15, s15, (.LBB2_10339-.Lpost_getpc33841)>>32
	s_setpc_b64 s[14:15]
.LBB2_33841:
	s_getpc_b64 s[14:15]
.Lpost_getpc20504:
	s_add_u32 s14, s14, (.LBB2_10340-.Lpost_getpc20504)&4294967295
	s_addc_u32 s15, s15, (.LBB2_10340-.Lpost_getpc20504)>>32
	s_setpc_b64 s[14:15]
.LBB2_24677:
	s_movk_i32 s4, 0x80
	v_cmp_eq_u16_sdwa s[12:13], v5, s4 src0_sel:BYTE_0 src1_sel:DWORD
	s_mov_b64 s[4:5], -1
                                        ; implicit-def: $sgpr10
	s_and_saveexec_b64 s[8:9], s[12:13]
; %bb.24678:
	s_mov_b32 s10, 0x7f800001
	s_xor_b64 s[4:5], exec, -1
; %bb.24679:
	s_or_b64 exec, exec, s[8:9]
	s_and_b64 s[4:5], s[4:5], exec
	s_or_saveexec_b64 s[6:7], s[6:7]
	v_mov_b32_e32 v3, s10
	s_xor_b64 exec, exec, s[6:7]
	s_cbranch_execnz .LBB2_24680
; %bb.60517:
	s_getpc_b64 s[14:15]
.Lpost_getpc33842:
	s_add_u32 s14, s14, (.LBB2_10342-.Lpost_getpc33842)&4294967295
	s_addc_u32 s15, s15, (.LBB2_10342-.Lpost_getpc33842)>>32
	s_setpc_b64 s[14:15]
.LBB2_24680:
	v_mov_b32_e32 v3, 0
	v_cmp_ne_u16_sdwa s[8:9], v5, v3 src0_sel:BYTE_0 src1_sel:DWORD
	s_andn2_b64 s[4:5], s[4:5], exec
	s_and_b64 s[8:9], s[8:9], exec
	s_or_b64 s[4:5], s[4:5], s[8:9]
	s_or_b64 exec, exec, s[6:7]
	s_and_saveexec_b64 s[6:7], s[4:5]
	s_cbranch_execz .LBB2_33843
; %bb.60519:
	s_getpc_b64 s[14:15]
.Lpost_getpc33843:
	s_add_u32 s14, s14, (.LBB2_10343-.Lpost_getpc33843)&4294967295
	s_addc_u32 s15, s15, (.LBB2_10343-.Lpost_getpc33843)>>32
	s_setpc_b64 s[14:15]
.LBB2_33843:
	s_getpc_b64 s[14:15]
.Lpost_getpc20505:
	s_add_u32 s14, s14, (.LBB2_10344-.Lpost_getpc20505)&4294967295
	s_addc_u32 s15, s15, (.LBB2_10344-.Lpost_getpc20505)>>32
	s_setpc_b64 s[14:15]
.LBB2_24681:
	s_movk_i32 s4, 0x80
	v_cmp_eq_u16_sdwa s[12:13], v3, s4 src0_sel:BYTE_0 src1_sel:DWORD
	s_mov_b64 s[4:5], -1
                                        ; implicit-def: $sgpr10
	s_and_saveexec_b64 s[8:9], s[12:13]
; %bb.24682:
	s_mov_b32 s10, 0x7f800001
	s_xor_b64 s[4:5], exec, -1
; %bb.24683:
	s_or_b64 exec, exec, s[8:9]
	s_and_b64 s[4:5], s[4:5], exec
	s_or_saveexec_b64 s[6:7], s[6:7]
	v_mov_b32_e32 v2, s10
	s_xor_b64 exec, exec, s[6:7]
	s_cbranch_execnz .LBB2_24684
; %bb.60521:
	s_getpc_b64 s[14:15]
.Lpost_getpc33844:
	s_add_u32 s14, s14, (.LBB2_10346-.Lpost_getpc33844)&4294967295
	s_addc_u32 s15, s15, (.LBB2_10346-.Lpost_getpc33844)>>32
	s_setpc_b64 s[14:15]
.LBB2_24684:
	v_mov_b32_e32 v2, 0
	v_cmp_ne_u16_sdwa s[8:9], v3, v2 src0_sel:BYTE_0 src1_sel:DWORD
	s_andn2_b64 s[4:5], s[4:5], exec
	s_and_b64 s[8:9], s[8:9], exec
	s_or_b64 s[4:5], s[4:5], s[8:9]
	s_or_b64 exec, exec, s[6:7]
	s_and_saveexec_b64 s[6:7], s[4:5]
	s_cbranch_execz .LBB2_33845
; %bb.60523:
	s_getpc_b64 s[14:15]
.Lpost_getpc33845:
	s_add_u32 s14, s14, (.LBB2_10347-.Lpost_getpc33845)&4294967295
	s_addc_u32 s15, s15, (.LBB2_10347-.Lpost_getpc33845)>>32
	s_setpc_b64 s[14:15]
.LBB2_33845:
	s_getpc_b64 s[14:15]
.Lpost_getpc20506:
	s_add_u32 s14, s14, (.LBB2_10348-.Lpost_getpc20506)&4294967295
	s_addc_u32 s15, s15, (.LBB2_10348-.Lpost_getpc20506)>>32
	s_setpc_b64 s[14:15]
.LBB2_24685:
	s_movk_i32 s4, 0x80
	v_cmp_eq_u16_sdwa s[12:13], v3, s4 src0_sel:BYTE_0 src1_sel:DWORD
	s_mov_b64 s[4:5], -1
                                        ; implicit-def: $sgpr10
	s_and_saveexec_b64 s[8:9], s[12:13]
; %bb.24686:
	s_mov_b32 s10, 0x7f800001
	s_xor_b64 s[4:5], exec, -1
; %bb.24687:
	s_or_b64 exec, exec, s[8:9]
	s_and_b64 s[4:5], s[4:5], exec
	s_or_saveexec_b64 s[6:7], s[6:7]
	v_mov_b32_e32 v4, s10
	s_xor_b64 exec, exec, s[6:7]
	s_cbranch_execnz .LBB2_24688
; %bb.60525:
	s_getpc_b64 s[14:15]
.Lpost_getpc33846:
	s_add_u32 s14, s14, (.LBB2_10350-.Lpost_getpc33846)&4294967295
	s_addc_u32 s15, s15, (.LBB2_10350-.Lpost_getpc33846)>>32
	s_setpc_b64 s[14:15]
.LBB2_24688:
	v_mov_b32_e32 v4, 0
	v_cmp_ne_u16_sdwa s[8:9], v3, v4 src0_sel:BYTE_0 src1_sel:DWORD
	s_andn2_b64 s[4:5], s[4:5], exec
	s_and_b64 s[8:9], s[8:9], exec
	s_or_b64 s[4:5], s[4:5], s[8:9]
	s_or_b64 exec, exec, s[6:7]
	s_and_saveexec_b64 s[6:7], s[4:5]
	s_cbranch_execz .LBB2_33847
; %bb.60527:
	s_getpc_b64 s[14:15]
.Lpost_getpc33847:
	s_add_u32 s14, s14, (.LBB2_10351-.Lpost_getpc33847)&4294967295
	s_addc_u32 s15, s15, (.LBB2_10351-.Lpost_getpc33847)>>32
	s_setpc_b64 s[14:15]
.LBB2_33847:
	s_getpc_b64 s[14:15]
.Lpost_getpc20507:
	s_add_u32 s14, s14, (.LBB2_10352-.Lpost_getpc20507)&4294967295
	s_addc_u32 s15, s15, (.LBB2_10352-.Lpost_getpc20507)>>32
	s_setpc_b64 s[14:15]
.LBB2_24689:
	s_movk_i32 s4, 0x80
	v_cmp_eq_u16_e32 vcc, s4, v3
	s_mov_b64 s[4:5], -1
                                        ; implicit-def: $sgpr10
	s_and_saveexec_b64 s[8:9], vcc
; %bb.24690:
	s_mov_b32 s10, 0x7f800001
	s_xor_b64 s[4:5], exec, -1
; %bb.24691:
	s_or_b64 exec, exec, s[8:9]
	s_and_b64 s[4:5], s[4:5], exec
                                        ; implicit-def: $vgpr3
	s_or_saveexec_b64 s[6:7], s[6:7]
	v_mov_b32_e32 v2, s10
	s_xor_b64 exec, exec, s[6:7]
	s_cbranch_execnz .LBB2_24692
; %bb.60529:
	s_getpc_b64 s[14:15]
.Lpost_getpc33848:
	s_add_u32 s14, s14, (.LBB2_10354-.Lpost_getpc33848)&4294967295
	s_addc_u32 s15, s15, (.LBB2_10354-.Lpost_getpc33848)>>32
	s_setpc_b64 s[14:15]
.LBB2_24692:
	v_cmp_ne_u16_e32 vcc, 0, v3
	s_andn2_b64 s[4:5], s[4:5], exec
	s_and_b64 s[8:9], vcc, exec
	v_mov_b32_e32 v2, 0
	s_or_b64 s[4:5], s[4:5], s[8:9]
	s_or_b64 exec, exec, s[6:7]
	s_and_saveexec_b64 s[6:7], s[4:5]
	s_cbranch_execz .LBB2_33849
; %bb.60531:
	s_getpc_b64 s[14:15]
.Lpost_getpc33849:
	s_add_u32 s14, s14, (.LBB2_10355-.Lpost_getpc33849)&4294967295
	s_addc_u32 s15, s15, (.LBB2_10355-.Lpost_getpc33849)>>32
	s_setpc_b64 s[14:15]
.LBB2_33849:
	s_getpc_b64 s[14:15]
.Lpost_getpc20508:
	s_add_u32 s14, s14, (.LBB2_10356-.Lpost_getpc20508)&4294967295
	s_addc_u32 s15, s15, (.LBB2_10356-.Lpost_getpc20508)>>32
	s_setpc_b64 s[14:15]
.LBB2_24693:
	s_movk_i32 s4, 0x80
	v_cmp_eq_u16_e32 vcc, s4, v3
	s_mov_b64 s[4:5], -1
                                        ; implicit-def: $sgpr10
	s_and_saveexec_b64 s[8:9], vcc
; %bb.24694:
	s_mov_b32 s10, 0x7f800001
	s_xor_b64 s[4:5], exec, -1
; %bb.24695:
	s_or_b64 exec, exec, s[8:9]
	s_and_b64 s[4:5], s[4:5], exec
                                        ; implicit-def: $vgpr3
	s_or_saveexec_b64 s[6:7], s[6:7]
	v_mov_b32_e32 v4, s10
	s_xor_b64 exec, exec, s[6:7]
	s_cbranch_execnz .LBB2_24696
; %bb.60533:
	s_getpc_b64 s[14:15]
.Lpost_getpc33850:
	s_add_u32 s14, s14, (.LBB2_10358-.Lpost_getpc33850)&4294967295
	s_addc_u32 s15, s15, (.LBB2_10358-.Lpost_getpc33850)>>32
	s_setpc_b64 s[14:15]
.LBB2_24696:
	v_cmp_ne_u16_e32 vcc, 0, v3
	s_andn2_b64 s[4:5], s[4:5], exec
	s_and_b64 s[8:9], vcc, exec
	v_mov_b32_e32 v4, 0
	s_or_b64 s[4:5], s[4:5], s[8:9]
	s_or_b64 exec, exec, s[6:7]
	s_and_saveexec_b64 s[6:7], s[4:5]
	s_cbranch_execz .LBB2_33851
; %bb.60535:
	s_getpc_b64 s[14:15]
.Lpost_getpc33851:
	s_add_u32 s14, s14, (.LBB2_10359-.Lpost_getpc33851)&4294967295
	s_addc_u32 s15, s15, (.LBB2_10359-.Lpost_getpc33851)>>32
	s_setpc_b64 s[14:15]
.LBB2_33851:
	s_getpc_b64 s[14:15]
.Lpost_getpc20509:
	s_add_u32 s14, s14, (.LBB2_10360-.Lpost_getpc20509)&4294967295
	s_addc_u32 s15, s15, (.LBB2_10360-.Lpost_getpc20509)>>32
	s_setpc_b64 s[14:15]
.LBB2_24697:
	s_movk_i32 s4, 0x80
	v_cmp_eq_u16_sdwa s[12:13], v9, s4 src0_sel:BYTE_3 src1_sel:DWORD
	s_mov_b64 s[4:5], -1
                                        ; implicit-def: $sgpr10
	s_and_saveexec_b64 s[8:9], s[12:13]
; %bb.24698:
	s_mov_b32 s10, 0x7f800001
	s_xor_b64 s[4:5], exec, -1
; %bb.24699:
	s_or_b64 exec, exec, s[8:9]
	s_and_b64 s[4:5], s[4:5], exec
	s_or_saveexec_b64 s[6:7], s[6:7]
	v_mov_b32_e32 v2, s10
	s_xor_b64 exec, exec, s[6:7]
	s_cbranch_execnz .LBB2_24700
; %bb.60537:
	s_getpc_b64 s[14:15]
.Lpost_getpc33852:
	s_add_u32 s14, s14, (.LBB2_10362-.Lpost_getpc33852)&4294967295
	s_addc_u32 s15, s15, (.LBB2_10362-.Lpost_getpc33852)>>32
	s_setpc_b64 s[14:15]
.LBB2_24700:
	v_mov_b32_e32 v2, 0
	v_cmp_ne_u16_sdwa s[8:9], v9, v2 src0_sel:BYTE_3 src1_sel:DWORD
	s_andn2_b64 s[4:5], s[4:5], exec
	s_and_b64 s[8:9], s[8:9], exec
	s_or_b64 s[4:5], s[4:5], s[8:9]
	s_or_b64 exec, exec, s[6:7]
	s_and_saveexec_b64 s[6:7], s[4:5]
	s_cbranch_execz .LBB2_33853
; %bb.60539:
	s_getpc_b64 s[14:15]
.Lpost_getpc33853:
	s_add_u32 s14, s14, (.LBB2_10363-.Lpost_getpc33853)&4294967295
	s_addc_u32 s15, s15, (.LBB2_10363-.Lpost_getpc33853)>>32
	s_setpc_b64 s[14:15]
.LBB2_33853:
	s_getpc_b64 s[14:15]
.Lpost_getpc20510:
	s_add_u32 s14, s14, (.LBB2_10364-.Lpost_getpc20510)&4294967295
	s_addc_u32 s15, s15, (.LBB2_10364-.Lpost_getpc20510)>>32
	s_setpc_b64 s[14:15]
.LBB2_24701:
	s_movk_i32 s4, 0x80
	v_cmp_eq_u16_sdwa s[12:13], v5, s4 src0_sel:BYTE_3 src1_sel:DWORD
	s_mov_b64 s[4:5], -1
                                        ; implicit-def: $sgpr10
	s_and_saveexec_b64 s[8:9], s[12:13]
; %bb.24702:
	s_mov_b32 s10, 0x7f800001
	s_xor_b64 s[4:5], exec, -1
; %bb.24703:
	s_or_b64 exec, exec, s[8:9]
	s_and_b64 s[4:5], s[4:5], exec
	s_or_saveexec_b64 s[6:7], s[6:7]
	v_mov_b32_e32 v3, s10
	s_xor_b64 exec, exec, s[6:7]
	s_cbranch_execnz .LBB2_24704
; %bb.60541:
	s_getpc_b64 s[14:15]
.Lpost_getpc33854:
	s_add_u32 s14, s14, (.LBB2_10366-.Lpost_getpc33854)&4294967295
	s_addc_u32 s15, s15, (.LBB2_10366-.Lpost_getpc33854)>>32
	s_setpc_b64 s[14:15]
.LBB2_24704:
	v_mov_b32_e32 v3, 0
	v_cmp_ne_u16_sdwa s[8:9], v5, v3 src0_sel:BYTE_3 src1_sel:DWORD
	s_andn2_b64 s[4:5], s[4:5], exec
	s_and_b64 s[8:9], s[8:9], exec
	s_or_b64 s[4:5], s[4:5], s[8:9]
	s_or_b64 exec, exec, s[6:7]
	s_and_saveexec_b64 s[6:7], s[4:5]
	s_cbranch_execz .LBB2_33855
; %bb.60543:
	s_getpc_b64 s[14:15]
.Lpost_getpc33855:
	s_add_u32 s14, s14, (.LBB2_10367-.Lpost_getpc33855)&4294967295
	s_addc_u32 s15, s15, (.LBB2_10367-.Lpost_getpc33855)>>32
	s_setpc_b64 s[14:15]
.LBB2_33855:
	s_getpc_b64 s[14:15]
.Lpost_getpc20511:
	s_add_u32 s14, s14, (.LBB2_10368-.Lpost_getpc20511)&4294967295
	s_addc_u32 s15, s15, (.LBB2_10368-.Lpost_getpc20511)>>32
	s_setpc_b64 s[14:15]
.LBB2_24705:
	s_movk_i32 s4, 0x80
	v_cmp_eq_u16_sdwa s[12:13], v6, s4 src0_sel:BYTE_0 src1_sel:DWORD
	s_mov_b64 s[4:5], -1
                                        ; implicit-def: $sgpr10
	s_and_saveexec_b64 s[8:9], s[12:13]
; %bb.24706:
	s_mov_b32 s10, 0x7f800001
	s_xor_b64 s[4:5], exec, -1
; %bb.24707:
	s_or_b64 exec, exec, s[8:9]
	s_and_b64 s[4:5], s[4:5], exec
	s_or_saveexec_b64 s[6:7], s[6:7]
	v_mov_b32_e32 v12, s10
	s_xor_b64 exec, exec, s[6:7]
	s_cbranch_execnz .LBB2_24708
; %bb.60545:
	s_getpc_b64 s[14:15]
.Lpost_getpc33856:
	s_add_u32 s14, s14, (.LBB2_10370-.Lpost_getpc33856)&4294967295
	s_addc_u32 s15, s15, (.LBB2_10370-.Lpost_getpc33856)>>32
	s_setpc_b64 s[14:15]
.LBB2_24708:
	v_mov_b32_e32 v12, 0
	v_cmp_ne_u16_sdwa s[8:9], v6, v12 src0_sel:BYTE_0 src1_sel:DWORD
	s_andn2_b64 s[4:5], s[4:5], exec
	s_and_b64 s[8:9], s[8:9], exec
	s_or_b64 s[4:5], s[4:5], s[8:9]
	s_or_b64 exec, exec, s[6:7]
	s_and_saveexec_b64 s[6:7], s[4:5]
	s_cbranch_execz .LBB2_33857
; %bb.60547:
	s_getpc_b64 s[14:15]
.Lpost_getpc33857:
	s_add_u32 s14, s14, (.LBB2_10371-.Lpost_getpc33857)&4294967295
	s_addc_u32 s15, s15, (.LBB2_10371-.Lpost_getpc33857)>>32
	s_setpc_b64 s[14:15]
.LBB2_33857:
	s_getpc_b64 s[14:15]
.Lpost_getpc20512:
	s_add_u32 s14, s14, (.LBB2_10372-.Lpost_getpc20512)&4294967295
	s_addc_u32 s15, s15, (.LBB2_10372-.Lpost_getpc20512)>>32
	s_setpc_b64 s[14:15]
.LBB2_24709:
	s_movk_i32 s4, 0x80
	v_cmp_eq_u16_sdwa s[12:13], v2, s4 src0_sel:BYTE_0 src1_sel:DWORD
	s_mov_b64 s[4:5], -1
                                        ; implicit-def: $sgpr10
	s_and_saveexec_b64 s[8:9], s[12:13]
; %bb.24710:
	s_mov_b32 s10, 0x7f800001
	s_xor_b64 s[4:5], exec, -1
; %bb.24711:
	s_or_b64 exec, exec, s[8:9]
	s_and_b64 s[4:5], s[4:5], exec
	s_or_saveexec_b64 s[6:7], s[6:7]
	v_mov_b32_e32 v13, s10
	s_xor_b64 exec, exec, s[6:7]
	s_cbranch_execnz .LBB2_24712
; %bb.60549:
	s_getpc_b64 s[14:15]
.Lpost_getpc33858:
	s_add_u32 s14, s14, (.LBB2_10374-.Lpost_getpc33858)&4294967295
	s_addc_u32 s15, s15, (.LBB2_10374-.Lpost_getpc33858)>>32
	s_setpc_b64 s[14:15]
.LBB2_24712:
	v_mov_b32_e32 v13, 0
	v_cmp_ne_u16_sdwa s[8:9], v2, v13 src0_sel:BYTE_0 src1_sel:DWORD
	s_andn2_b64 s[4:5], s[4:5], exec
	s_and_b64 s[8:9], s[8:9], exec
	s_or_b64 s[4:5], s[4:5], s[8:9]
	s_or_b64 exec, exec, s[6:7]
	s_and_saveexec_b64 s[6:7], s[4:5]
	s_cbranch_execz .LBB2_33859
; %bb.60551:
	s_getpc_b64 s[14:15]
.Lpost_getpc33859:
	s_add_u32 s14, s14, (.LBB2_10375-.Lpost_getpc33859)&4294967295
	s_addc_u32 s15, s15, (.LBB2_10375-.Lpost_getpc33859)>>32
	s_setpc_b64 s[14:15]
.LBB2_33859:
	s_getpc_b64 s[14:15]
.Lpost_getpc20513:
	s_add_u32 s14, s14, (.LBB2_10376-.Lpost_getpc20513)&4294967295
	s_addc_u32 s15, s15, (.LBB2_10376-.Lpost_getpc20513)>>32
	s_setpc_b64 s[14:15]
.LBB2_24713:
	s_movk_i32 s4, 0x80
	v_cmp_eq_u16_sdwa s[12:13], v13, s4 src0_sel:BYTE_0 src1_sel:DWORD
	s_mov_b64 s[4:5], -1
                                        ; implicit-def: $sgpr10
	s_and_saveexec_b64 s[8:9], s[12:13]
; %bb.24714:
	s_mov_b32 s10, 0x7f800001
	s_xor_b64 s[4:5], exec, -1
; %bb.24715:
	s_or_b64 exec, exec, s[8:9]
	s_and_b64 s[4:5], s[4:5], exec
	s_or_saveexec_b64 s[6:7], s[6:7]
	v_mov_b32_e32 v12, s10
	s_xor_b64 exec, exec, s[6:7]
	s_cbranch_execnz .LBB2_24716
; %bb.60553:
	s_getpc_b64 s[14:15]
.Lpost_getpc33860:
	s_add_u32 s14, s14, (.LBB2_10378-.Lpost_getpc33860)&4294967295
	s_addc_u32 s15, s15, (.LBB2_10378-.Lpost_getpc33860)>>32
	s_setpc_b64 s[14:15]
.LBB2_24716:
	v_mov_b32_e32 v12, 0
	v_cmp_ne_u16_sdwa s[8:9], v13, v12 src0_sel:BYTE_0 src1_sel:DWORD
	s_andn2_b64 s[4:5], s[4:5], exec
	s_and_b64 s[8:9], s[8:9], exec
	s_or_b64 s[4:5], s[4:5], s[8:9]
	s_or_b64 exec, exec, s[6:7]
	s_and_saveexec_b64 s[6:7], s[4:5]
	s_cbranch_execz .LBB2_33861
; %bb.60555:
	s_getpc_b64 s[14:15]
.Lpost_getpc33861:
	s_add_u32 s14, s14, (.LBB2_10379-.Lpost_getpc33861)&4294967295
	s_addc_u32 s15, s15, (.LBB2_10379-.Lpost_getpc33861)>>32
	s_setpc_b64 s[14:15]
.LBB2_33861:
	s_getpc_b64 s[14:15]
.Lpost_getpc20514:
	s_add_u32 s14, s14, (.LBB2_10380-.Lpost_getpc20514)&4294967295
	s_addc_u32 s15, s15, (.LBB2_10380-.Lpost_getpc20514)>>32
	s_setpc_b64 s[14:15]
.LBB2_24717:
	s_movk_i32 s4, 0x80
	v_cmp_eq_u16_sdwa s[12:13], v13, s4 src0_sel:BYTE_0 src1_sel:DWORD
	s_mov_b64 s[4:5], -1
                                        ; implicit-def: $sgpr10
	s_and_saveexec_b64 s[8:9], s[12:13]
; %bb.24718:
	s_mov_b32 s10, 0x7f800001
	s_xor_b64 s[4:5], exec, -1
; %bb.24719:
	s_or_b64 exec, exec, s[8:9]
	s_and_b64 s[4:5], s[4:5], exec
	s_or_saveexec_b64 s[6:7], s[6:7]
	v_mov_b32_e32 v14, s10
	s_xor_b64 exec, exec, s[6:7]
	s_cbranch_execnz .LBB2_24720
; %bb.60557:
	s_getpc_b64 s[14:15]
.Lpost_getpc33862:
	s_add_u32 s14, s14, (.LBB2_10382-.Lpost_getpc33862)&4294967295
	s_addc_u32 s15, s15, (.LBB2_10382-.Lpost_getpc33862)>>32
	s_setpc_b64 s[14:15]
.LBB2_24720:
	v_mov_b32_e32 v14, 0
	v_cmp_ne_u16_sdwa s[8:9], v13, v14 src0_sel:BYTE_0 src1_sel:DWORD
	s_andn2_b64 s[4:5], s[4:5], exec
	s_and_b64 s[8:9], s[8:9], exec
	s_or_b64 s[4:5], s[4:5], s[8:9]
	s_or_b64 exec, exec, s[6:7]
	s_and_saveexec_b64 s[6:7], s[4:5]
	s_cbranch_execz .LBB2_33863
; %bb.60559:
	s_getpc_b64 s[14:15]
.Lpost_getpc33863:
	s_add_u32 s14, s14, (.LBB2_10383-.Lpost_getpc33863)&4294967295
	s_addc_u32 s15, s15, (.LBB2_10383-.Lpost_getpc33863)>>32
	s_setpc_b64 s[14:15]
.LBB2_33863:
	s_getpc_b64 s[14:15]
.Lpost_getpc20515:
	s_add_u32 s14, s14, (.LBB2_10384-.Lpost_getpc20515)&4294967295
	s_addc_u32 s15, s15, (.LBB2_10384-.Lpost_getpc20515)>>32
	s_setpc_b64 s[14:15]
.LBB2_24721:
	s_movk_i32 s4, 0x80
	v_cmp_eq_u16_e32 vcc, s4, v13
	s_mov_b64 s[4:5], -1
                                        ; implicit-def: $sgpr10
	s_and_saveexec_b64 s[8:9], vcc
; %bb.24722:
	s_mov_b32 s10, 0x7f800001
	s_xor_b64 s[4:5], exec, -1
; %bb.24723:
	s_or_b64 exec, exec, s[8:9]
	s_and_b64 s[4:5], s[4:5], exec
                                        ; implicit-def: $vgpr13
	s_or_saveexec_b64 s[6:7], s[6:7]
	v_mov_b32_e32 v12, s10
	s_xor_b64 exec, exec, s[6:7]
	s_cbranch_execnz .LBB2_24724
; %bb.60561:
	s_getpc_b64 s[14:15]
.Lpost_getpc33864:
	s_add_u32 s14, s14, (.LBB2_10386-.Lpost_getpc33864)&4294967295
	s_addc_u32 s15, s15, (.LBB2_10386-.Lpost_getpc33864)>>32
	s_setpc_b64 s[14:15]
.LBB2_24724:
	v_cmp_ne_u16_e32 vcc, 0, v13
	s_andn2_b64 s[4:5], s[4:5], exec
	s_and_b64 s[8:9], vcc, exec
	v_mov_b32_e32 v12, 0
	s_or_b64 s[4:5], s[4:5], s[8:9]
	s_or_b64 exec, exec, s[6:7]
	s_and_saveexec_b64 s[6:7], s[4:5]
	s_cbranch_execz .LBB2_33865
; %bb.60563:
	s_getpc_b64 s[14:15]
.Lpost_getpc33865:
	s_add_u32 s14, s14, (.LBB2_10387-.Lpost_getpc33865)&4294967295
	s_addc_u32 s15, s15, (.LBB2_10387-.Lpost_getpc33865)>>32
	s_setpc_b64 s[14:15]
.LBB2_33865:
	s_getpc_b64 s[14:15]
.Lpost_getpc20516:
	s_add_u32 s14, s14, (.LBB2_10388-.Lpost_getpc20516)&4294967295
	s_addc_u32 s15, s15, (.LBB2_10388-.Lpost_getpc20516)>>32
	s_setpc_b64 s[14:15]
.LBB2_24725:
	s_movk_i32 s4, 0x80
	v_cmp_eq_u16_e32 vcc, s4, v13
	s_mov_b64 s[4:5], -1
                                        ; implicit-def: $sgpr10
	s_and_saveexec_b64 s[8:9], vcc
; %bb.24726:
	s_mov_b32 s10, 0x7f800001
	s_xor_b64 s[4:5], exec, -1
; %bb.24727:
	s_or_b64 exec, exec, s[8:9]
	s_and_b64 s[4:5], s[4:5], exec
                                        ; implicit-def: $vgpr13
	s_or_saveexec_b64 s[6:7], s[6:7]
	v_mov_b32_e32 v14, s10
	s_xor_b64 exec, exec, s[6:7]
	s_cbranch_execnz .LBB2_24728
; %bb.60565:
	s_getpc_b64 s[14:15]
.Lpost_getpc33866:
	s_add_u32 s14, s14, (.LBB2_10390-.Lpost_getpc33866)&4294967295
	s_addc_u32 s15, s15, (.LBB2_10390-.Lpost_getpc33866)>>32
	s_setpc_b64 s[14:15]
.LBB2_24728:
	v_cmp_ne_u16_e32 vcc, 0, v13
	s_andn2_b64 s[4:5], s[4:5], exec
	s_and_b64 s[8:9], vcc, exec
	v_mov_b32_e32 v14, 0
	s_or_b64 s[4:5], s[4:5], s[8:9]
	s_or_b64 exec, exec, s[6:7]
	s_and_saveexec_b64 s[6:7], s[4:5]
	s_cbranch_execz .LBB2_33867
; %bb.60567:
	s_getpc_b64 s[14:15]
.Lpost_getpc33867:
	s_add_u32 s14, s14, (.LBB2_10391-.Lpost_getpc33867)&4294967295
	s_addc_u32 s15, s15, (.LBB2_10391-.Lpost_getpc33867)>>32
	s_setpc_b64 s[14:15]
.LBB2_33867:
	s_getpc_b64 s[14:15]
.Lpost_getpc20517:
	s_add_u32 s14, s14, (.LBB2_10392-.Lpost_getpc20517)&4294967295
	s_addc_u32 s15, s15, (.LBB2_10392-.Lpost_getpc20517)>>32
	s_setpc_b64 s[14:15]
.LBB2_24729:
	s_movk_i32 s4, 0x80
	v_cmp_eq_u16_sdwa s[12:13], v6, s4 src0_sel:BYTE_3 src1_sel:DWORD
	s_mov_b64 s[4:5], -1
                                        ; implicit-def: $sgpr10
	s_and_saveexec_b64 s[8:9], s[12:13]
; %bb.24730:
	s_mov_b32 s10, 0x7f800001
	s_xor_b64 s[4:5], exec, -1
; %bb.24731:
	s_or_b64 exec, exec, s[8:9]
	s_and_b64 s[4:5], s[4:5], exec
	s_or_saveexec_b64 s[6:7], s[6:7]
	v_mov_b32_e32 v12, s10
	s_xor_b64 exec, exec, s[6:7]
	s_cbranch_execnz .LBB2_24732
; %bb.60569:
	s_getpc_b64 s[14:15]
.Lpost_getpc33868:
	s_add_u32 s14, s14, (.LBB2_10394-.Lpost_getpc33868)&4294967295
	s_addc_u32 s15, s15, (.LBB2_10394-.Lpost_getpc33868)>>32
	s_setpc_b64 s[14:15]
.LBB2_24732:
	v_mov_b32_e32 v12, 0
	v_cmp_ne_u16_sdwa s[8:9], v6, v12 src0_sel:BYTE_3 src1_sel:DWORD
	s_andn2_b64 s[4:5], s[4:5], exec
	s_and_b64 s[8:9], s[8:9], exec
	s_or_b64 s[4:5], s[4:5], s[8:9]
	s_or_b64 exec, exec, s[6:7]
	s_and_saveexec_b64 s[6:7], s[4:5]
	s_cbranch_execz .LBB2_33869
; %bb.60571:
	s_getpc_b64 s[14:15]
.Lpost_getpc33869:
	s_add_u32 s14, s14, (.LBB2_10395-.Lpost_getpc33869)&4294967295
	s_addc_u32 s15, s15, (.LBB2_10395-.Lpost_getpc33869)>>32
	s_setpc_b64 s[14:15]
.LBB2_33869:
	s_getpc_b64 s[14:15]
.Lpost_getpc20518:
	s_add_u32 s14, s14, (.LBB2_10396-.Lpost_getpc20518)&4294967295
	s_addc_u32 s15, s15, (.LBB2_10396-.Lpost_getpc20518)>>32
	s_setpc_b64 s[14:15]
.LBB2_24733:
	s_movk_i32 s4, 0x80
	v_cmp_eq_u16_sdwa s[12:13], v2, s4 src0_sel:BYTE_3 src1_sel:DWORD
	s_mov_b64 s[4:5], -1
                                        ; implicit-def: $sgpr10
	s_and_saveexec_b64 s[8:9], s[12:13]
; %bb.24734:
	s_mov_b32 s10, 0x7f800001
	s_xor_b64 s[4:5], exec, -1
; %bb.24735:
	s_or_b64 exec, exec, s[8:9]
	s_and_b64 s[4:5], s[4:5], exec
	s_or_saveexec_b64 s[6:7], s[6:7]
	v_mov_b32_e32 v6, s10
	s_xor_b64 exec, exec, s[6:7]
	s_cbranch_execnz .LBB2_24736
; %bb.60573:
	s_getpc_b64 s[14:15]
.Lpost_getpc33870:
	s_add_u32 s14, s14, (.LBB2_10398-.Lpost_getpc33870)&4294967295
	s_addc_u32 s15, s15, (.LBB2_10398-.Lpost_getpc33870)>>32
	s_setpc_b64 s[14:15]
.LBB2_24736:
	v_mov_b32_e32 v6, 0
	v_cmp_ne_u16_sdwa s[8:9], v2, v6 src0_sel:BYTE_3 src1_sel:DWORD
	s_andn2_b64 s[4:5], s[4:5], exec
	s_and_b64 s[8:9], s[8:9], exec
	s_or_b64 s[4:5], s[4:5], s[8:9]
	s_or_b64 exec, exec, s[6:7]
	s_and_saveexec_b64 s[6:7], s[4:5]
	s_cbranch_execz .LBB2_33871
; %bb.60575:
	s_getpc_b64 s[14:15]
.Lpost_getpc33871:
	s_add_u32 s14, s14, (.LBB2_10399-.Lpost_getpc33871)&4294967295
	s_addc_u32 s15, s15, (.LBB2_10399-.Lpost_getpc33871)>>32
	s_setpc_b64 s[14:15]
.LBB2_33871:
	s_getpc_b64 s[14:15]
.Lpost_getpc20519:
	s_add_u32 s14, s14, (.LBB2_10400-.Lpost_getpc20519)&4294967295
	s_addc_u32 s15, s15, (.LBB2_10400-.Lpost_getpc20519)>>32
	s_setpc_b64 s[14:15]
.LBB2_24737:
	s_movk_i32 s4, 0x80
	v_cmp_eq_u16_sdwa s[12:13], v7, s4 src0_sel:BYTE_0 src1_sel:DWORD
	s_mov_b64 s[4:5], -1
                                        ; implicit-def: $sgpr10
	s_and_saveexec_b64 s[8:9], s[12:13]
; %bb.24738:
	s_mov_b32 s10, 0x7f800001
	s_xor_b64 s[4:5], exec, -1
; %bb.24739:
	s_or_b64 exec, exec, s[8:9]
	s_and_b64 s[4:5], s[4:5], exec
	s_or_saveexec_b64 s[6:7], s[6:7]
	v_mov_b32_e32 v2, s10
	s_xor_b64 exec, exec, s[6:7]
	s_cbranch_execnz .LBB2_24740
; %bb.60577:
	s_getpc_b64 s[14:15]
.Lpost_getpc33872:
	s_add_u32 s14, s14, (.LBB2_10402-.Lpost_getpc33872)&4294967295
	s_addc_u32 s15, s15, (.LBB2_10402-.Lpost_getpc33872)>>32
	s_setpc_b64 s[14:15]
.LBB2_24740:
	v_mov_b32_e32 v2, 0
	v_cmp_ne_u16_sdwa s[8:9], v7, v2 src0_sel:BYTE_0 src1_sel:DWORD
	s_andn2_b64 s[4:5], s[4:5], exec
	s_and_b64 s[8:9], s[8:9], exec
	s_or_b64 s[4:5], s[4:5], s[8:9]
	s_or_b64 exec, exec, s[6:7]
	s_and_saveexec_b64 s[6:7], s[4:5]
	s_cbranch_execz .LBB2_33873
; %bb.60579:
	s_getpc_b64 s[14:15]
.Lpost_getpc33873:
	s_add_u32 s14, s14, (.LBB2_10403-.Lpost_getpc33873)&4294967295
	s_addc_u32 s15, s15, (.LBB2_10403-.Lpost_getpc33873)>>32
	s_setpc_b64 s[14:15]
.LBB2_33873:
	s_getpc_b64 s[14:15]
.Lpost_getpc20520:
	s_add_u32 s14, s14, (.LBB2_10404-.Lpost_getpc20520)&4294967295
	s_addc_u32 s15, s15, (.LBB2_10404-.Lpost_getpc20520)>>32
	s_setpc_b64 s[14:15]
.LBB2_24741:
	s_movk_i32 s4, 0x80
	v_cmp_eq_u16_sdwa s[12:13], v3, s4 src0_sel:BYTE_0 src1_sel:DWORD
	s_mov_b64 s[4:5], -1
                                        ; implicit-def: $sgpr10
	s_and_saveexec_b64 s[8:9], s[12:13]
; %bb.24742:
	s_mov_b32 s10, 0x7f800001
	s_xor_b64 s[4:5], exec, -1
; %bb.24743:
	s_or_b64 exec, exec, s[8:9]
	s_and_b64 s[4:5], s[4:5], exec
	s_or_saveexec_b64 s[6:7], s[6:7]
	v_mov_b32_e32 v6, s10
	s_xor_b64 exec, exec, s[6:7]
	s_cbranch_execnz .LBB2_24744
; %bb.60581:
	s_getpc_b64 s[14:15]
.Lpost_getpc33874:
	s_add_u32 s14, s14, (.LBB2_10406-.Lpost_getpc33874)&4294967295
	s_addc_u32 s15, s15, (.LBB2_10406-.Lpost_getpc33874)>>32
	s_setpc_b64 s[14:15]
.LBB2_24744:
	v_mov_b32_e32 v6, 0
	v_cmp_ne_u16_sdwa s[8:9], v3, v6 src0_sel:BYTE_0 src1_sel:DWORD
	s_andn2_b64 s[4:5], s[4:5], exec
	s_and_b64 s[8:9], s[8:9], exec
	s_or_b64 s[4:5], s[4:5], s[8:9]
	s_or_b64 exec, exec, s[6:7]
	s_and_saveexec_b64 s[6:7], s[4:5]
	s_cbranch_execz .LBB2_33875
; %bb.60583:
	s_getpc_b64 s[14:15]
.Lpost_getpc33875:
	s_add_u32 s14, s14, (.LBB2_10407-.Lpost_getpc33875)&4294967295
	s_addc_u32 s15, s15, (.LBB2_10407-.Lpost_getpc33875)>>32
	s_setpc_b64 s[14:15]
.LBB2_33875:
	s_getpc_b64 s[14:15]
.Lpost_getpc20521:
	s_add_u32 s14, s14, (.LBB2_10408-.Lpost_getpc20521)&4294967295
	s_addc_u32 s15, s15, (.LBB2_10408-.Lpost_getpc20521)>>32
	s_setpc_b64 s[14:15]
.LBB2_24745:
	s_movk_i32 s4, 0x80
	v_cmp_eq_u16_sdwa s[12:13], v6, s4 src0_sel:BYTE_0 src1_sel:DWORD
	s_mov_b64 s[4:5], -1
                                        ; implicit-def: $sgpr10
	s_and_saveexec_b64 s[8:9], s[12:13]
; %bb.24746:
	s_mov_b32 s10, 0x7f800001
	s_xor_b64 s[4:5], exec, -1
; %bb.24747:
	s_or_b64 exec, exec, s[8:9]
	s_and_b64 s[4:5], s[4:5], exec
	s_or_saveexec_b64 s[6:7], s[6:7]
	v_mov_b32_e32 v2, s10
	s_xor_b64 exec, exec, s[6:7]
	s_cbranch_execnz .LBB2_24748
; %bb.60585:
	s_getpc_b64 s[14:15]
.Lpost_getpc33876:
	s_add_u32 s14, s14, (.LBB2_10410-.Lpost_getpc33876)&4294967295
	s_addc_u32 s15, s15, (.LBB2_10410-.Lpost_getpc33876)>>32
	s_setpc_b64 s[14:15]
.LBB2_24748:
	v_mov_b32_e32 v2, 0
	v_cmp_ne_u16_sdwa s[8:9], v6, v2 src0_sel:BYTE_0 src1_sel:DWORD
	s_andn2_b64 s[4:5], s[4:5], exec
	s_and_b64 s[8:9], s[8:9], exec
	s_or_b64 s[4:5], s[4:5], s[8:9]
	s_or_b64 exec, exec, s[6:7]
	s_and_saveexec_b64 s[6:7], s[4:5]
	s_cbranch_execz .LBB2_33877
; %bb.60587:
	s_getpc_b64 s[14:15]
.Lpost_getpc33877:
	s_add_u32 s14, s14, (.LBB2_10411-.Lpost_getpc33877)&4294967295
	s_addc_u32 s15, s15, (.LBB2_10411-.Lpost_getpc33877)>>32
	s_setpc_b64 s[14:15]
.LBB2_33877:
	s_getpc_b64 s[14:15]
.Lpost_getpc20522:
	s_add_u32 s14, s14, (.LBB2_10412-.Lpost_getpc20522)&4294967295
	s_addc_u32 s15, s15, (.LBB2_10412-.Lpost_getpc20522)>>32
	s_setpc_b64 s[14:15]
.LBB2_24749:
	s_movk_i32 s4, 0x80
	v_cmp_eq_u16_sdwa s[12:13], v6, s4 src0_sel:BYTE_0 src1_sel:DWORD
	s_mov_b64 s[4:5], -1
                                        ; implicit-def: $sgpr10
	s_and_saveexec_b64 s[8:9], s[12:13]
; %bb.24750:
	s_mov_b32 s10, 0x7f800001
	s_xor_b64 s[4:5], exec, -1
; %bb.24751:
	s_or_b64 exec, exec, s[8:9]
	s_and_b64 s[4:5], s[4:5], exec
	s_or_saveexec_b64 s[6:7], s[6:7]
	v_mov_b32_e32 v12, s10
	s_xor_b64 exec, exec, s[6:7]
	s_cbranch_execnz .LBB2_24752
; %bb.60589:
	s_getpc_b64 s[14:15]
.Lpost_getpc33878:
	s_add_u32 s14, s14, (.LBB2_10414-.Lpost_getpc33878)&4294967295
	s_addc_u32 s15, s15, (.LBB2_10414-.Lpost_getpc33878)>>32
	s_setpc_b64 s[14:15]
.LBB2_24752:
	v_mov_b32_e32 v12, 0
	v_cmp_ne_u16_sdwa s[8:9], v6, v12 src0_sel:BYTE_0 src1_sel:DWORD
	s_andn2_b64 s[4:5], s[4:5], exec
	s_and_b64 s[8:9], s[8:9], exec
	s_or_b64 s[4:5], s[4:5], s[8:9]
	s_or_b64 exec, exec, s[6:7]
	s_and_saveexec_b64 s[6:7], s[4:5]
	s_cbranch_execz .LBB2_33879
; %bb.60591:
	s_getpc_b64 s[14:15]
.Lpost_getpc33879:
	s_add_u32 s14, s14, (.LBB2_10415-.Lpost_getpc33879)&4294967295
	s_addc_u32 s15, s15, (.LBB2_10415-.Lpost_getpc33879)>>32
	s_setpc_b64 s[14:15]
.LBB2_33879:
	s_getpc_b64 s[14:15]
.Lpost_getpc20523:
	s_add_u32 s14, s14, (.LBB2_10416-.Lpost_getpc20523)&4294967295
	s_addc_u32 s15, s15, (.LBB2_10416-.Lpost_getpc20523)>>32
	s_setpc_b64 s[14:15]
.LBB2_24753:
	s_movk_i32 s4, 0x80
	v_cmp_eq_u16_e32 vcc, s4, v6
	s_mov_b64 s[4:5], -1
                                        ; implicit-def: $sgpr10
	s_and_saveexec_b64 s[8:9], vcc
; %bb.24754:
	s_mov_b32 s10, 0x7f800001
	s_xor_b64 s[4:5], exec, -1
; %bb.24755:
	s_or_b64 exec, exec, s[8:9]
	s_and_b64 s[4:5], s[4:5], exec
                                        ; implicit-def: $vgpr6
	s_or_saveexec_b64 s[6:7], s[6:7]
	v_mov_b32_e32 v2, s10
	s_xor_b64 exec, exec, s[6:7]
	s_cbranch_execnz .LBB2_24756
; %bb.60593:
	s_getpc_b64 s[14:15]
.Lpost_getpc33880:
	s_add_u32 s14, s14, (.LBB2_10418-.Lpost_getpc33880)&4294967295
	s_addc_u32 s15, s15, (.LBB2_10418-.Lpost_getpc33880)>>32
	s_setpc_b64 s[14:15]
.LBB2_24756:
	v_cmp_ne_u16_e32 vcc, 0, v6
	s_andn2_b64 s[4:5], s[4:5], exec
	s_and_b64 s[8:9], vcc, exec
	v_mov_b32_e32 v2, 0
	s_or_b64 s[4:5], s[4:5], s[8:9]
	s_or_b64 exec, exec, s[6:7]
	s_and_saveexec_b64 s[6:7], s[4:5]
	s_cbranch_execz .LBB2_33881
; %bb.60595:
	s_getpc_b64 s[14:15]
.Lpost_getpc33881:
	s_add_u32 s14, s14, (.LBB2_10419-.Lpost_getpc33881)&4294967295
	s_addc_u32 s15, s15, (.LBB2_10419-.Lpost_getpc33881)>>32
	s_setpc_b64 s[14:15]
.LBB2_33881:
	s_getpc_b64 s[14:15]
.Lpost_getpc20524:
	s_add_u32 s14, s14, (.LBB2_10420-.Lpost_getpc20524)&4294967295
	s_addc_u32 s15, s15, (.LBB2_10420-.Lpost_getpc20524)>>32
	s_setpc_b64 s[14:15]
.LBB2_24757:
	s_movk_i32 s4, 0x80
	v_cmp_eq_u16_e32 vcc, s4, v6
	s_mov_b64 s[4:5], -1
                                        ; implicit-def: $sgpr10
	s_and_saveexec_b64 s[8:9], vcc
; %bb.24758:
	s_mov_b32 s10, 0x7f800001
	s_xor_b64 s[4:5], exec, -1
; %bb.24759:
	s_or_b64 exec, exec, s[8:9]
	s_and_b64 s[4:5], s[4:5], exec
                                        ; implicit-def: $vgpr6
	s_or_saveexec_b64 s[6:7], s[6:7]
	v_mov_b32_e32 v12, s10
	s_xor_b64 exec, exec, s[6:7]
	s_cbranch_execnz .LBB2_24760
; %bb.60597:
	s_getpc_b64 s[14:15]
.Lpost_getpc33882:
	s_add_u32 s14, s14, (.LBB2_10422-.Lpost_getpc33882)&4294967295
	s_addc_u32 s15, s15, (.LBB2_10422-.Lpost_getpc33882)>>32
	s_setpc_b64 s[14:15]
.LBB2_24760:
	v_cmp_ne_u16_e32 vcc, 0, v6
	s_andn2_b64 s[4:5], s[4:5], exec
	s_and_b64 s[8:9], vcc, exec
	v_mov_b32_e32 v12, 0
	s_or_b64 s[4:5], s[4:5], s[8:9]
	s_or_b64 exec, exec, s[6:7]
	s_and_saveexec_b64 s[6:7], s[4:5]
	s_cbranch_execz .LBB2_33883
; %bb.60599:
	s_getpc_b64 s[14:15]
.Lpost_getpc33883:
	s_add_u32 s14, s14, (.LBB2_10423-.Lpost_getpc33883)&4294967295
	s_addc_u32 s15, s15, (.LBB2_10423-.Lpost_getpc33883)>>32
	s_setpc_b64 s[14:15]
.LBB2_33883:
	s_getpc_b64 s[14:15]
.Lpost_getpc20525:
	s_add_u32 s14, s14, (.LBB2_10424-.Lpost_getpc20525)&4294967295
	s_addc_u32 s15, s15, (.LBB2_10424-.Lpost_getpc20525)>>32
	s_setpc_b64 s[14:15]
.LBB2_24761:
	s_movk_i32 s4, 0x80
	v_cmp_eq_u16_sdwa s[12:13], v7, s4 src0_sel:BYTE_3 src1_sel:DWORD
	s_mov_b64 s[4:5], -1
                                        ; implicit-def: $sgpr10
	s_and_saveexec_b64 s[8:9], s[12:13]
; %bb.24762:
	s_mov_b32 s10, 0x7f800001
	s_xor_b64 s[4:5], exec, -1
; %bb.24763:
	s_or_b64 exec, exec, s[8:9]
	s_and_b64 s[4:5], s[4:5], exec
	s_or_saveexec_b64 s[6:7], s[6:7]
	v_mov_b32_e32 v2, s10
	s_xor_b64 exec, exec, s[6:7]
	s_cbranch_execnz .LBB2_24764
; %bb.60601:
	s_getpc_b64 s[14:15]
.Lpost_getpc33884:
	s_add_u32 s14, s14, (.LBB2_10426-.Lpost_getpc33884)&4294967295
	s_addc_u32 s15, s15, (.LBB2_10426-.Lpost_getpc33884)>>32
	s_setpc_b64 s[14:15]
.LBB2_24764:
	v_mov_b32_e32 v2, 0
	v_cmp_ne_u16_sdwa s[8:9], v7, v2 src0_sel:BYTE_3 src1_sel:DWORD
	s_andn2_b64 s[4:5], s[4:5], exec
	s_and_b64 s[8:9], s[8:9], exec
	s_or_b64 s[4:5], s[4:5], s[8:9]
	s_or_b64 exec, exec, s[6:7]
	s_and_saveexec_b64 s[6:7], s[4:5]
	s_cbranch_execz .LBB2_33885
; %bb.60603:
	s_getpc_b64 s[14:15]
.Lpost_getpc33885:
	s_add_u32 s14, s14, (.LBB2_10427-.Lpost_getpc33885)&4294967295
	s_addc_u32 s15, s15, (.LBB2_10427-.Lpost_getpc33885)>>32
	s_setpc_b64 s[14:15]
.LBB2_33885:
	s_getpc_b64 s[14:15]
.Lpost_getpc20526:
	s_add_u32 s14, s14, (.LBB2_10428-.Lpost_getpc20526)&4294967295
	s_addc_u32 s15, s15, (.LBB2_10428-.Lpost_getpc20526)>>32
	s_setpc_b64 s[14:15]
.LBB2_24765:
	s_movk_i32 s4, 0x80
	v_cmp_eq_u16_sdwa s[12:13], v3, s4 src0_sel:BYTE_3 src1_sel:DWORD
	s_mov_b64 s[4:5], -1
                                        ; implicit-def: $sgpr10
	s_and_saveexec_b64 s[8:9], s[12:13]
; %bb.24766:
	s_mov_b32 s10, 0x7f800001
	s_xor_b64 s[4:5], exec, -1
; %bb.24767:
	s_or_b64 exec, exec, s[8:9]
	s_and_b64 s[4:5], s[4:5], exec
	s_or_saveexec_b64 s[6:7], s[6:7]
	v_mov_b32_e32 v6, s10
	s_xor_b64 exec, exec, s[6:7]
	s_cbranch_execnz .LBB2_24768
; %bb.60605:
	s_getpc_b64 s[14:15]
.Lpost_getpc33886:
	s_add_u32 s14, s14, (.LBB2_10430-.Lpost_getpc33886)&4294967295
	s_addc_u32 s15, s15, (.LBB2_10430-.Lpost_getpc33886)>>32
	s_setpc_b64 s[14:15]
.LBB2_24768:
	v_mov_b32_e32 v6, 0
	v_cmp_ne_u16_sdwa s[8:9], v3, v6 src0_sel:BYTE_3 src1_sel:DWORD
	s_andn2_b64 s[4:5], s[4:5], exec
	s_and_b64 s[8:9], s[8:9], exec
	s_or_b64 s[4:5], s[4:5], s[8:9]
	s_or_b64 exec, exec, s[6:7]
	s_and_saveexec_b64 s[6:7], s[4:5]
	s_cbranch_execz .LBB2_33887
; %bb.60607:
	s_getpc_b64 s[14:15]
.Lpost_getpc33887:
	s_add_u32 s14, s14, (.LBB2_10431-.Lpost_getpc33887)&4294967295
	s_addc_u32 s15, s15, (.LBB2_10431-.Lpost_getpc33887)>>32
	s_setpc_b64 s[14:15]
.LBB2_33887:
	s_getpc_b64 s[14:15]
.Lpost_getpc20527:
	s_add_u32 s14, s14, (.LBB2_10432-.Lpost_getpc20527)&4294967295
	s_addc_u32 s15, s15, (.LBB2_10432-.Lpost_getpc20527)>>32
	s_setpc_b64 s[14:15]
.LBB2_24769:
	s_movk_i32 s4, 0x80
	v_cmp_eq_u16_sdwa s[12:13], v8, s4 src0_sel:BYTE_0 src1_sel:DWORD
	s_mov_b64 s[4:5], -1
                                        ; implicit-def: $sgpr10
	s_and_saveexec_b64 s[8:9], s[12:13]
; %bb.24770:
	s_mov_b32 s10, 0x7f800001
	s_xor_b64 s[4:5], exec, -1
; %bb.24771:
	s_or_b64 exec, exec, s[8:9]
	s_and_b64 s[4:5], s[4:5], exec
	s_or_saveexec_b64 s[6:7], s[6:7]
	v_mov_b32_e32 v2, s10
	s_xor_b64 exec, exec, s[6:7]
	s_cbranch_execnz .LBB2_24772
; %bb.60609:
	s_getpc_b64 s[14:15]
.Lpost_getpc33888:
	s_add_u32 s14, s14, (.LBB2_10434-.Lpost_getpc33888)&4294967295
	s_addc_u32 s15, s15, (.LBB2_10434-.Lpost_getpc33888)>>32
	s_setpc_b64 s[14:15]
.LBB2_24772:
	v_mov_b32_e32 v2, 0
	v_cmp_ne_u16_sdwa s[8:9], v8, v2 src0_sel:BYTE_0 src1_sel:DWORD
	s_andn2_b64 s[4:5], s[4:5], exec
	s_and_b64 s[8:9], s[8:9], exec
	s_or_b64 s[4:5], s[4:5], s[8:9]
	s_or_b64 exec, exec, s[6:7]
	s_and_saveexec_b64 s[6:7], s[4:5]
	s_cbranch_execz .LBB2_33889
; %bb.60611:
	s_getpc_b64 s[14:15]
.Lpost_getpc33889:
	s_add_u32 s14, s14, (.LBB2_10435-.Lpost_getpc33889)&4294967295
	s_addc_u32 s15, s15, (.LBB2_10435-.Lpost_getpc33889)>>32
	s_setpc_b64 s[14:15]
.LBB2_33889:
	s_getpc_b64 s[14:15]
.Lpost_getpc20528:
	s_add_u32 s14, s14, (.LBB2_10436-.Lpost_getpc20528)&4294967295
	s_addc_u32 s15, s15, (.LBB2_10436-.Lpost_getpc20528)>>32
	s_setpc_b64 s[14:15]
.LBB2_24773:
	s_movk_i32 s4, 0x80
	v_cmp_eq_u16_sdwa s[12:13], v4, s4 src0_sel:BYTE_0 src1_sel:DWORD
	s_mov_b64 s[4:5], -1
                                        ; implicit-def: $sgpr10
	s_and_saveexec_b64 s[8:9], s[12:13]
; %bb.24774:
	s_mov_b32 s10, 0x7f800001
	s_xor_b64 s[4:5], exec, -1
; %bb.24775:
	s_or_b64 exec, exec, s[8:9]
	s_and_b64 s[4:5], s[4:5], exec
	s_or_saveexec_b64 s[6:7], s[6:7]
	v_mov_b32_e32 v3, s10
	s_xor_b64 exec, exec, s[6:7]
	s_cbranch_execnz .LBB2_24776
; %bb.60613:
	s_getpc_b64 s[14:15]
.Lpost_getpc33890:
	s_add_u32 s14, s14, (.LBB2_10438-.Lpost_getpc33890)&4294967295
	s_addc_u32 s15, s15, (.LBB2_10438-.Lpost_getpc33890)>>32
	s_setpc_b64 s[14:15]
.LBB2_24776:
	v_mov_b32_e32 v3, 0
	v_cmp_ne_u16_sdwa s[8:9], v4, v3 src0_sel:BYTE_0 src1_sel:DWORD
	s_andn2_b64 s[4:5], s[4:5], exec
	s_and_b64 s[8:9], s[8:9], exec
	s_or_b64 s[4:5], s[4:5], s[8:9]
	s_or_b64 exec, exec, s[6:7]
	s_and_saveexec_b64 s[6:7], s[4:5]
	s_cbranch_execz .LBB2_33891
; %bb.60615:
	s_getpc_b64 s[14:15]
.Lpost_getpc33891:
	s_add_u32 s14, s14, (.LBB2_10439-.Lpost_getpc33891)&4294967295
	s_addc_u32 s15, s15, (.LBB2_10439-.Lpost_getpc33891)>>32
	s_setpc_b64 s[14:15]
.LBB2_33891:
	s_getpc_b64 s[14:15]
.Lpost_getpc20529:
	s_add_u32 s14, s14, (.LBB2_10440-.Lpost_getpc20529)&4294967295
	s_addc_u32 s15, s15, (.LBB2_10440-.Lpost_getpc20529)>>32
	s_setpc_b64 s[14:15]
.LBB2_24777:
	s_movk_i32 s4, 0x80
	v_cmp_eq_u16_sdwa s[12:13], v3, s4 src0_sel:BYTE_0 src1_sel:DWORD
	s_mov_b64 s[4:5], -1
                                        ; implicit-def: $sgpr10
	s_and_saveexec_b64 s[8:9], s[12:13]
; %bb.24778:
	s_mov_b32 s10, 0x7f800001
	s_xor_b64 s[4:5], exec, -1
; %bb.24779:
	s_or_b64 exec, exec, s[8:9]
	s_and_b64 s[4:5], s[4:5], exec
	s_or_saveexec_b64 s[6:7], s[6:7]
	v_mov_b32_e32 v2, s10
	s_xor_b64 exec, exec, s[6:7]
	s_cbranch_execnz .LBB2_24780
; %bb.60617:
	s_getpc_b64 s[14:15]
.Lpost_getpc33892:
	s_add_u32 s14, s14, (.LBB2_10442-.Lpost_getpc33892)&4294967295
	s_addc_u32 s15, s15, (.LBB2_10442-.Lpost_getpc33892)>>32
	s_setpc_b64 s[14:15]
.LBB2_24780:
	v_mov_b32_e32 v2, 0
	v_cmp_ne_u16_sdwa s[8:9], v3, v2 src0_sel:BYTE_0 src1_sel:DWORD
	s_andn2_b64 s[4:5], s[4:5], exec
	s_and_b64 s[8:9], s[8:9], exec
	s_or_b64 s[4:5], s[4:5], s[8:9]
	s_or_b64 exec, exec, s[6:7]
	s_and_saveexec_b64 s[6:7], s[4:5]
	s_cbranch_execz .LBB2_33893
; %bb.60619:
	s_getpc_b64 s[14:15]
.Lpost_getpc33893:
	s_add_u32 s14, s14, (.LBB2_10443-.Lpost_getpc33893)&4294967295
	s_addc_u32 s15, s15, (.LBB2_10443-.Lpost_getpc33893)>>32
	s_setpc_b64 s[14:15]
.LBB2_33893:
	s_getpc_b64 s[14:15]
.Lpost_getpc20530:
	s_add_u32 s14, s14, (.LBB2_10444-.Lpost_getpc20530)&4294967295
	s_addc_u32 s15, s15, (.LBB2_10444-.Lpost_getpc20530)>>32
	s_setpc_b64 s[14:15]
.LBB2_24781:
	s_movk_i32 s4, 0x80
	v_cmp_eq_u16_sdwa s[12:13], v3, s4 src0_sel:BYTE_0 src1_sel:DWORD
	s_mov_b64 s[4:5], -1
                                        ; implicit-def: $sgpr10
	s_and_saveexec_b64 s[8:9], s[12:13]
; %bb.24782:
	s_mov_b32 s10, 0x7f800001
	s_xor_b64 s[4:5], exec, -1
; %bb.24783:
	s_or_b64 exec, exec, s[8:9]
	s_and_b64 s[4:5], s[4:5], exec
	s_or_saveexec_b64 s[6:7], s[6:7]
	v_mov_b32_e32 v6, s10
	s_xor_b64 exec, exec, s[6:7]
	s_cbranch_execnz .LBB2_24784
; %bb.60621:
	s_getpc_b64 s[14:15]
.Lpost_getpc33894:
	s_add_u32 s14, s14, (.LBB2_10446-.Lpost_getpc33894)&4294967295
	s_addc_u32 s15, s15, (.LBB2_10446-.Lpost_getpc33894)>>32
	s_setpc_b64 s[14:15]
.LBB2_24784:
	v_mov_b32_e32 v6, 0
	v_cmp_ne_u16_sdwa s[8:9], v3, v6 src0_sel:BYTE_0 src1_sel:DWORD
	s_andn2_b64 s[4:5], s[4:5], exec
	s_and_b64 s[8:9], s[8:9], exec
	s_or_b64 s[4:5], s[4:5], s[8:9]
	s_or_b64 exec, exec, s[6:7]
	s_and_saveexec_b64 s[6:7], s[4:5]
	s_cbranch_execz .LBB2_33895
; %bb.60623:
	s_getpc_b64 s[14:15]
.Lpost_getpc33895:
	s_add_u32 s14, s14, (.LBB2_10447-.Lpost_getpc33895)&4294967295
	s_addc_u32 s15, s15, (.LBB2_10447-.Lpost_getpc33895)>>32
	s_setpc_b64 s[14:15]
.LBB2_33895:
	s_getpc_b64 s[14:15]
.Lpost_getpc20531:
	s_add_u32 s14, s14, (.LBB2_10448-.Lpost_getpc20531)&4294967295
	s_addc_u32 s15, s15, (.LBB2_10448-.Lpost_getpc20531)>>32
	s_setpc_b64 s[14:15]
.LBB2_24785:
	s_movk_i32 s4, 0x80
	v_cmp_eq_u16_e32 vcc, s4, v3
	s_mov_b64 s[4:5], -1
                                        ; implicit-def: $sgpr10
	s_and_saveexec_b64 s[8:9], vcc
; %bb.24786:
	s_mov_b32 s10, 0x7f800001
	s_xor_b64 s[4:5], exec, -1
; %bb.24787:
	s_or_b64 exec, exec, s[8:9]
	s_and_b64 s[4:5], s[4:5], exec
                                        ; implicit-def: $vgpr3
	s_or_saveexec_b64 s[6:7], s[6:7]
	v_mov_b32_e32 v2, s10
	s_xor_b64 exec, exec, s[6:7]
	s_cbranch_execnz .LBB2_24788
; %bb.60625:
	s_getpc_b64 s[14:15]
.Lpost_getpc33896:
	s_add_u32 s14, s14, (.LBB2_10450-.Lpost_getpc33896)&4294967295
	s_addc_u32 s15, s15, (.LBB2_10450-.Lpost_getpc33896)>>32
	s_setpc_b64 s[14:15]
.LBB2_24788:
	v_cmp_ne_u16_e32 vcc, 0, v3
	s_andn2_b64 s[4:5], s[4:5], exec
	s_and_b64 s[8:9], vcc, exec
	v_mov_b32_e32 v2, 0
	s_or_b64 s[4:5], s[4:5], s[8:9]
	s_or_b64 exec, exec, s[6:7]
	s_and_saveexec_b64 s[6:7], s[4:5]
	s_cbranch_execz .LBB2_33897
; %bb.60627:
	s_getpc_b64 s[14:15]
.Lpost_getpc33897:
	s_add_u32 s14, s14, (.LBB2_10451-.Lpost_getpc33897)&4294967295
	s_addc_u32 s15, s15, (.LBB2_10451-.Lpost_getpc33897)>>32
	s_setpc_b64 s[14:15]
.LBB2_33897:
	s_getpc_b64 s[14:15]
.Lpost_getpc20532:
	s_add_u32 s14, s14, (.LBB2_10452-.Lpost_getpc20532)&4294967295
	s_addc_u32 s15, s15, (.LBB2_10452-.Lpost_getpc20532)>>32
	s_setpc_b64 s[14:15]
.LBB2_24789:
	s_movk_i32 s4, 0x80
	v_cmp_eq_u16_e32 vcc, s4, v3
	s_mov_b64 s[4:5], -1
                                        ; implicit-def: $sgpr10
	s_and_saveexec_b64 s[8:9], vcc
; %bb.24790:
	s_mov_b32 s10, 0x7f800001
	s_xor_b64 s[4:5], exec, -1
; %bb.24791:
	s_or_b64 exec, exec, s[8:9]
	s_and_b64 s[4:5], s[4:5], exec
                                        ; implicit-def: $vgpr3
	s_or_saveexec_b64 s[6:7], s[6:7]
	v_mov_b32_e32 v6, s10
	s_xor_b64 exec, exec, s[6:7]
	s_cbranch_execnz .LBB2_24792
; %bb.60629:
	s_getpc_b64 s[14:15]
.Lpost_getpc33898:
	s_add_u32 s14, s14, (.LBB2_10454-.Lpost_getpc33898)&4294967295
	s_addc_u32 s15, s15, (.LBB2_10454-.Lpost_getpc33898)>>32
	s_setpc_b64 s[14:15]
.LBB2_24792:
	v_cmp_ne_u16_e32 vcc, 0, v3
	s_andn2_b64 s[4:5], s[4:5], exec
	s_and_b64 s[8:9], vcc, exec
	v_mov_b32_e32 v6, 0
	s_or_b64 s[4:5], s[4:5], s[8:9]
	s_or_b64 exec, exec, s[6:7]
	s_and_saveexec_b64 s[6:7], s[4:5]
	s_cbranch_execz .LBB2_33899
; %bb.60631:
	s_getpc_b64 s[14:15]
.Lpost_getpc33899:
	s_add_u32 s14, s14, (.LBB2_10455-.Lpost_getpc33899)&4294967295
	s_addc_u32 s15, s15, (.LBB2_10455-.Lpost_getpc33899)>>32
	s_setpc_b64 s[14:15]
.LBB2_33899:
	s_getpc_b64 s[14:15]
.Lpost_getpc20533:
	s_add_u32 s14, s14, (.LBB2_10456-.Lpost_getpc20533)&4294967295
	s_addc_u32 s15, s15, (.LBB2_10456-.Lpost_getpc20533)>>32
	s_setpc_b64 s[14:15]
.LBB2_24793:
	s_movk_i32 s4, 0x80
	v_cmp_eq_u16_sdwa s[12:13], v8, s4 src0_sel:BYTE_3 src1_sel:DWORD
	s_mov_b64 s[4:5], -1
                                        ; implicit-def: $sgpr10
	s_and_saveexec_b64 s[8:9], s[12:13]
; %bb.24794:
	s_mov_b32 s10, 0x7f800001
	s_xor_b64 s[4:5], exec, -1
; %bb.24795:
	s_or_b64 exec, exec, s[8:9]
	s_and_b64 s[4:5], s[4:5], exec
	s_or_saveexec_b64 s[6:7], s[6:7]
	v_mov_b32_e32 v2, s10
	s_xor_b64 exec, exec, s[6:7]
	s_cbranch_execnz .LBB2_24796
; %bb.60633:
	s_getpc_b64 s[14:15]
.Lpost_getpc33900:
	s_add_u32 s14, s14, (.LBB2_10458-.Lpost_getpc33900)&4294967295
	s_addc_u32 s15, s15, (.LBB2_10458-.Lpost_getpc33900)>>32
	s_setpc_b64 s[14:15]
.LBB2_24796:
	v_mov_b32_e32 v2, 0
	v_cmp_ne_u16_sdwa s[8:9], v8, v2 src0_sel:BYTE_3 src1_sel:DWORD
	s_andn2_b64 s[4:5], s[4:5], exec
	s_and_b64 s[8:9], s[8:9], exec
	s_or_b64 s[4:5], s[4:5], s[8:9]
	s_or_b64 exec, exec, s[6:7]
	s_and_saveexec_b64 s[6:7], s[4:5]
	s_cbranch_execz .LBB2_33901
; %bb.60635:
	s_getpc_b64 s[14:15]
.Lpost_getpc33901:
	s_add_u32 s14, s14, (.LBB2_10459-.Lpost_getpc33901)&4294967295
	s_addc_u32 s15, s15, (.LBB2_10459-.Lpost_getpc33901)>>32
	s_setpc_b64 s[14:15]
.LBB2_33901:
	s_getpc_b64 s[14:15]
.Lpost_getpc20534:
	s_add_u32 s14, s14, (.LBB2_10460-.Lpost_getpc20534)&4294967295
	s_addc_u32 s15, s15, (.LBB2_10460-.Lpost_getpc20534)>>32
	s_setpc_b64 s[14:15]
.LBB2_24797:
	s_movk_i32 s4, 0x80
	v_cmp_eq_u16_sdwa s[12:13], v4, s4 src0_sel:BYTE_3 src1_sel:DWORD
	s_mov_b64 s[4:5], -1
                                        ; implicit-def: $sgpr10
	s_and_saveexec_b64 s[8:9], s[12:13]
; %bb.24798:
	s_mov_b32 s10, 0x7f800001
	s_xor_b64 s[4:5], exec, -1
; %bb.24799:
	s_or_b64 exec, exec, s[8:9]
	s_and_b64 s[4:5], s[4:5], exec
	s_or_saveexec_b64 s[6:7], s[6:7]
	v_mov_b32_e32 v3, s10
	s_xor_b64 exec, exec, s[6:7]
	s_cbranch_execnz .LBB2_24800
; %bb.60637:
	s_getpc_b64 s[14:15]
.Lpost_getpc33902:
	s_add_u32 s14, s14, (.LBB2_10462-.Lpost_getpc33902)&4294967295
	s_addc_u32 s15, s15, (.LBB2_10462-.Lpost_getpc33902)>>32
	s_setpc_b64 s[14:15]
.LBB2_24800:
	v_mov_b32_e32 v3, 0
	v_cmp_ne_u16_sdwa s[8:9], v4, v3 src0_sel:BYTE_3 src1_sel:DWORD
	s_andn2_b64 s[4:5], s[4:5], exec
	s_and_b64 s[8:9], s[8:9], exec
	s_or_b64 s[4:5], s[4:5], s[8:9]
	s_or_b64 exec, exec, s[6:7]
	s_and_saveexec_b64 s[6:7], s[4:5]
	s_cbranch_execz .LBB2_33903
; %bb.60639:
	s_getpc_b64 s[14:15]
.Lpost_getpc33903:
	s_add_u32 s14, s14, (.LBB2_10463-.Lpost_getpc33903)&4294967295
	s_addc_u32 s15, s15, (.LBB2_10463-.Lpost_getpc33903)>>32
	s_setpc_b64 s[14:15]
.LBB2_33903:
	s_getpc_b64 s[14:15]
.Lpost_getpc20535:
	s_add_u32 s14, s14, (.LBB2_10464-.Lpost_getpc20535)&4294967295
	s_addc_u32 s15, s15, (.LBB2_10464-.Lpost_getpc20535)>>32
	s_setpc_b64 s[14:15]
.LBB2_24801:
	s_movk_i32 s4, 0x80
	v_cmp_eq_u16_sdwa s[12:13], v9, s4 src0_sel:BYTE_0 src1_sel:DWORD
	s_mov_b64 s[4:5], -1
                                        ; implicit-def: $sgpr10
	s_and_saveexec_b64 s[8:9], s[12:13]
; %bb.24802:
	s_mov_b32 s10, 0x7f800001
	s_xor_b64 s[4:5], exec, -1
; %bb.24803:
	s_or_b64 exec, exec, s[8:9]
	s_and_b64 s[4:5], s[4:5], exec
	s_or_saveexec_b64 s[6:7], s[6:7]
	v_mov_b32_e32 v2, s10
	s_xor_b64 exec, exec, s[6:7]
	s_cbranch_execnz .LBB2_24804
; %bb.60641:
	s_getpc_b64 s[14:15]
.Lpost_getpc33904:
	s_add_u32 s14, s14, (.LBB2_10466-.Lpost_getpc33904)&4294967295
	s_addc_u32 s15, s15, (.LBB2_10466-.Lpost_getpc33904)>>32
	s_setpc_b64 s[14:15]
.LBB2_24804:
	v_mov_b32_e32 v2, 0
	v_cmp_ne_u16_sdwa s[8:9], v9, v2 src0_sel:BYTE_0 src1_sel:DWORD
	s_andn2_b64 s[4:5], s[4:5], exec
	s_and_b64 s[8:9], s[8:9], exec
	s_or_b64 s[4:5], s[4:5], s[8:9]
	s_or_b64 exec, exec, s[6:7]
	s_and_saveexec_b64 s[6:7], s[4:5]
	s_cbranch_execz .LBB2_33905
; %bb.60643:
	s_getpc_b64 s[14:15]
.Lpost_getpc33905:
	s_add_u32 s14, s14, (.LBB2_10467-.Lpost_getpc33905)&4294967295
	s_addc_u32 s15, s15, (.LBB2_10467-.Lpost_getpc33905)>>32
	s_setpc_b64 s[14:15]
.LBB2_33905:
	s_getpc_b64 s[14:15]
.Lpost_getpc20536:
	s_add_u32 s14, s14, (.LBB2_10468-.Lpost_getpc20536)&4294967295
	s_addc_u32 s15, s15, (.LBB2_10468-.Lpost_getpc20536)>>32
	s_setpc_b64 s[14:15]
.LBB2_24805:
	s_movk_i32 s4, 0x80
	v_cmp_eq_u16_sdwa s[12:13], v5, s4 src0_sel:BYTE_0 src1_sel:DWORD
	s_mov_b64 s[4:5], -1
                                        ; implicit-def: $sgpr10
	s_and_saveexec_b64 s[8:9], s[12:13]
; %bb.24806:
	s_mov_b32 s10, 0x7f800001
	s_xor_b64 s[4:5], exec, -1
; %bb.24807:
	s_or_b64 exec, exec, s[8:9]
	s_and_b64 s[4:5], s[4:5], exec
	s_or_saveexec_b64 s[6:7], s[6:7]
	v_mov_b32_e32 v3, s10
	s_xor_b64 exec, exec, s[6:7]
	s_cbranch_execnz .LBB2_24808
; %bb.60645:
	s_getpc_b64 s[14:15]
.Lpost_getpc33906:
	s_add_u32 s14, s14, (.LBB2_10470-.Lpost_getpc33906)&4294967295
	s_addc_u32 s15, s15, (.LBB2_10470-.Lpost_getpc33906)>>32
	s_setpc_b64 s[14:15]
.LBB2_24808:
	v_mov_b32_e32 v3, 0
	v_cmp_ne_u16_sdwa s[8:9], v5, v3 src0_sel:BYTE_0 src1_sel:DWORD
	s_andn2_b64 s[4:5], s[4:5], exec
	s_and_b64 s[8:9], s[8:9], exec
	s_or_b64 s[4:5], s[4:5], s[8:9]
	s_or_b64 exec, exec, s[6:7]
	s_and_saveexec_b64 s[6:7], s[4:5]
	s_cbranch_execz .LBB2_33907
; %bb.60647:
	s_getpc_b64 s[14:15]
.Lpost_getpc33907:
	s_add_u32 s14, s14, (.LBB2_10471-.Lpost_getpc33907)&4294967295
	s_addc_u32 s15, s15, (.LBB2_10471-.Lpost_getpc33907)>>32
	s_setpc_b64 s[14:15]
.LBB2_33907:
	s_getpc_b64 s[14:15]
.Lpost_getpc20537:
	s_add_u32 s14, s14, (.LBB2_10472-.Lpost_getpc20537)&4294967295
	s_addc_u32 s15, s15, (.LBB2_10472-.Lpost_getpc20537)>>32
	s_setpc_b64 s[14:15]
.LBB2_24809:
	s_movk_i32 s4, 0x80
	v_cmp_eq_u16_sdwa s[12:13], v3, s4 src0_sel:BYTE_0 src1_sel:DWORD
	s_mov_b64 s[4:5], -1
                                        ; implicit-def: $sgpr10
	s_and_saveexec_b64 s[8:9], s[12:13]
; %bb.24810:
	s_mov_b32 s10, 0x7f800001
	s_xor_b64 s[4:5], exec, -1
; %bb.24811:
	s_or_b64 exec, exec, s[8:9]
	s_and_b64 s[4:5], s[4:5], exec
	s_or_saveexec_b64 s[6:7], s[6:7]
	v_mov_b32_e32 v2, s10
	s_xor_b64 exec, exec, s[6:7]
	s_cbranch_execnz .LBB2_24812
; %bb.60649:
	s_getpc_b64 s[14:15]
.Lpost_getpc33908:
	s_add_u32 s14, s14, (.LBB2_10474-.Lpost_getpc33908)&4294967295
	s_addc_u32 s15, s15, (.LBB2_10474-.Lpost_getpc33908)>>32
	s_setpc_b64 s[14:15]
.LBB2_24812:
	v_mov_b32_e32 v2, 0
	v_cmp_ne_u16_sdwa s[8:9], v3, v2 src0_sel:BYTE_0 src1_sel:DWORD
	s_andn2_b64 s[4:5], s[4:5], exec
	s_and_b64 s[8:9], s[8:9], exec
	s_or_b64 s[4:5], s[4:5], s[8:9]
	s_or_b64 exec, exec, s[6:7]
	s_and_saveexec_b64 s[6:7], s[4:5]
	s_cbranch_execz .LBB2_33909
; %bb.60651:
	s_getpc_b64 s[14:15]
.Lpost_getpc33909:
	s_add_u32 s14, s14, (.LBB2_10475-.Lpost_getpc33909)&4294967295
	s_addc_u32 s15, s15, (.LBB2_10475-.Lpost_getpc33909)>>32
	s_setpc_b64 s[14:15]
.LBB2_33909:
	s_getpc_b64 s[14:15]
.Lpost_getpc20538:
	s_add_u32 s14, s14, (.LBB2_10476-.Lpost_getpc20538)&4294967295
	s_addc_u32 s15, s15, (.LBB2_10476-.Lpost_getpc20538)>>32
	s_setpc_b64 s[14:15]
.LBB2_24813:
	s_movk_i32 s4, 0x80
	v_cmp_eq_u16_sdwa s[12:13], v3, s4 src0_sel:BYTE_0 src1_sel:DWORD
	s_mov_b64 s[4:5], -1
                                        ; implicit-def: $sgpr10
	s_and_saveexec_b64 s[8:9], s[12:13]
; %bb.24814:
	s_mov_b32 s10, 0x7f800001
	s_xor_b64 s[4:5], exec, -1
; %bb.24815:
	s_or_b64 exec, exec, s[8:9]
	s_and_b64 s[4:5], s[4:5], exec
	s_or_saveexec_b64 s[6:7], s[6:7]
	v_mov_b32_e32 v4, s10
	s_xor_b64 exec, exec, s[6:7]
	s_cbranch_execnz .LBB2_24816
; %bb.60653:
	s_getpc_b64 s[14:15]
.Lpost_getpc33910:
	s_add_u32 s14, s14, (.LBB2_10478-.Lpost_getpc33910)&4294967295
	s_addc_u32 s15, s15, (.LBB2_10478-.Lpost_getpc33910)>>32
	s_setpc_b64 s[14:15]
.LBB2_24816:
	v_mov_b32_e32 v4, 0
	v_cmp_ne_u16_sdwa s[8:9], v3, v4 src0_sel:BYTE_0 src1_sel:DWORD
	s_andn2_b64 s[4:5], s[4:5], exec
	s_and_b64 s[8:9], s[8:9], exec
	s_or_b64 s[4:5], s[4:5], s[8:9]
	s_or_b64 exec, exec, s[6:7]
	s_and_saveexec_b64 s[6:7], s[4:5]
	s_cbranch_execz .LBB2_33911
; %bb.60655:
	s_getpc_b64 s[14:15]
.Lpost_getpc33911:
	s_add_u32 s14, s14, (.LBB2_10479-.Lpost_getpc33911)&4294967295
	s_addc_u32 s15, s15, (.LBB2_10479-.Lpost_getpc33911)>>32
	s_setpc_b64 s[14:15]
.LBB2_33911:
	s_getpc_b64 s[14:15]
.Lpost_getpc20539:
	s_add_u32 s14, s14, (.LBB2_10480-.Lpost_getpc20539)&4294967295
	s_addc_u32 s15, s15, (.LBB2_10480-.Lpost_getpc20539)>>32
	s_setpc_b64 s[14:15]
.LBB2_24817:
	s_movk_i32 s4, 0x80
	v_cmp_eq_u16_e32 vcc, s4, v3
	s_mov_b64 s[4:5], -1
                                        ; implicit-def: $sgpr10
	s_and_saveexec_b64 s[8:9], vcc
; %bb.24818:
	s_mov_b32 s10, 0x7f800001
	s_xor_b64 s[4:5], exec, -1
; %bb.24819:
	s_or_b64 exec, exec, s[8:9]
	s_and_b64 s[4:5], s[4:5], exec
                                        ; implicit-def: $vgpr3
	s_or_saveexec_b64 s[6:7], s[6:7]
	v_mov_b32_e32 v2, s10
	s_xor_b64 exec, exec, s[6:7]
	s_cbranch_execnz .LBB2_24820
; %bb.60657:
	s_getpc_b64 s[14:15]
.Lpost_getpc33912:
	s_add_u32 s14, s14, (.LBB2_10482-.Lpost_getpc33912)&4294967295
	s_addc_u32 s15, s15, (.LBB2_10482-.Lpost_getpc33912)>>32
	s_setpc_b64 s[14:15]
.LBB2_24820:
	v_cmp_ne_u16_e32 vcc, 0, v3
	s_andn2_b64 s[4:5], s[4:5], exec
	s_and_b64 s[8:9], vcc, exec
	v_mov_b32_e32 v2, 0
	s_or_b64 s[4:5], s[4:5], s[8:9]
	s_or_b64 exec, exec, s[6:7]
	s_and_saveexec_b64 s[6:7], s[4:5]
	s_cbranch_execz .LBB2_33913
; %bb.60659:
	s_getpc_b64 s[14:15]
.Lpost_getpc33913:
	s_add_u32 s14, s14, (.LBB2_10483-.Lpost_getpc33913)&4294967295
	s_addc_u32 s15, s15, (.LBB2_10483-.Lpost_getpc33913)>>32
	s_setpc_b64 s[14:15]
.LBB2_33913:
	s_getpc_b64 s[14:15]
.Lpost_getpc20540:
	s_add_u32 s14, s14, (.LBB2_10484-.Lpost_getpc20540)&4294967295
	s_addc_u32 s15, s15, (.LBB2_10484-.Lpost_getpc20540)>>32
	s_setpc_b64 s[14:15]
.LBB2_24821:
	s_movk_i32 s4, 0x80
	v_cmp_eq_u16_e32 vcc, s4, v3
	s_mov_b64 s[4:5], -1
                                        ; implicit-def: $sgpr10
	s_and_saveexec_b64 s[8:9], vcc
; %bb.24822:
	s_mov_b32 s10, 0x7f800001
	s_xor_b64 s[4:5], exec, -1
; %bb.24823:
	s_or_b64 exec, exec, s[8:9]
	s_and_b64 s[4:5], s[4:5], exec
                                        ; implicit-def: $vgpr3
	s_or_saveexec_b64 s[6:7], s[6:7]
	v_mov_b32_e32 v4, s10
	s_xor_b64 exec, exec, s[6:7]
	s_cbranch_execnz .LBB2_24824
; %bb.60661:
	s_getpc_b64 s[14:15]
.Lpost_getpc33914:
	s_add_u32 s14, s14, (.LBB2_10486-.Lpost_getpc33914)&4294967295
	s_addc_u32 s15, s15, (.LBB2_10486-.Lpost_getpc33914)>>32
	s_setpc_b64 s[14:15]
.LBB2_24824:
	v_cmp_ne_u16_e32 vcc, 0, v3
	s_andn2_b64 s[4:5], s[4:5], exec
	s_and_b64 s[8:9], vcc, exec
	v_mov_b32_e32 v4, 0
	s_or_b64 s[4:5], s[4:5], s[8:9]
	s_or_b64 exec, exec, s[6:7]
	s_and_saveexec_b64 s[6:7], s[4:5]
	s_cbranch_execz .LBB2_33915
; %bb.60663:
	s_getpc_b64 s[14:15]
.Lpost_getpc33915:
	s_add_u32 s14, s14, (.LBB2_10487-.Lpost_getpc33915)&4294967295
	s_addc_u32 s15, s15, (.LBB2_10487-.Lpost_getpc33915)>>32
	s_setpc_b64 s[14:15]
.LBB2_33915:
	s_getpc_b64 s[14:15]
.Lpost_getpc20541:
	s_add_u32 s14, s14, (.LBB2_10488-.Lpost_getpc20541)&4294967295
	s_addc_u32 s15, s15, (.LBB2_10488-.Lpost_getpc20541)>>32
	s_setpc_b64 s[14:15]
.LBB2_24825:
	s_movk_i32 s4, 0x80
	v_cmp_eq_u16_sdwa s[12:13], v9, s4 src0_sel:BYTE_3 src1_sel:DWORD
	s_mov_b64 s[4:5], -1
                                        ; implicit-def: $sgpr10
	s_and_saveexec_b64 s[8:9], s[12:13]
; %bb.24826:
	s_mov_b32 s10, 0x7f800001
	s_xor_b64 s[4:5], exec, -1
; %bb.24827:
	s_or_b64 exec, exec, s[8:9]
	s_and_b64 s[4:5], s[4:5], exec
	s_or_saveexec_b64 s[6:7], s[6:7]
	v_mov_b32_e32 v2, s10
	s_xor_b64 exec, exec, s[6:7]
	s_cbranch_execnz .LBB2_24828
; %bb.60665:
	s_getpc_b64 s[14:15]
.Lpost_getpc33916:
	s_add_u32 s14, s14, (.LBB2_10490-.Lpost_getpc33916)&4294967295
	s_addc_u32 s15, s15, (.LBB2_10490-.Lpost_getpc33916)>>32
	s_setpc_b64 s[14:15]
.LBB2_24828:
	v_mov_b32_e32 v2, 0
	v_cmp_ne_u16_sdwa s[8:9], v9, v2 src0_sel:BYTE_3 src1_sel:DWORD
	s_andn2_b64 s[4:5], s[4:5], exec
	s_and_b64 s[8:9], s[8:9], exec
	s_or_b64 s[4:5], s[4:5], s[8:9]
	s_or_b64 exec, exec, s[6:7]
	s_and_saveexec_b64 s[6:7], s[4:5]
	s_cbranch_execz .LBB2_33917
; %bb.60667:
	s_getpc_b64 s[14:15]
.Lpost_getpc33917:
	s_add_u32 s14, s14, (.LBB2_10491-.Lpost_getpc33917)&4294967295
	s_addc_u32 s15, s15, (.LBB2_10491-.Lpost_getpc33917)>>32
	s_setpc_b64 s[14:15]
.LBB2_33917:
	s_getpc_b64 s[14:15]
.Lpost_getpc20542:
	s_add_u32 s14, s14, (.LBB2_10492-.Lpost_getpc20542)&4294967295
	s_addc_u32 s15, s15, (.LBB2_10492-.Lpost_getpc20542)>>32
	s_setpc_b64 s[14:15]
.LBB2_24829:
	s_movk_i32 s4, 0x80
	v_cmp_eq_u16_sdwa s[12:13], v5, s4 src0_sel:BYTE_3 src1_sel:DWORD
	s_mov_b64 s[4:5], -1
                                        ; implicit-def: $sgpr10
	s_and_saveexec_b64 s[8:9], s[12:13]
; %bb.24830:
	s_mov_b32 s10, 0x7f800001
	s_xor_b64 s[4:5], exec, -1
; %bb.24831:
	s_or_b64 exec, exec, s[8:9]
	s_and_b64 s[4:5], s[4:5], exec
	s_or_saveexec_b64 s[6:7], s[6:7]
	v_mov_b32_e32 v3, s10
	s_xor_b64 exec, exec, s[6:7]
	s_cbranch_execnz .LBB2_24832
; %bb.60669:
	s_getpc_b64 s[14:15]
.Lpost_getpc33918:
	s_add_u32 s14, s14, (.LBB2_10494-.Lpost_getpc33918)&4294967295
	s_addc_u32 s15, s15, (.LBB2_10494-.Lpost_getpc33918)>>32
	s_setpc_b64 s[14:15]
.LBB2_24832:
	v_mov_b32_e32 v3, 0
	v_cmp_ne_u16_sdwa s[8:9], v5, v3 src0_sel:BYTE_3 src1_sel:DWORD
	s_andn2_b64 s[4:5], s[4:5], exec
	s_and_b64 s[8:9], s[8:9], exec
	s_or_b64 s[4:5], s[4:5], s[8:9]
	s_or_b64 exec, exec, s[6:7]
	s_and_saveexec_b64 s[6:7], s[4:5]
	s_cbranch_execz .LBB2_33919
; %bb.60671:
	s_getpc_b64 s[14:15]
.Lpost_getpc33919:
	s_add_u32 s14, s14, (.LBB2_10495-.Lpost_getpc33919)&4294967295
	s_addc_u32 s15, s15, (.LBB2_10495-.Lpost_getpc33919)>>32
	s_setpc_b64 s[14:15]
.LBB2_33919:
	s_getpc_b64 s[14:15]
.Lpost_getpc20543:
	s_add_u32 s14, s14, (.LBB2_10496-.Lpost_getpc20543)&4294967295
	s_addc_u32 s15, s15, (.LBB2_10496-.Lpost_getpc20543)>>32
	s_setpc_b64 s[14:15]
.LBB2_24833:
	s_movk_i32 s4, 0x80
	v_cmp_eq_u16_sdwa s[12:13], v6, s4 src0_sel:BYTE_0 src1_sel:DWORD
	s_mov_b64 s[4:5], -1
                                        ; implicit-def: $sgpr10
	s_and_saveexec_b64 s[8:9], s[12:13]
; %bb.24834:
	s_mov_b32 s10, 0x7f800001
	s_xor_b64 s[4:5], exec, -1
; %bb.24835:
	s_or_b64 exec, exec, s[8:9]
	s_and_b64 s[4:5], s[4:5], exec
	s_or_saveexec_b64 s[6:7], s[6:7]
	v_mov_b32_e32 v12, s10
	s_xor_b64 exec, exec, s[6:7]
	s_cbranch_execnz .LBB2_24836
; %bb.60673:
	s_getpc_b64 s[14:15]
.Lpost_getpc33920:
	s_add_u32 s14, s14, (.LBB2_10498-.Lpost_getpc33920)&4294967295
	s_addc_u32 s15, s15, (.LBB2_10498-.Lpost_getpc33920)>>32
	s_setpc_b64 s[14:15]
.LBB2_24836:
	v_mov_b32_e32 v12, 0
	v_cmp_ne_u16_sdwa s[8:9], v6, v12 src0_sel:BYTE_0 src1_sel:DWORD
	s_andn2_b64 s[4:5], s[4:5], exec
	s_and_b64 s[8:9], s[8:9], exec
	s_or_b64 s[4:5], s[4:5], s[8:9]
	s_or_b64 exec, exec, s[6:7]
	s_and_saveexec_b64 s[6:7], s[4:5]
	s_cbranch_execz .LBB2_33921
; %bb.60675:
	s_getpc_b64 s[14:15]
.Lpost_getpc33921:
	s_add_u32 s14, s14, (.LBB2_10499-.Lpost_getpc33921)&4294967295
	s_addc_u32 s15, s15, (.LBB2_10499-.Lpost_getpc33921)>>32
	s_setpc_b64 s[14:15]
.LBB2_33921:
	s_getpc_b64 s[14:15]
.Lpost_getpc20544:
	s_add_u32 s14, s14, (.LBB2_10500-.Lpost_getpc20544)&4294967295
	s_addc_u32 s15, s15, (.LBB2_10500-.Lpost_getpc20544)>>32
	s_setpc_b64 s[14:15]
.LBB2_24837:
	s_movk_i32 s4, 0x80
	v_cmp_eq_u16_sdwa s[12:13], v2, s4 src0_sel:BYTE_0 src1_sel:DWORD
	s_mov_b64 s[4:5], -1
                                        ; implicit-def: $sgpr10
	s_and_saveexec_b64 s[8:9], s[12:13]
; %bb.24838:
	s_mov_b32 s10, 0x7f800001
	s_xor_b64 s[4:5], exec, -1
; %bb.24839:
	s_or_b64 exec, exec, s[8:9]
	s_and_b64 s[4:5], s[4:5], exec
	s_or_saveexec_b64 s[6:7], s[6:7]
	v_mov_b32_e32 v13, s10
	s_xor_b64 exec, exec, s[6:7]
	s_cbranch_execnz .LBB2_24840
; %bb.60677:
	s_getpc_b64 s[14:15]
.Lpost_getpc33922:
	s_add_u32 s14, s14, (.LBB2_10502-.Lpost_getpc33922)&4294967295
	s_addc_u32 s15, s15, (.LBB2_10502-.Lpost_getpc33922)>>32
	s_setpc_b64 s[14:15]
.LBB2_24840:
	v_mov_b32_e32 v13, 0
	v_cmp_ne_u16_sdwa s[8:9], v2, v13 src0_sel:BYTE_0 src1_sel:DWORD
	s_andn2_b64 s[4:5], s[4:5], exec
	s_and_b64 s[8:9], s[8:9], exec
	s_or_b64 s[4:5], s[4:5], s[8:9]
	s_or_b64 exec, exec, s[6:7]
	s_and_saveexec_b64 s[6:7], s[4:5]
	s_cbranch_execz .LBB2_33923
; %bb.60679:
	s_getpc_b64 s[14:15]
.Lpost_getpc33923:
	s_add_u32 s14, s14, (.LBB2_10503-.Lpost_getpc33923)&4294967295
	s_addc_u32 s15, s15, (.LBB2_10503-.Lpost_getpc33923)>>32
	s_setpc_b64 s[14:15]
.LBB2_33923:
	s_getpc_b64 s[14:15]
.Lpost_getpc20545:
	s_add_u32 s14, s14, (.LBB2_10504-.Lpost_getpc20545)&4294967295
	s_addc_u32 s15, s15, (.LBB2_10504-.Lpost_getpc20545)>>32
	s_setpc_b64 s[14:15]
.LBB2_24841:
	s_movk_i32 s4, 0x80
	v_cmp_eq_u16_sdwa s[12:13], v13, s4 src0_sel:BYTE_0 src1_sel:DWORD
	s_mov_b64 s[4:5], -1
                                        ; implicit-def: $sgpr10
	s_and_saveexec_b64 s[8:9], s[12:13]
; %bb.24842:
	s_mov_b32 s10, 0x7f800001
	s_xor_b64 s[4:5], exec, -1
; %bb.24843:
	s_or_b64 exec, exec, s[8:9]
	s_and_b64 s[4:5], s[4:5], exec
	s_or_saveexec_b64 s[6:7], s[6:7]
	v_mov_b32_e32 v12, s10
	s_xor_b64 exec, exec, s[6:7]
	s_cbranch_execnz .LBB2_24844
; %bb.60681:
	s_getpc_b64 s[14:15]
.Lpost_getpc33924:
	s_add_u32 s14, s14, (.LBB2_10506-.Lpost_getpc33924)&4294967295
	s_addc_u32 s15, s15, (.LBB2_10506-.Lpost_getpc33924)>>32
	s_setpc_b64 s[14:15]
.LBB2_24844:
	v_mov_b32_e32 v12, 0
	v_cmp_ne_u16_sdwa s[8:9], v13, v12 src0_sel:BYTE_0 src1_sel:DWORD
	s_andn2_b64 s[4:5], s[4:5], exec
	s_and_b64 s[8:9], s[8:9], exec
	s_or_b64 s[4:5], s[4:5], s[8:9]
	s_or_b64 exec, exec, s[6:7]
	s_and_saveexec_b64 s[6:7], s[4:5]
	s_cbranch_execz .LBB2_33925
; %bb.60683:
	s_getpc_b64 s[14:15]
.Lpost_getpc33925:
	s_add_u32 s14, s14, (.LBB2_10507-.Lpost_getpc33925)&4294967295
	s_addc_u32 s15, s15, (.LBB2_10507-.Lpost_getpc33925)>>32
	s_setpc_b64 s[14:15]
.LBB2_33925:
	s_getpc_b64 s[14:15]
.Lpost_getpc20546:
	s_add_u32 s14, s14, (.LBB2_10508-.Lpost_getpc20546)&4294967295
	s_addc_u32 s15, s15, (.LBB2_10508-.Lpost_getpc20546)>>32
	s_setpc_b64 s[14:15]
.LBB2_24845:
	s_movk_i32 s4, 0x80
	v_cmp_eq_u16_sdwa s[12:13], v13, s4 src0_sel:BYTE_0 src1_sel:DWORD
	s_mov_b64 s[4:5], -1
                                        ; implicit-def: $sgpr10
	s_and_saveexec_b64 s[8:9], s[12:13]
; %bb.24846:
	s_mov_b32 s10, 0x7f800001
	s_xor_b64 s[4:5], exec, -1
; %bb.24847:
	s_or_b64 exec, exec, s[8:9]
	s_and_b64 s[4:5], s[4:5], exec
	s_or_saveexec_b64 s[6:7], s[6:7]
	v_mov_b32_e32 v14, s10
	s_xor_b64 exec, exec, s[6:7]
	s_cbranch_execnz .LBB2_24848
; %bb.60685:
	s_getpc_b64 s[14:15]
.Lpost_getpc33926:
	s_add_u32 s14, s14, (.LBB2_10510-.Lpost_getpc33926)&4294967295
	s_addc_u32 s15, s15, (.LBB2_10510-.Lpost_getpc33926)>>32
	s_setpc_b64 s[14:15]
.LBB2_24848:
	v_mov_b32_e32 v14, 0
	v_cmp_ne_u16_sdwa s[8:9], v13, v14 src0_sel:BYTE_0 src1_sel:DWORD
	s_andn2_b64 s[4:5], s[4:5], exec
	s_and_b64 s[8:9], s[8:9], exec
	s_or_b64 s[4:5], s[4:5], s[8:9]
	s_or_b64 exec, exec, s[6:7]
	s_and_saveexec_b64 s[6:7], s[4:5]
	s_cbranch_execz .LBB2_33927
; %bb.60687:
	s_getpc_b64 s[14:15]
.Lpost_getpc33927:
	s_add_u32 s14, s14, (.LBB2_10511-.Lpost_getpc33927)&4294967295
	s_addc_u32 s15, s15, (.LBB2_10511-.Lpost_getpc33927)>>32
	s_setpc_b64 s[14:15]
.LBB2_33927:
	s_getpc_b64 s[14:15]
.Lpost_getpc20547:
	s_add_u32 s14, s14, (.LBB2_10512-.Lpost_getpc20547)&4294967295
	s_addc_u32 s15, s15, (.LBB2_10512-.Lpost_getpc20547)>>32
	s_setpc_b64 s[14:15]
.LBB2_24849:
	s_movk_i32 s4, 0x80
	v_cmp_eq_u16_e32 vcc, s4, v13
	s_mov_b64 s[4:5], -1
                                        ; implicit-def: $sgpr10
	s_and_saveexec_b64 s[8:9], vcc
; %bb.24850:
	s_mov_b32 s10, 0x7f800001
	s_xor_b64 s[4:5], exec, -1
; %bb.24851:
	s_or_b64 exec, exec, s[8:9]
	s_and_b64 s[4:5], s[4:5], exec
                                        ; implicit-def: $vgpr13
	s_or_saveexec_b64 s[6:7], s[6:7]
	v_mov_b32_e32 v12, s10
	s_xor_b64 exec, exec, s[6:7]
	s_cbranch_execnz .LBB2_24852
; %bb.60689:
	s_getpc_b64 s[14:15]
.Lpost_getpc33928:
	s_add_u32 s14, s14, (.LBB2_10514-.Lpost_getpc33928)&4294967295
	s_addc_u32 s15, s15, (.LBB2_10514-.Lpost_getpc33928)>>32
	s_setpc_b64 s[14:15]
.LBB2_24852:
	v_cmp_ne_u16_e32 vcc, 0, v13
	s_andn2_b64 s[4:5], s[4:5], exec
	s_and_b64 s[8:9], vcc, exec
	v_mov_b32_e32 v12, 0
	s_or_b64 s[4:5], s[4:5], s[8:9]
	s_or_b64 exec, exec, s[6:7]
	s_and_saveexec_b64 s[6:7], s[4:5]
	s_cbranch_execz .LBB2_33929
; %bb.60691:
	s_getpc_b64 s[14:15]
.Lpost_getpc33929:
	s_add_u32 s14, s14, (.LBB2_10515-.Lpost_getpc33929)&4294967295
	s_addc_u32 s15, s15, (.LBB2_10515-.Lpost_getpc33929)>>32
	s_setpc_b64 s[14:15]
.LBB2_33929:
	s_getpc_b64 s[14:15]
.Lpost_getpc20548:
	s_add_u32 s14, s14, (.LBB2_10516-.Lpost_getpc20548)&4294967295
	s_addc_u32 s15, s15, (.LBB2_10516-.Lpost_getpc20548)>>32
	s_setpc_b64 s[14:15]
.LBB2_24853:
	s_movk_i32 s4, 0x80
	v_cmp_eq_u16_e32 vcc, s4, v13
	s_mov_b64 s[4:5], -1
                                        ; implicit-def: $sgpr10
	s_and_saveexec_b64 s[8:9], vcc
; %bb.24854:
	s_mov_b32 s10, 0x7f800001
	s_xor_b64 s[4:5], exec, -1
; %bb.24855:
	s_or_b64 exec, exec, s[8:9]
	s_and_b64 s[4:5], s[4:5], exec
                                        ; implicit-def: $vgpr13
	s_or_saveexec_b64 s[6:7], s[6:7]
	v_mov_b32_e32 v14, s10
	s_xor_b64 exec, exec, s[6:7]
	s_cbranch_execnz .LBB2_24856
; %bb.60693:
	s_getpc_b64 s[14:15]
.Lpost_getpc33930:
	s_add_u32 s14, s14, (.LBB2_10518-.Lpost_getpc33930)&4294967295
	s_addc_u32 s15, s15, (.LBB2_10518-.Lpost_getpc33930)>>32
	s_setpc_b64 s[14:15]
.LBB2_24856:
	v_cmp_ne_u16_e32 vcc, 0, v13
	s_andn2_b64 s[4:5], s[4:5], exec
	s_and_b64 s[8:9], vcc, exec
	v_mov_b32_e32 v14, 0
	s_or_b64 s[4:5], s[4:5], s[8:9]
	s_or_b64 exec, exec, s[6:7]
	s_and_saveexec_b64 s[6:7], s[4:5]
	s_cbranch_execz .LBB2_33931
; %bb.60695:
	s_getpc_b64 s[14:15]
.Lpost_getpc33931:
	s_add_u32 s14, s14, (.LBB2_10519-.Lpost_getpc33931)&4294967295
	s_addc_u32 s15, s15, (.LBB2_10519-.Lpost_getpc33931)>>32
	s_setpc_b64 s[14:15]
.LBB2_33931:
	s_getpc_b64 s[14:15]
.Lpost_getpc20549:
	s_add_u32 s14, s14, (.LBB2_10520-.Lpost_getpc20549)&4294967295
	s_addc_u32 s15, s15, (.LBB2_10520-.Lpost_getpc20549)>>32
	s_setpc_b64 s[14:15]
.LBB2_24857:
	s_movk_i32 s4, 0x80
	v_cmp_eq_u16_sdwa s[12:13], v6, s4 src0_sel:BYTE_3 src1_sel:DWORD
	s_mov_b64 s[4:5], -1
                                        ; implicit-def: $sgpr10
	s_and_saveexec_b64 s[8:9], s[12:13]
; %bb.24858:
	s_mov_b32 s10, 0x7f800001
	s_xor_b64 s[4:5], exec, -1
; %bb.24859:
	s_or_b64 exec, exec, s[8:9]
	s_and_b64 s[4:5], s[4:5], exec
	s_or_saveexec_b64 s[6:7], s[6:7]
	v_mov_b32_e32 v12, s10
	s_xor_b64 exec, exec, s[6:7]
	s_cbranch_execnz .LBB2_24860
; %bb.60697:
	s_getpc_b64 s[14:15]
.Lpost_getpc33932:
	s_add_u32 s14, s14, (.LBB2_10522-.Lpost_getpc33932)&4294967295
	s_addc_u32 s15, s15, (.LBB2_10522-.Lpost_getpc33932)>>32
	s_setpc_b64 s[14:15]
.LBB2_24860:
	v_mov_b32_e32 v12, 0
	v_cmp_ne_u16_sdwa s[8:9], v6, v12 src0_sel:BYTE_3 src1_sel:DWORD
	s_andn2_b64 s[4:5], s[4:5], exec
	s_and_b64 s[8:9], s[8:9], exec
	s_or_b64 s[4:5], s[4:5], s[8:9]
	s_or_b64 exec, exec, s[6:7]
	s_and_saveexec_b64 s[6:7], s[4:5]
	s_cbranch_execz .LBB2_33933
; %bb.60699:
	s_getpc_b64 s[14:15]
.Lpost_getpc33933:
	s_add_u32 s14, s14, (.LBB2_10523-.Lpost_getpc33933)&4294967295
	s_addc_u32 s15, s15, (.LBB2_10523-.Lpost_getpc33933)>>32
	s_setpc_b64 s[14:15]
.LBB2_33933:
	s_getpc_b64 s[14:15]
.Lpost_getpc20550:
	s_add_u32 s14, s14, (.LBB2_10524-.Lpost_getpc20550)&4294967295
	s_addc_u32 s15, s15, (.LBB2_10524-.Lpost_getpc20550)>>32
	s_setpc_b64 s[14:15]
.LBB2_24861:
	s_movk_i32 s4, 0x80
	v_cmp_eq_u16_sdwa s[12:13], v2, s4 src0_sel:BYTE_3 src1_sel:DWORD
	s_mov_b64 s[4:5], -1
                                        ; implicit-def: $sgpr10
	s_and_saveexec_b64 s[8:9], s[12:13]
; %bb.24862:
	s_mov_b32 s10, 0x7f800001
	s_xor_b64 s[4:5], exec, -1
; %bb.24863:
	s_or_b64 exec, exec, s[8:9]
	s_and_b64 s[4:5], s[4:5], exec
	s_or_saveexec_b64 s[6:7], s[6:7]
	v_mov_b32_e32 v6, s10
	s_xor_b64 exec, exec, s[6:7]
	s_cbranch_execnz .LBB2_24864
; %bb.60701:
	s_getpc_b64 s[14:15]
.Lpost_getpc33934:
	s_add_u32 s14, s14, (.LBB2_10526-.Lpost_getpc33934)&4294967295
	s_addc_u32 s15, s15, (.LBB2_10526-.Lpost_getpc33934)>>32
	s_setpc_b64 s[14:15]
.LBB2_24864:
	v_mov_b32_e32 v6, 0
	v_cmp_ne_u16_sdwa s[8:9], v2, v6 src0_sel:BYTE_3 src1_sel:DWORD
	s_andn2_b64 s[4:5], s[4:5], exec
	s_and_b64 s[8:9], s[8:9], exec
	s_or_b64 s[4:5], s[4:5], s[8:9]
	s_or_b64 exec, exec, s[6:7]
	s_and_saveexec_b64 s[6:7], s[4:5]
	s_cbranch_execz .LBB2_33935
; %bb.60703:
	s_getpc_b64 s[14:15]
.Lpost_getpc33935:
	s_add_u32 s14, s14, (.LBB2_10527-.Lpost_getpc33935)&4294967295
	s_addc_u32 s15, s15, (.LBB2_10527-.Lpost_getpc33935)>>32
	s_setpc_b64 s[14:15]
.LBB2_33935:
	s_getpc_b64 s[14:15]
.Lpost_getpc20551:
	s_add_u32 s14, s14, (.LBB2_10528-.Lpost_getpc20551)&4294967295
	s_addc_u32 s15, s15, (.LBB2_10528-.Lpost_getpc20551)>>32
	s_setpc_b64 s[14:15]
.LBB2_24865:
	s_movk_i32 s4, 0x80
	v_cmp_eq_u16_sdwa s[12:13], v7, s4 src0_sel:BYTE_0 src1_sel:DWORD
	s_mov_b64 s[4:5], -1
                                        ; implicit-def: $sgpr10
	s_and_saveexec_b64 s[8:9], s[12:13]
; %bb.24866:
	s_mov_b32 s10, 0x7f800001
	s_xor_b64 s[4:5], exec, -1
; %bb.24867:
	s_or_b64 exec, exec, s[8:9]
	s_and_b64 s[4:5], s[4:5], exec
	s_or_saveexec_b64 s[6:7], s[6:7]
	v_mov_b32_e32 v2, s10
	s_xor_b64 exec, exec, s[6:7]
	s_cbranch_execnz .LBB2_24868
; %bb.60705:
	s_getpc_b64 s[14:15]
.Lpost_getpc33936:
	s_add_u32 s14, s14, (.LBB2_10530-.Lpost_getpc33936)&4294967295
	s_addc_u32 s15, s15, (.LBB2_10530-.Lpost_getpc33936)>>32
	s_setpc_b64 s[14:15]
.LBB2_24868:
	v_mov_b32_e32 v2, 0
	v_cmp_ne_u16_sdwa s[8:9], v7, v2 src0_sel:BYTE_0 src1_sel:DWORD
	s_andn2_b64 s[4:5], s[4:5], exec
	s_and_b64 s[8:9], s[8:9], exec
	s_or_b64 s[4:5], s[4:5], s[8:9]
	s_or_b64 exec, exec, s[6:7]
	s_and_saveexec_b64 s[6:7], s[4:5]
	s_cbranch_execz .LBB2_33937
; %bb.60707:
	s_getpc_b64 s[14:15]
.Lpost_getpc33937:
	s_add_u32 s14, s14, (.LBB2_10531-.Lpost_getpc33937)&4294967295
	s_addc_u32 s15, s15, (.LBB2_10531-.Lpost_getpc33937)>>32
	s_setpc_b64 s[14:15]
.LBB2_33937:
	s_getpc_b64 s[14:15]
.Lpost_getpc20552:
	s_add_u32 s14, s14, (.LBB2_10532-.Lpost_getpc20552)&4294967295
	s_addc_u32 s15, s15, (.LBB2_10532-.Lpost_getpc20552)>>32
	s_setpc_b64 s[14:15]
.LBB2_24869:
	s_movk_i32 s4, 0x80
	v_cmp_eq_u16_sdwa s[12:13], v3, s4 src0_sel:BYTE_0 src1_sel:DWORD
	s_mov_b64 s[4:5], -1
                                        ; implicit-def: $sgpr10
	s_and_saveexec_b64 s[8:9], s[12:13]
; %bb.24870:
	s_mov_b32 s10, 0x7f800001
	s_xor_b64 s[4:5], exec, -1
; %bb.24871:
	s_or_b64 exec, exec, s[8:9]
	s_and_b64 s[4:5], s[4:5], exec
	s_or_saveexec_b64 s[6:7], s[6:7]
	v_mov_b32_e32 v6, s10
	s_xor_b64 exec, exec, s[6:7]
	s_cbranch_execnz .LBB2_24872
; %bb.60709:
	s_getpc_b64 s[14:15]
.Lpost_getpc33938:
	s_add_u32 s14, s14, (.LBB2_10534-.Lpost_getpc33938)&4294967295
	s_addc_u32 s15, s15, (.LBB2_10534-.Lpost_getpc33938)>>32
	s_setpc_b64 s[14:15]
.LBB2_24872:
	v_mov_b32_e32 v6, 0
	v_cmp_ne_u16_sdwa s[8:9], v3, v6 src0_sel:BYTE_0 src1_sel:DWORD
	s_andn2_b64 s[4:5], s[4:5], exec
	s_and_b64 s[8:9], s[8:9], exec
	s_or_b64 s[4:5], s[4:5], s[8:9]
	s_or_b64 exec, exec, s[6:7]
	s_and_saveexec_b64 s[6:7], s[4:5]
	s_cbranch_execz .LBB2_33939
; %bb.60711:
	s_getpc_b64 s[14:15]
.Lpost_getpc33939:
	s_add_u32 s14, s14, (.LBB2_10535-.Lpost_getpc33939)&4294967295
	s_addc_u32 s15, s15, (.LBB2_10535-.Lpost_getpc33939)>>32
	s_setpc_b64 s[14:15]
.LBB2_33939:
	s_getpc_b64 s[14:15]
.Lpost_getpc20553:
	s_add_u32 s14, s14, (.LBB2_10536-.Lpost_getpc20553)&4294967295
	s_addc_u32 s15, s15, (.LBB2_10536-.Lpost_getpc20553)>>32
	s_setpc_b64 s[14:15]
.LBB2_24873:
	s_movk_i32 s4, 0x80
	v_cmp_eq_u16_sdwa s[12:13], v6, s4 src0_sel:BYTE_0 src1_sel:DWORD
	s_mov_b64 s[4:5], -1
                                        ; implicit-def: $sgpr10
	s_and_saveexec_b64 s[8:9], s[12:13]
; %bb.24874:
	s_mov_b32 s10, 0x7f800001
	s_xor_b64 s[4:5], exec, -1
; %bb.24875:
	s_or_b64 exec, exec, s[8:9]
	s_and_b64 s[4:5], s[4:5], exec
	s_or_saveexec_b64 s[6:7], s[6:7]
	v_mov_b32_e32 v2, s10
	s_xor_b64 exec, exec, s[6:7]
	s_cbranch_execnz .LBB2_24876
; %bb.60713:
	s_getpc_b64 s[14:15]
.Lpost_getpc33940:
	s_add_u32 s14, s14, (.LBB2_10538-.Lpost_getpc33940)&4294967295
	s_addc_u32 s15, s15, (.LBB2_10538-.Lpost_getpc33940)>>32
	s_setpc_b64 s[14:15]
.LBB2_24876:
	v_mov_b32_e32 v2, 0
	v_cmp_ne_u16_sdwa s[8:9], v6, v2 src0_sel:BYTE_0 src1_sel:DWORD
	s_andn2_b64 s[4:5], s[4:5], exec
	s_and_b64 s[8:9], s[8:9], exec
	s_or_b64 s[4:5], s[4:5], s[8:9]
	s_or_b64 exec, exec, s[6:7]
	s_and_saveexec_b64 s[6:7], s[4:5]
	s_cbranch_execz .LBB2_33941
; %bb.60715:
	s_getpc_b64 s[14:15]
.Lpost_getpc33941:
	s_add_u32 s14, s14, (.LBB2_10539-.Lpost_getpc33941)&4294967295
	s_addc_u32 s15, s15, (.LBB2_10539-.Lpost_getpc33941)>>32
	s_setpc_b64 s[14:15]
.LBB2_33941:
	s_getpc_b64 s[14:15]
.Lpost_getpc20554:
	s_add_u32 s14, s14, (.LBB2_10540-.Lpost_getpc20554)&4294967295
	s_addc_u32 s15, s15, (.LBB2_10540-.Lpost_getpc20554)>>32
	s_setpc_b64 s[14:15]
.LBB2_24877:
	s_movk_i32 s4, 0x80
	v_cmp_eq_u16_sdwa s[12:13], v6, s4 src0_sel:BYTE_0 src1_sel:DWORD
	s_mov_b64 s[4:5], -1
                                        ; implicit-def: $sgpr10
	s_and_saveexec_b64 s[8:9], s[12:13]
; %bb.24878:
	s_mov_b32 s10, 0x7f800001
	s_xor_b64 s[4:5], exec, -1
; %bb.24879:
	s_or_b64 exec, exec, s[8:9]
	s_and_b64 s[4:5], s[4:5], exec
	s_or_saveexec_b64 s[6:7], s[6:7]
	v_mov_b32_e32 v12, s10
	s_xor_b64 exec, exec, s[6:7]
	s_cbranch_execnz .LBB2_24880
; %bb.60717:
	s_getpc_b64 s[14:15]
.Lpost_getpc33942:
	s_add_u32 s14, s14, (.LBB2_10542-.Lpost_getpc33942)&4294967295
	s_addc_u32 s15, s15, (.LBB2_10542-.Lpost_getpc33942)>>32
	s_setpc_b64 s[14:15]
.LBB2_24880:
	v_mov_b32_e32 v12, 0
	v_cmp_ne_u16_sdwa s[8:9], v6, v12 src0_sel:BYTE_0 src1_sel:DWORD
	s_andn2_b64 s[4:5], s[4:5], exec
	s_and_b64 s[8:9], s[8:9], exec
	s_or_b64 s[4:5], s[4:5], s[8:9]
	s_or_b64 exec, exec, s[6:7]
	s_and_saveexec_b64 s[6:7], s[4:5]
	s_cbranch_execz .LBB2_33943
; %bb.60719:
	s_getpc_b64 s[14:15]
.Lpost_getpc33943:
	s_add_u32 s14, s14, (.LBB2_10543-.Lpost_getpc33943)&4294967295
	s_addc_u32 s15, s15, (.LBB2_10543-.Lpost_getpc33943)>>32
	s_setpc_b64 s[14:15]
.LBB2_33943:
	s_getpc_b64 s[14:15]
.Lpost_getpc20555:
	s_add_u32 s14, s14, (.LBB2_10544-.Lpost_getpc20555)&4294967295
	s_addc_u32 s15, s15, (.LBB2_10544-.Lpost_getpc20555)>>32
	s_setpc_b64 s[14:15]
.LBB2_24881:
	s_movk_i32 s4, 0x80
	v_cmp_eq_u16_e32 vcc, s4, v6
	s_mov_b64 s[4:5], -1
                                        ; implicit-def: $sgpr10
	s_and_saveexec_b64 s[8:9], vcc
; %bb.24882:
	s_mov_b32 s10, 0x7f800001
	s_xor_b64 s[4:5], exec, -1
; %bb.24883:
	s_or_b64 exec, exec, s[8:9]
	s_and_b64 s[4:5], s[4:5], exec
                                        ; implicit-def: $vgpr6
	s_or_saveexec_b64 s[6:7], s[6:7]
	v_mov_b32_e32 v2, s10
	s_xor_b64 exec, exec, s[6:7]
	s_cbranch_execnz .LBB2_24884
; %bb.60721:
	s_getpc_b64 s[14:15]
.Lpost_getpc33944:
	s_add_u32 s14, s14, (.LBB2_10546-.Lpost_getpc33944)&4294967295
	s_addc_u32 s15, s15, (.LBB2_10546-.Lpost_getpc33944)>>32
	s_setpc_b64 s[14:15]
.LBB2_24884:
	v_cmp_ne_u16_e32 vcc, 0, v6
	s_andn2_b64 s[4:5], s[4:5], exec
	s_and_b64 s[8:9], vcc, exec
	v_mov_b32_e32 v2, 0
	s_or_b64 s[4:5], s[4:5], s[8:9]
	s_or_b64 exec, exec, s[6:7]
	s_and_saveexec_b64 s[6:7], s[4:5]
	s_cbranch_execz .LBB2_33945
; %bb.60723:
	s_getpc_b64 s[14:15]
.Lpost_getpc33945:
	s_add_u32 s14, s14, (.LBB2_10547-.Lpost_getpc33945)&4294967295
	s_addc_u32 s15, s15, (.LBB2_10547-.Lpost_getpc33945)>>32
	s_setpc_b64 s[14:15]
.LBB2_33945:
	s_getpc_b64 s[14:15]
.Lpost_getpc20556:
	s_add_u32 s14, s14, (.LBB2_10548-.Lpost_getpc20556)&4294967295
	s_addc_u32 s15, s15, (.LBB2_10548-.Lpost_getpc20556)>>32
	s_setpc_b64 s[14:15]
.LBB2_24885:
	s_movk_i32 s4, 0x80
	v_cmp_eq_u16_e32 vcc, s4, v6
	s_mov_b64 s[4:5], -1
                                        ; implicit-def: $sgpr10
	s_and_saveexec_b64 s[8:9], vcc
; %bb.24886:
	s_mov_b32 s10, 0x7f800001
	s_xor_b64 s[4:5], exec, -1
; %bb.24887:
	s_or_b64 exec, exec, s[8:9]
	s_and_b64 s[4:5], s[4:5], exec
                                        ; implicit-def: $vgpr6
	s_or_saveexec_b64 s[6:7], s[6:7]
	v_mov_b32_e32 v12, s10
	s_xor_b64 exec, exec, s[6:7]
	s_cbranch_execnz .LBB2_24888
; %bb.60725:
	s_getpc_b64 s[14:15]
.Lpost_getpc33946:
	s_add_u32 s14, s14, (.LBB2_10550-.Lpost_getpc33946)&4294967295
	s_addc_u32 s15, s15, (.LBB2_10550-.Lpost_getpc33946)>>32
	s_setpc_b64 s[14:15]
.LBB2_24888:
	v_cmp_ne_u16_e32 vcc, 0, v6
	s_andn2_b64 s[4:5], s[4:5], exec
	s_and_b64 s[8:9], vcc, exec
	v_mov_b32_e32 v12, 0
	s_or_b64 s[4:5], s[4:5], s[8:9]
	s_or_b64 exec, exec, s[6:7]
	s_and_saveexec_b64 s[6:7], s[4:5]
	s_cbranch_execz .LBB2_33947
; %bb.60727:
	s_getpc_b64 s[14:15]
.Lpost_getpc33947:
	s_add_u32 s14, s14, (.LBB2_10551-.Lpost_getpc33947)&4294967295
	s_addc_u32 s15, s15, (.LBB2_10551-.Lpost_getpc33947)>>32
	s_setpc_b64 s[14:15]
.LBB2_33947:
	s_getpc_b64 s[14:15]
.Lpost_getpc20557:
	s_add_u32 s14, s14, (.LBB2_10552-.Lpost_getpc20557)&4294967295
	s_addc_u32 s15, s15, (.LBB2_10552-.Lpost_getpc20557)>>32
	s_setpc_b64 s[14:15]
.LBB2_24889:
	s_movk_i32 s4, 0x80
	v_cmp_eq_u16_sdwa s[12:13], v7, s4 src0_sel:BYTE_3 src1_sel:DWORD
	s_mov_b64 s[4:5], -1
                                        ; implicit-def: $sgpr10
	s_and_saveexec_b64 s[8:9], s[12:13]
; %bb.24890:
	s_mov_b32 s10, 0x7f800001
	s_xor_b64 s[4:5], exec, -1
; %bb.24891:
	s_or_b64 exec, exec, s[8:9]
	s_and_b64 s[4:5], s[4:5], exec
	s_or_saveexec_b64 s[6:7], s[6:7]
	v_mov_b32_e32 v2, s10
	s_xor_b64 exec, exec, s[6:7]
	s_cbranch_execnz .LBB2_24892
; %bb.60729:
	s_getpc_b64 s[14:15]
.Lpost_getpc33948:
	s_add_u32 s14, s14, (.LBB2_10554-.Lpost_getpc33948)&4294967295
	s_addc_u32 s15, s15, (.LBB2_10554-.Lpost_getpc33948)>>32
	s_setpc_b64 s[14:15]
.LBB2_24892:
	v_mov_b32_e32 v2, 0
	v_cmp_ne_u16_sdwa s[8:9], v7, v2 src0_sel:BYTE_3 src1_sel:DWORD
	s_andn2_b64 s[4:5], s[4:5], exec
	s_and_b64 s[8:9], s[8:9], exec
	s_or_b64 s[4:5], s[4:5], s[8:9]
	s_or_b64 exec, exec, s[6:7]
	s_and_saveexec_b64 s[6:7], s[4:5]
	s_cbranch_execz .LBB2_33949
; %bb.60731:
	s_getpc_b64 s[14:15]
.Lpost_getpc33949:
	s_add_u32 s14, s14, (.LBB2_10555-.Lpost_getpc33949)&4294967295
	s_addc_u32 s15, s15, (.LBB2_10555-.Lpost_getpc33949)>>32
	s_setpc_b64 s[14:15]
.LBB2_33949:
	s_getpc_b64 s[14:15]
.Lpost_getpc20558:
	s_add_u32 s14, s14, (.LBB2_10556-.Lpost_getpc20558)&4294967295
	s_addc_u32 s15, s15, (.LBB2_10556-.Lpost_getpc20558)>>32
	s_setpc_b64 s[14:15]
.LBB2_24893:
	s_movk_i32 s4, 0x80
	v_cmp_eq_u16_sdwa s[12:13], v3, s4 src0_sel:BYTE_3 src1_sel:DWORD
	s_mov_b64 s[4:5], -1
                                        ; implicit-def: $sgpr10
	s_and_saveexec_b64 s[8:9], s[12:13]
; %bb.24894:
	s_mov_b32 s10, 0x7f800001
	s_xor_b64 s[4:5], exec, -1
; %bb.24895:
	s_or_b64 exec, exec, s[8:9]
	s_and_b64 s[4:5], s[4:5], exec
	s_or_saveexec_b64 s[6:7], s[6:7]
	v_mov_b32_e32 v6, s10
	s_xor_b64 exec, exec, s[6:7]
	s_cbranch_execnz .LBB2_24896
; %bb.60733:
	s_getpc_b64 s[14:15]
.Lpost_getpc33950:
	s_add_u32 s14, s14, (.LBB2_10558-.Lpost_getpc33950)&4294967295
	s_addc_u32 s15, s15, (.LBB2_10558-.Lpost_getpc33950)>>32
	s_setpc_b64 s[14:15]
.LBB2_24896:
	v_mov_b32_e32 v6, 0
	v_cmp_ne_u16_sdwa s[8:9], v3, v6 src0_sel:BYTE_3 src1_sel:DWORD
	s_andn2_b64 s[4:5], s[4:5], exec
	s_and_b64 s[8:9], s[8:9], exec
	s_or_b64 s[4:5], s[4:5], s[8:9]
	s_or_b64 exec, exec, s[6:7]
	s_and_saveexec_b64 s[6:7], s[4:5]
	s_cbranch_execz .LBB2_33951
; %bb.60735:
	s_getpc_b64 s[14:15]
.Lpost_getpc33951:
	s_add_u32 s14, s14, (.LBB2_10559-.Lpost_getpc33951)&4294967295
	s_addc_u32 s15, s15, (.LBB2_10559-.Lpost_getpc33951)>>32
	s_setpc_b64 s[14:15]
.LBB2_33951:
	s_getpc_b64 s[14:15]
.Lpost_getpc20559:
	s_add_u32 s14, s14, (.LBB2_10560-.Lpost_getpc20559)&4294967295
	s_addc_u32 s15, s15, (.LBB2_10560-.Lpost_getpc20559)>>32
	s_setpc_b64 s[14:15]
.LBB2_24897:
	s_movk_i32 s4, 0x80
	v_cmp_eq_u16_sdwa s[12:13], v8, s4 src0_sel:BYTE_0 src1_sel:DWORD
	s_mov_b64 s[4:5], -1
                                        ; implicit-def: $sgpr10
	s_and_saveexec_b64 s[8:9], s[12:13]
; %bb.24898:
	s_mov_b32 s10, 0x7f800001
	s_xor_b64 s[4:5], exec, -1
; %bb.24899:
	s_or_b64 exec, exec, s[8:9]
	s_and_b64 s[4:5], s[4:5], exec
	s_or_saveexec_b64 s[6:7], s[6:7]
	v_mov_b32_e32 v2, s10
	s_xor_b64 exec, exec, s[6:7]
	s_cbranch_execnz .LBB2_24900
; %bb.60737:
	s_getpc_b64 s[14:15]
.Lpost_getpc33952:
	s_add_u32 s14, s14, (.LBB2_10562-.Lpost_getpc33952)&4294967295
	s_addc_u32 s15, s15, (.LBB2_10562-.Lpost_getpc33952)>>32
	s_setpc_b64 s[14:15]
.LBB2_24900:
	v_mov_b32_e32 v2, 0
	v_cmp_ne_u16_sdwa s[8:9], v8, v2 src0_sel:BYTE_0 src1_sel:DWORD
	s_andn2_b64 s[4:5], s[4:5], exec
	s_and_b64 s[8:9], s[8:9], exec
	s_or_b64 s[4:5], s[4:5], s[8:9]
	s_or_b64 exec, exec, s[6:7]
	s_and_saveexec_b64 s[6:7], s[4:5]
	s_cbranch_execz .LBB2_33953
; %bb.60739:
	s_getpc_b64 s[14:15]
.Lpost_getpc33953:
	s_add_u32 s14, s14, (.LBB2_10563-.Lpost_getpc33953)&4294967295
	s_addc_u32 s15, s15, (.LBB2_10563-.Lpost_getpc33953)>>32
	s_setpc_b64 s[14:15]
.LBB2_33953:
	s_getpc_b64 s[14:15]
.Lpost_getpc20560:
	s_add_u32 s14, s14, (.LBB2_10564-.Lpost_getpc20560)&4294967295
	s_addc_u32 s15, s15, (.LBB2_10564-.Lpost_getpc20560)>>32
	s_setpc_b64 s[14:15]
.LBB2_24901:
	s_movk_i32 s4, 0x80
	v_cmp_eq_u16_sdwa s[12:13], v4, s4 src0_sel:BYTE_0 src1_sel:DWORD
	s_mov_b64 s[4:5], -1
                                        ; implicit-def: $sgpr10
	s_and_saveexec_b64 s[8:9], s[12:13]
; %bb.24902:
	s_mov_b32 s10, 0x7f800001
	s_xor_b64 s[4:5], exec, -1
; %bb.24903:
	s_or_b64 exec, exec, s[8:9]
	s_and_b64 s[4:5], s[4:5], exec
	s_or_saveexec_b64 s[6:7], s[6:7]
	v_mov_b32_e32 v3, s10
	s_xor_b64 exec, exec, s[6:7]
	s_cbranch_execnz .LBB2_24904
; %bb.60741:
	s_getpc_b64 s[14:15]
.Lpost_getpc33954:
	s_add_u32 s14, s14, (.LBB2_10566-.Lpost_getpc33954)&4294967295
	s_addc_u32 s15, s15, (.LBB2_10566-.Lpost_getpc33954)>>32
	s_setpc_b64 s[14:15]
.LBB2_24904:
	v_mov_b32_e32 v3, 0
	v_cmp_ne_u16_sdwa s[8:9], v4, v3 src0_sel:BYTE_0 src1_sel:DWORD
	s_andn2_b64 s[4:5], s[4:5], exec
	s_and_b64 s[8:9], s[8:9], exec
	s_or_b64 s[4:5], s[4:5], s[8:9]
	s_or_b64 exec, exec, s[6:7]
	s_and_saveexec_b64 s[6:7], s[4:5]
	s_cbranch_execz .LBB2_33955
; %bb.60743:
	s_getpc_b64 s[14:15]
.Lpost_getpc33955:
	s_add_u32 s14, s14, (.LBB2_10567-.Lpost_getpc33955)&4294967295
	s_addc_u32 s15, s15, (.LBB2_10567-.Lpost_getpc33955)>>32
	s_setpc_b64 s[14:15]
.LBB2_33955:
	s_getpc_b64 s[14:15]
.Lpost_getpc20561:
	s_add_u32 s14, s14, (.LBB2_10568-.Lpost_getpc20561)&4294967295
	s_addc_u32 s15, s15, (.LBB2_10568-.Lpost_getpc20561)>>32
	s_setpc_b64 s[14:15]
.LBB2_24905:
	s_movk_i32 s4, 0x80
	v_cmp_eq_u16_sdwa s[12:13], v3, s4 src0_sel:BYTE_0 src1_sel:DWORD
	s_mov_b64 s[4:5], -1
                                        ; implicit-def: $sgpr10
	s_and_saveexec_b64 s[8:9], s[12:13]
; %bb.24906:
	s_mov_b32 s10, 0x7f800001
	s_xor_b64 s[4:5], exec, -1
; %bb.24907:
	s_or_b64 exec, exec, s[8:9]
	s_and_b64 s[4:5], s[4:5], exec
	s_or_saveexec_b64 s[6:7], s[6:7]
	v_mov_b32_e32 v2, s10
	s_xor_b64 exec, exec, s[6:7]
	s_cbranch_execnz .LBB2_24908
; %bb.60745:
	s_getpc_b64 s[14:15]
.Lpost_getpc33956:
	s_add_u32 s14, s14, (.LBB2_10570-.Lpost_getpc33956)&4294967295
	s_addc_u32 s15, s15, (.LBB2_10570-.Lpost_getpc33956)>>32
	s_setpc_b64 s[14:15]
.LBB2_24908:
	v_mov_b32_e32 v2, 0
	v_cmp_ne_u16_sdwa s[8:9], v3, v2 src0_sel:BYTE_0 src1_sel:DWORD
	s_andn2_b64 s[4:5], s[4:5], exec
	s_and_b64 s[8:9], s[8:9], exec
	s_or_b64 s[4:5], s[4:5], s[8:9]
	s_or_b64 exec, exec, s[6:7]
	s_and_saveexec_b64 s[6:7], s[4:5]
	s_cbranch_execz .LBB2_33957
; %bb.60747:
	s_getpc_b64 s[14:15]
.Lpost_getpc33957:
	s_add_u32 s14, s14, (.LBB2_10571-.Lpost_getpc33957)&4294967295
	s_addc_u32 s15, s15, (.LBB2_10571-.Lpost_getpc33957)>>32
	s_setpc_b64 s[14:15]
.LBB2_33957:
	s_getpc_b64 s[14:15]
.Lpost_getpc20562:
	s_add_u32 s14, s14, (.LBB2_10572-.Lpost_getpc20562)&4294967295
	s_addc_u32 s15, s15, (.LBB2_10572-.Lpost_getpc20562)>>32
	s_setpc_b64 s[14:15]
.LBB2_24909:
	s_movk_i32 s4, 0x80
	v_cmp_eq_u16_sdwa s[12:13], v3, s4 src0_sel:BYTE_0 src1_sel:DWORD
	s_mov_b64 s[4:5], -1
                                        ; implicit-def: $sgpr10
	s_and_saveexec_b64 s[8:9], s[12:13]
; %bb.24910:
	s_mov_b32 s10, 0x7f800001
	s_xor_b64 s[4:5], exec, -1
; %bb.24911:
	s_or_b64 exec, exec, s[8:9]
	s_and_b64 s[4:5], s[4:5], exec
	s_or_saveexec_b64 s[6:7], s[6:7]
	v_mov_b32_e32 v6, s10
	s_xor_b64 exec, exec, s[6:7]
	s_cbranch_execnz .LBB2_24912
; %bb.60749:
	s_getpc_b64 s[14:15]
.Lpost_getpc33958:
	s_add_u32 s14, s14, (.LBB2_10574-.Lpost_getpc33958)&4294967295
	s_addc_u32 s15, s15, (.LBB2_10574-.Lpost_getpc33958)>>32
	s_setpc_b64 s[14:15]
.LBB2_24912:
	v_mov_b32_e32 v6, 0
	v_cmp_ne_u16_sdwa s[8:9], v3, v6 src0_sel:BYTE_0 src1_sel:DWORD
	s_andn2_b64 s[4:5], s[4:5], exec
	s_and_b64 s[8:9], s[8:9], exec
	s_or_b64 s[4:5], s[4:5], s[8:9]
	s_or_b64 exec, exec, s[6:7]
	s_and_saveexec_b64 s[6:7], s[4:5]
	s_cbranch_execz .LBB2_33959
; %bb.60751:
	s_getpc_b64 s[14:15]
.Lpost_getpc33959:
	s_add_u32 s14, s14, (.LBB2_10575-.Lpost_getpc33959)&4294967295
	s_addc_u32 s15, s15, (.LBB2_10575-.Lpost_getpc33959)>>32
	s_setpc_b64 s[14:15]
.LBB2_33959:
	s_getpc_b64 s[14:15]
.Lpost_getpc20563:
	s_add_u32 s14, s14, (.LBB2_10576-.Lpost_getpc20563)&4294967295
	s_addc_u32 s15, s15, (.LBB2_10576-.Lpost_getpc20563)>>32
	s_setpc_b64 s[14:15]
.LBB2_24913:
	s_movk_i32 s4, 0x80
	v_cmp_eq_u16_e32 vcc, s4, v3
	s_mov_b64 s[4:5], -1
                                        ; implicit-def: $sgpr10
	s_and_saveexec_b64 s[8:9], vcc
; %bb.24914:
	s_mov_b32 s10, 0x7f800001
	s_xor_b64 s[4:5], exec, -1
; %bb.24915:
	s_or_b64 exec, exec, s[8:9]
	s_and_b64 s[4:5], s[4:5], exec
                                        ; implicit-def: $vgpr3
	s_or_saveexec_b64 s[6:7], s[6:7]
	v_mov_b32_e32 v2, s10
	s_xor_b64 exec, exec, s[6:7]
	s_cbranch_execnz .LBB2_24916
; %bb.60753:
	s_getpc_b64 s[14:15]
.Lpost_getpc33960:
	s_add_u32 s14, s14, (.LBB2_10578-.Lpost_getpc33960)&4294967295
	s_addc_u32 s15, s15, (.LBB2_10578-.Lpost_getpc33960)>>32
	s_setpc_b64 s[14:15]
.LBB2_24916:
	v_cmp_ne_u16_e32 vcc, 0, v3
	s_andn2_b64 s[4:5], s[4:5], exec
	s_and_b64 s[8:9], vcc, exec
	v_mov_b32_e32 v2, 0
	s_or_b64 s[4:5], s[4:5], s[8:9]
	s_or_b64 exec, exec, s[6:7]
	s_and_saveexec_b64 s[6:7], s[4:5]
	s_cbranch_execz .LBB2_33961
; %bb.60755:
	s_getpc_b64 s[14:15]
.Lpost_getpc33961:
	s_add_u32 s14, s14, (.LBB2_10579-.Lpost_getpc33961)&4294967295
	s_addc_u32 s15, s15, (.LBB2_10579-.Lpost_getpc33961)>>32
	s_setpc_b64 s[14:15]
.LBB2_33961:
	s_getpc_b64 s[14:15]
.Lpost_getpc20564:
	s_add_u32 s14, s14, (.LBB2_10580-.Lpost_getpc20564)&4294967295
	s_addc_u32 s15, s15, (.LBB2_10580-.Lpost_getpc20564)>>32
	s_setpc_b64 s[14:15]
.LBB2_24917:
	s_movk_i32 s4, 0x80
	v_cmp_eq_u16_e32 vcc, s4, v3
	s_mov_b64 s[4:5], -1
                                        ; implicit-def: $sgpr10
	s_and_saveexec_b64 s[8:9], vcc
; %bb.24918:
	s_mov_b32 s10, 0x7f800001
	s_xor_b64 s[4:5], exec, -1
; %bb.24919:
	s_or_b64 exec, exec, s[8:9]
	s_and_b64 s[4:5], s[4:5], exec
                                        ; implicit-def: $vgpr3
	s_or_saveexec_b64 s[6:7], s[6:7]
	v_mov_b32_e32 v6, s10
	s_xor_b64 exec, exec, s[6:7]
	s_cbranch_execnz .LBB2_24920
; %bb.60757:
	s_getpc_b64 s[14:15]
.Lpost_getpc33962:
	s_add_u32 s14, s14, (.LBB2_10582-.Lpost_getpc33962)&4294967295
	s_addc_u32 s15, s15, (.LBB2_10582-.Lpost_getpc33962)>>32
	s_setpc_b64 s[14:15]
.LBB2_24920:
	v_cmp_ne_u16_e32 vcc, 0, v3
	s_andn2_b64 s[4:5], s[4:5], exec
	s_and_b64 s[8:9], vcc, exec
	v_mov_b32_e32 v6, 0
	s_or_b64 s[4:5], s[4:5], s[8:9]
	s_or_b64 exec, exec, s[6:7]
	s_and_saveexec_b64 s[6:7], s[4:5]
	s_cbranch_execz .LBB2_33963
; %bb.60759:
	s_getpc_b64 s[14:15]
.Lpost_getpc33963:
	s_add_u32 s14, s14, (.LBB2_10583-.Lpost_getpc33963)&4294967295
	s_addc_u32 s15, s15, (.LBB2_10583-.Lpost_getpc33963)>>32
	s_setpc_b64 s[14:15]
.LBB2_33963:
	s_getpc_b64 s[14:15]
.Lpost_getpc20565:
	s_add_u32 s14, s14, (.LBB2_10584-.Lpost_getpc20565)&4294967295
	s_addc_u32 s15, s15, (.LBB2_10584-.Lpost_getpc20565)>>32
	s_setpc_b64 s[14:15]
.LBB2_24921:
	s_movk_i32 s4, 0x80
	v_cmp_eq_u16_sdwa s[12:13], v8, s4 src0_sel:BYTE_3 src1_sel:DWORD
	s_mov_b64 s[4:5], -1
                                        ; implicit-def: $sgpr10
	s_and_saveexec_b64 s[8:9], s[12:13]
; %bb.24922:
	s_mov_b32 s10, 0x7f800001
	s_xor_b64 s[4:5], exec, -1
; %bb.24923:
	s_or_b64 exec, exec, s[8:9]
	s_and_b64 s[4:5], s[4:5], exec
	s_or_saveexec_b64 s[6:7], s[6:7]
	v_mov_b32_e32 v2, s10
	s_xor_b64 exec, exec, s[6:7]
	s_cbranch_execnz .LBB2_24924
; %bb.60761:
	s_getpc_b64 s[14:15]
.Lpost_getpc33964:
	s_add_u32 s14, s14, (.LBB2_10586-.Lpost_getpc33964)&4294967295
	s_addc_u32 s15, s15, (.LBB2_10586-.Lpost_getpc33964)>>32
	s_setpc_b64 s[14:15]
.LBB2_24924:
	v_mov_b32_e32 v2, 0
	v_cmp_ne_u16_sdwa s[8:9], v8, v2 src0_sel:BYTE_3 src1_sel:DWORD
	s_andn2_b64 s[4:5], s[4:5], exec
	s_and_b64 s[8:9], s[8:9], exec
	s_or_b64 s[4:5], s[4:5], s[8:9]
	s_or_b64 exec, exec, s[6:7]
	s_and_saveexec_b64 s[6:7], s[4:5]
	s_cbranch_execz .LBB2_33965
; %bb.60763:
	s_getpc_b64 s[14:15]
.Lpost_getpc33965:
	s_add_u32 s14, s14, (.LBB2_10587-.Lpost_getpc33965)&4294967295
	s_addc_u32 s15, s15, (.LBB2_10587-.Lpost_getpc33965)>>32
	s_setpc_b64 s[14:15]
.LBB2_33965:
	s_getpc_b64 s[14:15]
.Lpost_getpc20566:
	s_add_u32 s14, s14, (.LBB2_10588-.Lpost_getpc20566)&4294967295
	s_addc_u32 s15, s15, (.LBB2_10588-.Lpost_getpc20566)>>32
	s_setpc_b64 s[14:15]
.LBB2_24925:
	s_movk_i32 s4, 0x80
	v_cmp_eq_u16_sdwa s[12:13], v4, s4 src0_sel:BYTE_3 src1_sel:DWORD
	s_mov_b64 s[4:5], -1
                                        ; implicit-def: $sgpr10
	s_and_saveexec_b64 s[8:9], s[12:13]
; %bb.24926:
	s_mov_b32 s10, 0x7f800001
	s_xor_b64 s[4:5], exec, -1
; %bb.24927:
	s_or_b64 exec, exec, s[8:9]
	s_and_b64 s[4:5], s[4:5], exec
	s_or_saveexec_b64 s[6:7], s[6:7]
	v_mov_b32_e32 v3, s10
	s_xor_b64 exec, exec, s[6:7]
	s_cbranch_execnz .LBB2_24928
; %bb.60765:
	s_getpc_b64 s[14:15]
.Lpost_getpc33966:
	s_add_u32 s14, s14, (.LBB2_10590-.Lpost_getpc33966)&4294967295
	s_addc_u32 s15, s15, (.LBB2_10590-.Lpost_getpc33966)>>32
	s_setpc_b64 s[14:15]
.LBB2_24928:
	v_mov_b32_e32 v3, 0
	v_cmp_ne_u16_sdwa s[8:9], v4, v3 src0_sel:BYTE_3 src1_sel:DWORD
	s_andn2_b64 s[4:5], s[4:5], exec
	s_and_b64 s[8:9], s[8:9], exec
	s_or_b64 s[4:5], s[4:5], s[8:9]
	s_or_b64 exec, exec, s[6:7]
	s_and_saveexec_b64 s[6:7], s[4:5]
	s_cbranch_execz .LBB2_33967
; %bb.60767:
	s_getpc_b64 s[14:15]
.Lpost_getpc33967:
	s_add_u32 s14, s14, (.LBB2_10591-.Lpost_getpc33967)&4294967295
	s_addc_u32 s15, s15, (.LBB2_10591-.Lpost_getpc33967)>>32
	s_setpc_b64 s[14:15]
.LBB2_33967:
	s_getpc_b64 s[14:15]
.Lpost_getpc20567:
	s_add_u32 s14, s14, (.LBB2_10592-.Lpost_getpc20567)&4294967295
	s_addc_u32 s15, s15, (.LBB2_10592-.Lpost_getpc20567)>>32
	s_setpc_b64 s[14:15]
.LBB2_24929:
	s_movk_i32 s4, 0x80
	v_cmp_eq_u16_sdwa s[12:13], v9, s4 src0_sel:BYTE_0 src1_sel:DWORD
	s_mov_b64 s[4:5], -1
                                        ; implicit-def: $sgpr10
	s_and_saveexec_b64 s[8:9], s[12:13]
; %bb.24930:
	s_mov_b32 s10, 0x7f800001
	s_xor_b64 s[4:5], exec, -1
; %bb.24931:
	s_or_b64 exec, exec, s[8:9]
	s_and_b64 s[4:5], s[4:5], exec
	s_or_saveexec_b64 s[6:7], s[6:7]
	v_mov_b32_e32 v2, s10
	s_xor_b64 exec, exec, s[6:7]
	s_cbranch_execnz .LBB2_24932
; %bb.60769:
	s_getpc_b64 s[14:15]
.Lpost_getpc33968:
	s_add_u32 s14, s14, (.LBB2_10594-.Lpost_getpc33968)&4294967295
	s_addc_u32 s15, s15, (.LBB2_10594-.Lpost_getpc33968)>>32
	s_setpc_b64 s[14:15]
.LBB2_24932:
	v_mov_b32_e32 v2, 0
	v_cmp_ne_u16_sdwa s[8:9], v9, v2 src0_sel:BYTE_0 src1_sel:DWORD
	s_andn2_b64 s[4:5], s[4:5], exec
	s_and_b64 s[8:9], s[8:9], exec
	s_or_b64 s[4:5], s[4:5], s[8:9]
	s_or_b64 exec, exec, s[6:7]
	s_and_saveexec_b64 s[6:7], s[4:5]
	s_cbranch_execz .LBB2_33969
; %bb.60771:
	s_getpc_b64 s[14:15]
.Lpost_getpc33969:
	s_add_u32 s14, s14, (.LBB2_10595-.Lpost_getpc33969)&4294967295
	s_addc_u32 s15, s15, (.LBB2_10595-.Lpost_getpc33969)>>32
	s_setpc_b64 s[14:15]
.LBB2_33969:
	s_getpc_b64 s[14:15]
.Lpost_getpc20568:
	s_add_u32 s14, s14, (.LBB2_10596-.Lpost_getpc20568)&4294967295
	s_addc_u32 s15, s15, (.LBB2_10596-.Lpost_getpc20568)>>32
	s_setpc_b64 s[14:15]
.LBB2_24933:
	s_movk_i32 s4, 0x80
	v_cmp_eq_u16_sdwa s[12:13], v5, s4 src0_sel:BYTE_0 src1_sel:DWORD
	s_mov_b64 s[4:5], -1
                                        ; implicit-def: $sgpr10
	s_and_saveexec_b64 s[8:9], s[12:13]
; %bb.24934:
	s_mov_b32 s10, 0x7f800001
	s_xor_b64 s[4:5], exec, -1
; %bb.24935:
	s_or_b64 exec, exec, s[8:9]
	s_and_b64 s[4:5], s[4:5], exec
	s_or_saveexec_b64 s[6:7], s[6:7]
	v_mov_b32_e32 v3, s10
	s_xor_b64 exec, exec, s[6:7]
	s_cbranch_execnz .LBB2_24936
; %bb.60773:
	s_getpc_b64 s[14:15]
.Lpost_getpc33970:
	s_add_u32 s14, s14, (.LBB2_10598-.Lpost_getpc33970)&4294967295
	s_addc_u32 s15, s15, (.LBB2_10598-.Lpost_getpc33970)>>32
	s_setpc_b64 s[14:15]
.LBB2_24936:
	v_mov_b32_e32 v3, 0
	v_cmp_ne_u16_sdwa s[8:9], v5, v3 src0_sel:BYTE_0 src1_sel:DWORD
	s_andn2_b64 s[4:5], s[4:5], exec
	s_and_b64 s[8:9], s[8:9], exec
	s_or_b64 s[4:5], s[4:5], s[8:9]
	s_or_b64 exec, exec, s[6:7]
	s_and_saveexec_b64 s[6:7], s[4:5]
	s_cbranch_execz .LBB2_33971
; %bb.60775:
	s_getpc_b64 s[14:15]
.Lpost_getpc33971:
	s_add_u32 s14, s14, (.LBB2_10599-.Lpost_getpc33971)&4294967295
	s_addc_u32 s15, s15, (.LBB2_10599-.Lpost_getpc33971)>>32
	s_setpc_b64 s[14:15]
.LBB2_33971:
	s_getpc_b64 s[14:15]
.Lpost_getpc20569:
	s_add_u32 s14, s14, (.LBB2_10600-.Lpost_getpc20569)&4294967295
	s_addc_u32 s15, s15, (.LBB2_10600-.Lpost_getpc20569)>>32
	s_setpc_b64 s[14:15]
.LBB2_24937:
	s_movk_i32 s4, 0x80
	v_cmp_eq_u16_sdwa s[12:13], v3, s4 src0_sel:BYTE_0 src1_sel:DWORD
	s_mov_b64 s[4:5], -1
                                        ; implicit-def: $sgpr10
	s_and_saveexec_b64 s[8:9], s[12:13]
; %bb.24938:
	s_mov_b32 s10, 0x7f800001
	s_xor_b64 s[4:5], exec, -1
; %bb.24939:
	s_or_b64 exec, exec, s[8:9]
	s_and_b64 s[4:5], s[4:5], exec
	s_or_saveexec_b64 s[6:7], s[6:7]
	v_mov_b32_e32 v2, s10
	s_xor_b64 exec, exec, s[6:7]
	s_cbranch_execnz .LBB2_24940
; %bb.60777:
	s_getpc_b64 s[14:15]
.Lpost_getpc33972:
	s_add_u32 s14, s14, (.LBB2_10602-.Lpost_getpc33972)&4294967295
	s_addc_u32 s15, s15, (.LBB2_10602-.Lpost_getpc33972)>>32
	s_setpc_b64 s[14:15]
.LBB2_24940:
	v_mov_b32_e32 v2, 0
	v_cmp_ne_u16_sdwa s[8:9], v3, v2 src0_sel:BYTE_0 src1_sel:DWORD
	s_andn2_b64 s[4:5], s[4:5], exec
	s_and_b64 s[8:9], s[8:9], exec
	s_or_b64 s[4:5], s[4:5], s[8:9]
	s_or_b64 exec, exec, s[6:7]
	s_and_saveexec_b64 s[6:7], s[4:5]
	s_cbranch_execz .LBB2_33973
; %bb.60779:
	s_getpc_b64 s[14:15]
.Lpost_getpc33973:
	s_add_u32 s14, s14, (.LBB2_10603-.Lpost_getpc33973)&4294967295
	s_addc_u32 s15, s15, (.LBB2_10603-.Lpost_getpc33973)>>32
	s_setpc_b64 s[14:15]
.LBB2_33973:
	s_getpc_b64 s[14:15]
.Lpost_getpc20570:
	s_add_u32 s14, s14, (.LBB2_10604-.Lpost_getpc20570)&4294967295
	s_addc_u32 s15, s15, (.LBB2_10604-.Lpost_getpc20570)>>32
	s_setpc_b64 s[14:15]
.LBB2_24941:
	s_movk_i32 s4, 0x80
	v_cmp_eq_u16_sdwa s[12:13], v3, s4 src0_sel:BYTE_0 src1_sel:DWORD
	s_mov_b64 s[4:5], -1
                                        ; implicit-def: $sgpr10
	s_and_saveexec_b64 s[8:9], s[12:13]
; %bb.24942:
	s_mov_b32 s10, 0x7f800001
	s_xor_b64 s[4:5], exec, -1
; %bb.24943:
	s_or_b64 exec, exec, s[8:9]
	s_and_b64 s[4:5], s[4:5], exec
	s_or_saveexec_b64 s[6:7], s[6:7]
	v_mov_b32_e32 v4, s10
	s_xor_b64 exec, exec, s[6:7]
	s_cbranch_execnz .LBB2_24944
; %bb.60781:
	s_getpc_b64 s[14:15]
.Lpost_getpc33974:
	s_add_u32 s14, s14, (.LBB2_10606-.Lpost_getpc33974)&4294967295
	s_addc_u32 s15, s15, (.LBB2_10606-.Lpost_getpc33974)>>32
	s_setpc_b64 s[14:15]
.LBB2_24944:
	v_mov_b32_e32 v4, 0
	v_cmp_ne_u16_sdwa s[8:9], v3, v4 src0_sel:BYTE_0 src1_sel:DWORD
	s_andn2_b64 s[4:5], s[4:5], exec
	s_and_b64 s[8:9], s[8:9], exec
	s_or_b64 s[4:5], s[4:5], s[8:9]
	s_or_b64 exec, exec, s[6:7]
	s_and_saveexec_b64 s[6:7], s[4:5]
	s_cbranch_execz .LBB2_33975
; %bb.60783:
	s_getpc_b64 s[14:15]
.Lpost_getpc33975:
	s_add_u32 s14, s14, (.LBB2_10607-.Lpost_getpc33975)&4294967295
	s_addc_u32 s15, s15, (.LBB2_10607-.Lpost_getpc33975)>>32
	s_setpc_b64 s[14:15]
.LBB2_33975:
	s_getpc_b64 s[14:15]
.Lpost_getpc20571:
	s_add_u32 s14, s14, (.LBB2_10608-.Lpost_getpc20571)&4294967295
	s_addc_u32 s15, s15, (.LBB2_10608-.Lpost_getpc20571)>>32
	s_setpc_b64 s[14:15]
.LBB2_24945:
	s_movk_i32 s4, 0x80
	v_cmp_eq_u16_e32 vcc, s4, v3
	s_mov_b64 s[4:5], -1
                                        ; implicit-def: $sgpr10
	s_and_saveexec_b64 s[8:9], vcc
; %bb.24946:
	s_mov_b32 s10, 0x7f800001
	s_xor_b64 s[4:5], exec, -1
; %bb.24947:
	s_or_b64 exec, exec, s[8:9]
	s_and_b64 s[4:5], s[4:5], exec
                                        ; implicit-def: $vgpr3
	s_or_saveexec_b64 s[6:7], s[6:7]
	v_mov_b32_e32 v2, s10
	s_xor_b64 exec, exec, s[6:7]
	s_cbranch_execnz .LBB2_24948
; %bb.60785:
	s_getpc_b64 s[14:15]
.Lpost_getpc33976:
	s_add_u32 s14, s14, (.LBB2_10610-.Lpost_getpc33976)&4294967295
	s_addc_u32 s15, s15, (.LBB2_10610-.Lpost_getpc33976)>>32
	s_setpc_b64 s[14:15]
.LBB2_24948:
	v_cmp_ne_u16_e32 vcc, 0, v3
	s_andn2_b64 s[4:5], s[4:5], exec
	s_and_b64 s[8:9], vcc, exec
	v_mov_b32_e32 v2, 0
	s_or_b64 s[4:5], s[4:5], s[8:9]
	s_or_b64 exec, exec, s[6:7]
	s_and_saveexec_b64 s[6:7], s[4:5]
	s_cbranch_execz .LBB2_33977
; %bb.60787:
	s_getpc_b64 s[14:15]
.Lpost_getpc33977:
	s_add_u32 s14, s14, (.LBB2_10611-.Lpost_getpc33977)&4294967295
	s_addc_u32 s15, s15, (.LBB2_10611-.Lpost_getpc33977)>>32
	s_setpc_b64 s[14:15]
.LBB2_33977:
	s_getpc_b64 s[14:15]
.Lpost_getpc20572:
	s_add_u32 s14, s14, (.LBB2_10612-.Lpost_getpc20572)&4294967295
	s_addc_u32 s15, s15, (.LBB2_10612-.Lpost_getpc20572)>>32
	s_setpc_b64 s[14:15]
.LBB2_24949:
	s_movk_i32 s4, 0x80
	v_cmp_eq_u16_e32 vcc, s4, v3
	s_mov_b64 s[4:5], -1
                                        ; implicit-def: $sgpr10
	s_and_saveexec_b64 s[8:9], vcc
; %bb.24950:
	s_mov_b32 s10, 0x7f800001
	s_xor_b64 s[4:5], exec, -1
; %bb.24951:
	s_or_b64 exec, exec, s[8:9]
	s_and_b64 s[4:5], s[4:5], exec
                                        ; implicit-def: $vgpr3
	s_or_saveexec_b64 s[6:7], s[6:7]
	v_mov_b32_e32 v4, s10
	s_xor_b64 exec, exec, s[6:7]
	s_cbranch_execnz .LBB2_24952
; %bb.60789:
	s_getpc_b64 s[14:15]
.Lpost_getpc33978:
	s_add_u32 s14, s14, (.LBB2_10614-.Lpost_getpc33978)&4294967295
	s_addc_u32 s15, s15, (.LBB2_10614-.Lpost_getpc33978)>>32
	s_setpc_b64 s[14:15]
.LBB2_24952:
	v_cmp_ne_u16_e32 vcc, 0, v3
	s_andn2_b64 s[4:5], s[4:5], exec
	s_and_b64 s[8:9], vcc, exec
	v_mov_b32_e32 v4, 0
	s_or_b64 s[4:5], s[4:5], s[8:9]
	s_or_b64 exec, exec, s[6:7]
	s_and_saveexec_b64 s[6:7], s[4:5]
	s_cbranch_execz .LBB2_33979
; %bb.60791:
	s_getpc_b64 s[14:15]
.Lpost_getpc33979:
	s_add_u32 s14, s14, (.LBB2_10615-.Lpost_getpc33979)&4294967295
	s_addc_u32 s15, s15, (.LBB2_10615-.Lpost_getpc33979)>>32
	s_setpc_b64 s[14:15]
.LBB2_33979:
	s_getpc_b64 s[14:15]
.Lpost_getpc20573:
	s_add_u32 s14, s14, (.LBB2_10616-.Lpost_getpc20573)&4294967295
	s_addc_u32 s15, s15, (.LBB2_10616-.Lpost_getpc20573)>>32
	s_setpc_b64 s[14:15]
.LBB2_24953:
	s_movk_i32 s4, 0x80
	v_cmp_eq_u16_sdwa s[12:13], v9, s4 src0_sel:BYTE_3 src1_sel:DWORD
	s_mov_b64 s[4:5], -1
                                        ; implicit-def: $sgpr10
	s_and_saveexec_b64 s[8:9], s[12:13]
; %bb.24954:
	s_mov_b32 s10, 0x7f800001
	s_xor_b64 s[4:5], exec, -1
; %bb.24955:
	s_or_b64 exec, exec, s[8:9]
	s_and_b64 s[4:5], s[4:5], exec
	s_or_saveexec_b64 s[6:7], s[6:7]
	v_mov_b32_e32 v2, s10
	s_xor_b64 exec, exec, s[6:7]
	s_cbranch_execnz .LBB2_24956
; %bb.60793:
	s_getpc_b64 s[14:15]
.Lpost_getpc33980:
	s_add_u32 s14, s14, (.LBB2_10618-.Lpost_getpc33980)&4294967295
	s_addc_u32 s15, s15, (.LBB2_10618-.Lpost_getpc33980)>>32
	s_setpc_b64 s[14:15]
.LBB2_24956:
	v_mov_b32_e32 v2, 0
	v_cmp_ne_u16_sdwa s[8:9], v9, v2 src0_sel:BYTE_3 src1_sel:DWORD
	s_andn2_b64 s[4:5], s[4:5], exec
	s_and_b64 s[8:9], s[8:9], exec
	s_or_b64 s[4:5], s[4:5], s[8:9]
	s_or_b64 exec, exec, s[6:7]
	s_and_saveexec_b64 s[6:7], s[4:5]
	s_cbranch_execz .LBB2_33981
; %bb.60795:
	s_getpc_b64 s[14:15]
.Lpost_getpc33981:
	s_add_u32 s14, s14, (.LBB2_10619-.Lpost_getpc33981)&4294967295
	s_addc_u32 s15, s15, (.LBB2_10619-.Lpost_getpc33981)>>32
	s_setpc_b64 s[14:15]
.LBB2_33981:
	s_getpc_b64 s[14:15]
.Lpost_getpc20574:
	s_add_u32 s14, s14, (.LBB2_10620-.Lpost_getpc20574)&4294967295
	s_addc_u32 s15, s15, (.LBB2_10620-.Lpost_getpc20574)>>32
	s_setpc_b64 s[14:15]
.LBB2_24957:
	s_movk_i32 s4, 0x80
	v_cmp_eq_u16_sdwa s[12:13], v5, s4 src0_sel:BYTE_3 src1_sel:DWORD
	s_mov_b64 s[4:5], -1
                                        ; implicit-def: $sgpr10
	s_and_saveexec_b64 s[8:9], s[12:13]
; %bb.24958:
	s_mov_b32 s10, 0x7f800001
	s_xor_b64 s[4:5], exec, -1
; %bb.24959:
	s_or_b64 exec, exec, s[8:9]
	s_and_b64 s[4:5], s[4:5], exec
	s_or_saveexec_b64 s[6:7], s[6:7]
	v_mov_b32_e32 v3, s10
	s_xor_b64 exec, exec, s[6:7]
	s_cbranch_execnz .LBB2_24960
; %bb.60797:
	s_getpc_b64 s[14:15]
.Lpost_getpc33982:
	s_add_u32 s14, s14, (.LBB2_10622-.Lpost_getpc33982)&4294967295
	s_addc_u32 s15, s15, (.LBB2_10622-.Lpost_getpc33982)>>32
	s_setpc_b64 s[14:15]
.LBB2_24960:
	v_mov_b32_e32 v3, 0
	v_cmp_ne_u16_sdwa s[8:9], v5, v3 src0_sel:BYTE_3 src1_sel:DWORD
	s_andn2_b64 s[4:5], s[4:5], exec
	s_and_b64 s[8:9], s[8:9], exec
	s_or_b64 s[4:5], s[4:5], s[8:9]
	s_or_b64 exec, exec, s[6:7]
	s_and_saveexec_b64 s[6:7], s[4:5]
	s_cbranch_execz .LBB2_33983
; %bb.60799:
	s_getpc_b64 s[14:15]
.Lpost_getpc33983:
	s_add_u32 s14, s14, (.LBB2_10623-.Lpost_getpc33983)&4294967295
	s_addc_u32 s15, s15, (.LBB2_10623-.Lpost_getpc33983)>>32
	s_setpc_b64 s[14:15]
.LBB2_33983:
	s_getpc_b64 s[14:15]
.Lpost_getpc20575:
	s_add_u32 s14, s14, (.LBB2_10624-.Lpost_getpc20575)&4294967295
	s_addc_u32 s15, s15, (.LBB2_10624-.Lpost_getpc20575)>>32
	s_setpc_b64 s[14:15]
.LBB2_24961:
	s_movk_i32 s4, 0x80
	v_cmp_eq_u16_sdwa s[12:13], v6, s4 src0_sel:BYTE_0 src1_sel:DWORD
	s_mov_b64 s[4:5], -1
                                        ; implicit-def: $sgpr10
	s_and_saveexec_b64 s[8:9], s[12:13]
; %bb.24962:
	s_mov_b32 s10, 0x7f800001
	s_xor_b64 s[4:5], exec, -1
; %bb.24963:
	s_or_b64 exec, exec, s[8:9]
	s_and_b64 s[4:5], s[4:5], exec
	s_or_saveexec_b64 s[6:7], s[6:7]
	v_mov_b32_e32 v12, s10
	s_xor_b64 exec, exec, s[6:7]
	s_cbranch_execnz .LBB2_24964
; %bb.60801:
	s_getpc_b64 s[14:15]
.Lpost_getpc33984:
	s_add_u32 s14, s14, (.LBB2_10626-.Lpost_getpc33984)&4294967295
	s_addc_u32 s15, s15, (.LBB2_10626-.Lpost_getpc33984)>>32
	s_setpc_b64 s[14:15]
.LBB2_24964:
	v_mov_b32_e32 v12, 0
	v_cmp_ne_u16_sdwa s[8:9], v6, v12 src0_sel:BYTE_0 src1_sel:DWORD
	s_andn2_b64 s[4:5], s[4:5], exec
	s_and_b64 s[8:9], s[8:9], exec
	s_or_b64 s[4:5], s[4:5], s[8:9]
	s_or_b64 exec, exec, s[6:7]
	s_and_saveexec_b64 s[6:7], s[4:5]
	s_cbranch_execz .LBB2_33985
; %bb.60803:
	s_getpc_b64 s[14:15]
.Lpost_getpc33985:
	s_add_u32 s14, s14, (.LBB2_10627-.Lpost_getpc33985)&4294967295
	s_addc_u32 s15, s15, (.LBB2_10627-.Lpost_getpc33985)>>32
	s_setpc_b64 s[14:15]
.LBB2_33985:
	s_getpc_b64 s[14:15]
.Lpost_getpc20576:
	s_add_u32 s14, s14, (.LBB2_10628-.Lpost_getpc20576)&4294967295
	s_addc_u32 s15, s15, (.LBB2_10628-.Lpost_getpc20576)>>32
	s_setpc_b64 s[14:15]
.LBB2_24965:
	s_movk_i32 s4, 0x80
	v_cmp_eq_u16_sdwa s[12:13], v2, s4 src0_sel:BYTE_0 src1_sel:DWORD
	s_mov_b64 s[4:5], -1
                                        ; implicit-def: $sgpr10
	s_and_saveexec_b64 s[8:9], s[12:13]
; %bb.24966:
	s_mov_b32 s10, 0x7f800001
	s_xor_b64 s[4:5], exec, -1
; %bb.24967:
	s_or_b64 exec, exec, s[8:9]
	s_and_b64 s[4:5], s[4:5], exec
	s_or_saveexec_b64 s[6:7], s[6:7]
	v_mov_b32_e32 v13, s10
	s_xor_b64 exec, exec, s[6:7]
	s_cbranch_execnz .LBB2_24968
; %bb.60805:
	s_getpc_b64 s[14:15]
.Lpost_getpc33986:
	s_add_u32 s14, s14, (.LBB2_10630-.Lpost_getpc33986)&4294967295
	s_addc_u32 s15, s15, (.LBB2_10630-.Lpost_getpc33986)>>32
	s_setpc_b64 s[14:15]
.LBB2_24968:
	v_mov_b32_e32 v13, 0
	v_cmp_ne_u16_sdwa s[8:9], v2, v13 src0_sel:BYTE_0 src1_sel:DWORD
	s_andn2_b64 s[4:5], s[4:5], exec
	s_and_b64 s[8:9], s[8:9], exec
	s_or_b64 s[4:5], s[4:5], s[8:9]
	s_or_b64 exec, exec, s[6:7]
	s_and_saveexec_b64 s[6:7], s[4:5]
	s_cbranch_execz .LBB2_33987
; %bb.60807:
	s_getpc_b64 s[14:15]
.Lpost_getpc33987:
	s_add_u32 s14, s14, (.LBB2_10631-.Lpost_getpc33987)&4294967295
	s_addc_u32 s15, s15, (.LBB2_10631-.Lpost_getpc33987)>>32
	s_setpc_b64 s[14:15]
.LBB2_33987:
	s_getpc_b64 s[14:15]
.Lpost_getpc20577:
	s_add_u32 s14, s14, (.LBB2_10632-.Lpost_getpc20577)&4294967295
	s_addc_u32 s15, s15, (.LBB2_10632-.Lpost_getpc20577)>>32
	s_setpc_b64 s[14:15]
.LBB2_24969:
	s_movk_i32 s4, 0x80
	v_cmp_eq_u16_sdwa s[12:13], v13, s4 src0_sel:BYTE_0 src1_sel:DWORD
	s_mov_b64 s[4:5], -1
                                        ; implicit-def: $sgpr10
	s_and_saveexec_b64 s[8:9], s[12:13]
; %bb.24970:
	s_mov_b32 s10, 0x7f800001
	s_xor_b64 s[4:5], exec, -1
; %bb.24971:
	s_or_b64 exec, exec, s[8:9]
	s_and_b64 s[4:5], s[4:5], exec
	s_or_saveexec_b64 s[6:7], s[6:7]
	v_mov_b32_e32 v12, s10
	s_xor_b64 exec, exec, s[6:7]
	s_cbranch_execnz .LBB2_24972
; %bb.60809:
	s_getpc_b64 s[14:15]
.Lpost_getpc33988:
	s_add_u32 s14, s14, (.LBB2_10634-.Lpost_getpc33988)&4294967295
	s_addc_u32 s15, s15, (.LBB2_10634-.Lpost_getpc33988)>>32
	s_setpc_b64 s[14:15]
.LBB2_24972:
	v_mov_b32_e32 v12, 0
	v_cmp_ne_u16_sdwa s[8:9], v13, v12 src0_sel:BYTE_0 src1_sel:DWORD
	s_andn2_b64 s[4:5], s[4:5], exec
	s_and_b64 s[8:9], s[8:9], exec
	s_or_b64 s[4:5], s[4:5], s[8:9]
	s_or_b64 exec, exec, s[6:7]
	s_and_saveexec_b64 s[6:7], s[4:5]
	s_cbranch_execz .LBB2_33989
; %bb.60811:
	s_getpc_b64 s[14:15]
.Lpost_getpc33989:
	s_add_u32 s14, s14, (.LBB2_10635-.Lpost_getpc33989)&4294967295
	s_addc_u32 s15, s15, (.LBB2_10635-.Lpost_getpc33989)>>32
	s_setpc_b64 s[14:15]
.LBB2_33989:
	s_getpc_b64 s[14:15]
.Lpost_getpc20578:
	s_add_u32 s14, s14, (.LBB2_10636-.Lpost_getpc20578)&4294967295
	s_addc_u32 s15, s15, (.LBB2_10636-.Lpost_getpc20578)>>32
	s_setpc_b64 s[14:15]
.LBB2_24973:
	s_movk_i32 s4, 0x80
	v_cmp_eq_u16_sdwa s[12:13], v13, s4 src0_sel:BYTE_0 src1_sel:DWORD
	s_mov_b64 s[4:5], -1
                                        ; implicit-def: $sgpr10
	s_and_saveexec_b64 s[8:9], s[12:13]
; %bb.24974:
	s_mov_b32 s10, 0x7f800001
	s_xor_b64 s[4:5], exec, -1
; %bb.24975:
	s_or_b64 exec, exec, s[8:9]
	s_and_b64 s[4:5], s[4:5], exec
	s_or_saveexec_b64 s[6:7], s[6:7]
	v_mov_b32_e32 v14, s10
	s_xor_b64 exec, exec, s[6:7]
	s_cbranch_execnz .LBB2_24976
; %bb.60813:
	s_getpc_b64 s[14:15]
.Lpost_getpc33990:
	s_add_u32 s14, s14, (.LBB2_10638-.Lpost_getpc33990)&4294967295
	s_addc_u32 s15, s15, (.LBB2_10638-.Lpost_getpc33990)>>32
	s_setpc_b64 s[14:15]
.LBB2_24976:
	v_mov_b32_e32 v14, 0
	v_cmp_ne_u16_sdwa s[8:9], v13, v14 src0_sel:BYTE_0 src1_sel:DWORD
	s_andn2_b64 s[4:5], s[4:5], exec
	s_and_b64 s[8:9], s[8:9], exec
	s_or_b64 s[4:5], s[4:5], s[8:9]
	s_or_b64 exec, exec, s[6:7]
	s_and_saveexec_b64 s[6:7], s[4:5]
	s_cbranch_execz .LBB2_33991
; %bb.60815:
	s_getpc_b64 s[14:15]
.Lpost_getpc33991:
	s_add_u32 s14, s14, (.LBB2_10639-.Lpost_getpc33991)&4294967295
	s_addc_u32 s15, s15, (.LBB2_10639-.Lpost_getpc33991)>>32
	s_setpc_b64 s[14:15]
.LBB2_33991:
	s_getpc_b64 s[14:15]
.Lpost_getpc20579:
	s_add_u32 s14, s14, (.LBB2_10640-.Lpost_getpc20579)&4294967295
	s_addc_u32 s15, s15, (.LBB2_10640-.Lpost_getpc20579)>>32
	s_setpc_b64 s[14:15]
.LBB2_24977:
	s_movk_i32 s4, 0x80
	v_cmp_eq_u16_e32 vcc, s4, v13
	s_mov_b64 s[4:5], -1
                                        ; implicit-def: $sgpr10
	s_and_saveexec_b64 s[8:9], vcc
; %bb.24978:
	s_mov_b32 s10, 0x7f800001
	s_xor_b64 s[4:5], exec, -1
; %bb.24979:
	s_or_b64 exec, exec, s[8:9]
	s_and_b64 s[4:5], s[4:5], exec
                                        ; implicit-def: $vgpr13
	s_or_saveexec_b64 s[6:7], s[6:7]
	v_mov_b32_e32 v12, s10
	s_xor_b64 exec, exec, s[6:7]
	s_cbranch_execnz .LBB2_24980
; %bb.60817:
	s_getpc_b64 s[14:15]
.Lpost_getpc33992:
	s_add_u32 s14, s14, (.LBB2_10642-.Lpost_getpc33992)&4294967295
	s_addc_u32 s15, s15, (.LBB2_10642-.Lpost_getpc33992)>>32
	s_setpc_b64 s[14:15]
.LBB2_24980:
	v_cmp_ne_u16_e32 vcc, 0, v13
	s_andn2_b64 s[4:5], s[4:5], exec
	s_and_b64 s[8:9], vcc, exec
	v_mov_b32_e32 v12, 0
	s_or_b64 s[4:5], s[4:5], s[8:9]
	s_or_b64 exec, exec, s[6:7]
	s_and_saveexec_b64 s[6:7], s[4:5]
	s_cbranch_execz .LBB2_33993
; %bb.60819:
	s_getpc_b64 s[14:15]
.Lpost_getpc33993:
	s_add_u32 s14, s14, (.LBB2_10643-.Lpost_getpc33993)&4294967295
	s_addc_u32 s15, s15, (.LBB2_10643-.Lpost_getpc33993)>>32
	s_setpc_b64 s[14:15]
.LBB2_33993:
	s_getpc_b64 s[14:15]
.Lpost_getpc20580:
	s_add_u32 s14, s14, (.LBB2_10644-.Lpost_getpc20580)&4294967295
	s_addc_u32 s15, s15, (.LBB2_10644-.Lpost_getpc20580)>>32
	s_setpc_b64 s[14:15]
.LBB2_24981:
	s_movk_i32 s4, 0x80
	v_cmp_eq_u16_e32 vcc, s4, v13
	s_mov_b64 s[4:5], -1
                                        ; implicit-def: $sgpr10
	s_and_saveexec_b64 s[8:9], vcc
; %bb.24982:
	s_mov_b32 s10, 0x7f800001
	s_xor_b64 s[4:5], exec, -1
; %bb.24983:
	s_or_b64 exec, exec, s[8:9]
	s_and_b64 s[4:5], s[4:5], exec
                                        ; implicit-def: $vgpr13
	s_or_saveexec_b64 s[6:7], s[6:7]
	v_mov_b32_e32 v14, s10
	s_xor_b64 exec, exec, s[6:7]
	s_cbranch_execnz .LBB2_24984
; %bb.60821:
	s_getpc_b64 s[14:15]
.Lpost_getpc33994:
	s_add_u32 s14, s14, (.LBB2_10646-.Lpost_getpc33994)&4294967295
	s_addc_u32 s15, s15, (.LBB2_10646-.Lpost_getpc33994)>>32
	s_setpc_b64 s[14:15]
.LBB2_24984:
	v_cmp_ne_u16_e32 vcc, 0, v13
	s_andn2_b64 s[4:5], s[4:5], exec
	s_and_b64 s[8:9], vcc, exec
	v_mov_b32_e32 v14, 0
	s_or_b64 s[4:5], s[4:5], s[8:9]
	s_or_b64 exec, exec, s[6:7]
	s_and_saveexec_b64 s[6:7], s[4:5]
	s_cbranch_execz .LBB2_33995
; %bb.60823:
	s_getpc_b64 s[14:15]
.Lpost_getpc33995:
	s_add_u32 s14, s14, (.LBB2_10647-.Lpost_getpc33995)&4294967295
	s_addc_u32 s15, s15, (.LBB2_10647-.Lpost_getpc33995)>>32
	s_setpc_b64 s[14:15]
.LBB2_33995:
	s_getpc_b64 s[14:15]
.Lpost_getpc20581:
	s_add_u32 s14, s14, (.LBB2_10648-.Lpost_getpc20581)&4294967295
	s_addc_u32 s15, s15, (.LBB2_10648-.Lpost_getpc20581)>>32
	s_setpc_b64 s[14:15]
.LBB2_24985:
	s_movk_i32 s4, 0x80
	v_cmp_eq_u16_sdwa s[12:13], v6, s4 src0_sel:BYTE_3 src1_sel:DWORD
	s_mov_b64 s[4:5], -1
                                        ; implicit-def: $sgpr10
	s_and_saveexec_b64 s[8:9], s[12:13]
; %bb.24986:
	s_mov_b32 s10, 0x7f800001
	s_xor_b64 s[4:5], exec, -1
; %bb.24987:
	s_or_b64 exec, exec, s[8:9]
	s_and_b64 s[4:5], s[4:5], exec
	s_or_saveexec_b64 s[6:7], s[6:7]
	v_mov_b32_e32 v12, s10
	s_xor_b64 exec, exec, s[6:7]
	s_cbranch_execnz .LBB2_24988
; %bb.60825:
	s_getpc_b64 s[14:15]
.Lpost_getpc33996:
	s_add_u32 s14, s14, (.LBB2_10650-.Lpost_getpc33996)&4294967295
	s_addc_u32 s15, s15, (.LBB2_10650-.Lpost_getpc33996)>>32
	s_setpc_b64 s[14:15]
.LBB2_24988:
	v_mov_b32_e32 v12, 0
	v_cmp_ne_u16_sdwa s[8:9], v6, v12 src0_sel:BYTE_3 src1_sel:DWORD
	s_andn2_b64 s[4:5], s[4:5], exec
	s_and_b64 s[8:9], s[8:9], exec
	s_or_b64 s[4:5], s[4:5], s[8:9]
	s_or_b64 exec, exec, s[6:7]
	s_and_saveexec_b64 s[6:7], s[4:5]
	s_cbranch_execz .LBB2_33997
; %bb.60827:
	s_getpc_b64 s[14:15]
.Lpost_getpc33997:
	s_add_u32 s14, s14, (.LBB2_10651-.Lpost_getpc33997)&4294967295
	s_addc_u32 s15, s15, (.LBB2_10651-.Lpost_getpc33997)>>32
	s_setpc_b64 s[14:15]
.LBB2_33997:
	s_getpc_b64 s[14:15]
.Lpost_getpc20582:
	s_add_u32 s14, s14, (.LBB2_10652-.Lpost_getpc20582)&4294967295
	s_addc_u32 s15, s15, (.LBB2_10652-.Lpost_getpc20582)>>32
	s_setpc_b64 s[14:15]
.LBB2_24989:
	s_movk_i32 s4, 0x80
	v_cmp_eq_u16_sdwa s[12:13], v2, s4 src0_sel:BYTE_3 src1_sel:DWORD
	s_mov_b64 s[4:5], -1
                                        ; implicit-def: $sgpr10
	s_and_saveexec_b64 s[8:9], s[12:13]
; %bb.24990:
	s_mov_b32 s10, 0x7f800001
	s_xor_b64 s[4:5], exec, -1
; %bb.24991:
	s_or_b64 exec, exec, s[8:9]
	s_and_b64 s[4:5], s[4:5], exec
	s_or_saveexec_b64 s[6:7], s[6:7]
	v_mov_b32_e32 v6, s10
	s_xor_b64 exec, exec, s[6:7]
	s_cbranch_execnz .LBB2_24992
; %bb.60829:
	s_getpc_b64 s[14:15]
.Lpost_getpc33998:
	s_add_u32 s14, s14, (.LBB2_10654-.Lpost_getpc33998)&4294967295
	s_addc_u32 s15, s15, (.LBB2_10654-.Lpost_getpc33998)>>32
	s_setpc_b64 s[14:15]
.LBB2_24992:
	v_mov_b32_e32 v6, 0
	v_cmp_ne_u16_sdwa s[8:9], v2, v6 src0_sel:BYTE_3 src1_sel:DWORD
	s_andn2_b64 s[4:5], s[4:5], exec
	s_and_b64 s[8:9], s[8:9], exec
	s_or_b64 s[4:5], s[4:5], s[8:9]
	s_or_b64 exec, exec, s[6:7]
	s_and_saveexec_b64 s[6:7], s[4:5]
	s_cbranch_execz .LBB2_33999
; %bb.60831:
	s_getpc_b64 s[14:15]
.Lpost_getpc33999:
	s_add_u32 s14, s14, (.LBB2_10655-.Lpost_getpc33999)&4294967295
	s_addc_u32 s15, s15, (.LBB2_10655-.Lpost_getpc33999)>>32
	s_setpc_b64 s[14:15]
.LBB2_33999:
	s_getpc_b64 s[14:15]
.Lpost_getpc20583:
	s_add_u32 s14, s14, (.LBB2_10656-.Lpost_getpc20583)&4294967295
	s_addc_u32 s15, s15, (.LBB2_10656-.Lpost_getpc20583)>>32
	s_setpc_b64 s[14:15]
.LBB2_24993:
	s_movk_i32 s4, 0x80
	v_cmp_eq_u16_sdwa s[12:13], v7, s4 src0_sel:BYTE_0 src1_sel:DWORD
	s_mov_b64 s[4:5], -1
                                        ; implicit-def: $sgpr10
	s_and_saveexec_b64 s[8:9], s[12:13]
; %bb.24994:
	s_mov_b32 s10, 0x7f800001
	s_xor_b64 s[4:5], exec, -1
; %bb.24995:
	s_or_b64 exec, exec, s[8:9]
	s_and_b64 s[4:5], s[4:5], exec
	s_or_saveexec_b64 s[6:7], s[6:7]
	v_mov_b32_e32 v2, s10
	s_xor_b64 exec, exec, s[6:7]
	s_cbranch_execnz .LBB2_24996
; %bb.60833:
	s_getpc_b64 s[14:15]
.Lpost_getpc34000:
	s_add_u32 s14, s14, (.LBB2_10658-.Lpost_getpc34000)&4294967295
	s_addc_u32 s15, s15, (.LBB2_10658-.Lpost_getpc34000)>>32
	s_setpc_b64 s[14:15]
.LBB2_24996:
	v_mov_b32_e32 v2, 0
	v_cmp_ne_u16_sdwa s[8:9], v7, v2 src0_sel:BYTE_0 src1_sel:DWORD
	s_andn2_b64 s[4:5], s[4:5], exec
	s_and_b64 s[8:9], s[8:9], exec
	s_or_b64 s[4:5], s[4:5], s[8:9]
	s_or_b64 exec, exec, s[6:7]
	s_and_saveexec_b64 s[6:7], s[4:5]
	s_cbranch_execz .LBB2_34001
; %bb.60835:
	s_getpc_b64 s[14:15]
.Lpost_getpc34001:
	s_add_u32 s14, s14, (.LBB2_10659-.Lpost_getpc34001)&4294967295
	s_addc_u32 s15, s15, (.LBB2_10659-.Lpost_getpc34001)>>32
	s_setpc_b64 s[14:15]
.LBB2_34001:
	s_getpc_b64 s[14:15]
.Lpost_getpc20584:
	s_add_u32 s14, s14, (.LBB2_10660-.Lpost_getpc20584)&4294967295
	s_addc_u32 s15, s15, (.LBB2_10660-.Lpost_getpc20584)>>32
	s_setpc_b64 s[14:15]
.LBB2_24997:
	s_movk_i32 s4, 0x80
	v_cmp_eq_u16_sdwa s[12:13], v3, s4 src0_sel:BYTE_0 src1_sel:DWORD
	s_mov_b64 s[4:5], -1
                                        ; implicit-def: $sgpr10
	s_and_saveexec_b64 s[8:9], s[12:13]
; %bb.24998:
	s_mov_b32 s10, 0x7f800001
	s_xor_b64 s[4:5], exec, -1
; %bb.24999:
	s_or_b64 exec, exec, s[8:9]
	s_and_b64 s[4:5], s[4:5], exec
	s_or_saveexec_b64 s[6:7], s[6:7]
	v_mov_b32_e32 v6, s10
	s_xor_b64 exec, exec, s[6:7]
	s_cbranch_execnz .LBB2_25000
; %bb.60837:
	s_getpc_b64 s[14:15]
.Lpost_getpc34002:
	s_add_u32 s14, s14, (.LBB2_10662-.Lpost_getpc34002)&4294967295
	s_addc_u32 s15, s15, (.LBB2_10662-.Lpost_getpc34002)>>32
	s_setpc_b64 s[14:15]
.LBB2_25000:
	v_mov_b32_e32 v6, 0
	v_cmp_ne_u16_sdwa s[8:9], v3, v6 src0_sel:BYTE_0 src1_sel:DWORD
	s_andn2_b64 s[4:5], s[4:5], exec
	s_and_b64 s[8:9], s[8:9], exec
	s_or_b64 s[4:5], s[4:5], s[8:9]
	s_or_b64 exec, exec, s[6:7]
	s_and_saveexec_b64 s[6:7], s[4:5]
	s_cbranch_execz .LBB2_34003
; %bb.60839:
	s_getpc_b64 s[14:15]
.Lpost_getpc34003:
	s_add_u32 s14, s14, (.LBB2_10663-.Lpost_getpc34003)&4294967295
	s_addc_u32 s15, s15, (.LBB2_10663-.Lpost_getpc34003)>>32
	s_setpc_b64 s[14:15]
.LBB2_34003:
	s_getpc_b64 s[14:15]
.Lpost_getpc20585:
	s_add_u32 s14, s14, (.LBB2_10664-.Lpost_getpc20585)&4294967295
	s_addc_u32 s15, s15, (.LBB2_10664-.Lpost_getpc20585)>>32
	s_setpc_b64 s[14:15]
.LBB2_25001:
	s_movk_i32 s4, 0x80
	v_cmp_eq_u16_sdwa s[12:13], v6, s4 src0_sel:BYTE_0 src1_sel:DWORD
	s_mov_b64 s[4:5], -1
                                        ; implicit-def: $sgpr10
	s_and_saveexec_b64 s[8:9], s[12:13]
; %bb.25002:
	s_mov_b32 s10, 0x7f800001
	s_xor_b64 s[4:5], exec, -1
; %bb.25003:
	s_or_b64 exec, exec, s[8:9]
	s_and_b64 s[4:5], s[4:5], exec
	s_or_saveexec_b64 s[6:7], s[6:7]
	v_mov_b32_e32 v2, s10
	s_xor_b64 exec, exec, s[6:7]
	s_cbranch_execnz .LBB2_25004
; %bb.60841:
	s_getpc_b64 s[14:15]
.Lpost_getpc34004:
	s_add_u32 s14, s14, (.LBB2_10666-.Lpost_getpc34004)&4294967295
	s_addc_u32 s15, s15, (.LBB2_10666-.Lpost_getpc34004)>>32
	s_setpc_b64 s[14:15]
.LBB2_25004:
	v_mov_b32_e32 v2, 0
	v_cmp_ne_u16_sdwa s[8:9], v6, v2 src0_sel:BYTE_0 src1_sel:DWORD
	s_andn2_b64 s[4:5], s[4:5], exec
	s_and_b64 s[8:9], s[8:9], exec
	s_or_b64 s[4:5], s[4:5], s[8:9]
	s_or_b64 exec, exec, s[6:7]
	s_and_saveexec_b64 s[6:7], s[4:5]
	s_cbranch_execz .LBB2_34005
; %bb.60843:
	s_getpc_b64 s[14:15]
.Lpost_getpc34005:
	s_add_u32 s14, s14, (.LBB2_10667-.Lpost_getpc34005)&4294967295
	s_addc_u32 s15, s15, (.LBB2_10667-.Lpost_getpc34005)>>32
	s_setpc_b64 s[14:15]
.LBB2_34005:
	s_getpc_b64 s[14:15]
.Lpost_getpc20586:
	s_add_u32 s14, s14, (.LBB2_10668-.Lpost_getpc20586)&4294967295
	s_addc_u32 s15, s15, (.LBB2_10668-.Lpost_getpc20586)>>32
	s_setpc_b64 s[14:15]
.LBB2_25005:
	s_movk_i32 s4, 0x80
	v_cmp_eq_u16_sdwa s[12:13], v6, s4 src0_sel:BYTE_0 src1_sel:DWORD
	s_mov_b64 s[4:5], -1
                                        ; implicit-def: $sgpr10
	s_and_saveexec_b64 s[8:9], s[12:13]
; %bb.25006:
	s_mov_b32 s10, 0x7f800001
	s_xor_b64 s[4:5], exec, -1
; %bb.25007:
	s_or_b64 exec, exec, s[8:9]
	s_and_b64 s[4:5], s[4:5], exec
	s_or_saveexec_b64 s[6:7], s[6:7]
	v_mov_b32_e32 v12, s10
	s_xor_b64 exec, exec, s[6:7]
	s_cbranch_execnz .LBB2_25008
; %bb.60845:
	s_getpc_b64 s[14:15]
.Lpost_getpc34006:
	s_add_u32 s14, s14, (.LBB2_10670-.Lpost_getpc34006)&4294967295
	s_addc_u32 s15, s15, (.LBB2_10670-.Lpost_getpc34006)>>32
	s_setpc_b64 s[14:15]
.LBB2_25008:
	v_mov_b32_e32 v12, 0
	v_cmp_ne_u16_sdwa s[8:9], v6, v12 src0_sel:BYTE_0 src1_sel:DWORD
	s_andn2_b64 s[4:5], s[4:5], exec
	s_and_b64 s[8:9], s[8:9], exec
	s_or_b64 s[4:5], s[4:5], s[8:9]
	s_or_b64 exec, exec, s[6:7]
	s_and_saveexec_b64 s[6:7], s[4:5]
	s_cbranch_execz .LBB2_34007
; %bb.60847:
	s_getpc_b64 s[14:15]
.Lpost_getpc34007:
	s_add_u32 s14, s14, (.LBB2_10671-.Lpost_getpc34007)&4294967295
	s_addc_u32 s15, s15, (.LBB2_10671-.Lpost_getpc34007)>>32
	s_setpc_b64 s[14:15]
.LBB2_34007:
	s_getpc_b64 s[14:15]
.Lpost_getpc20587:
	s_add_u32 s14, s14, (.LBB2_10672-.Lpost_getpc20587)&4294967295
	s_addc_u32 s15, s15, (.LBB2_10672-.Lpost_getpc20587)>>32
	s_setpc_b64 s[14:15]
.LBB2_25009:
	s_movk_i32 s4, 0x80
	v_cmp_eq_u16_e32 vcc, s4, v6
	s_mov_b64 s[4:5], -1
                                        ; implicit-def: $sgpr10
	s_and_saveexec_b64 s[8:9], vcc
; %bb.25010:
	s_mov_b32 s10, 0x7f800001
	s_xor_b64 s[4:5], exec, -1
; %bb.25011:
	s_or_b64 exec, exec, s[8:9]
	s_and_b64 s[4:5], s[4:5], exec
                                        ; implicit-def: $vgpr6
	s_or_saveexec_b64 s[6:7], s[6:7]
	v_mov_b32_e32 v2, s10
	s_xor_b64 exec, exec, s[6:7]
	s_cbranch_execnz .LBB2_25012
; %bb.60849:
	s_getpc_b64 s[14:15]
.Lpost_getpc34008:
	s_add_u32 s14, s14, (.LBB2_10674-.Lpost_getpc34008)&4294967295
	s_addc_u32 s15, s15, (.LBB2_10674-.Lpost_getpc34008)>>32
	s_setpc_b64 s[14:15]
.LBB2_25012:
	v_cmp_ne_u16_e32 vcc, 0, v6
	s_andn2_b64 s[4:5], s[4:5], exec
	s_and_b64 s[8:9], vcc, exec
	v_mov_b32_e32 v2, 0
	s_or_b64 s[4:5], s[4:5], s[8:9]
	s_or_b64 exec, exec, s[6:7]
	s_and_saveexec_b64 s[6:7], s[4:5]
	s_cbranch_execz .LBB2_34009
; %bb.60851:
	s_getpc_b64 s[14:15]
.Lpost_getpc34009:
	s_add_u32 s14, s14, (.LBB2_10675-.Lpost_getpc34009)&4294967295
	s_addc_u32 s15, s15, (.LBB2_10675-.Lpost_getpc34009)>>32
	s_setpc_b64 s[14:15]
.LBB2_34009:
	s_getpc_b64 s[14:15]
.Lpost_getpc20588:
	s_add_u32 s14, s14, (.LBB2_10676-.Lpost_getpc20588)&4294967295
	s_addc_u32 s15, s15, (.LBB2_10676-.Lpost_getpc20588)>>32
	s_setpc_b64 s[14:15]
.LBB2_25013:
	s_movk_i32 s4, 0x80
	v_cmp_eq_u16_e32 vcc, s4, v6
	s_mov_b64 s[4:5], -1
                                        ; implicit-def: $sgpr10
	s_and_saveexec_b64 s[8:9], vcc
; %bb.25014:
	s_mov_b32 s10, 0x7f800001
	s_xor_b64 s[4:5], exec, -1
; %bb.25015:
	s_or_b64 exec, exec, s[8:9]
	s_and_b64 s[4:5], s[4:5], exec
                                        ; implicit-def: $vgpr6
	s_or_saveexec_b64 s[6:7], s[6:7]
	v_mov_b32_e32 v12, s10
	s_xor_b64 exec, exec, s[6:7]
	s_cbranch_execnz .LBB2_25016
; %bb.60853:
	s_getpc_b64 s[14:15]
.Lpost_getpc34010:
	s_add_u32 s14, s14, (.LBB2_10678-.Lpost_getpc34010)&4294967295
	s_addc_u32 s15, s15, (.LBB2_10678-.Lpost_getpc34010)>>32
	s_setpc_b64 s[14:15]
.LBB2_25016:
	v_cmp_ne_u16_e32 vcc, 0, v6
	s_andn2_b64 s[4:5], s[4:5], exec
	s_and_b64 s[8:9], vcc, exec
	v_mov_b32_e32 v12, 0
	s_or_b64 s[4:5], s[4:5], s[8:9]
	s_or_b64 exec, exec, s[6:7]
	s_and_saveexec_b64 s[6:7], s[4:5]
	s_cbranch_execz .LBB2_34011
; %bb.60855:
	s_getpc_b64 s[14:15]
.Lpost_getpc34011:
	s_add_u32 s14, s14, (.LBB2_10679-.Lpost_getpc34011)&4294967295
	s_addc_u32 s15, s15, (.LBB2_10679-.Lpost_getpc34011)>>32
	s_setpc_b64 s[14:15]
.LBB2_34011:
	s_getpc_b64 s[14:15]
.Lpost_getpc20589:
	s_add_u32 s14, s14, (.LBB2_10680-.Lpost_getpc20589)&4294967295
	s_addc_u32 s15, s15, (.LBB2_10680-.Lpost_getpc20589)>>32
	s_setpc_b64 s[14:15]
.LBB2_25017:
	s_movk_i32 s4, 0x80
	v_cmp_eq_u16_sdwa s[12:13], v7, s4 src0_sel:BYTE_3 src1_sel:DWORD
	s_mov_b64 s[4:5], -1
                                        ; implicit-def: $sgpr10
	s_and_saveexec_b64 s[8:9], s[12:13]
; %bb.25018:
	s_mov_b32 s10, 0x7f800001
	s_xor_b64 s[4:5], exec, -1
; %bb.25019:
	s_or_b64 exec, exec, s[8:9]
	s_and_b64 s[4:5], s[4:5], exec
	s_or_saveexec_b64 s[6:7], s[6:7]
	v_mov_b32_e32 v2, s10
	s_xor_b64 exec, exec, s[6:7]
	s_cbranch_execnz .LBB2_25020
; %bb.60857:
	s_getpc_b64 s[14:15]
.Lpost_getpc34012:
	s_add_u32 s14, s14, (.LBB2_10682-.Lpost_getpc34012)&4294967295
	s_addc_u32 s15, s15, (.LBB2_10682-.Lpost_getpc34012)>>32
	s_setpc_b64 s[14:15]
.LBB2_25020:
	v_mov_b32_e32 v2, 0
	v_cmp_ne_u16_sdwa s[8:9], v7, v2 src0_sel:BYTE_3 src1_sel:DWORD
	s_andn2_b64 s[4:5], s[4:5], exec
	s_and_b64 s[8:9], s[8:9], exec
	s_or_b64 s[4:5], s[4:5], s[8:9]
	s_or_b64 exec, exec, s[6:7]
	s_and_saveexec_b64 s[6:7], s[4:5]
	s_cbranch_execz .LBB2_34013
; %bb.60859:
	s_getpc_b64 s[14:15]
.Lpost_getpc34013:
	s_add_u32 s14, s14, (.LBB2_10683-.Lpost_getpc34013)&4294967295
	s_addc_u32 s15, s15, (.LBB2_10683-.Lpost_getpc34013)>>32
	s_setpc_b64 s[14:15]
.LBB2_34013:
	s_getpc_b64 s[14:15]
.Lpost_getpc20590:
	s_add_u32 s14, s14, (.LBB2_10684-.Lpost_getpc20590)&4294967295
	s_addc_u32 s15, s15, (.LBB2_10684-.Lpost_getpc20590)>>32
	s_setpc_b64 s[14:15]
.LBB2_25021:
	s_movk_i32 s4, 0x80
	v_cmp_eq_u16_sdwa s[12:13], v3, s4 src0_sel:BYTE_3 src1_sel:DWORD
	s_mov_b64 s[4:5], -1
                                        ; implicit-def: $sgpr10
	s_and_saveexec_b64 s[8:9], s[12:13]
; %bb.25022:
	s_mov_b32 s10, 0x7f800001
	s_xor_b64 s[4:5], exec, -1
; %bb.25023:
	s_or_b64 exec, exec, s[8:9]
	s_and_b64 s[4:5], s[4:5], exec
	s_or_saveexec_b64 s[6:7], s[6:7]
	v_mov_b32_e32 v6, s10
	s_xor_b64 exec, exec, s[6:7]
	s_cbranch_execnz .LBB2_25024
; %bb.60861:
	s_getpc_b64 s[14:15]
.Lpost_getpc34014:
	s_add_u32 s14, s14, (.LBB2_10686-.Lpost_getpc34014)&4294967295
	s_addc_u32 s15, s15, (.LBB2_10686-.Lpost_getpc34014)>>32
	s_setpc_b64 s[14:15]
.LBB2_25024:
	v_mov_b32_e32 v6, 0
	v_cmp_ne_u16_sdwa s[8:9], v3, v6 src0_sel:BYTE_3 src1_sel:DWORD
	s_andn2_b64 s[4:5], s[4:5], exec
	s_and_b64 s[8:9], s[8:9], exec
	s_or_b64 s[4:5], s[4:5], s[8:9]
	s_or_b64 exec, exec, s[6:7]
	s_and_saveexec_b64 s[6:7], s[4:5]
	s_cbranch_execz .LBB2_34015
; %bb.60863:
	s_getpc_b64 s[14:15]
.Lpost_getpc34015:
	s_add_u32 s14, s14, (.LBB2_10687-.Lpost_getpc34015)&4294967295
	s_addc_u32 s15, s15, (.LBB2_10687-.Lpost_getpc34015)>>32
	s_setpc_b64 s[14:15]
.LBB2_34015:
	s_getpc_b64 s[14:15]
.Lpost_getpc20591:
	s_add_u32 s14, s14, (.LBB2_10688-.Lpost_getpc20591)&4294967295
	s_addc_u32 s15, s15, (.LBB2_10688-.Lpost_getpc20591)>>32
	s_setpc_b64 s[14:15]
.LBB2_25025:
	s_movk_i32 s4, 0x80
	v_cmp_eq_u16_sdwa s[12:13], v8, s4 src0_sel:BYTE_0 src1_sel:DWORD
	s_mov_b64 s[4:5], -1
                                        ; implicit-def: $sgpr10
	s_and_saveexec_b64 s[8:9], s[12:13]
; %bb.25026:
	s_mov_b32 s10, 0x7f800001
	s_xor_b64 s[4:5], exec, -1
; %bb.25027:
	s_or_b64 exec, exec, s[8:9]
	s_and_b64 s[4:5], s[4:5], exec
	s_or_saveexec_b64 s[6:7], s[6:7]
	v_mov_b32_e32 v2, s10
	s_xor_b64 exec, exec, s[6:7]
	s_cbranch_execnz .LBB2_25028
; %bb.60865:
	s_getpc_b64 s[14:15]
.Lpost_getpc34016:
	s_add_u32 s14, s14, (.LBB2_10690-.Lpost_getpc34016)&4294967295
	s_addc_u32 s15, s15, (.LBB2_10690-.Lpost_getpc34016)>>32
	s_setpc_b64 s[14:15]
.LBB2_25028:
	v_mov_b32_e32 v2, 0
	v_cmp_ne_u16_sdwa s[8:9], v8, v2 src0_sel:BYTE_0 src1_sel:DWORD
	s_andn2_b64 s[4:5], s[4:5], exec
	s_and_b64 s[8:9], s[8:9], exec
	s_or_b64 s[4:5], s[4:5], s[8:9]
	s_or_b64 exec, exec, s[6:7]
	s_and_saveexec_b64 s[6:7], s[4:5]
	s_cbranch_execz .LBB2_34017
; %bb.60867:
	s_getpc_b64 s[14:15]
.Lpost_getpc34017:
	s_add_u32 s14, s14, (.LBB2_10691-.Lpost_getpc34017)&4294967295
	s_addc_u32 s15, s15, (.LBB2_10691-.Lpost_getpc34017)>>32
	s_setpc_b64 s[14:15]
.LBB2_34017:
	s_getpc_b64 s[14:15]
.Lpost_getpc20592:
	s_add_u32 s14, s14, (.LBB2_10692-.Lpost_getpc20592)&4294967295
	s_addc_u32 s15, s15, (.LBB2_10692-.Lpost_getpc20592)>>32
	s_setpc_b64 s[14:15]
.LBB2_25029:
	s_movk_i32 s4, 0x80
	v_cmp_eq_u16_sdwa s[12:13], v4, s4 src0_sel:BYTE_0 src1_sel:DWORD
	s_mov_b64 s[4:5], -1
                                        ; implicit-def: $sgpr10
	s_and_saveexec_b64 s[8:9], s[12:13]
; %bb.25030:
	s_mov_b32 s10, 0x7f800001
	s_xor_b64 s[4:5], exec, -1
; %bb.25031:
	s_or_b64 exec, exec, s[8:9]
	s_and_b64 s[4:5], s[4:5], exec
	s_or_saveexec_b64 s[6:7], s[6:7]
	v_mov_b32_e32 v3, s10
	s_xor_b64 exec, exec, s[6:7]
	s_cbranch_execnz .LBB2_25032
; %bb.60869:
	s_getpc_b64 s[14:15]
.Lpost_getpc34018:
	s_add_u32 s14, s14, (.LBB2_10694-.Lpost_getpc34018)&4294967295
	s_addc_u32 s15, s15, (.LBB2_10694-.Lpost_getpc34018)>>32
	s_setpc_b64 s[14:15]
.LBB2_25032:
	v_mov_b32_e32 v3, 0
	v_cmp_ne_u16_sdwa s[8:9], v4, v3 src0_sel:BYTE_0 src1_sel:DWORD
	s_andn2_b64 s[4:5], s[4:5], exec
	s_and_b64 s[8:9], s[8:9], exec
	s_or_b64 s[4:5], s[4:5], s[8:9]
	s_or_b64 exec, exec, s[6:7]
	s_and_saveexec_b64 s[6:7], s[4:5]
	s_cbranch_execz .LBB2_34019
; %bb.60871:
	s_getpc_b64 s[14:15]
.Lpost_getpc34019:
	s_add_u32 s14, s14, (.LBB2_10695-.Lpost_getpc34019)&4294967295
	s_addc_u32 s15, s15, (.LBB2_10695-.Lpost_getpc34019)>>32
	s_setpc_b64 s[14:15]
.LBB2_34019:
	s_getpc_b64 s[14:15]
.Lpost_getpc20593:
	s_add_u32 s14, s14, (.LBB2_10696-.Lpost_getpc20593)&4294967295
	s_addc_u32 s15, s15, (.LBB2_10696-.Lpost_getpc20593)>>32
	s_setpc_b64 s[14:15]
.LBB2_25033:
	s_movk_i32 s4, 0x80
	v_cmp_eq_u16_sdwa s[12:13], v3, s4 src0_sel:BYTE_0 src1_sel:DWORD
	s_mov_b64 s[4:5], -1
                                        ; implicit-def: $sgpr10
	s_and_saveexec_b64 s[8:9], s[12:13]
; %bb.25034:
	s_mov_b32 s10, 0x7f800001
	s_xor_b64 s[4:5], exec, -1
; %bb.25035:
	s_or_b64 exec, exec, s[8:9]
	s_and_b64 s[4:5], s[4:5], exec
	s_or_saveexec_b64 s[6:7], s[6:7]
	v_mov_b32_e32 v2, s10
	s_xor_b64 exec, exec, s[6:7]
	s_cbranch_execnz .LBB2_25036
; %bb.60873:
	s_getpc_b64 s[14:15]
.Lpost_getpc34020:
	s_add_u32 s14, s14, (.LBB2_10698-.Lpost_getpc34020)&4294967295
	s_addc_u32 s15, s15, (.LBB2_10698-.Lpost_getpc34020)>>32
	s_setpc_b64 s[14:15]
.LBB2_25036:
	v_mov_b32_e32 v2, 0
	v_cmp_ne_u16_sdwa s[8:9], v3, v2 src0_sel:BYTE_0 src1_sel:DWORD
	s_andn2_b64 s[4:5], s[4:5], exec
	s_and_b64 s[8:9], s[8:9], exec
	s_or_b64 s[4:5], s[4:5], s[8:9]
	s_or_b64 exec, exec, s[6:7]
	s_and_saveexec_b64 s[6:7], s[4:5]
	s_cbranch_execz .LBB2_34021
; %bb.60875:
	s_getpc_b64 s[14:15]
.Lpost_getpc34021:
	s_add_u32 s14, s14, (.LBB2_10699-.Lpost_getpc34021)&4294967295
	s_addc_u32 s15, s15, (.LBB2_10699-.Lpost_getpc34021)>>32
	s_setpc_b64 s[14:15]
.LBB2_34021:
	s_getpc_b64 s[14:15]
.Lpost_getpc20594:
	s_add_u32 s14, s14, (.LBB2_10700-.Lpost_getpc20594)&4294967295
	s_addc_u32 s15, s15, (.LBB2_10700-.Lpost_getpc20594)>>32
	s_setpc_b64 s[14:15]
.LBB2_25037:
	s_movk_i32 s4, 0x80
	v_cmp_eq_u16_sdwa s[12:13], v3, s4 src0_sel:BYTE_0 src1_sel:DWORD
	s_mov_b64 s[4:5], -1
                                        ; implicit-def: $sgpr10
	s_and_saveexec_b64 s[8:9], s[12:13]
; %bb.25038:
	s_mov_b32 s10, 0x7f800001
	s_xor_b64 s[4:5], exec, -1
; %bb.25039:
	s_or_b64 exec, exec, s[8:9]
	s_and_b64 s[4:5], s[4:5], exec
	s_or_saveexec_b64 s[6:7], s[6:7]
	v_mov_b32_e32 v6, s10
	s_xor_b64 exec, exec, s[6:7]
	s_cbranch_execnz .LBB2_25040
; %bb.60877:
	s_getpc_b64 s[14:15]
.Lpost_getpc34022:
	s_add_u32 s14, s14, (.LBB2_10702-.Lpost_getpc34022)&4294967295
	s_addc_u32 s15, s15, (.LBB2_10702-.Lpost_getpc34022)>>32
	s_setpc_b64 s[14:15]
.LBB2_25040:
	v_mov_b32_e32 v6, 0
	v_cmp_ne_u16_sdwa s[8:9], v3, v6 src0_sel:BYTE_0 src1_sel:DWORD
	s_andn2_b64 s[4:5], s[4:5], exec
	s_and_b64 s[8:9], s[8:9], exec
	s_or_b64 s[4:5], s[4:5], s[8:9]
	s_or_b64 exec, exec, s[6:7]
	s_and_saveexec_b64 s[6:7], s[4:5]
	s_cbranch_execz .LBB2_34023
; %bb.60879:
	s_getpc_b64 s[14:15]
.Lpost_getpc34023:
	s_add_u32 s14, s14, (.LBB2_10703-.Lpost_getpc34023)&4294967295
	s_addc_u32 s15, s15, (.LBB2_10703-.Lpost_getpc34023)>>32
	s_setpc_b64 s[14:15]
.LBB2_34023:
	s_getpc_b64 s[14:15]
.Lpost_getpc20595:
	s_add_u32 s14, s14, (.LBB2_10704-.Lpost_getpc20595)&4294967295
	s_addc_u32 s15, s15, (.LBB2_10704-.Lpost_getpc20595)>>32
	s_setpc_b64 s[14:15]
.LBB2_25041:
	s_movk_i32 s4, 0x80
	v_cmp_eq_u16_e32 vcc, s4, v3
	s_mov_b64 s[4:5], -1
                                        ; implicit-def: $sgpr10
	s_and_saveexec_b64 s[8:9], vcc
; %bb.25042:
	s_mov_b32 s10, 0x7f800001
	s_xor_b64 s[4:5], exec, -1
; %bb.25043:
	s_or_b64 exec, exec, s[8:9]
	s_and_b64 s[4:5], s[4:5], exec
                                        ; implicit-def: $vgpr3
	s_or_saveexec_b64 s[6:7], s[6:7]
	v_mov_b32_e32 v2, s10
	s_xor_b64 exec, exec, s[6:7]
	s_cbranch_execnz .LBB2_25044
; %bb.60881:
	s_getpc_b64 s[14:15]
.Lpost_getpc34024:
	s_add_u32 s14, s14, (.LBB2_10706-.Lpost_getpc34024)&4294967295
	s_addc_u32 s15, s15, (.LBB2_10706-.Lpost_getpc34024)>>32
	s_setpc_b64 s[14:15]
.LBB2_25044:
	v_cmp_ne_u16_e32 vcc, 0, v3
	s_andn2_b64 s[4:5], s[4:5], exec
	s_and_b64 s[8:9], vcc, exec
	v_mov_b32_e32 v2, 0
	s_or_b64 s[4:5], s[4:5], s[8:9]
	s_or_b64 exec, exec, s[6:7]
	s_and_saveexec_b64 s[6:7], s[4:5]
	s_cbranch_execz .LBB2_34025
; %bb.60883:
	s_getpc_b64 s[14:15]
.Lpost_getpc34025:
	s_add_u32 s14, s14, (.LBB2_10707-.Lpost_getpc34025)&4294967295
	s_addc_u32 s15, s15, (.LBB2_10707-.Lpost_getpc34025)>>32
	s_setpc_b64 s[14:15]
.LBB2_34025:
	s_getpc_b64 s[14:15]
.Lpost_getpc20596:
	s_add_u32 s14, s14, (.LBB2_10708-.Lpost_getpc20596)&4294967295
	s_addc_u32 s15, s15, (.LBB2_10708-.Lpost_getpc20596)>>32
	s_setpc_b64 s[14:15]
.LBB2_25045:
	s_movk_i32 s4, 0x80
	v_cmp_eq_u16_e32 vcc, s4, v3
	s_mov_b64 s[4:5], -1
                                        ; implicit-def: $sgpr10
	s_and_saveexec_b64 s[8:9], vcc
; %bb.25046:
	s_mov_b32 s10, 0x7f800001
	s_xor_b64 s[4:5], exec, -1
; %bb.25047:
	s_or_b64 exec, exec, s[8:9]
	s_and_b64 s[4:5], s[4:5], exec
                                        ; implicit-def: $vgpr3
	s_or_saveexec_b64 s[6:7], s[6:7]
	v_mov_b32_e32 v6, s10
	s_xor_b64 exec, exec, s[6:7]
	s_cbranch_execnz .LBB2_25048
; %bb.60885:
	s_getpc_b64 s[14:15]
.Lpost_getpc34026:
	s_add_u32 s14, s14, (.LBB2_10710-.Lpost_getpc34026)&4294967295
	s_addc_u32 s15, s15, (.LBB2_10710-.Lpost_getpc34026)>>32
	s_setpc_b64 s[14:15]
.LBB2_25048:
	v_cmp_ne_u16_e32 vcc, 0, v3
	s_andn2_b64 s[4:5], s[4:5], exec
	s_and_b64 s[8:9], vcc, exec
	v_mov_b32_e32 v6, 0
	s_or_b64 s[4:5], s[4:5], s[8:9]
	s_or_b64 exec, exec, s[6:7]
	s_and_saveexec_b64 s[6:7], s[4:5]
	s_cbranch_execz .LBB2_34027
; %bb.60887:
	s_getpc_b64 s[14:15]
.Lpost_getpc34027:
	s_add_u32 s14, s14, (.LBB2_10711-.Lpost_getpc34027)&4294967295
	s_addc_u32 s15, s15, (.LBB2_10711-.Lpost_getpc34027)>>32
	s_setpc_b64 s[14:15]
.LBB2_34027:
	s_getpc_b64 s[14:15]
.Lpost_getpc20597:
	s_add_u32 s14, s14, (.LBB2_10712-.Lpost_getpc20597)&4294967295
	s_addc_u32 s15, s15, (.LBB2_10712-.Lpost_getpc20597)>>32
	s_setpc_b64 s[14:15]
.LBB2_25049:
	s_movk_i32 s4, 0x80
	v_cmp_eq_u16_sdwa s[12:13], v8, s4 src0_sel:BYTE_3 src1_sel:DWORD
	s_mov_b64 s[4:5], -1
                                        ; implicit-def: $sgpr10
	s_and_saveexec_b64 s[8:9], s[12:13]
; %bb.25050:
	s_mov_b32 s10, 0x7f800001
	s_xor_b64 s[4:5], exec, -1
; %bb.25051:
	s_or_b64 exec, exec, s[8:9]
	s_and_b64 s[4:5], s[4:5], exec
	s_or_saveexec_b64 s[6:7], s[6:7]
	v_mov_b32_e32 v2, s10
	s_xor_b64 exec, exec, s[6:7]
	s_cbranch_execnz .LBB2_25052
; %bb.60889:
	s_getpc_b64 s[14:15]
.Lpost_getpc34028:
	s_add_u32 s14, s14, (.LBB2_10714-.Lpost_getpc34028)&4294967295
	s_addc_u32 s15, s15, (.LBB2_10714-.Lpost_getpc34028)>>32
	s_setpc_b64 s[14:15]
.LBB2_25052:
	v_mov_b32_e32 v2, 0
	v_cmp_ne_u16_sdwa s[8:9], v8, v2 src0_sel:BYTE_3 src1_sel:DWORD
	s_andn2_b64 s[4:5], s[4:5], exec
	s_and_b64 s[8:9], s[8:9], exec
	s_or_b64 s[4:5], s[4:5], s[8:9]
	s_or_b64 exec, exec, s[6:7]
	s_and_saveexec_b64 s[6:7], s[4:5]
	s_cbranch_execz .LBB2_34029
; %bb.60891:
	s_getpc_b64 s[14:15]
.Lpost_getpc34029:
	s_add_u32 s14, s14, (.LBB2_10715-.Lpost_getpc34029)&4294967295
	s_addc_u32 s15, s15, (.LBB2_10715-.Lpost_getpc34029)>>32
	s_setpc_b64 s[14:15]
.LBB2_34029:
	s_getpc_b64 s[14:15]
.Lpost_getpc20598:
	s_add_u32 s14, s14, (.LBB2_10716-.Lpost_getpc20598)&4294967295
	s_addc_u32 s15, s15, (.LBB2_10716-.Lpost_getpc20598)>>32
	s_setpc_b64 s[14:15]
.LBB2_25053:
	s_movk_i32 s4, 0x80
	v_cmp_eq_u16_sdwa s[12:13], v4, s4 src0_sel:BYTE_3 src1_sel:DWORD
	s_mov_b64 s[4:5], -1
                                        ; implicit-def: $sgpr10
	s_and_saveexec_b64 s[8:9], s[12:13]
; %bb.25054:
	s_mov_b32 s10, 0x7f800001
	s_xor_b64 s[4:5], exec, -1
; %bb.25055:
	s_or_b64 exec, exec, s[8:9]
	s_and_b64 s[4:5], s[4:5], exec
	s_or_saveexec_b64 s[6:7], s[6:7]
	v_mov_b32_e32 v3, s10
	s_xor_b64 exec, exec, s[6:7]
	s_cbranch_execnz .LBB2_25056
; %bb.60893:
	s_getpc_b64 s[14:15]
.Lpost_getpc34030:
	s_add_u32 s14, s14, (.LBB2_10718-.Lpost_getpc34030)&4294967295
	s_addc_u32 s15, s15, (.LBB2_10718-.Lpost_getpc34030)>>32
	s_setpc_b64 s[14:15]
.LBB2_25056:
	v_mov_b32_e32 v3, 0
	v_cmp_ne_u16_sdwa s[8:9], v4, v3 src0_sel:BYTE_3 src1_sel:DWORD
	s_andn2_b64 s[4:5], s[4:5], exec
	s_and_b64 s[8:9], s[8:9], exec
	s_or_b64 s[4:5], s[4:5], s[8:9]
	s_or_b64 exec, exec, s[6:7]
	s_and_saveexec_b64 s[6:7], s[4:5]
	s_cbranch_execz .LBB2_34031
; %bb.60895:
	s_getpc_b64 s[14:15]
.Lpost_getpc34031:
	s_add_u32 s14, s14, (.LBB2_10719-.Lpost_getpc34031)&4294967295
	s_addc_u32 s15, s15, (.LBB2_10719-.Lpost_getpc34031)>>32
	s_setpc_b64 s[14:15]
.LBB2_34031:
	s_getpc_b64 s[14:15]
.Lpost_getpc20599:
	s_add_u32 s14, s14, (.LBB2_10720-.Lpost_getpc20599)&4294967295
	s_addc_u32 s15, s15, (.LBB2_10720-.Lpost_getpc20599)>>32
	s_setpc_b64 s[14:15]
.LBB2_25057:
	s_movk_i32 s4, 0x80
	v_cmp_eq_u16_sdwa s[12:13], v9, s4 src0_sel:BYTE_0 src1_sel:DWORD
	s_mov_b64 s[4:5], -1
                                        ; implicit-def: $sgpr10
	s_and_saveexec_b64 s[8:9], s[12:13]
; %bb.25058:
	s_mov_b32 s10, 0x7f800001
	s_xor_b64 s[4:5], exec, -1
; %bb.25059:
	s_or_b64 exec, exec, s[8:9]
	s_and_b64 s[4:5], s[4:5], exec
	s_or_saveexec_b64 s[6:7], s[6:7]
	v_mov_b32_e32 v2, s10
	s_xor_b64 exec, exec, s[6:7]
	s_cbranch_execnz .LBB2_25060
; %bb.60897:
	s_getpc_b64 s[14:15]
.Lpost_getpc34032:
	s_add_u32 s14, s14, (.LBB2_10722-.Lpost_getpc34032)&4294967295
	s_addc_u32 s15, s15, (.LBB2_10722-.Lpost_getpc34032)>>32
	s_setpc_b64 s[14:15]
.LBB2_25060:
	v_mov_b32_e32 v2, 0
	v_cmp_ne_u16_sdwa s[8:9], v9, v2 src0_sel:BYTE_0 src1_sel:DWORD
	s_andn2_b64 s[4:5], s[4:5], exec
	s_and_b64 s[8:9], s[8:9], exec
	s_or_b64 s[4:5], s[4:5], s[8:9]
	s_or_b64 exec, exec, s[6:7]
	s_and_saveexec_b64 s[6:7], s[4:5]
	s_cbranch_execz .LBB2_34033
; %bb.60899:
	s_getpc_b64 s[14:15]
.Lpost_getpc34033:
	s_add_u32 s14, s14, (.LBB2_10723-.Lpost_getpc34033)&4294967295
	s_addc_u32 s15, s15, (.LBB2_10723-.Lpost_getpc34033)>>32
	s_setpc_b64 s[14:15]
.LBB2_34033:
	s_getpc_b64 s[14:15]
.Lpost_getpc20600:
	s_add_u32 s14, s14, (.LBB2_10724-.Lpost_getpc20600)&4294967295
	s_addc_u32 s15, s15, (.LBB2_10724-.Lpost_getpc20600)>>32
	s_setpc_b64 s[14:15]
.LBB2_25061:
	s_movk_i32 s4, 0x80
	v_cmp_eq_u16_sdwa s[12:13], v5, s4 src0_sel:BYTE_0 src1_sel:DWORD
	s_mov_b64 s[4:5], -1
                                        ; implicit-def: $sgpr10
	s_and_saveexec_b64 s[8:9], s[12:13]
; %bb.25062:
	s_mov_b32 s10, 0x7f800001
	s_xor_b64 s[4:5], exec, -1
; %bb.25063:
	s_or_b64 exec, exec, s[8:9]
	s_and_b64 s[4:5], s[4:5], exec
	s_or_saveexec_b64 s[6:7], s[6:7]
	v_mov_b32_e32 v3, s10
	s_xor_b64 exec, exec, s[6:7]
	s_cbranch_execnz .LBB2_25064
; %bb.60901:
	s_getpc_b64 s[14:15]
.Lpost_getpc34034:
	s_add_u32 s14, s14, (.LBB2_10726-.Lpost_getpc34034)&4294967295
	s_addc_u32 s15, s15, (.LBB2_10726-.Lpost_getpc34034)>>32
	s_setpc_b64 s[14:15]
.LBB2_25064:
	v_mov_b32_e32 v3, 0
	v_cmp_ne_u16_sdwa s[8:9], v5, v3 src0_sel:BYTE_0 src1_sel:DWORD
	s_andn2_b64 s[4:5], s[4:5], exec
	s_and_b64 s[8:9], s[8:9], exec
	s_or_b64 s[4:5], s[4:5], s[8:9]
	s_or_b64 exec, exec, s[6:7]
	s_and_saveexec_b64 s[6:7], s[4:5]
	s_cbranch_execz .LBB2_34035
; %bb.60903:
	s_getpc_b64 s[14:15]
.Lpost_getpc34035:
	s_add_u32 s14, s14, (.LBB2_10727-.Lpost_getpc34035)&4294967295
	s_addc_u32 s15, s15, (.LBB2_10727-.Lpost_getpc34035)>>32
	s_setpc_b64 s[14:15]
.LBB2_34035:
	s_getpc_b64 s[14:15]
.Lpost_getpc20601:
	s_add_u32 s14, s14, (.LBB2_10728-.Lpost_getpc20601)&4294967295
	s_addc_u32 s15, s15, (.LBB2_10728-.Lpost_getpc20601)>>32
	s_setpc_b64 s[14:15]
.LBB2_25065:
	s_movk_i32 s4, 0x80
	v_cmp_eq_u16_sdwa s[12:13], v3, s4 src0_sel:BYTE_0 src1_sel:DWORD
	s_mov_b64 s[4:5], -1
                                        ; implicit-def: $sgpr10
	s_and_saveexec_b64 s[8:9], s[12:13]
; %bb.25066:
	s_mov_b32 s10, 0x7f800001
	s_xor_b64 s[4:5], exec, -1
; %bb.25067:
	s_or_b64 exec, exec, s[8:9]
	s_and_b64 s[4:5], s[4:5], exec
	s_or_saveexec_b64 s[6:7], s[6:7]
	v_mov_b32_e32 v2, s10
	s_xor_b64 exec, exec, s[6:7]
	s_cbranch_execnz .LBB2_25068
; %bb.60905:
	s_getpc_b64 s[14:15]
.Lpost_getpc34036:
	s_add_u32 s14, s14, (.LBB2_10730-.Lpost_getpc34036)&4294967295
	s_addc_u32 s15, s15, (.LBB2_10730-.Lpost_getpc34036)>>32
	s_setpc_b64 s[14:15]
.LBB2_25068:
	v_mov_b32_e32 v2, 0
	v_cmp_ne_u16_sdwa s[8:9], v3, v2 src0_sel:BYTE_0 src1_sel:DWORD
	s_andn2_b64 s[4:5], s[4:5], exec
	s_and_b64 s[8:9], s[8:9], exec
	s_or_b64 s[4:5], s[4:5], s[8:9]
	s_or_b64 exec, exec, s[6:7]
	s_and_saveexec_b64 s[6:7], s[4:5]
	s_cbranch_execz .LBB2_34037
; %bb.60907:
	s_getpc_b64 s[14:15]
.Lpost_getpc34037:
	s_add_u32 s14, s14, (.LBB2_10731-.Lpost_getpc34037)&4294967295
	s_addc_u32 s15, s15, (.LBB2_10731-.Lpost_getpc34037)>>32
	s_setpc_b64 s[14:15]
.LBB2_34037:
	s_getpc_b64 s[14:15]
.Lpost_getpc20602:
	s_add_u32 s14, s14, (.LBB2_10732-.Lpost_getpc20602)&4294967295
	s_addc_u32 s15, s15, (.LBB2_10732-.Lpost_getpc20602)>>32
	s_setpc_b64 s[14:15]
.LBB2_25069:
	s_movk_i32 s4, 0x80
	v_cmp_eq_u16_sdwa s[12:13], v3, s4 src0_sel:BYTE_0 src1_sel:DWORD
	s_mov_b64 s[4:5], -1
                                        ; implicit-def: $sgpr10
	s_and_saveexec_b64 s[8:9], s[12:13]
; %bb.25070:
	s_mov_b32 s10, 0x7f800001
	s_xor_b64 s[4:5], exec, -1
; %bb.25071:
	s_or_b64 exec, exec, s[8:9]
	s_and_b64 s[4:5], s[4:5], exec
	s_or_saveexec_b64 s[6:7], s[6:7]
	v_mov_b32_e32 v4, s10
	s_xor_b64 exec, exec, s[6:7]
	s_cbranch_execnz .LBB2_25072
; %bb.60909:
	s_getpc_b64 s[14:15]
.Lpost_getpc34038:
	s_add_u32 s14, s14, (.LBB2_10734-.Lpost_getpc34038)&4294967295
	s_addc_u32 s15, s15, (.LBB2_10734-.Lpost_getpc34038)>>32
	s_setpc_b64 s[14:15]
.LBB2_25072:
	v_mov_b32_e32 v4, 0
	v_cmp_ne_u16_sdwa s[8:9], v3, v4 src0_sel:BYTE_0 src1_sel:DWORD
	s_andn2_b64 s[4:5], s[4:5], exec
	s_and_b64 s[8:9], s[8:9], exec
	s_or_b64 s[4:5], s[4:5], s[8:9]
	s_or_b64 exec, exec, s[6:7]
	s_and_saveexec_b64 s[6:7], s[4:5]
	s_cbranch_execz .LBB2_34039
; %bb.60911:
	s_getpc_b64 s[14:15]
.Lpost_getpc34039:
	s_add_u32 s14, s14, (.LBB2_10735-.Lpost_getpc34039)&4294967295
	s_addc_u32 s15, s15, (.LBB2_10735-.Lpost_getpc34039)>>32
	s_setpc_b64 s[14:15]
.LBB2_34039:
	s_getpc_b64 s[14:15]
.Lpost_getpc20603:
	s_add_u32 s14, s14, (.LBB2_10736-.Lpost_getpc20603)&4294967295
	s_addc_u32 s15, s15, (.LBB2_10736-.Lpost_getpc20603)>>32
	s_setpc_b64 s[14:15]
.LBB2_25073:
	s_movk_i32 s4, 0x80
	v_cmp_eq_u16_e32 vcc, s4, v3
	s_mov_b64 s[4:5], -1
                                        ; implicit-def: $sgpr10
	s_and_saveexec_b64 s[8:9], vcc
; %bb.25074:
	s_mov_b32 s10, 0x7f800001
	s_xor_b64 s[4:5], exec, -1
; %bb.25075:
	s_or_b64 exec, exec, s[8:9]
	s_and_b64 s[4:5], s[4:5], exec
                                        ; implicit-def: $vgpr3
	s_or_saveexec_b64 s[6:7], s[6:7]
	v_mov_b32_e32 v2, s10
	s_xor_b64 exec, exec, s[6:7]
	s_cbranch_execnz .LBB2_25076
; %bb.60913:
	s_getpc_b64 s[14:15]
.Lpost_getpc34040:
	s_add_u32 s14, s14, (.LBB2_10738-.Lpost_getpc34040)&4294967295
	s_addc_u32 s15, s15, (.LBB2_10738-.Lpost_getpc34040)>>32
	s_setpc_b64 s[14:15]
.LBB2_25076:
	v_cmp_ne_u16_e32 vcc, 0, v3
	s_andn2_b64 s[4:5], s[4:5], exec
	s_and_b64 s[8:9], vcc, exec
	v_mov_b32_e32 v2, 0
	s_or_b64 s[4:5], s[4:5], s[8:9]
	s_or_b64 exec, exec, s[6:7]
	s_and_saveexec_b64 s[6:7], s[4:5]
	s_cbranch_execz .LBB2_34041
; %bb.60915:
	s_getpc_b64 s[14:15]
.Lpost_getpc34041:
	s_add_u32 s14, s14, (.LBB2_10739-.Lpost_getpc34041)&4294967295
	s_addc_u32 s15, s15, (.LBB2_10739-.Lpost_getpc34041)>>32
	s_setpc_b64 s[14:15]
.LBB2_34041:
	s_getpc_b64 s[14:15]
.Lpost_getpc20604:
	s_add_u32 s14, s14, (.LBB2_10740-.Lpost_getpc20604)&4294967295
	s_addc_u32 s15, s15, (.LBB2_10740-.Lpost_getpc20604)>>32
	s_setpc_b64 s[14:15]
.LBB2_25077:
	s_movk_i32 s4, 0x80
	v_cmp_eq_u16_e32 vcc, s4, v3
	s_mov_b64 s[4:5], -1
                                        ; implicit-def: $sgpr10
	s_and_saveexec_b64 s[8:9], vcc
; %bb.25078:
	s_mov_b32 s10, 0x7f800001
	s_xor_b64 s[4:5], exec, -1
; %bb.25079:
	s_or_b64 exec, exec, s[8:9]
	s_and_b64 s[4:5], s[4:5], exec
                                        ; implicit-def: $vgpr3
	s_or_saveexec_b64 s[6:7], s[6:7]
	v_mov_b32_e32 v4, s10
	s_xor_b64 exec, exec, s[6:7]
	s_cbranch_execnz .LBB2_25080
; %bb.60917:
	s_getpc_b64 s[14:15]
.Lpost_getpc34042:
	s_add_u32 s14, s14, (.LBB2_10742-.Lpost_getpc34042)&4294967295
	s_addc_u32 s15, s15, (.LBB2_10742-.Lpost_getpc34042)>>32
	s_setpc_b64 s[14:15]
.LBB2_25080:
	v_cmp_ne_u16_e32 vcc, 0, v3
	s_andn2_b64 s[4:5], s[4:5], exec
	s_and_b64 s[8:9], vcc, exec
	v_mov_b32_e32 v4, 0
	s_or_b64 s[4:5], s[4:5], s[8:9]
	s_or_b64 exec, exec, s[6:7]
	s_and_saveexec_b64 s[6:7], s[4:5]
	s_cbranch_execz .LBB2_34043
; %bb.60919:
	s_getpc_b64 s[14:15]
.Lpost_getpc34043:
	s_add_u32 s14, s14, (.LBB2_10743-.Lpost_getpc34043)&4294967295
	s_addc_u32 s15, s15, (.LBB2_10743-.Lpost_getpc34043)>>32
	s_setpc_b64 s[14:15]
.LBB2_34043:
	s_getpc_b64 s[14:15]
.Lpost_getpc20605:
	s_add_u32 s14, s14, (.LBB2_10744-.Lpost_getpc20605)&4294967295
	s_addc_u32 s15, s15, (.LBB2_10744-.Lpost_getpc20605)>>32
	s_setpc_b64 s[14:15]
.LBB2_25081:
	s_movk_i32 s4, 0x80
	v_cmp_eq_u16_sdwa s[12:13], v9, s4 src0_sel:BYTE_3 src1_sel:DWORD
	s_mov_b64 s[4:5], -1
                                        ; implicit-def: $sgpr10
	s_and_saveexec_b64 s[8:9], s[12:13]
; %bb.25082:
	s_mov_b32 s10, 0x7f800001
	s_xor_b64 s[4:5], exec, -1
; %bb.25083:
	s_or_b64 exec, exec, s[8:9]
	s_and_b64 s[4:5], s[4:5], exec
	s_or_saveexec_b64 s[6:7], s[6:7]
	v_mov_b32_e32 v2, s10
	s_xor_b64 exec, exec, s[6:7]
	s_cbranch_execnz .LBB2_25084
; %bb.60921:
	s_getpc_b64 s[14:15]
.Lpost_getpc34044:
	s_add_u32 s14, s14, (.LBB2_10746-.Lpost_getpc34044)&4294967295
	s_addc_u32 s15, s15, (.LBB2_10746-.Lpost_getpc34044)>>32
	s_setpc_b64 s[14:15]
.LBB2_25084:
	v_mov_b32_e32 v2, 0
	v_cmp_ne_u16_sdwa s[8:9], v9, v2 src0_sel:BYTE_3 src1_sel:DWORD
	s_andn2_b64 s[4:5], s[4:5], exec
	s_and_b64 s[8:9], s[8:9], exec
	s_or_b64 s[4:5], s[4:5], s[8:9]
	s_or_b64 exec, exec, s[6:7]
	s_and_saveexec_b64 s[6:7], s[4:5]
	s_cbranch_execz .LBB2_34045
; %bb.60923:
	s_getpc_b64 s[14:15]
.Lpost_getpc34045:
	s_add_u32 s14, s14, (.LBB2_10747-.Lpost_getpc34045)&4294967295
	s_addc_u32 s15, s15, (.LBB2_10747-.Lpost_getpc34045)>>32
	s_setpc_b64 s[14:15]
.LBB2_34045:
	s_getpc_b64 s[14:15]
.Lpost_getpc20606:
	s_add_u32 s14, s14, (.LBB2_10748-.Lpost_getpc20606)&4294967295
	s_addc_u32 s15, s15, (.LBB2_10748-.Lpost_getpc20606)>>32
	s_setpc_b64 s[14:15]
.LBB2_25085:
	s_movk_i32 s4, 0x80
	v_cmp_eq_u16_sdwa s[12:13], v5, s4 src0_sel:BYTE_3 src1_sel:DWORD
	s_mov_b64 s[4:5], -1
                                        ; implicit-def: $sgpr10
	s_and_saveexec_b64 s[8:9], s[12:13]
; %bb.25086:
	s_mov_b32 s10, 0x7f800001
	s_xor_b64 s[4:5], exec, -1
; %bb.25087:
	s_or_b64 exec, exec, s[8:9]
	s_and_b64 s[4:5], s[4:5], exec
	s_or_saveexec_b64 s[6:7], s[6:7]
	v_mov_b32_e32 v3, s10
	s_xor_b64 exec, exec, s[6:7]
	s_cbranch_execnz .LBB2_25088
; %bb.60925:
	s_getpc_b64 s[14:15]
.Lpost_getpc34046:
	s_add_u32 s14, s14, (.LBB2_10750-.Lpost_getpc34046)&4294967295
	s_addc_u32 s15, s15, (.LBB2_10750-.Lpost_getpc34046)>>32
	s_setpc_b64 s[14:15]
.LBB2_25088:
	v_mov_b32_e32 v3, 0
	v_cmp_ne_u16_sdwa s[8:9], v5, v3 src0_sel:BYTE_3 src1_sel:DWORD
	s_andn2_b64 s[4:5], s[4:5], exec
	s_and_b64 s[8:9], s[8:9], exec
	s_or_b64 s[4:5], s[4:5], s[8:9]
	s_or_b64 exec, exec, s[6:7]
	s_and_saveexec_b64 s[6:7], s[4:5]
	s_cbranch_execz .LBB2_34047
; %bb.60927:
	s_getpc_b64 s[14:15]
.Lpost_getpc34047:
	s_add_u32 s14, s14, (.LBB2_10751-.Lpost_getpc34047)&4294967295
	s_addc_u32 s15, s15, (.LBB2_10751-.Lpost_getpc34047)>>32
	s_setpc_b64 s[14:15]
.LBB2_34047:
	s_getpc_b64 s[14:15]
.Lpost_getpc20607:
	s_add_u32 s14, s14, (.LBB2_10752-.Lpost_getpc20607)&4294967295
	s_addc_u32 s15, s15, (.LBB2_10752-.Lpost_getpc20607)>>32
	s_setpc_b64 s[14:15]
.LBB2_25089:
	s_movk_i32 s4, 0x80
	v_cmp_eq_u16_sdwa s[12:13], v6, s4 src0_sel:BYTE_0 src1_sel:DWORD
	s_mov_b64 s[4:5], -1
                                        ; implicit-def: $sgpr10
	s_and_saveexec_b64 s[8:9], s[12:13]
; %bb.25090:
	s_mov_b32 s10, 0x7f800001
	s_xor_b64 s[4:5], exec, -1
; %bb.25091:
	s_or_b64 exec, exec, s[8:9]
	s_and_b64 s[4:5], s[4:5], exec
	s_or_saveexec_b64 s[6:7], s[6:7]
	v_mov_b32_e32 v12, s10
	s_xor_b64 exec, exec, s[6:7]
	s_cbranch_execnz .LBB2_25092
; %bb.60929:
	s_getpc_b64 s[14:15]
.Lpost_getpc34048:
	s_add_u32 s14, s14, (.LBB2_10754-.Lpost_getpc34048)&4294967295
	s_addc_u32 s15, s15, (.LBB2_10754-.Lpost_getpc34048)>>32
	s_setpc_b64 s[14:15]
.LBB2_25092:
	v_mov_b32_e32 v12, 0
	v_cmp_ne_u16_sdwa s[8:9], v6, v12 src0_sel:BYTE_0 src1_sel:DWORD
	s_andn2_b64 s[4:5], s[4:5], exec
	s_and_b64 s[8:9], s[8:9], exec
	s_or_b64 s[4:5], s[4:5], s[8:9]
	s_or_b64 exec, exec, s[6:7]
	s_and_saveexec_b64 s[6:7], s[4:5]
	s_cbranch_execz .LBB2_34049
; %bb.60931:
	s_getpc_b64 s[14:15]
.Lpost_getpc34049:
	s_add_u32 s14, s14, (.LBB2_10755-.Lpost_getpc34049)&4294967295
	s_addc_u32 s15, s15, (.LBB2_10755-.Lpost_getpc34049)>>32
	s_setpc_b64 s[14:15]
.LBB2_34049:
	s_getpc_b64 s[14:15]
.Lpost_getpc20608:
	s_add_u32 s14, s14, (.LBB2_10756-.Lpost_getpc20608)&4294967295
	s_addc_u32 s15, s15, (.LBB2_10756-.Lpost_getpc20608)>>32
	s_setpc_b64 s[14:15]
.LBB2_25093:
	s_movk_i32 s4, 0x80
	v_cmp_eq_u16_sdwa s[12:13], v2, s4 src0_sel:BYTE_0 src1_sel:DWORD
	s_mov_b64 s[4:5], -1
                                        ; implicit-def: $sgpr10
	s_and_saveexec_b64 s[8:9], s[12:13]
; %bb.25094:
	s_mov_b32 s10, 0x7f800001
	s_xor_b64 s[4:5], exec, -1
; %bb.25095:
	s_or_b64 exec, exec, s[8:9]
	s_and_b64 s[4:5], s[4:5], exec
	s_or_saveexec_b64 s[6:7], s[6:7]
	v_mov_b32_e32 v13, s10
	s_xor_b64 exec, exec, s[6:7]
	s_cbranch_execnz .LBB2_25096
; %bb.60933:
	s_getpc_b64 s[14:15]
.Lpost_getpc34050:
	s_add_u32 s14, s14, (.LBB2_10758-.Lpost_getpc34050)&4294967295
	s_addc_u32 s15, s15, (.LBB2_10758-.Lpost_getpc34050)>>32
	s_setpc_b64 s[14:15]
.LBB2_25096:
	v_mov_b32_e32 v13, 0
	v_cmp_ne_u16_sdwa s[8:9], v2, v13 src0_sel:BYTE_0 src1_sel:DWORD
	s_andn2_b64 s[4:5], s[4:5], exec
	s_and_b64 s[8:9], s[8:9], exec
	s_or_b64 s[4:5], s[4:5], s[8:9]
	s_or_b64 exec, exec, s[6:7]
	s_and_saveexec_b64 s[6:7], s[4:5]
	s_cbranch_execz .LBB2_34051
; %bb.60935:
	s_getpc_b64 s[14:15]
.Lpost_getpc34051:
	s_add_u32 s14, s14, (.LBB2_10759-.Lpost_getpc34051)&4294967295
	s_addc_u32 s15, s15, (.LBB2_10759-.Lpost_getpc34051)>>32
	s_setpc_b64 s[14:15]
.LBB2_34051:
	s_getpc_b64 s[14:15]
.Lpost_getpc20609:
	s_add_u32 s14, s14, (.LBB2_10760-.Lpost_getpc20609)&4294967295
	s_addc_u32 s15, s15, (.LBB2_10760-.Lpost_getpc20609)>>32
	s_setpc_b64 s[14:15]
.LBB2_25097:
	s_movk_i32 s4, 0x80
	v_cmp_eq_u16_sdwa s[12:13], v13, s4 src0_sel:BYTE_0 src1_sel:DWORD
	s_mov_b64 s[4:5], -1
                                        ; implicit-def: $sgpr10
	s_and_saveexec_b64 s[8:9], s[12:13]
; %bb.25098:
	s_mov_b32 s10, 0x7f800001
	s_xor_b64 s[4:5], exec, -1
; %bb.25099:
	s_or_b64 exec, exec, s[8:9]
	s_and_b64 s[4:5], s[4:5], exec
	s_or_saveexec_b64 s[6:7], s[6:7]
	v_mov_b32_e32 v12, s10
	s_xor_b64 exec, exec, s[6:7]
	s_cbranch_execnz .LBB2_25100
; %bb.60937:
	s_getpc_b64 s[14:15]
.Lpost_getpc34052:
	s_add_u32 s14, s14, (.LBB2_10762-.Lpost_getpc34052)&4294967295
	s_addc_u32 s15, s15, (.LBB2_10762-.Lpost_getpc34052)>>32
	s_setpc_b64 s[14:15]
.LBB2_25100:
	v_mov_b32_e32 v12, 0
	v_cmp_ne_u16_sdwa s[8:9], v13, v12 src0_sel:BYTE_0 src1_sel:DWORD
	s_andn2_b64 s[4:5], s[4:5], exec
	s_and_b64 s[8:9], s[8:9], exec
	s_or_b64 s[4:5], s[4:5], s[8:9]
	s_or_b64 exec, exec, s[6:7]
	s_and_saveexec_b64 s[6:7], s[4:5]
	s_cbranch_execz .LBB2_34053
; %bb.60939:
	s_getpc_b64 s[14:15]
.Lpost_getpc34053:
	s_add_u32 s14, s14, (.LBB2_10763-.Lpost_getpc34053)&4294967295
	s_addc_u32 s15, s15, (.LBB2_10763-.Lpost_getpc34053)>>32
	s_setpc_b64 s[14:15]
.LBB2_34053:
	s_getpc_b64 s[14:15]
.Lpost_getpc20610:
	s_add_u32 s14, s14, (.LBB2_10764-.Lpost_getpc20610)&4294967295
	s_addc_u32 s15, s15, (.LBB2_10764-.Lpost_getpc20610)>>32
	s_setpc_b64 s[14:15]
.LBB2_25101:
	s_movk_i32 s4, 0x80
	v_cmp_eq_u16_sdwa s[12:13], v13, s4 src0_sel:BYTE_0 src1_sel:DWORD
	s_mov_b64 s[4:5], -1
                                        ; implicit-def: $sgpr10
	s_and_saveexec_b64 s[8:9], s[12:13]
; %bb.25102:
	s_mov_b32 s10, 0x7f800001
	s_xor_b64 s[4:5], exec, -1
; %bb.25103:
	s_or_b64 exec, exec, s[8:9]
	s_and_b64 s[4:5], s[4:5], exec
	s_or_saveexec_b64 s[6:7], s[6:7]
	v_mov_b32_e32 v14, s10
	s_xor_b64 exec, exec, s[6:7]
	s_cbranch_execnz .LBB2_25104
; %bb.60941:
	s_getpc_b64 s[14:15]
.Lpost_getpc34054:
	s_add_u32 s14, s14, (.LBB2_10766-.Lpost_getpc34054)&4294967295
	s_addc_u32 s15, s15, (.LBB2_10766-.Lpost_getpc34054)>>32
	s_setpc_b64 s[14:15]
.LBB2_25104:
	v_mov_b32_e32 v14, 0
	v_cmp_ne_u16_sdwa s[8:9], v13, v14 src0_sel:BYTE_0 src1_sel:DWORD
	s_andn2_b64 s[4:5], s[4:5], exec
	s_and_b64 s[8:9], s[8:9], exec
	s_or_b64 s[4:5], s[4:5], s[8:9]
	s_or_b64 exec, exec, s[6:7]
	s_and_saveexec_b64 s[6:7], s[4:5]
	s_cbranch_execz .LBB2_34055
; %bb.60943:
	s_getpc_b64 s[14:15]
.Lpost_getpc34055:
	s_add_u32 s14, s14, (.LBB2_10767-.Lpost_getpc34055)&4294967295
	s_addc_u32 s15, s15, (.LBB2_10767-.Lpost_getpc34055)>>32
	s_setpc_b64 s[14:15]
.LBB2_34055:
	s_getpc_b64 s[14:15]
.Lpost_getpc20611:
	s_add_u32 s14, s14, (.LBB2_10768-.Lpost_getpc20611)&4294967295
	s_addc_u32 s15, s15, (.LBB2_10768-.Lpost_getpc20611)>>32
	s_setpc_b64 s[14:15]
.LBB2_25105:
	s_movk_i32 s4, 0x80
	v_cmp_eq_u16_e32 vcc, s4, v13
	s_mov_b64 s[4:5], -1
                                        ; implicit-def: $sgpr10
	s_and_saveexec_b64 s[8:9], vcc
; %bb.25106:
	s_mov_b32 s10, 0x7f800001
	s_xor_b64 s[4:5], exec, -1
; %bb.25107:
	s_or_b64 exec, exec, s[8:9]
	s_and_b64 s[4:5], s[4:5], exec
                                        ; implicit-def: $vgpr13
	s_or_saveexec_b64 s[6:7], s[6:7]
	v_mov_b32_e32 v12, s10
	s_xor_b64 exec, exec, s[6:7]
	s_cbranch_execnz .LBB2_25108
; %bb.60945:
	s_getpc_b64 s[14:15]
.Lpost_getpc34056:
	s_add_u32 s14, s14, (.LBB2_10770-.Lpost_getpc34056)&4294967295
	s_addc_u32 s15, s15, (.LBB2_10770-.Lpost_getpc34056)>>32
	s_setpc_b64 s[14:15]
.LBB2_25108:
	v_cmp_ne_u16_e32 vcc, 0, v13
	s_andn2_b64 s[4:5], s[4:5], exec
	s_and_b64 s[8:9], vcc, exec
	v_mov_b32_e32 v12, 0
	s_or_b64 s[4:5], s[4:5], s[8:9]
	s_or_b64 exec, exec, s[6:7]
	s_and_saveexec_b64 s[6:7], s[4:5]
	s_cbranch_execz .LBB2_34057
; %bb.60947:
	s_getpc_b64 s[14:15]
.Lpost_getpc34057:
	s_add_u32 s14, s14, (.LBB2_10771-.Lpost_getpc34057)&4294967295
	s_addc_u32 s15, s15, (.LBB2_10771-.Lpost_getpc34057)>>32
	s_setpc_b64 s[14:15]
.LBB2_34057:
	s_getpc_b64 s[14:15]
.Lpost_getpc20612:
	s_add_u32 s14, s14, (.LBB2_10772-.Lpost_getpc20612)&4294967295
	s_addc_u32 s15, s15, (.LBB2_10772-.Lpost_getpc20612)>>32
	s_setpc_b64 s[14:15]
.LBB2_25109:
	s_movk_i32 s4, 0x80
	v_cmp_eq_u16_e32 vcc, s4, v13
	s_mov_b64 s[4:5], -1
                                        ; implicit-def: $sgpr10
	s_and_saveexec_b64 s[8:9], vcc
; %bb.25110:
	s_mov_b32 s10, 0x7f800001
	s_xor_b64 s[4:5], exec, -1
; %bb.25111:
	s_or_b64 exec, exec, s[8:9]
	s_and_b64 s[4:5], s[4:5], exec
                                        ; implicit-def: $vgpr13
	s_or_saveexec_b64 s[6:7], s[6:7]
	v_mov_b32_e32 v14, s10
	s_xor_b64 exec, exec, s[6:7]
	s_cbranch_execnz .LBB2_25112
; %bb.60949:
	s_getpc_b64 s[14:15]
.Lpost_getpc34058:
	s_add_u32 s14, s14, (.LBB2_10774-.Lpost_getpc34058)&4294967295
	s_addc_u32 s15, s15, (.LBB2_10774-.Lpost_getpc34058)>>32
	s_setpc_b64 s[14:15]
.LBB2_25112:
	v_cmp_ne_u16_e32 vcc, 0, v13
	s_andn2_b64 s[4:5], s[4:5], exec
	s_and_b64 s[8:9], vcc, exec
	v_mov_b32_e32 v14, 0
	s_or_b64 s[4:5], s[4:5], s[8:9]
	s_or_b64 exec, exec, s[6:7]
	s_and_saveexec_b64 s[6:7], s[4:5]
	s_cbranch_execz .LBB2_34059
; %bb.60951:
	s_getpc_b64 s[14:15]
.Lpost_getpc34059:
	s_add_u32 s14, s14, (.LBB2_10775-.Lpost_getpc34059)&4294967295
	s_addc_u32 s15, s15, (.LBB2_10775-.Lpost_getpc34059)>>32
	s_setpc_b64 s[14:15]
.LBB2_34059:
	s_getpc_b64 s[14:15]
.Lpost_getpc20613:
	s_add_u32 s14, s14, (.LBB2_10776-.Lpost_getpc20613)&4294967295
	s_addc_u32 s15, s15, (.LBB2_10776-.Lpost_getpc20613)>>32
	s_setpc_b64 s[14:15]
.LBB2_25113:
	s_movk_i32 s4, 0x80
	v_cmp_eq_u16_sdwa s[12:13], v6, s4 src0_sel:BYTE_3 src1_sel:DWORD
	s_mov_b64 s[4:5], -1
                                        ; implicit-def: $sgpr10
	s_and_saveexec_b64 s[8:9], s[12:13]
; %bb.25114:
	s_mov_b32 s10, 0x7f800001
	s_xor_b64 s[4:5], exec, -1
; %bb.25115:
	s_or_b64 exec, exec, s[8:9]
	s_and_b64 s[4:5], s[4:5], exec
	s_or_saveexec_b64 s[6:7], s[6:7]
	v_mov_b32_e32 v12, s10
	s_xor_b64 exec, exec, s[6:7]
	s_cbranch_execnz .LBB2_25116
; %bb.60953:
	s_getpc_b64 s[14:15]
.Lpost_getpc34060:
	s_add_u32 s14, s14, (.LBB2_10778-.Lpost_getpc34060)&4294967295
	s_addc_u32 s15, s15, (.LBB2_10778-.Lpost_getpc34060)>>32
	s_setpc_b64 s[14:15]
.LBB2_25116:
	v_mov_b32_e32 v12, 0
	v_cmp_ne_u16_sdwa s[8:9], v6, v12 src0_sel:BYTE_3 src1_sel:DWORD
	s_andn2_b64 s[4:5], s[4:5], exec
	s_and_b64 s[8:9], s[8:9], exec
	s_or_b64 s[4:5], s[4:5], s[8:9]
	s_or_b64 exec, exec, s[6:7]
	s_and_saveexec_b64 s[6:7], s[4:5]
	s_cbranch_execz .LBB2_34061
; %bb.60955:
	s_getpc_b64 s[14:15]
.Lpost_getpc34061:
	s_add_u32 s14, s14, (.LBB2_10779-.Lpost_getpc34061)&4294967295
	s_addc_u32 s15, s15, (.LBB2_10779-.Lpost_getpc34061)>>32
	s_setpc_b64 s[14:15]
.LBB2_34061:
	s_getpc_b64 s[14:15]
.Lpost_getpc20614:
	s_add_u32 s14, s14, (.LBB2_10780-.Lpost_getpc20614)&4294967295
	s_addc_u32 s15, s15, (.LBB2_10780-.Lpost_getpc20614)>>32
	s_setpc_b64 s[14:15]
.LBB2_25117:
	s_movk_i32 s4, 0x80
	v_cmp_eq_u16_sdwa s[12:13], v2, s4 src0_sel:BYTE_3 src1_sel:DWORD
	s_mov_b64 s[4:5], -1
                                        ; implicit-def: $sgpr10
	s_and_saveexec_b64 s[8:9], s[12:13]
; %bb.25118:
	s_mov_b32 s10, 0x7f800001
	s_xor_b64 s[4:5], exec, -1
; %bb.25119:
	s_or_b64 exec, exec, s[8:9]
	s_and_b64 s[4:5], s[4:5], exec
	s_or_saveexec_b64 s[6:7], s[6:7]
	v_mov_b32_e32 v6, s10
	s_xor_b64 exec, exec, s[6:7]
	s_cbranch_execnz .LBB2_25120
; %bb.60957:
	s_getpc_b64 s[14:15]
.Lpost_getpc34062:
	s_add_u32 s14, s14, (.LBB2_10782-.Lpost_getpc34062)&4294967295
	s_addc_u32 s15, s15, (.LBB2_10782-.Lpost_getpc34062)>>32
	s_setpc_b64 s[14:15]
.LBB2_25120:
	v_mov_b32_e32 v6, 0
	v_cmp_ne_u16_sdwa s[8:9], v2, v6 src0_sel:BYTE_3 src1_sel:DWORD
	s_andn2_b64 s[4:5], s[4:5], exec
	s_and_b64 s[8:9], s[8:9], exec
	s_or_b64 s[4:5], s[4:5], s[8:9]
	s_or_b64 exec, exec, s[6:7]
	s_and_saveexec_b64 s[6:7], s[4:5]
	s_cbranch_execz .LBB2_34063
; %bb.60959:
	s_getpc_b64 s[14:15]
.Lpost_getpc34063:
	s_add_u32 s14, s14, (.LBB2_10783-.Lpost_getpc34063)&4294967295
	s_addc_u32 s15, s15, (.LBB2_10783-.Lpost_getpc34063)>>32
	s_setpc_b64 s[14:15]
.LBB2_34063:
	s_getpc_b64 s[14:15]
.Lpost_getpc20615:
	s_add_u32 s14, s14, (.LBB2_10784-.Lpost_getpc20615)&4294967295
	s_addc_u32 s15, s15, (.LBB2_10784-.Lpost_getpc20615)>>32
	s_setpc_b64 s[14:15]
.LBB2_25121:
	s_movk_i32 s4, 0x80
	v_cmp_eq_u16_sdwa s[12:13], v7, s4 src0_sel:BYTE_0 src1_sel:DWORD
	s_mov_b64 s[4:5], -1
                                        ; implicit-def: $sgpr10
	s_and_saveexec_b64 s[8:9], s[12:13]
; %bb.25122:
	s_mov_b32 s10, 0x7f800001
	s_xor_b64 s[4:5], exec, -1
; %bb.25123:
	s_or_b64 exec, exec, s[8:9]
	s_and_b64 s[4:5], s[4:5], exec
	s_or_saveexec_b64 s[6:7], s[6:7]
	v_mov_b32_e32 v2, s10
	s_xor_b64 exec, exec, s[6:7]
	s_cbranch_execnz .LBB2_25124
; %bb.60961:
	s_getpc_b64 s[14:15]
.Lpost_getpc34064:
	s_add_u32 s14, s14, (.LBB2_10786-.Lpost_getpc34064)&4294967295
	s_addc_u32 s15, s15, (.LBB2_10786-.Lpost_getpc34064)>>32
	s_setpc_b64 s[14:15]
.LBB2_25124:
	v_mov_b32_e32 v2, 0
	v_cmp_ne_u16_sdwa s[8:9], v7, v2 src0_sel:BYTE_0 src1_sel:DWORD
	s_andn2_b64 s[4:5], s[4:5], exec
	s_and_b64 s[8:9], s[8:9], exec
	s_or_b64 s[4:5], s[4:5], s[8:9]
	s_or_b64 exec, exec, s[6:7]
	s_and_saveexec_b64 s[6:7], s[4:5]
	s_cbranch_execz .LBB2_34065
; %bb.60963:
	s_getpc_b64 s[14:15]
.Lpost_getpc34065:
	s_add_u32 s14, s14, (.LBB2_10787-.Lpost_getpc34065)&4294967295
	s_addc_u32 s15, s15, (.LBB2_10787-.Lpost_getpc34065)>>32
	s_setpc_b64 s[14:15]
.LBB2_34065:
	s_getpc_b64 s[14:15]
.Lpost_getpc20616:
	s_add_u32 s14, s14, (.LBB2_10788-.Lpost_getpc20616)&4294967295
	s_addc_u32 s15, s15, (.LBB2_10788-.Lpost_getpc20616)>>32
	s_setpc_b64 s[14:15]
.LBB2_25125:
	s_movk_i32 s4, 0x80
	v_cmp_eq_u16_sdwa s[12:13], v3, s4 src0_sel:BYTE_0 src1_sel:DWORD
	s_mov_b64 s[4:5], -1
                                        ; implicit-def: $sgpr10
	s_and_saveexec_b64 s[8:9], s[12:13]
; %bb.25126:
	s_mov_b32 s10, 0x7f800001
	s_xor_b64 s[4:5], exec, -1
; %bb.25127:
	s_or_b64 exec, exec, s[8:9]
	s_and_b64 s[4:5], s[4:5], exec
	s_or_saveexec_b64 s[6:7], s[6:7]
	v_mov_b32_e32 v6, s10
	s_xor_b64 exec, exec, s[6:7]
	s_cbranch_execnz .LBB2_25128
; %bb.60965:
	s_getpc_b64 s[14:15]
.Lpost_getpc34066:
	s_add_u32 s14, s14, (.LBB2_10790-.Lpost_getpc34066)&4294967295
	s_addc_u32 s15, s15, (.LBB2_10790-.Lpost_getpc34066)>>32
	s_setpc_b64 s[14:15]
.LBB2_25128:
	v_mov_b32_e32 v6, 0
	v_cmp_ne_u16_sdwa s[8:9], v3, v6 src0_sel:BYTE_0 src1_sel:DWORD
	s_andn2_b64 s[4:5], s[4:5], exec
	s_and_b64 s[8:9], s[8:9], exec
	s_or_b64 s[4:5], s[4:5], s[8:9]
	s_or_b64 exec, exec, s[6:7]
	s_and_saveexec_b64 s[6:7], s[4:5]
	s_cbranch_execz .LBB2_34067
; %bb.60967:
	s_getpc_b64 s[14:15]
.Lpost_getpc34067:
	s_add_u32 s14, s14, (.LBB2_10791-.Lpost_getpc34067)&4294967295
	s_addc_u32 s15, s15, (.LBB2_10791-.Lpost_getpc34067)>>32
	s_setpc_b64 s[14:15]
.LBB2_34067:
	s_getpc_b64 s[14:15]
.Lpost_getpc20617:
	s_add_u32 s14, s14, (.LBB2_10792-.Lpost_getpc20617)&4294967295
	s_addc_u32 s15, s15, (.LBB2_10792-.Lpost_getpc20617)>>32
	s_setpc_b64 s[14:15]
.LBB2_25129:
	s_movk_i32 s4, 0x80
	v_cmp_eq_u16_sdwa s[12:13], v6, s4 src0_sel:BYTE_0 src1_sel:DWORD
	s_mov_b64 s[4:5], -1
                                        ; implicit-def: $sgpr10
	s_and_saveexec_b64 s[8:9], s[12:13]
; %bb.25130:
	s_mov_b32 s10, 0x7f800001
	s_xor_b64 s[4:5], exec, -1
; %bb.25131:
	s_or_b64 exec, exec, s[8:9]
	s_and_b64 s[4:5], s[4:5], exec
	s_or_saveexec_b64 s[6:7], s[6:7]
	v_mov_b32_e32 v2, s10
	s_xor_b64 exec, exec, s[6:7]
	s_cbranch_execnz .LBB2_25132
; %bb.60969:
	s_getpc_b64 s[14:15]
.Lpost_getpc34068:
	s_add_u32 s14, s14, (.LBB2_10794-.Lpost_getpc34068)&4294967295
	s_addc_u32 s15, s15, (.LBB2_10794-.Lpost_getpc34068)>>32
	s_setpc_b64 s[14:15]
.LBB2_25132:
	v_mov_b32_e32 v2, 0
	v_cmp_ne_u16_sdwa s[8:9], v6, v2 src0_sel:BYTE_0 src1_sel:DWORD
	s_andn2_b64 s[4:5], s[4:5], exec
	s_and_b64 s[8:9], s[8:9], exec
	s_or_b64 s[4:5], s[4:5], s[8:9]
	s_or_b64 exec, exec, s[6:7]
	s_and_saveexec_b64 s[6:7], s[4:5]
	s_cbranch_execz .LBB2_34069
; %bb.60971:
	s_getpc_b64 s[14:15]
.Lpost_getpc34069:
	s_add_u32 s14, s14, (.LBB2_10795-.Lpost_getpc34069)&4294967295
	s_addc_u32 s15, s15, (.LBB2_10795-.Lpost_getpc34069)>>32
	s_setpc_b64 s[14:15]
.LBB2_34069:
	s_getpc_b64 s[14:15]
.Lpost_getpc20618:
	s_add_u32 s14, s14, (.LBB2_10796-.Lpost_getpc20618)&4294967295
	s_addc_u32 s15, s15, (.LBB2_10796-.Lpost_getpc20618)>>32
	s_setpc_b64 s[14:15]
.LBB2_25133:
	s_movk_i32 s4, 0x80
	v_cmp_eq_u16_sdwa s[12:13], v6, s4 src0_sel:BYTE_0 src1_sel:DWORD
	s_mov_b64 s[4:5], -1
                                        ; implicit-def: $sgpr10
	s_and_saveexec_b64 s[8:9], s[12:13]
; %bb.25134:
	s_mov_b32 s10, 0x7f800001
	s_xor_b64 s[4:5], exec, -1
; %bb.25135:
	s_or_b64 exec, exec, s[8:9]
	s_and_b64 s[4:5], s[4:5], exec
	s_or_saveexec_b64 s[6:7], s[6:7]
	v_mov_b32_e32 v12, s10
	s_xor_b64 exec, exec, s[6:7]
	s_cbranch_execnz .LBB2_25136
; %bb.60973:
	s_getpc_b64 s[14:15]
.Lpost_getpc34070:
	s_add_u32 s14, s14, (.LBB2_10798-.Lpost_getpc34070)&4294967295
	s_addc_u32 s15, s15, (.LBB2_10798-.Lpost_getpc34070)>>32
	s_setpc_b64 s[14:15]
.LBB2_25136:
	v_mov_b32_e32 v12, 0
	v_cmp_ne_u16_sdwa s[8:9], v6, v12 src0_sel:BYTE_0 src1_sel:DWORD
	s_andn2_b64 s[4:5], s[4:5], exec
	s_and_b64 s[8:9], s[8:9], exec
	s_or_b64 s[4:5], s[4:5], s[8:9]
	s_or_b64 exec, exec, s[6:7]
	s_and_saveexec_b64 s[6:7], s[4:5]
	s_cbranch_execz .LBB2_34071
; %bb.60975:
	s_getpc_b64 s[14:15]
.Lpost_getpc34071:
	s_add_u32 s14, s14, (.LBB2_10799-.Lpost_getpc34071)&4294967295
	s_addc_u32 s15, s15, (.LBB2_10799-.Lpost_getpc34071)>>32
	s_setpc_b64 s[14:15]
.LBB2_34071:
	s_getpc_b64 s[14:15]
.Lpost_getpc20619:
	s_add_u32 s14, s14, (.LBB2_10800-.Lpost_getpc20619)&4294967295
	s_addc_u32 s15, s15, (.LBB2_10800-.Lpost_getpc20619)>>32
	s_setpc_b64 s[14:15]
.LBB2_25137:
	s_movk_i32 s4, 0x80
	v_cmp_eq_u16_e32 vcc, s4, v6
	s_mov_b64 s[4:5], -1
                                        ; implicit-def: $sgpr10
	s_and_saveexec_b64 s[8:9], vcc
; %bb.25138:
	s_mov_b32 s10, 0x7f800001
	s_xor_b64 s[4:5], exec, -1
; %bb.25139:
	s_or_b64 exec, exec, s[8:9]
	s_and_b64 s[4:5], s[4:5], exec
                                        ; implicit-def: $vgpr6
	s_or_saveexec_b64 s[6:7], s[6:7]
	v_mov_b32_e32 v2, s10
	s_xor_b64 exec, exec, s[6:7]
	s_cbranch_execnz .LBB2_25140
; %bb.60977:
	s_getpc_b64 s[14:15]
.Lpost_getpc34072:
	s_add_u32 s14, s14, (.LBB2_10802-.Lpost_getpc34072)&4294967295
	s_addc_u32 s15, s15, (.LBB2_10802-.Lpost_getpc34072)>>32
	s_setpc_b64 s[14:15]
.LBB2_25140:
	v_cmp_ne_u16_e32 vcc, 0, v6
	s_andn2_b64 s[4:5], s[4:5], exec
	s_and_b64 s[8:9], vcc, exec
	v_mov_b32_e32 v2, 0
	s_or_b64 s[4:5], s[4:5], s[8:9]
	s_or_b64 exec, exec, s[6:7]
	s_and_saveexec_b64 s[6:7], s[4:5]
	s_cbranch_execz .LBB2_34073
; %bb.60979:
	s_getpc_b64 s[14:15]
.Lpost_getpc34073:
	s_add_u32 s14, s14, (.LBB2_10803-.Lpost_getpc34073)&4294967295
	s_addc_u32 s15, s15, (.LBB2_10803-.Lpost_getpc34073)>>32
	s_setpc_b64 s[14:15]
.LBB2_34073:
	s_getpc_b64 s[14:15]
.Lpost_getpc20620:
	s_add_u32 s14, s14, (.LBB2_10804-.Lpost_getpc20620)&4294967295
	s_addc_u32 s15, s15, (.LBB2_10804-.Lpost_getpc20620)>>32
	s_setpc_b64 s[14:15]
.LBB2_25141:
	s_movk_i32 s4, 0x80
	v_cmp_eq_u16_e32 vcc, s4, v6
	s_mov_b64 s[4:5], -1
                                        ; implicit-def: $sgpr10
	s_and_saveexec_b64 s[8:9], vcc
; %bb.25142:
	s_mov_b32 s10, 0x7f800001
	s_xor_b64 s[4:5], exec, -1
; %bb.25143:
	s_or_b64 exec, exec, s[8:9]
	s_and_b64 s[4:5], s[4:5], exec
                                        ; implicit-def: $vgpr6
	s_or_saveexec_b64 s[6:7], s[6:7]
	v_mov_b32_e32 v12, s10
	s_xor_b64 exec, exec, s[6:7]
	s_cbranch_execnz .LBB2_25144
; %bb.60981:
	s_getpc_b64 s[14:15]
.Lpost_getpc34074:
	s_add_u32 s14, s14, (.LBB2_10806-.Lpost_getpc34074)&4294967295
	s_addc_u32 s15, s15, (.LBB2_10806-.Lpost_getpc34074)>>32
	s_setpc_b64 s[14:15]
.LBB2_25144:
	v_cmp_ne_u16_e32 vcc, 0, v6
	s_andn2_b64 s[4:5], s[4:5], exec
	s_and_b64 s[8:9], vcc, exec
	v_mov_b32_e32 v12, 0
	s_or_b64 s[4:5], s[4:5], s[8:9]
	s_or_b64 exec, exec, s[6:7]
	s_and_saveexec_b64 s[6:7], s[4:5]
	s_cbranch_execz .LBB2_34075
; %bb.60983:
	s_getpc_b64 s[14:15]
.Lpost_getpc34075:
	s_add_u32 s14, s14, (.LBB2_10807-.Lpost_getpc34075)&4294967295
	s_addc_u32 s15, s15, (.LBB2_10807-.Lpost_getpc34075)>>32
	s_setpc_b64 s[14:15]
.LBB2_34075:
	s_getpc_b64 s[14:15]
.Lpost_getpc20621:
	s_add_u32 s14, s14, (.LBB2_10808-.Lpost_getpc20621)&4294967295
	s_addc_u32 s15, s15, (.LBB2_10808-.Lpost_getpc20621)>>32
	s_setpc_b64 s[14:15]
.LBB2_25145:
	s_movk_i32 s4, 0x80
	v_cmp_eq_u16_sdwa s[12:13], v7, s4 src0_sel:BYTE_3 src1_sel:DWORD
	s_mov_b64 s[4:5], -1
                                        ; implicit-def: $sgpr10
	s_and_saveexec_b64 s[8:9], s[12:13]
; %bb.25146:
	s_mov_b32 s10, 0x7f800001
	s_xor_b64 s[4:5], exec, -1
; %bb.25147:
	s_or_b64 exec, exec, s[8:9]
	s_and_b64 s[4:5], s[4:5], exec
	s_or_saveexec_b64 s[6:7], s[6:7]
	v_mov_b32_e32 v2, s10
	s_xor_b64 exec, exec, s[6:7]
	s_cbranch_execnz .LBB2_25148
; %bb.60985:
	s_getpc_b64 s[14:15]
.Lpost_getpc34076:
	s_add_u32 s14, s14, (.LBB2_10810-.Lpost_getpc34076)&4294967295
	s_addc_u32 s15, s15, (.LBB2_10810-.Lpost_getpc34076)>>32
	s_setpc_b64 s[14:15]
.LBB2_25148:
	v_mov_b32_e32 v2, 0
	v_cmp_ne_u16_sdwa s[8:9], v7, v2 src0_sel:BYTE_3 src1_sel:DWORD
	s_andn2_b64 s[4:5], s[4:5], exec
	s_and_b64 s[8:9], s[8:9], exec
	s_or_b64 s[4:5], s[4:5], s[8:9]
	s_or_b64 exec, exec, s[6:7]
	s_and_saveexec_b64 s[6:7], s[4:5]
	s_cbranch_execz .LBB2_34077
; %bb.60987:
	s_getpc_b64 s[14:15]
.Lpost_getpc34077:
	s_add_u32 s14, s14, (.LBB2_10811-.Lpost_getpc34077)&4294967295
	s_addc_u32 s15, s15, (.LBB2_10811-.Lpost_getpc34077)>>32
	s_setpc_b64 s[14:15]
.LBB2_34077:
	s_getpc_b64 s[14:15]
.Lpost_getpc20622:
	s_add_u32 s14, s14, (.LBB2_10812-.Lpost_getpc20622)&4294967295
	s_addc_u32 s15, s15, (.LBB2_10812-.Lpost_getpc20622)>>32
	s_setpc_b64 s[14:15]
.LBB2_25149:
	s_movk_i32 s4, 0x80
	v_cmp_eq_u16_sdwa s[12:13], v3, s4 src0_sel:BYTE_3 src1_sel:DWORD
	s_mov_b64 s[4:5], -1
                                        ; implicit-def: $sgpr10
	s_and_saveexec_b64 s[8:9], s[12:13]
; %bb.25150:
	s_mov_b32 s10, 0x7f800001
	s_xor_b64 s[4:5], exec, -1
; %bb.25151:
	s_or_b64 exec, exec, s[8:9]
	s_and_b64 s[4:5], s[4:5], exec
	s_or_saveexec_b64 s[6:7], s[6:7]
	v_mov_b32_e32 v6, s10
	s_xor_b64 exec, exec, s[6:7]
	s_cbranch_execnz .LBB2_25152
; %bb.60989:
	s_getpc_b64 s[14:15]
.Lpost_getpc34078:
	s_add_u32 s14, s14, (.LBB2_10814-.Lpost_getpc34078)&4294967295
	s_addc_u32 s15, s15, (.LBB2_10814-.Lpost_getpc34078)>>32
	s_setpc_b64 s[14:15]
.LBB2_25152:
	v_mov_b32_e32 v6, 0
	v_cmp_ne_u16_sdwa s[8:9], v3, v6 src0_sel:BYTE_3 src1_sel:DWORD
	s_andn2_b64 s[4:5], s[4:5], exec
	s_and_b64 s[8:9], s[8:9], exec
	s_or_b64 s[4:5], s[4:5], s[8:9]
	s_or_b64 exec, exec, s[6:7]
	s_and_saveexec_b64 s[6:7], s[4:5]
	s_cbranch_execz .LBB2_34079
; %bb.60991:
	s_getpc_b64 s[14:15]
.Lpost_getpc34079:
	s_add_u32 s14, s14, (.LBB2_10815-.Lpost_getpc34079)&4294967295
	s_addc_u32 s15, s15, (.LBB2_10815-.Lpost_getpc34079)>>32
	s_setpc_b64 s[14:15]
.LBB2_34079:
	s_getpc_b64 s[14:15]
.Lpost_getpc20623:
	s_add_u32 s14, s14, (.LBB2_10816-.Lpost_getpc20623)&4294967295
	s_addc_u32 s15, s15, (.LBB2_10816-.Lpost_getpc20623)>>32
	s_setpc_b64 s[14:15]
.LBB2_25153:
	s_movk_i32 s4, 0x80
	v_cmp_eq_u16_sdwa s[12:13], v8, s4 src0_sel:BYTE_0 src1_sel:DWORD
	s_mov_b64 s[4:5], -1
                                        ; implicit-def: $sgpr10
	s_and_saveexec_b64 s[8:9], s[12:13]
; %bb.25154:
	s_mov_b32 s10, 0x7f800001
	s_xor_b64 s[4:5], exec, -1
; %bb.25155:
	s_or_b64 exec, exec, s[8:9]
	s_and_b64 s[4:5], s[4:5], exec
	s_or_saveexec_b64 s[6:7], s[6:7]
	v_mov_b32_e32 v2, s10
	s_xor_b64 exec, exec, s[6:7]
	s_cbranch_execnz .LBB2_25156
; %bb.60993:
	s_getpc_b64 s[14:15]
.Lpost_getpc34080:
	s_add_u32 s14, s14, (.LBB2_10818-.Lpost_getpc34080)&4294967295
	s_addc_u32 s15, s15, (.LBB2_10818-.Lpost_getpc34080)>>32
	s_setpc_b64 s[14:15]
.LBB2_25156:
	v_mov_b32_e32 v2, 0
	v_cmp_ne_u16_sdwa s[8:9], v8, v2 src0_sel:BYTE_0 src1_sel:DWORD
	s_andn2_b64 s[4:5], s[4:5], exec
	s_and_b64 s[8:9], s[8:9], exec
	s_or_b64 s[4:5], s[4:5], s[8:9]
	s_or_b64 exec, exec, s[6:7]
	s_and_saveexec_b64 s[6:7], s[4:5]
	s_cbranch_execz .LBB2_34081
; %bb.60995:
	s_getpc_b64 s[14:15]
.Lpost_getpc34081:
	s_add_u32 s14, s14, (.LBB2_10819-.Lpost_getpc34081)&4294967295
	s_addc_u32 s15, s15, (.LBB2_10819-.Lpost_getpc34081)>>32
	s_setpc_b64 s[14:15]
.LBB2_34081:
	s_getpc_b64 s[14:15]
.Lpost_getpc20624:
	s_add_u32 s14, s14, (.LBB2_10820-.Lpost_getpc20624)&4294967295
	s_addc_u32 s15, s15, (.LBB2_10820-.Lpost_getpc20624)>>32
	s_setpc_b64 s[14:15]
.LBB2_25157:
	s_movk_i32 s4, 0x80
	v_cmp_eq_u16_sdwa s[12:13], v4, s4 src0_sel:BYTE_0 src1_sel:DWORD
	s_mov_b64 s[4:5], -1
                                        ; implicit-def: $sgpr10
	s_and_saveexec_b64 s[8:9], s[12:13]
; %bb.25158:
	s_mov_b32 s10, 0x7f800001
	s_xor_b64 s[4:5], exec, -1
; %bb.25159:
	s_or_b64 exec, exec, s[8:9]
	s_and_b64 s[4:5], s[4:5], exec
	s_or_saveexec_b64 s[6:7], s[6:7]
	v_mov_b32_e32 v3, s10
	s_xor_b64 exec, exec, s[6:7]
	s_cbranch_execnz .LBB2_25160
; %bb.60997:
	s_getpc_b64 s[14:15]
.Lpost_getpc34082:
	s_add_u32 s14, s14, (.LBB2_10822-.Lpost_getpc34082)&4294967295
	s_addc_u32 s15, s15, (.LBB2_10822-.Lpost_getpc34082)>>32
	s_setpc_b64 s[14:15]
.LBB2_25160:
	v_mov_b32_e32 v3, 0
	v_cmp_ne_u16_sdwa s[8:9], v4, v3 src0_sel:BYTE_0 src1_sel:DWORD
	s_andn2_b64 s[4:5], s[4:5], exec
	s_and_b64 s[8:9], s[8:9], exec
	s_or_b64 s[4:5], s[4:5], s[8:9]
	s_or_b64 exec, exec, s[6:7]
	s_and_saveexec_b64 s[6:7], s[4:5]
	s_cbranch_execz .LBB2_34083
; %bb.60999:
	s_getpc_b64 s[14:15]
.Lpost_getpc34083:
	s_add_u32 s14, s14, (.LBB2_10823-.Lpost_getpc34083)&4294967295
	s_addc_u32 s15, s15, (.LBB2_10823-.Lpost_getpc34083)>>32
	s_setpc_b64 s[14:15]
.LBB2_34083:
	s_getpc_b64 s[14:15]
.Lpost_getpc20625:
	s_add_u32 s14, s14, (.LBB2_10824-.Lpost_getpc20625)&4294967295
	s_addc_u32 s15, s15, (.LBB2_10824-.Lpost_getpc20625)>>32
	s_setpc_b64 s[14:15]
.LBB2_25161:
	s_movk_i32 s4, 0x80
	v_cmp_eq_u16_sdwa s[12:13], v3, s4 src0_sel:BYTE_0 src1_sel:DWORD
	s_mov_b64 s[4:5], -1
                                        ; implicit-def: $sgpr10
	s_and_saveexec_b64 s[8:9], s[12:13]
; %bb.25162:
	s_mov_b32 s10, 0x7f800001
	s_xor_b64 s[4:5], exec, -1
; %bb.25163:
	s_or_b64 exec, exec, s[8:9]
	s_and_b64 s[4:5], s[4:5], exec
	s_or_saveexec_b64 s[6:7], s[6:7]
	v_mov_b32_e32 v2, s10
	s_xor_b64 exec, exec, s[6:7]
	s_cbranch_execnz .LBB2_25164
; %bb.61001:
	s_getpc_b64 s[14:15]
.Lpost_getpc34084:
	s_add_u32 s14, s14, (.LBB2_10826-.Lpost_getpc34084)&4294967295
	s_addc_u32 s15, s15, (.LBB2_10826-.Lpost_getpc34084)>>32
	s_setpc_b64 s[14:15]
.LBB2_25164:
	v_mov_b32_e32 v2, 0
	v_cmp_ne_u16_sdwa s[8:9], v3, v2 src0_sel:BYTE_0 src1_sel:DWORD
	s_andn2_b64 s[4:5], s[4:5], exec
	s_and_b64 s[8:9], s[8:9], exec
	s_or_b64 s[4:5], s[4:5], s[8:9]
	s_or_b64 exec, exec, s[6:7]
	s_and_saveexec_b64 s[6:7], s[4:5]
	s_cbranch_execz .LBB2_34085
; %bb.61003:
	s_getpc_b64 s[14:15]
.Lpost_getpc34085:
	s_add_u32 s14, s14, (.LBB2_10827-.Lpost_getpc34085)&4294967295
	s_addc_u32 s15, s15, (.LBB2_10827-.Lpost_getpc34085)>>32
	s_setpc_b64 s[14:15]
.LBB2_34085:
	s_getpc_b64 s[14:15]
.Lpost_getpc20626:
	s_add_u32 s14, s14, (.LBB2_10828-.Lpost_getpc20626)&4294967295
	s_addc_u32 s15, s15, (.LBB2_10828-.Lpost_getpc20626)>>32
	s_setpc_b64 s[14:15]
.LBB2_25165:
	s_movk_i32 s4, 0x80
	v_cmp_eq_u16_sdwa s[12:13], v3, s4 src0_sel:BYTE_0 src1_sel:DWORD
	s_mov_b64 s[4:5], -1
                                        ; implicit-def: $sgpr10
	s_and_saveexec_b64 s[8:9], s[12:13]
; %bb.25166:
	s_mov_b32 s10, 0x7f800001
	s_xor_b64 s[4:5], exec, -1
; %bb.25167:
	s_or_b64 exec, exec, s[8:9]
	s_and_b64 s[4:5], s[4:5], exec
	s_or_saveexec_b64 s[6:7], s[6:7]
	v_mov_b32_e32 v6, s10
	s_xor_b64 exec, exec, s[6:7]
	s_cbranch_execnz .LBB2_25168
; %bb.61005:
	s_getpc_b64 s[14:15]
.Lpost_getpc34086:
	s_add_u32 s14, s14, (.LBB2_10830-.Lpost_getpc34086)&4294967295
	s_addc_u32 s15, s15, (.LBB2_10830-.Lpost_getpc34086)>>32
	s_setpc_b64 s[14:15]
.LBB2_25168:
	v_mov_b32_e32 v6, 0
	v_cmp_ne_u16_sdwa s[8:9], v3, v6 src0_sel:BYTE_0 src1_sel:DWORD
	s_andn2_b64 s[4:5], s[4:5], exec
	s_and_b64 s[8:9], s[8:9], exec
	s_or_b64 s[4:5], s[4:5], s[8:9]
	s_or_b64 exec, exec, s[6:7]
	s_and_saveexec_b64 s[6:7], s[4:5]
	s_cbranch_execz .LBB2_34087
; %bb.61007:
	s_getpc_b64 s[14:15]
.Lpost_getpc34087:
	s_add_u32 s14, s14, (.LBB2_10831-.Lpost_getpc34087)&4294967295
	s_addc_u32 s15, s15, (.LBB2_10831-.Lpost_getpc34087)>>32
	s_setpc_b64 s[14:15]
.LBB2_34087:
	s_getpc_b64 s[14:15]
.Lpost_getpc20627:
	s_add_u32 s14, s14, (.LBB2_10832-.Lpost_getpc20627)&4294967295
	s_addc_u32 s15, s15, (.LBB2_10832-.Lpost_getpc20627)>>32
	s_setpc_b64 s[14:15]
.LBB2_25169:
	s_movk_i32 s4, 0x80
	v_cmp_eq_u16_e32 vcc, s4, v3
	s_mov_b64 s[4:5], -1
                                        ; implicit-def: $sgpr10
	s_and_saveexec_b64 s[8:9], vcc
; %bb.25170:
	s_mov_b32 s10, 0x7f800001
	s_xor_b64 s[4:5], exec, -1
; %bb.25171:
	s_or_b64 exec, exec, s[8:9]
	s_and_b64 s[4:5], s[4:5], exec
                                        ; implicit-def: $vgpr3
	s_or_saveexec_b64 s[6:7], s[6:7]
	v_mov_b32_e32 v2, s10
	s_xor_b64 exec, exec, s[6:7]
	s_cbranch_execnz .LBB2_25172
; %bb.61009:
	s_getpc_b64 s[14:15]
.Lpost_getpc34088:
	s_add_u32 s14, s14, (.LBB2_10834-.Lpost_getpc34088)&4294967295
	s_addc_u32 s15, s15, (.LBB2_10834-.Lpost_getpc34088)>>32
	s_setpc_b64 s[14:15]
.LBB2_25172:
	v_cmp_ne_u16_e32 vcc, 0, v3
	s_andn2_b64 s[4:5], s[4:5], exec
	s_and_b64 s[8:9], vcc, exec
	v_mov_b32_e32 v2, 0
	s_or_b64 s[4:5], s[4:5], s[8:9]
	s_or_b64 exec, exec, s[6:7]
	s_and_saveexec_b64 s[6:7], s[4:5]
	s_cbranch_execz .LBB2_34089
; %bb.61011:
	s_getpc_b64 s[14:15]
.Lpost_getpc34089:
	s_add_u32 s14, s14, (.LBB2_10835-.Lpost_getpc34089)&4294967295
	s_addc_u32 s15, s15, (.LBB2_10835-.Lpost_getpc34089)>>32
	s_setpc_b64 s[14:15]
.LBB2_34089:
	s_getpc_b64 s[14:15]
.Lpost_getpc20628:
	s_add_u32 s14, s14, (.LBB2_10836-.Lpost_getpc20628)&4294967295
	s_addc_u32 s15, s15, (.LBB2_10836-.Lpost_getpc20628)>>32
	s_setpc_b64 s[14:15]
.LBB2_25173:
	s_movk_i32 s4, 0x80
	v_cmp_eq_u16_e32 vcc, s4, v3
	s_mov_b64 s[4:5], -1
                                        ; implicit-def: $sgpr10
	s_and_saveexec_b64 s[8:9], vcc
; %bb.25174:
	s_mov_b32 s10, 0x7f800001
	s_xor_b64 s[4:5], exec, -1
; %bb.25175:
	s_or_b64 exec, exec, s[8:9]
	s_and_b64 s[4:5], s[4:5], exec
                                        ; implicit-def: $vgpr3
	s_or_saveexec_b64 s[6:7], s[6:7]
	v_mov_b32_e32 v6, s10
	s_xor_b64 exec, exec, s[6:7]
	s_cbranch_execnz .LBB2_25176
; %bb.61013:
	s_getpc_b64 s[14:15]
.Lpost_getpc34090:
	s_add_u32 s14, s14, (.LBB2_10838-.Lpost_getpc34090)&4294967295
	s_addc_u32 s15, s15, (.LBB2_10838-.Lpost_getpc34090)>>32
	s_setpc_b64 s[14:15]
.LBB2_25176:
	v_cmp_ne_u16_e32 vcc, 0, v3
	s_andn2_b64 s[4:5], s[4:5], exec
	s_and_b64 s[8:9], vcc, exec
	v_mov_b32_e32 v6, 0
	s_or_b64 s[4:5], s[4:5], s[8:9]
	s_or_b64 exec, exec, s[6:7]
	s_and_saveexec_b64 s[6:7], s[4:5]
	s_cbranch_execz .LBB2_34091
; %bb.61015:
	s_getpc_b64 s[14:15]
.Lpost_getpc34091:
	s_add_u32 s14, s14, (.LBB2_10839-.Lpost_getpc34091)&4294967295
	s_addc_u32 s15, s15, (.LBB2_10839-.Lpost_getpc34091)>>32
	s_setpc_b64 s[14:15]
.LBB2_34091:
	s_getpc_b64 s[14:15]
.Lpost_getpc20629:
	s_add_u32 s14, s14, (.LBB2_10840-.Lpost_getpc20629)&4294967295
	s_addc_u32 s15, s15, (.LBB2_10840-.Lpost_getpc20629)>>32
	s_setpc_b64 s[14:15]
.LBB2_25177:
	s_movk_i32 s4, 0x80
	v_cmp_eq_u16_sdwa s[12:13], v8, s4 src0_sel:BYTE_3 src1_sel:DWORD
	s_mov_b64 s[4:5], -1
                                        ; implicit-def: $sgpr10
	s_and_saveexec_b64 s[8:9], s[12:13]
; %bb.25178:
	s_mov_b32 s10, 0x7f800001
	s_xor_b64 s[4:5], exec, -1
; %bb.25179:
	s_or_b64 exec, exec, s[8:9]
	s_and_b64 s[4:5], s[4:5], exec
	s_or_saveexec_b64 s[6:7], s[6:7]
	v_mov_b32_e32 v2, s10
	s_xor_b64 exec, exec, s[6:7]
	s_cbranch_execnz .LBB2_25180
; %bb.61017:
	s_getpc_b64 s[14:15]
.Lpost_getpc34092:
	s_add_u32 s14, s14, (.LBB2_10842-.Lpost_getpc34092)&4294967295
	s_addc_u32 s15, s15, (.LBB2_10842-.Lpost_getpc34092)>>32
	s_setpc_b64 s[14:15]
.LBB2_25180:
	v_mov_b32_e32 v2, 0
	v_cmp_ne_u16_sdwa s[8:9], v8, v2 src0_sel:BYTE_3 src1_sel:DWORD
	s_andn2_b64 s[4:5], s[4:5], exec
	s_and_b64 s[8:9], s[8:9], exec
	s_or_b64 s[4:5], s[4:5], s[8:9]
	s_or_b64 exec, exec, s[6:7]
	s_and_saveexec_b64 s[6:7], s[4:5]
	s_cbranch_execz .LBB2_34093
; %bb.61019:
	s_getpc_b64 s[14:15]
.Lpost_getpc34093:
	s_add_u32 s14, s14, (.LBB2_10843-.Lpost_getpc34093)&4294967295
	s_addc_u32 s15, s15, (.LBB2_10843-.Lpost_getpc34093)>>32
	s_setpc_b64 s[14:15]
.LBB2_34093:
	s_getpc_b64 s[14:15]
.Lpost_getpc20630:
	s_add_u32 s14, s14, (.LBB2_10844-.Lpost_getpc20630)&4294967295
	s_addc_u32 s15, s15, (.LBB2_10844-.Lpost_getpc20630)>>32
	s_setpc_b64 s[14:15]
.LBB2_25181:
	s_movk_i32 s4, 0x80
	v_cmp_eq_u16_sdwa s[12:13], v4, s4 src0_sel:BYTE_3 src1_sel:DWORD
	s_mov_b64 s[4:5], -1
                                        ; implicit-def: $sgpr10
	s_and_saveexec_b64 s[8:9], s[12:13]
; %bb.25182:
	s_mov_b32 s10, 0x7f800001
	s_xor_b64 s[4:5], exec, -1
; %bb.25183:
	s_or_b64 exec, exec, s[8:9]
	s_and_b64 s[4:5], s[4:5], exec
	s_or_saveexec_b64 s[6:7], s[6:7]
	v_mov_b32_e32 v3, s10
	s_xor_b64 exec, exec, s[6:7]
	s_cbranch_execnz .LBB2_25184
; %bb.61021:
	s_getpc_b64 s[14:15]
.Lpost_getpc34094:
	s_add_u32 s14, s14, (.LBB2_10846-.Lpost_getpc34094)&4294967295
	s_addc_u32 s15, s15, (.LBB2_10846-.Lpost_getpc34094)>>32
	s_setpc_b64 s[14:15]
.LBB2_25184:
	v_mov_b32_e32 v3, 0
	v_cmp_ne_u16_sdwa s[8:9], v4, v3 src0_sel:BYTE_3 src1_sel:DWORD
	s_andn2_b64 s[4:5], s[4:5], exec
	s_and_b64 s[8:9], s[8:9], exec
	s_or_b64 s[4:5], s[4:5], s[8:9]
	s_or_b64 exec, exec, s[6:7]
	s_and_saveexec_b64 s[6:7], s[4:5]
	s_cbranch_execz .LBB2_34095
; %bb.61023:
	s_getpc_b64 s[14:15]
.Lpost_getpc34095:
	s_add_u32 s14, s14, (.LBB2_10847-.Lpost_getpc34095)&4294967295
	s_addc_u32 s15, s15, (.LBB2_10847-.Lpost_getpc34095)>>32
	s_setpc_b64 s[14:15]
.LBB2_34095:
	s_getpc_b64 s[14:15]
.Lpost_getpc20631:
	s_add_u32 s14, s14, (.LBB2_10848-.Lpost_getpc20631)&4294967295
	s_addc_u32 s15, s15, (.LBB2_10848-.Lpost_getpc20631)>>32
	s_setpc_b64 s[14:15]
.LBB2_25185:
	s_movk_i32 s4, 0x80
	v_cmp_eq_u16_sdwa s[12:13], v9, s4 src0_sel:BYTE_0 src1_sel:DWORD
	s_mov_b64 s[4:5], -1
                                        ; implicit-def: $sgpr10
	s_and_saveexec_b64 s[8:9], s[12:13]
; %bb.25186:
	s_mov_b32 s10, 0x7f800001
	s_xor_b64 s[4:5], exec, -1
; %bb.25187:
	s_or_b64 exec, exec, s[8:9]
	s_and_b64 s[4:5], s[4:5], exec
	s_or_saveexec_b64 s[6:7], s[6:7]
	v_mov_b32_e32 v2, s10
	s_xor_b64 exec, exec, s[6:7]
	s_cbranch_execnz .LBB2_25188
; %bb.61025:
	s_getpc_b64 s[14:15]
.Lpost_getpc34096:
	s_add_u32 s14, s14, (.LBB2_10850-.Lpost_getpc34096)&4294967295
	s_addc_u32 s15, s15, (.LBB2_10850-.Lpost_getpc34096)>>32
	s_setpc_b64 s[14:15]
.LBB2_25188:
	v_mov_b32_e32 v2, 0
	v_cmp_ne_u16_sdwa s[8:9], v9, v2 src0_sel:BYTE_0 src1_sel:DWORD
	s_andn2_b64 s[4:5], s[4:5], exec
	s_and_b64 s[8:9], s[8:9], exec
	s_or_b64 s[4:5], s[4:5], s[8:9]
	s_or_b64 exec, exec, s[6:7]
	s_and_saveexec_b64 s[6:7], s[4:5]
	s_cbranch_execz .LBB2_34097
; %bb.61027:
	s_getpc_b64 s[14:15]
.Lpost_getpc34097:
	s_add_u32 s14, s14, (.LBB2_10851-.Lpost_getpc34097)&4294967295
	s_addc_u32 s15, s15, (.LBB2_10851-.Lpost_getpc34097)>>32
	s_setpc_b64 s[14:15]
.LBB2_34097:
	s_getpc_b64 s[14:15]
.Lpost_getpc20632:
	s_add_u32 s14, s14, (.LBB2_10852-.Lpost_getpc20632)&4294967295
	s_addc_u32 s15, s15, (.LBB2_10852-.Lpost_getpc20632)>>32
	s_setpc_b64 s[14:15]
.LBB2_25189:
	s_movk_i32 s4, 0x80
	v_cmp_eq_u16_sdwa s[12:13], v5, s4 src0_sel:BYTE_0 src1_sel:DWORD
	s_mov_b64 s[4:5], -1
                                        ; implicit-def: $sgpr10
	s_and_saveexec_b64 s[8:9], s[12:13]
; %bb.25190:
	s_mov_b32 s10, 0x7f800001
	s_xor_b64 s[4:5], exec, -1
; %bb.25191:
	s_or_b64 exec, exec, s[8:9]
	s_and_b64 s[4:5], s[4:5], exec
	s_or_saveexec_b64 s[6:7], s[6:7]
	v_mov_b32_e32 v3, s10
	s_xor_b64 exec, exec, s[6:7]
	s_cbranch_execnz .LBB2_25192
; %bb.61029:
	s_getpc_b64 s[14:15]
.Lpost_getpc34098:
	s_add_u32 s14, s14, (.LBB2_10854-.Lpost_getpc34098)&4294967295
	s_addc_u32 s15, s15, (.LBB2_10854-.Lpost_getpc34098)>>32
	s_setpc_b64 s[14:15]
.LBB2_25192:
	v_mov_b32_e32 v3, 0
	v_cmp_ne_u16_sdwa s[8:9], v5, v3 src0_sel:BYTE_0 src1_sel:DWORD
	s_andn2_b64 s[4:5], s[4:5], exec
	s_and_b64 s[8:9], s[8:9], exec
	s_or_b64 s[4:5], s[4:5], s[8:9]
	s_or_b64 exec, exec, s[6:7]
	s_and_saveexec_b64 s[6:7], s[4:5]
	s_cbranch_execz .LBB2_34099
; %bb.61031:
	s_getpc_b64 s[14:15]
.Lpost_getpc34099:
	s_add_u32 s14, s14, (.LBB2_10855-.Lpost_getpc34099)&4294967295
	s_addc_u32 s15, s15, (.LBB2_10855-.Lpost_getpc34099)>>32
	s_setpc_b64 s[14:15]
.LBB2_34099:
	s_getpc_b64 s[14:15]
.Lpost_getpc20633:
	s_add_u32 s14, s14, (.LBB2_10856-.Lpost_getpc20633)&4294967295
	s_addc_u32 s15, s15, (.LBB2_10856-.Lpost_getpc20633)>>32
	s_setpc_b64 s[14:15]
.LBB2_25193:
	s_movk_i32 s4, 0x80
	v_cmp_eq_u16_sdwa s[12:13], v3, s4 src0_sel:BYTE_0 src1_sel:DWORD
	s_mov_b64 s[4:5], -1
                                        ; implicit-def: $sgpr10
	s_and_saveexec_b64 s[8:9], s[12:13]
; %bb.25194:
	s_mov_b32 s10, 0x7f800001
	s_xor_b64 s[4:5], exec, -1
; %bb.25195:
	s_or_b64 exec, exec, s[8:9]
	s_and_b64 s[4:5], s[4:5], exec
	s_or_saveexec_b64 s[6:7], s[6:7]
	v_mov_b32_e32 v2, s10
	s_xor_b64 exec, exec, s[6:7]
	s_cbranch_execnz .LBB2_25196
; %bb.61033:
	s_getpc_b64 s[14:15]
.Lpost_getpc34100:
	s_add_u32 s14, s14, (.LBB2_10858-.Lpost_getpc34100)&4294967295
	s_addc_u32 s15, s15, (.LBB2_10858-.Lpost_getpc34100)>>32
	s_setpc_b64 s[14:15]
.LBB2_25196:
	v_mov_b32_e32 v2, 0
	v_cmp_ne_u16_sdwa s[8:9], v3, v2 src0_sel:BYTE_0 src1_sel:DWORD
	s_andn2_b64 s[4:5], s[4:5], exec
	s_and_b64 s[8:9], s[8:9], exec
	s_or_b64 s[4:5], s[4:5], s[8:9]
	s_or_b64 exec, exec, s[6:7]
	s_and_saveexec_b64 s[6:7], s[4:5]
	s_cbranch_execz .LBB2_34101
; %bb.61035:
	s_getpc_b64 s[14:15]
.Lpost_getpc34101:
	s_add_u32 s14, s14, (.LBB2_10859-.Lpost_getpc34101)&4294967295
	s_addc_u32 s15, s15, (.LBB2_10859-.Lpost_getpc34101)>>32
	s_setpc_b64 s[14:15]
.LBB2_34101:
	s_getpc_b64 s[14:15]
.Lpost_getpc20634:
	s_add_u32 s14, s14, (.LBB2_10860-.Lpost_getpc20634)&4294967295
	s_addc_u32 s15, s15, (.LBB2_10860-.Lpost_getpc20634)>>32
	s_setpc_b64 s[14:15]
.LBB2_25197:
	s_movk_i32 s4, 0x80
	v_cmp_eq_u16_sdwa s[12:13], v3, s4 src0_sel:BYTE_0 src1_sel:DWORD
	s_mov_b64 s[4:5], -1
                                        ; implicit-def: $sgpr10
	s_and_saveexec_b64 s[8:9], s[12:13]
; %bb.25198:
	s_mov_b32 s10, 0x7f800001
	s_xor_b64 s[4:5], exec, -1
; %bb.25199:
	s_or_b64 exec, exec, s[8:9]
	s_and_b64 s[4:5], s[4:5], exec
	s_or_saveexec_b64 s[6:7], s[6:7]
	v_mov_b32_e32 v4, s10
	s_xor_b64 exec, exec, s[6:7]
	s_cbranch_execnz .LBB2_25200
; %bb.61037:
	s_getpc_b64 s[14:15]
.Lpost_getpc34102:
	s_add_u32 s14, s14, (.LBB2_10862-.Lpost_getpc34102)&4294967295
	s_addc_u32 s15, s15, (.LBB2_10862-.Lpost_getpc34102)>>32
	s_setpc_b64 s[14:15]
.LBB2_25200:
	v_mov_b32_e32 v4, 0
	v_cmp_ne_u16_sdwa s[8:9], v3, v4 src0_sel:BYTE_0 src1_sel:DWORD
	s_andn2_b64 s[4:5], s[4:5], exec
	s_and_b64 s[8:9], s[8:9], exec
	s_or_b64 s[4:5], s[4:5], s[8:9]
	s_or_b64 exec, exec, s[6:7]
	s_and_saveexec_b64 s[6:7], s[4:5]
	s_cbranch_execz .LBB2_34103
; %bb.61039:
	s_getpc_b64 s[14:15]
.Lpost_getpc34103:
	s_add_u32 s14, s14, (.LBB2_10863-.Lpost_getpc34103)&4294967295
	s_addc_u32 s15, s15, (.LBB2_10863-.Lpost_getpc34103)>>32
	s_setpc_b64 s[14:15]
.LBB2_34103:
	s_getpc_b64 s[14:15]
.Lpost_getpc20635:
	s_add_u32 s14, s14, (.LBB2_10864-.Lpost_getpc20635)&4294967295
	s_addc_u32 s15, s15, (.LBB2_10864-.Lpost_getpc20635)>>32
	s_setpc_b64 s[14:15]
.LBB2_25201:
	s_movk_i32 s4, 0x80
	v_cmp_eq_u16_e32 vcc, s4, v3
	s_mov_b64 s[4:5], -1
                                        ; implicit-def: $sgpr10
	s_and_saveexec_b64 s[8:9], vcc
; %bb.25202:
	s_mov_b32 s10, 0x7f800001
	s_xor_b64 s[4:5], exec, -1
; %bb.25203:
	s_or_b64 exec, exec, s[8:9]
	s_and_b64 s[4:5], s[4:5], exec
                                        ; implicit-def: $vgpr3
	s_or_saveexec_b64 s[6:7], s[6:7]
	v_mov_b32_e32 v2, s10
	s_xor_b64 exec, exec, s[6:7]
	s_cbranch_execnz .LBB2_25204
; %bb.61041:
	s_getpc_b64 s[14:15]
.Lpost_getpc34104:
	s_add_u32 s14, s14, (.LBB2_10866-.Lpost_getpc34104)&4294967295
	s_addc_u32 s15, s15, (.LBB2_10866-.Lpost_getpc34104)>>32
	s_setpc_b64 s[14:15]
.LBB2_25204:
	v_cmp_ne_u16_e32 vcc, 0, v3
	s_andn2_b64 s[4:5], s[4:5], exec
	s_and_b64 s[8:9], vcc, exec
	v_mov_b32_e32 v2, 0
	s_or_b64 s[4:5], s[4:5], s[8:9]
	s_or_b64 exec, exec, s[6:7]
	s_and_saveexec_b64 s[6:7], s[4:5]
	s_cbranch_execz .LBB2_34105
; %bb.61043:
	s_getpc_b64 s[14:15]
.Lpost_getpc34105:
	s_add_u32 s14, s14, (.LBB2_10867-.Lpost_getpc34105)&4294967295
	s_addc_u32 s15, s15, (.LBB2_10867-.Lpost_getpc34105)>>32
	s_setpc_b64 s[14:15]
.LBB2_34105:
	s_getpc_b64 s[14:15]
.Lpost_getpc20636:
	s_add_u32 s14, s14, (.LBB2_10868-.Lpost_getpc20636)&4294967295
	s_addc_u32 s15, s15, (.LBB2_10868-.Lpost_getpc20636)>>32
	s_setpc_b64 s[14:15]
.LBB2_25205:
	s_movk_i32 s4, 0x80
	v_cmp_eq_u16_e32 vcc, s4, v3
	s_mov_b64 s[4:5], -1
                                        ; implicit-def: $sgpr10
	s_and_saveexec_b64 s[8:9], vcc
; %bb.25206:
	s_mov_b32 s10, 0x7f800001
	s_xor_b64 s[4:5], exec, -1
; %bb.25207:
	s_or_b64 exec, exec, s[8:9]
	s_and_b64 s[4:5], s[4:5], exec
                                        ; implicit-def: $vgpr3
	s_or_saveexec_b64 s[6:7], s[6:7]
	v_mov_b32_e32 v4, s10
	s_xor_b64 exec, exec, s[6:7]
	s_cbranch_execnz .LBB2_25208
; %bb.61045:
	s_getpc_b64 s[14:15]
.Lpost_getpc34106:
	s_add_u32 s14, s14, (.LBB2_10870-.Lpost_getpc34106)&4294967295
	s_addc_u32 s15, s15, (.LBB2_10870-.Lpost_getpc34106)>>32
	s_setpc_b64 s[14:15]
.LBB2_25208:
	v_cmp_ne_u16_e32 vcc, 0, v3
	s_andn2_b64 s[4:5], s[4:5], exec
	s_and_b64 s[8:9], vcc, exec
	v_mov_b32_e32 v4, 0
	s_or_b64 s[4:5], s[4:5], s[8:9]
	s_or_b64 exec, exec, s[6:7]
	s_and_saveexec_b64 s[6:7], s[4:5]
	s_cbranch_execz .LBB2_34107
; %bb.61047:
	s_getpc_b64 s[14:15]
.Lpost_getpc34107:
	s_add_u32 s14, s14, (.LBB2_10871-.Lpost_getpc34107)&4294967295
	s_addc_u32 s15, s15, (.LBB2_10871-.Lpost_getpc34107)>>32
	s_setpc_b64 s[14:15]
.LBB2_34107:
	s_getpc_b64 s[14:15]
.Lpost_getpc20637:
	s_add_u32 s14, s14, (.LBB2_10872-.Lpost_getpc20637)&4294967295
	s_addc_u32 s15, s15, (.LBB2_10872-.Lpost_getpc20637)>>32
	s_setpc_b64 s[14:15]
.LBB2_25209:
	s_movk_i32 s4, 0x80
	v_cmp_eq_u16_sdwa s[12:13], v9, s4 src0_sel:BYTE_3 src1_sel:DWORD
	s_mov_b64 s[4:5], -1
                                        ; implicit-def: $sgpr10
	s_and_saveexec_b64 s[8:9], s[12:13]
; %bb.25210:
	s_mov_b32 s10, 0x7f800001
	s_xor_b64 s[4:5], exec, -1
; %bb.25211:
	s_or_b64 exec, exec, s[8:9]
	s_and_b64 s[4:5], s[4:5], exec
	s_or_saveexec_b64 s[6:7], s[6:7]
	v_mov_b32_e32 v2, s10
	s_xor_b64 exec, exec, s[6:7]
	s_cbranch_execnz .LBB2_25212
; %bb.61049:
	s_getpc_b64 s[14:15]
.Lpost_getpc34108:
	s_add_u32 s14, s14, (.LBB2_10874-.Lpost_getpc34108)&4294967295
	s_addc_u32 s15, s15, (.LBB2_10874-.Lpost_getpc34108)>>32
	s_setpc_b64 s[14:15]
.LBB2_25212:
	v_mov_b32_e32 v2, 0
	v_cmp_ne_u16_sdwa s[8:9], v9, v2 src0_sel:BYTE_3 src1_sel:DWORD
	s_andn2_b64 s[4:5], s[4:5], exec
	s_and_b64 s[8:9], s[8:9], exec
	s_or_b64 s[4:5], s[4:5], s[8:9]
	s_or_b64 exec, exec, s[6:7]
	s_and_saveexec_b64 s[6:7], s[4:5]
	s_cbranch_execz .LBB2_34109
; %bb.61051:
	s_getpc_b64 s[14:15]
.Lpost_getpc34109:
	s_add_u32 s14, s14, (.LBB2_10875-.Lpost_getpc34109)&4294967295
	s_addc_u32 s15, s15, (.LBB2_10875-.Lpost_getpc34109)>>32
	s_setpc_b64 s[14:15]
.LBB2_34109:
	s_getpc_b64 s[14:15]
.Lpost_getpc20638:
	s_add_u32 s14, s14, (.LBB2_10876-.Lpost_getpc20638)&4294967295
	s_addc_u32 s15, s15, (.LBB2_10876-.Lpost_getpc20638)>>32
	s_setpc_b64 s[14:15]
.LBB2_25213:
	s_movk_i32 s4, 0x80
	v_cmp_eq_u16_sdwa s[12:13], v5, s4 src0_sel:BYTE_3 src1_sel:DWORD
	s_mov_b64 s[4:5], -1
                                        ; implicit-def: $sgpr10
	s_and_saveexec_b64 s[8:9], s[12:13]
; %bb.25214:
	s_mov_b32 s10, 0x7f800001
	s_xor_b64 s[4:5], exec, -1
; %bb.25215:
	s_or_b64 exec, exec, s[8:9]
	s_and_b64 s[4:5], s[4:5], exec
	s_or_saveexec_b64 s[6:7], s[6:7]
	v_mov_b32_e32 v3, s10
	s_xor_b64 exec, exec, s[6:7]
	s_cbranch_execnz .LBB2_25216
; %bb.61053:
	s_getpc_b64 s[14:15]
.Lpost_getpc34110:
	s_add_u32 s14, s14, (.LBB2_10878-.Lpost_getpc34110)&4294967295
	s_addc_u32 s15, s15, (.LBB2_10878-.Lpost_getpc34110)>>32
	s_setpc_b64 s[14:15]
.LBB2_25216:
	v_mov_b32_e32 v3, 0
	v_cmp_ne_u16_sdwa s[8:9], v5, v3 src0_sel:BYTE_3 src1_sel:DWORD
	s_andn2_b64 s[4:5], s[4:5], exec
	s_and_b64 s[8:9], s[8:9], exec
	s_or_b64 s[4:5], s[4:5], s[8:9]
	s_or_b64 exec, exec, s[6:7]
	s_and_saveexec_b64 s[6:7], s[4:5]
	s_cbranch_execz .LBB2_34111
; %bb.61055:
	s_getpc_b64 s[14:15]
.Lpost_getpc34111:
	s_add_u32 s14, s14, (.LBB2_10879-.Lpost_getpc34111)&4294967295
	s_addc_u32 s15, s15, (.LBB2_10879-.Lpost_getpc34111)>>32
	s_setpc_b64 s[14:15]
.LBB2_34111:
	s_getpc_b64 s[14:15]
.Lpost_getpc20639:
	s_add_u32 s14, s14, (.LBB2_10880-.Lpost_getpc20639)&4294967295
	s_addc_u32 s15, s15, (.LBB2_10880-.Lpost_getpc20639)>>32
	s_setpc_b64 s[14:15]
.LBB2_25217:
	s_movk_i32 s4, 0x80
	v_cmp_eq_u16_sdwa s[12:13], v6, s4 src0_sel:BYTE_0 src1_sel:DWORD
	s_mov_b64 s[4:5], -1
                                        ; implicit-def: $sgpr10
	s_and_saveexec_b64 s[8:9], s[12:13]
; %bb.25218:
	s_mov_b32 s10, 0x7f800001
	s_xor_b64 s[4:5], exec, -1
; %bb.25219:
	s_or_b64 exec, exec, s[8:9]
	s_and_b64 s[4:5], s[4:5], exec
	s_or_saveexec_b64 s[6:7], s[6:7]
	v_mov_b32_e32 v12, s10
	s_xor_b64 exec, exec, s[6:7]
	s_cbranch_execnz .LBB2_25220
; %bb.61057:
	s_getpc_b64 s[14:15]
.Lpost_getpc34112:
	s_add_u32 s14, s14, (.LBB2_10882-.Lpost_getpc34112)&4294967295
	s_addc_u32 s15, s15, (.LBB2_10882-.Lpost_getpc34112)>>32
	s_setpc_b64 s[14:15]
.LBB2_25220:
	v_mov_b32_e32 v12, 0
	v_cmp_ne_u16_sdwa s[8:9], v6, v12 src0_sel:BYTE_0 src1_sel:DWORD
	s_andn2_b64 s[4:5], s[4:5], exec
	s_and_b64 s[8:9], s[8:9], exec
	s_or_b64 s[4:5], s[4:5], s[8:9]
	s_or_b64 exec, exec, s[6:7]
	s_and_saveexec_b64 s[6:7], s[4:5]
	s_cbranch_execz .LBB2_34113
; %bb.61059:
	s_getpc_b64 s[14:15]
.Lpost_getpc34113:
	s_add_u32 s14, s14, (.LBB2_10883-.Lpost_getpc34113)&4294967295
	s_addc_u32 s15, s15, (.LBB2_10883-.Lpost_getpc34113)>>32
	s_setpc_b64 s[14:15]
.LBB2_34113:
	s_getpc_b64 s[14:15]
.Lpost_getpc20640:
	s_add_u32 s14, s14, (.LBB2_10884-.Lpost_getpc20640)&4294967295
	s_addc_u32 s15, s15, (.LBB2_10884-.Lpost_getpc20640)>>32
	s_setpc_b64 s[14:15]
.LBB2_25221:
	s_movk_i32 s4, 0x80
	v_cmp_eq_u16_sdwa s[12:13], v2, s4 src0_sel:BYTE_0 src1_sel:DWORD
	s_mov_b64 s[4:5], -1
                                        ; implicit-def: $sgpr10
	s_and_saveexec_b64 s[8:9], s[12:13]
; %bb.25222:
	s_mov_b32 s10, 0x7f800001
	s_xor_b64 s[4:5], exec, -1
; %bb.25223:
	s_or_b64 exec, exec, s[8:9]
	s_and_b64 s[4:5], s[4:5], exec
	s_or_saveexec_b64 s[6:7], s[6:7]
	v_mov_b32_e32 v13, s10
	s_xor_b64 exec, exec, s[6:7]
	s_cbranch_execnz .LBB2_25224
; %bb.61061:
	s_getpc_b64 s[14:15]
.Lpost_getpc34114:
	s_add_u32 s14, s14, (.LBB2_10886-.Lpost_getpc34114)&4294967295
	s_addc_u32 s15, s15, (.LBB2_10886-.Lpost_getpc34114)>>32
	s_setpc_b64 s[14:15]
.LBB2_25224:
	v_mov_b32_e32 v13, 0
	v_cmp_ne_u16_sdwa s[8:9], v2, v13 src0_sel:BYTE_0 src1_sel:DWORD
	s_andn2_b64 s[4:5], s[4:5], exec
	s_and_b64 s[8:9], s[8:9], exec
	s_or_b64 s[4:5], s[4:5], s[8:9]
	s_or_b64 exec, exec, s[6:7]
	s_and_saveexec_b64 s[6:7], s[4:5]
	s_cbranch_execz .LBB2_34115
; %bb.61063:
	s_getpc_b64 s[14:15]
.Lpost_getpc34115:
	s_add_u32 s14, s14, (.LBB2_10887-.Lpost_getpc34115)&4294967295
	s_addc_u32 s15, s15, (.LBB2_10887-.Lpost_getpc34115)>>32
	s_setpc_b64 s[14:15]
.LBB2_34115:
	s_getpc_b64 s[14:15]
.Lpost_getpc20641:
	s_add_u32 s14, s14, (.LBB2_10888-.Lpost_getpc20641)&4294967295
	s_addc_u32 s15, s15, (.LBB2_10888-.Lpost_getpc20641)>>32
	s_setpc_b64 s[14:15]
.LBB2_25225:
	s_movk_i32 s4, 0x80
	v_cmp_eq_u16_sdwa s[12:13], v13, s4 src0_sel:BYTE_0 src1_sel:DWORD
	s_mov_b64 s[4:5], -1
                                        ; implicit-def: $sgpr10
	s_and_saveexec_b64 s[8:9], s[12:13]
; %bb.25226:
	s_mov_b32 s10, 0x7f800001
	s_xor_b64 s[4:5], exec, -1
; %bb.25227:
	s_or_b64 exec, exec, s[8:9]
	s_and_b64 s[4:5], s[4:5], exec
	s_or_saveexec_b64 s[6:7], s[6:7]
	v_mov_b32_e32 v12, s10
	s_xor_b64 exec, exec, s[6:7]
	s_cbranch_execnz .LBB2_25228
; %bb.61065:
	s_getpc_b64 s[14:15]
.Lpost_getpc34116:
	s_add_u32 s14, s14, (.LBB2_10890-.Lpost_getpc34116)&4294967295
	s_addc_u32 s15, s15, (.LBB2_10890-.Lpost_getpc34116)>>32
	s_setpc_b64 s[14:15]
.LBB2_25228:
	v_mov_b32_e32 v12, 0
	v_cmp_ne_u16_sdwa s[8:9], v13, v12 src0_sel:BYTE_0 src1_sel:DWORD
	s_andn2_b64 s[4:5], s[4:5], exec
	s_and_b64 s[8:9], s[8:9], exec
	s_or_b64 s[4:5], s[4:5], s[8:9]
	s_or_b64 exec, exec, s[6:7]
	s_and_saveexec_b64 s[6:7], s[4:5]
	s_cbranch_execz .LBB2_34117
; %bb.61067:
	s_getpc_b64 s[14:15]
.Lpost_getpc34117:
	s_add_u32 s14, s14, (.LBB2_10891-.Lpost_getpc34117)&4294967295
	s_addc_u32 s15, s15, (.LBB2_10891-.Lpost_getpc34117)>>32
	s_setpc_b64 s[14:15]
.LBB2_34117:
	s_getpc_b64 s[14:15]
.Lpost_getpc20642:
	s_add_u32 s14, s14, (.LBB2_10892-.Lpost_getpc20642)&4294967295
	s_addc_u32 s15, s15, (.LBB2_10892-.Lpost_getpc20642)>>32
	s_setpc_b64 s[14:15]
.LBB2_25229:
	s_movk_i32 s4, 0x80
	v_cmp_eq_u16_sdwa s[12:13], v13, s4 src0_sel:BYTE_0 src1_sel:DWORD
	s_mov_b64 s[4:5], -1
                                        ; implicit-def: $sgpr10
	s_and_saveexec_b64 s[8:9], s[12:13]
; %bb.25230:
	s_mov_b32 s10, 0x7f800001
	s_xor_b64 s[4:5], exec, -1
; %bb.25231:
	s_or_b64 exec, exec, s[8:9]
	s_and_b64 s[4:5], s[4:5], exec
	s_or_saveexec_b64 s[6:7], s[6:7]
	v_mov_b32_e32 v14, s10
	s_xor_b64 exec, exec, s[6:7]
	s_cbranch_execnz .LBB2_25232
; %bb.61069:
	s_getpc_b64 s[14:15]
.Lpost_getpc34118:
	s_add_u32 s14, s14, (.LBB2_10894-.Lpost_getpc34118)&4294967295
	s_addc_u32 s15, s15, (.LBB2_10894-.Lpost_getpc34118)>>32
	s_setpc_b64 s[14:15]
.LBB2_25232:
	v_mov_b32_e32 v14, 0
	v_cmp_ne_u16_sdwa s[8:9], v13, v14 src0_sel:BYTE_0 src1_sel:DWORD
	s_andn2_b64 s[4:5], s[4:5], exec
	s_and_b64 s[8:9], s[8:9], exec
	s_or_b64 s[4:5], s[4:5], s[8:9]
	s_or_b64 exec, exec, s[6:7]
	s_and_saveexec_b64 s[6:7], s[4:5]
	s_cbranch_execz .LBB2_34119
; %bb.61071:
	s_getpc_b64 s[14:15]
.Lpost_getpc34119:
	s_add_u32 s14, s14, (.LBB2_10895-.Lpost_getpc34119)&4294967295
	s_addc_u32 s15, s15, (.LBB2_10895-.Lpost_getpc34119)>>32
	s_setpc_b64 s[14:15]
.LBB2_34119:
	s_getpc_b64 s[14:15]
.Lpost_getpc20643:
	s_add_u32 s14, s14, (.LBB2_10896-.Lpost_getpc20643)&4294967295
	s_addc_u32 s15, s15, (.LBB2_10896-.Lpost_getpc20643)>>32
	s_setpc_b64 s[14:15]
.LBB2_25233:
	s_movk_i32 s4, 0x80
	v_cmp_eq_u16_e32 vcc, s4, v13
	s_mov_b64 s[4:5], -1
                                        ; implicit-def: $sgpr10
	s_and_saveexec_b64 s[8:9], vcc
; %bb.25234:
	s_mov_b32 s10, 0x7f800001
	s_xor_b64 s[4:5], exec, -1
; %bb.25235:
	s_or_b64 exec, exec, s[8:9]
	s_and_b64 s[4:5], s[4:5], exec
                                        ; implicit-def: $vgpr13
	s_or_saveexec_b64 s[6:7], s[6:7]
	v_mov_b32_e32 v12, s10
	s_xor_b64 exec, exec, s[6:7]
	s_cbranch_execnz .LBB2_25236
; %bb.61073:
	s_getpc_b64 s[14:15]
.Lpost_getpc34120:
	s_add_u32 s14, s14, (.LBB2_10898-.Lpost_getpc34120)&4294967295
	s_addc_u32 s15, s15, (.LBB2_10898-.Lpost_getpc34120)>>32
	s_setpc_b64 s[14:15]
.LBB2_25236:
	v_cmp_ne_u16_e32 vcc, 0, v13
	s_andn2_b64 s[4:5], s[4:5], exec
	s_and_b64 s[8:9], vcc, exec
	v_mov_b32_e32 v12, 0
	s_or_b64 s[4:5], s[4:5], s[8:9]
	s_or_b64 exec, exec, s[6:7]
	s_and_saveexec_b64 s[6:7], s[4:5]
	s_cbranch_execz .LBB2_34121
; %bb.61075:
	s_getpc_b64 s[14:15]
.Lpost_getpc34121:
	s_add_u32 s14, s14, (.LBB2_10899-.Lpost_getpc34121)&4294967295
	s_addc_u32 s15, s15, (.LBB2_10899-.Lpost_getpc34121)>>32
	s_setpc_b64 s[14:15]
.LBB2_34121:
	s_getpc_b64 s[14:15]
.Lpost_getpc20644:
	s_add_u32 s14, s14, (.LBB2_10900-.Lpost_getpc20644)&4294967295
	s_addc_u32 s15, s15, (.LBB2_10900-.Lpost_getpc20644)>>32
	s_setpc_b64 s[14:15]
.LBB2_25237:
	s_movk_i32 s4, 0x80
	v_cmp_eq_u16_e32 vcc, s4, v13
	s_mov_b64 s[4:5], -1
                                        ; implicit-def: $sgpr10
	s_and_saveexec_b64 s[8:9], vcc
; %bb.25238:
	s_mov_b32 s10, 0x7f800001
	s_xor_b64 s[4:5], exec, -1
; %bb.25239:
	s_or_b64 exec, exec, s[8:9]
	s_and_b64 s[4:5], s[4:5], exec
                                        ; implicit-def: $vgpr13
	s_or_saveexec_b64 s[6:7], s[6:7]
	v_mov_b32_e32 v14, s10
	s_xor_b64 exec, exec, s[6:7]
	s_cbranch_execnz .LBB2_25240
; %bb.61077:
	s_getpc_b64 s[14:15]
.Lpost_getpc34122:
	s_add_u32 s14, s14, (.LBB2_10902-.Lpost_getpc34122)&4294967295
	s_addc_u32 s15, s15, (.LBB2_10902-.Lpost_getpc34122)>>32
	s_setpc_b64 s[14:15]
.LBB2_25240:
	v_cmp_ne_u16_e32 vcc, 0, v13
	s_andn2_b64 s[4:5], s[4:5], exec
	s_and_b64 s[8:9], vcc, exec
	v_mov_b32_e32 v14, 0
	s_or_b64 s[4:5], s[4:5], s[8:9]
	s_or_b64 exec, exec, s[6:7]
	s_and_saveexec_b64 s[6:7], s[4:5]
	s_cbranch_execz .LBB2_34123
; %bb.61079:
	s_getpc_b64 s[14:15]
.Lpost_getpc34123:
	s_add_u32 s14, s14, (.LBB2_10903-.Lpost_getpc34123)&4294967295
	s_addc_u32 s15, s15, (.LBB2_10903-.Lpost_getpc34123)>>32
	s_setpc_b64 s[14:15]
.LBB2_34123:
	s_getpc_b64 s[14:15]
.Lpost_getpc20645:
	s_add_u32 s14, s14, (.LBB2_10904-.Lpost_getpc20645)&4294967295
	s_addc_u32 s15, s15, (.LBB2_10904-.Lpost_getpc20645)>>32
	s_setpc_b64 s[14:15]
.LBB2_25241:
	s_movk_i32 s4, 0x80
	v_cmp_eq_u16_sdwa s[12:13], v6, s4 src0_sel:BYTE_3 src1_sel:DWORD
	s_mov_b64 s[4:5], -1
                                        ; implicit-def: $sgpr10
	s_and_saveexec_b64 s[8:9], s[12:13]
; %bb.25242:
	s_mov_b32 s10, 0x7f800001
	s_xor_b64 s[4:5], exec, -1
; %bb.25243:
	s_or_b64 exec, exec, s[8:9]
	s_and_b64 s[4:5], s[4:5], exec
	s_or_saveexec_b64 s[6:7], s[6:7]
	v_mov_b32_e32 v12, s10
	s_xor_b64 exec, exec, s[6:7]
	s_cbranch_execnz .LBB2_25244
; %bb.61081:
	s_getpc_b64 s[14:15]
.Lpost_getpc34124:
	s_add_u32 s14, s14, (.LBB2_10906-.Lpost_getpc34124)&4294967295
	s_addc_u32 s15, s15, (.LBB2_10906-.Lpost_getpc34124)>>32
	s_setpc_b64 s[14:15]
.LBB2_25244:
	v_mov_b32_e32 v12, 0
	v_cmp_ne_u16_sdwa s[8:9], v6, v12 src0_sel:BYTE_3 src1_sel:DWORD
	s_andn2_b64 s[4:5], s[4:5], exec
	s_and_b64 s[8:9], s[8:9], exec
	s_or_b64 s[4:5], s[4:5], s[8:9]
	s_or_b64 exec, exec, s[6:7]
	s_and_saveexec_b64 s[6:7], s[4:5]
	s_cbranch_execz .LBB2_34125
; %bb.61083:
	s_getpc_b64 s[14:15]
.Lpost_getpc34125:
	s_add_u32 s14, s14, (.LBB2_10907-.Lpost_getpc34125)&4294967295
	s_addc_u32 s15, s15, (.LBB2_10907-.Lpost_getpc34125)>>32
	s_setpc_b64 s[14:15]
.LBB2_34125:
	s_getpc_b64 s[14:15]
.Lpost_getpc20646:
	s_add_u32 s14, s14, (.LBB2_10908-.Lpost_getpc20646)&4294967295
	s_addc_u32 s15, s15, (.LBB2_10908-.Lpost_getpc20646)>>32
	s_setpc_b64 s[14:15]
.LBB2_25245:
	s_movk_i32 s4, 0x80
	v_cmp_eq_u16_sdwa s[12:13], v2, s4 src0_sel:BYTE_3 src1_sel:DWORD
	s_mov_b64 s[4:5], -1
                                        ; implicit-def: $sgpr10
	s_and_saveexec_b64 s[8:9], s[12:13]
; %bb.25246:
	s_mov_b32 s10, 0x7f800001
	s_xor_b64 s[4:5], exec, -1
; %bb.25247:
	s_or_b64 exec, exec, s[8:9]
	s_and_b64 s[4:5], s[4:5], exec
	s_or_saveexec_b64 s[6:7], s[6:7]
	v_mov_b32_e32 v6, s10
	s_xor_b64 exec, exec, s[6:7]
	s_cbranch_execnz .LBB2_25248
; %bb.61085:
	s_getpc_b64 s[14:15]
.Lpost_getpc34126:
	s_add_u32 s14, s14, (.LBB2_10910-.Lpost_getpc34126)&4294967295
	s_addc_u32 s15, s15, (.LBB2_10910-.Lpost_getpc34126)>>32
	s_setpc_b64 s[14:15]
.LBB2_25248:
	v_mov_b32_e32 v6, 0
	v_cmp_ne_u16_sdwa s[8:9], v2, v6 src0_sel:BYTE_3 src1_sel:DWORD
	s_andn2_b64 s[4:5], s[4:5], exec
	s_and_b64 s[8:9], s[8:9], exec
	s_or_b64 s[4:5], s[4:5], s[8:9]
	s_or_b64 exec, exec, s[6:7]
	s_and_saveexec_b64 s[6:7], s[4:5]
	s_cbranch_execz .LBB2_34127
; %bb.61087:
	s_getpc_b64 s[14:15]
.Lpost_getpc34127:
	s_add_u32 s14, s14, (.LBB2_10911-.Lpost_getpc34127)&4294967295
	s_addc_u32 s15, s15, (.LBB2_10911-.Lpost_getpc34127)>>32
	s_setpc_b64 s[14:15]
.LBB2_34127:
	s_getpc_b64 s[14:15]
.Lpost_getpc20647:
	s_add_u32 s14, s14, (.LBB2_10912-.Lpost_getpc20647)&4294967295
	s_addc_u32 s15, s15, (.LBB2_10912-.Lpost_getpc20647)>>32
	s_setpc_b64 s[14:15]
.LBB2_25249:
	s_movk_i32 s4, 0x80
	v_cmp_eq_u16_sdwa s[12:13], v7, s4 src0_sel:BYTE_0 src1_sel:DWORD
	s_mov_b64 s[4:5], -1
                                        ; implicit-def: $sgpr10
	s_and_saveexec_b64 s[8:9], s[12:13]
; %bb.25250:
	s_mov_b32 s10, 0x7f800001
	s_xor_b64 s[4:5], exec, -1
; %bb.25251:
	s_or_b64 exec, exec, s[8:9]
	s_and_b64 s[4:5], s[4:5], exec
	s_or_saveexec_b64 s[6:7], s[6:7]
	v_mov_b32_e32 v2, s10
	s_xor_b64 exec, exec, s[6:7]
	s_cbranch_execnz .LBB2_25252
; %bb.61089:
	s_getpc_b64 s[14:15]
.Lpost_getpc34128:
	s_add_u32 s14, s14, (.LBB2_10914-.Lpost_getpc34128)&4294967295
	s_addc_u32 s15, s15, (.LBB2_10914-.Lpost_getpc34128)>>32
	s_setpc_b64 s[14:15]
.LBB2_25252:
	v_mov_b32_e32 v2, 0
	v_cmp_ne_u16_sdwa s[8:9], v7, v2 src0_sel:BYTE_0 src1_sel:DWORD
	s_andn2_b64 s[4:5], s[4:5], exec
	s_and_b64 s[8:9], s[8:9], exec
	s_or_b64 s[4:5], s[4:5], s[8:9]
	s_or_b64 exec, exec, s[6:7]
	s_and_saveexec_b64 s[6:7], s[4:5]
	s_cbranch_execz .LBB2_34129
; %bb.61091:
	s_getpc_b64 s[14:15]
.Lpost_getpc34129:
	s_add_u32 s14, s14, (.LBB2_10915-.Lpost_getpc34129)&4294967295
	s_addc_u32 s15, s15, (.LBB2_10915-.Lpost_getpc34129)>>32
	s_setpc_b64 s[14:15]
.LBB2_34129:
	s_getpc_b64 s[14:15]
.Lpost_getpc20648:
	s_add_u32 s14, s14, (.LBB2_10916-.Lpost_getpc20648)&4294967295
	s_addc_u32 s15, s15, (.LBB2_10916-.Lpost_getpc20648)>>32
	s_setpc_b64 s[14:15]
.LBB2_25253:
	s_movk_i32 s4, 0x80
	v_cmp_eq_u16_sdwa s[12:13], v3, s4 src0_sel:BYTE_0 src1_sel:DWORD
	s_mov_b64 s[4:5], -1
                                        ; implicit-def: $sgpr10
	s_and_saveexec_b64 s[8:9], s[12:13]
; %bb.25254:
	s_mov_b32 s10, 0x7f800001
	s_xor_b64 s[4:5], exec, -1
; %bb.25255:
	s_or_b64 exec, exec, s[8:9]
	s_and_b64 s[4:5], s[4:5], exec
	s_or_saveexec_b64 s[6:7], s[6:7]
	v_mov_b32_e32 v6, s10
	s_xor_b64 exec, exec, s[6:7]
	s_cbranch_execnz .LBB2_25256
; %bb.61093:
	s_getpc_b64 s[14:15]
.Lpost_getpc34130:
	s_add_u32 s14, s14, (.LBB2_10918-.Lpost_getpc34130)&4294967295
	s_addc_u32 s15, s15, (.LBB2_10918-.Lpost_getpc34130)>>32
	s_setpc_b64 s[14:15]
.LBB2_25256:
	v_mov_b32_e32 v6, 0
	v_cmp_ne_u16_sdwa s[8:9], v3, v6 src0_sel:BYTE_0 src1_sel:DWORD
	s_andn2_b64 s[4:5], s[4:5], exec
	s_and_b64 s[8:9], s[8:9], exec
	s_or_b64 s[4:5], s[4:5], s[8:9]
	s_or_b64 exec, exec, s[6:7]
	s_and_saveexec_b64 s[6:7], s[4:5]
	s_cbranch_execz .LBB2_34131
; %bb.61095:
	s_getpc_b64 s[14:15]
.Lpost_getpc34131:
	s_add_u32 s14, s14, (.LBB2_10919-.Lpost_getpc34131)&4294967295
	s_addc_u32 s15, s15, (.LBB2_10919-.Lpost_getpc34131)>>32
	s_setpc_b64 s[14:15]
.LBB2_34131:
	s_getpc_b64 s[14:15]
.Lpost_getpc20649:
	s_add_u32 s14, s14, (.LBB2_10920-.Lpost_getpc20649)&4294967295
	s_addc_u32 s15, s15, (.LBB2_10920-.Lpost_getpc20649)>>32
	s_setpc_b64 s[14:15]
.LBB2_25257:
	s_movk_i32 s4, 0x80
	v_cmp_eq_u16_sdwa s[12:13], v6, s4 src0_sel:BYTE_0 src1_sel:DWORD
	s_mov_b64 s[4:5], -1
                                        ; implicit-def: $sgpr10
	s_and_saveexec_b64 s[8:9], s[12:13]
; %bb.25258:
	s_mov_b32 s10, 0x7f800001
	s_xor_b64 s[4:5], exec, -1
; %bb.25259:
	s_or_b64 exec, exec, s[8:9]
	s_and_b64 s[4:5], s[4:5], exec
	s_or_saveexec_b64 s[6:7], s[6:7]
	v_mov_b32_e32 v2, s10
	s_xor_b64 exec, exec, s[6:7]
	s_cbranch_execnz .LBB2_25260
; %bb.61097:
	s_getpc_b64 s[14:15]
.Lpost_getpc34132:
	s_add_u32 s14, s14, (.LBB2_10922-.Lpost_getpc34132)&4294967295
	s_addc_u32 s15, s15, (.LBB2_10922-.Lpost_getpc34132)>>32
	s_setpc_b64 s[14:15]
.LBB2_25260:
	v_mov_b32_e32 v2, 0
	v_cmp_ne_u16_sdwa s[8:9], v6, v2 src0_sel:BYTE_0 src1_sel:DWORD
	s_andn2_b64 s[4:5], s[4:5], exec
	s_and_b64 s[8:9], s[8:9], exec
	s_or_b64 s[4:5], s[4:5], s[8:9]
	s_or_b64 exec, exec, s[6:7]
	s_and_saveexec_b64 s[6:7], s[4:5]
	s_cbranch_execz .LBB2_34133
; %bb.61099:
	s_getpc_b64 s[14:15]
.Lpost_getpc34133:
	s_add_u32 s14, s14, (.LBB2_10923-.Lpost_getpc34133)&4294967295
	s_addc_u32 s15, s15, (.LBB2_10923-.Lpost_getpc34133)>>32
	s_setpc_b64 s[14:15]
.LBB2_34133:
	s_getpc_b64 s[14:15]
.Lpost_getpc20650:
	s_add_u32 s14, s14, (.LBB2_10924-.Lpost_getpc20650)&4294967295
	s_addc_u32 s15, s15, (.LBB2_10924-.Lpost_getpc20650)>>32
	s_setpc_b64 s[14:15]
.LBB2_25261:
	s_movk_i32 s4, 0x80
	v_cmp_eq_u16_sdwa s[12:13], v6, s4 src0_sel:BYTE_0 src1_sel:DWORD
	s_mov_b64 s[4:5], -1
                                        ; implicit-def: $sgpr10
	s_and_saveexec_b64 s[8:9], s[12:13]
; %bb.25262:
	s_mov_b32 s10, 0x7f800001
	s_xor_b64 s[4:5], exec, -1
; %bb.25263:
	s_or_b64 exec, exec, s[8:9]
	s_and_b64 s[4:5], s[4:5], exec
	s_or_saveexec_b64 s[6:7], s[6:7]
	v_mov_b32_e32 v12, s10
	s_xor_b64 exec, exec, s[6:7]
	s_cbranch_execnz .LBB2_25264
; %bb.61101:
	s_getpc_b64 s[14:15]
.Lpost_getpc34134:
	s_add_u32 s14, s14, (.LBB2_10926-.Lpost_getpc34134)&4294967295
	s_addc_u32 s15, s15, (.LBB2_10926-.Lpost_getpc34134)>>32
	s_setpc_b64 s[14:15]
.LBB2_25264:
	v_mov_b32_e32 v12, 0
	v_cmp_ne_u16_sdwa s[8:9], v6, v12 src0_sel:BYTE_0 src1_sel:DWORD
	s_andn2_b64 s[4:5], s[4:5], exec
	s_and_b64 s[8:9], s[8:9], exec
	s_or_b64 s[4:5], s[4:5], s[8:9]
	s_or_b64 exec, exec, s[6:7]
	s_and_saveexec_b64 s[6:7], s[4:5]
	s_cbranch_execz .LBB2_34135
; %bb.61103:
	s_getpc_b64 s[14:15]
.Lpost_getpc34135:
	s_add_u32 s14, s14, (.LBB2_10927-.Lpost_getpc34135)&4294967295
	s_addc_u32 s15, s15, (.LBB2_10927-.Lpost_getpc34135)>>32
	s_setpc_b64 s[14:15]
.LBB2_34135:
	s_getpc_b64 s[14:15]
.Lpost_getpc20651:
	s_add_u32 s14, s14, (.LBB2_10928-.Lpost_getpc20651)&4294967295
	s_addc_u32 s15, s15, (.LBB2_10928-.Lpost_getpc20651)>>32
	s_setpc_b64 s[14:15]
.LBB2_25265:
	s_movk_i32 s4, 0x80
	v_cmp_eq_u16_e32 vcc, s4, v6
	s_mov_b64 s[4:5], -1
                                        ; implicit-def: $sgpr10
	s_and_saveexec_b64 s[8:9], vcc
; %bb.25266:
	s_mov_b32 s10, 0x7f800001
	s_xor_b64 s[4:5], exec, -1
; %bb.25267:
	s_or_b64 exec, exec, s[8:9]
	s_and_b64 s[4:5], s[4:5], exec
                                        ; implicit-def: $vgpr6
	s_or_saveexec_b64 s[6:7], s[6:7]
	v_mov_b32_e32 v2, s10
	s_xor_b64 exec, exec, s[6:7]
	s_cbranch_execnz .LBB2_25268
; %bb.61105:
	s_getpc_b64 s[14:15]
.Lpost_getpc34136:
	s_add_u32 s14, s14, (.LBB2_10930-.Lpost_getpc34136)&4294967295
	s_addc_u32 s15, s15, (.LBB2_10930-.Lpost_getpc34136)>>32
	s_setpc_b64 s[14:15]
.LBB2_25268:
	v_cmp_ne_u16_e32 vcc, 0, v6
	s_andn2_b64 s[4:5], s[4:5], exec
	s_and_b64 s[8:9], vcc, exec
	v_mov_b32_e32 v2, 0
	s_or_b64 s[4:5], s[4:5], s[8:9]
	s_or_b64 exec, exec, s[6:7]
	s_and_saveexec_b64 s[6:7], s[4:5]
	s_cbranch_execz .LBB2_34137
; %bb.61107:
	s_getpc_b64 s[14:15]
.Lpost_getpc34137:
	s_add_u32 s14, s14, (.LBB2_10931-.Lpost_getpc34137)&4294967295
	s_addc_u32 s15, s15, (.LBB2_10931-.Lpost_getpc34137)>>32
	s_setpc_b64 s[14:15]
.LBB2_34137:
	s_getpc_b64 s[14:15]
.Lpost_getpc20652:
	s_add_u32 s14, s14, (.LBB2_10932-.Lpost_getpc20652)&4294967295
	s_addc_u32 s15, s15, (.LBB2_10932-.Lpost_getpc20652)>>32
	s_setpc_b64 s[14:15]
.LBB2_25269:
	s_movk_i32 s4, 0x80
	v_cmp_eq_u16_e32 vcc, s4, v6
	s_mov_b64 s[4:5], -1
                                        ; implicit-def: $sgpr10
	s_and_saveexec_b64 s[8:9], vcc
; %bb.25270:
	s_mov_b32 s10, 0x7f800001
	s_xor_b64 s[4:5], exec, -1
; %bb.25271:
	s_or_b64 exec, exec, s[8:9]
	s_and_b64 s[4:5], s[4:5], exec
                                        ; implicit-def: $vgpr6
	s_or_saveexec_b64 s[6:7], s[6:7]
	v_mov_b32_e32 v12, s10
	s_xor_b64 exec, exec, s[6:7]
	s_cbranch_execnz .LBB2_25272
; %bb.61109:
	s_getpc_b64 s[14:15]
.Lpost_getpc34138:
	s_add_u32 s14, s14, (.LBB2_10934-.Lpost_getpc34138)&4294967295
	s_addc_u32 s15, s15, (.LBB2_10934-.Lpost_getpc34138)>>32
	s_setpc_b64 s[14:15]
.LBB2_25272:
	v_cmp_ne_u16_e32 vcc, 0, v6
	s_andn2_b64 s[4:5], s[4:5], exec
	s_and_b64 s[8:9], vcc, exec
	v_mov_b32_e32 v12, 0
	s_or_b64 s[4:5], s[4:5], s[8:9]
	s_or_b64 exec, exec, s[6:7]
	s_and_saveexec_b64 s[6:7], s[4:5]
	s_cbranch_execz .LBB2_34139
; %bb.61111:
	s_getpc_b64 s[14:15]
.Lpost_getpc34139:
	s_add_u32 s14, s14, (.LBB2_10935-.Lpost_getpc34139)&4294967295
	s_addc_u32 s15, s15, (.LBB2_10935-.Lpost_getpc34139)>>32
	s_setpc_b64 s[14:15]
.LBB2_34139:
	s_getpc_b64 s[14:15]
.Lpost_getpc20653:
	s_add_u32 s14, s14, (.LBB2_10936-.Lpost_getpc20653)&4294967295
	s_addc_u32 s15, s15, (.LBB2_10936-.Lpost_getpc20653)>>32
	s_setpc_b64 s[14:15]
.LBB2_25273:
	s_movk_i32 s4, 0x80
	v_cmp_eq_u16_sdwa s[12:13], v7, s4 src0_sel:BYTE_3 src1_sel:DWORD
	s_mov_b64 s[4:5], -1
                                        ; implicit-def: $sgpr10
	s_and_saveexec_b64 s[8:9], s[12:13]
; %bb.25274:
	s_mov_b32 s10, 0x7f800001
	s_xor_b64 s[4:5], exec, -1
; %bb.25275:
	s_or_b64 exec, exec, s[8:9]
	s_and_b64 s[4:5], s[4:5], exec
	s_or_saveexec_b64 s[6:7], s[6:7]
	v_mov_b32_e32 v2, s10
	s_xor_b64 exec, exec, s[6:7]
	s_cbranch_execnz .LBB2_25276
; %bb.61113:
	s_getpc_b64 s[14:15]
.Lpost_getpc34140:
	s_add_u32 s14, s14, (.LBB2_10938-.Lpost_getpc34140)&4294967295
	s_addc_u32 s15, s15, (.LBB2_10938-.Lpost_getpc34140)>>32
	s_setpc_b64 s[14:15]
.LBB2_25276:
	v_mov_b32_e32 v2, 0
	v_cmp_ne_u16_sdwa s[8:9], v7, v2 src0_sel:BYTE_3 src1_sel:DWORD
	s_andn2_b64 s[4:5], s[4:5], exec
	s_and_b64 s[8:9], s[8:9], exec
	s_or_b64 s[4:5], s[4:5], s[8:9]
	s_or_b64 exec, exec, s[6:7]
	s_and_saveexec_b64 s[6:7], s[4:5]
	s_cbranch_execz .LBB2_34141
; %bb.61115:
	s_getpc_b64 s[14:15]
.Lpost_getpc34141:
	s_add_u32 s14, s14, (.LBB2_10939-.Lpost_getpc34141)&4294967295
	s_addc_u32 s15, s15, (.LBB2_10939-.Lpost_getpc34141)>>32
	s_setpc_b64 s[14:15]
.LBB2_34141:
	s_getpc_b64 s[14:15]
.Lpost_getpc20654:
	s_add_u32 s14, s14, (.LBB2_10940-.Lpost_getpc20654)&4294967295
	s_addc_u32 s15, s15, (.LBB2_10940-.Lpost_getpc20654)>>32
	s_setpc_b64 s[14:15]
.LBB2_25277:
	s_movk_i32 s4, 0x80
	v_cmp_eq_u16_sdwa s[12:13], v3, s4 src0_sel:BYTE_3 src1_sel:DWORD
	s_mov_b64 s[4:5], -1
                                        ; implicit-def: $sgpr10
	s_and_saveexec_b64 s[8:9], s[12:13]
; %bb.25278:
	s_mov_b32 s10, 0x7f800001
	s_xor_b64 s[4:5], exec, -1
; %bb.25279:
	s_or_b64 exec, exec, s[8:9]
	s_and_b64 s[4:5], s[4:5], exec
	s_or_saveexec_b64 s[6:7], s[6:7]
	v_mov_b32_e32 v6, s10
	s_xor_b64 exec, exec, s[6:7]
	s_cbranch_execnz .LBB2_25280
; %bb.61117:
	s_getpc_b64 s[14:15]
.Lpost_getpc34142:
	s_add_u32 s14, s14, (.LBB2_10942-.Lpost_getpc34142)&4294967295
	s_addc_u32 s15, s15, (.LBB2_10942-.Lpost_getpc34142)>>32
	s_setpc_b64 s[14:15]
.LBB2_25280:
	v_mov_b32_e32 v6, 0
	v_cmp_ne_u16_sdwa s[8:9], v3, v6 src0_sel:BYTE_3 src1_sel:DWORD
	s_andn2_b64 s[4:5], s[4:5], exec
	s_and_b64 s[8:9], s[8:9], exec
	s_or_b64 s[4:5], s[4:5], s[8:9]
	s_or_b64 exec, exec, s[6:7]
	s_and_saveexec_b64 s[6:7], s[4:5]
	s_cbranch_execz .LBB2_34143
; %bb.61119:
	s_getpc_b64 s[14:15]
.Lpost_getpc34143:
	s_add_u32 s14, s14, (.LBB2_10943-.Lpost_getpc34143)&4294967295
	s_addc_u32 s15, s15, (.LBB2_10943-.Lpost_getpc34143)>>32
	s_setpc_b64 s[14:15]
.LBB2_34143:
	s_getpc_b64 s[14:15]
.Lpost_getpc20655:
	s_add_u32 s14, s14, (.LBB2_10944-.Lpost_getpc20655)&4294967295
	s_addc_u32 s15, s15, (.LBB2_10944-.Lpost_getpc20655)>>32
	s_setpc_b64 s[14:15]
.LBB2_25281:
	s_movk_i32 s4, 0x80
	v_cmp_eq_u16_sdwa s[12:13], v8, s4 src0_sel:BYTE_0 src1_sel:DWORD
	s_mov_b64 s[4:5], -1
                                        ; implicit-def: $sgpr10
	s_and_saveexec_b64 s[8:9], s[12:13]
; %bb.25282:
	s_mov_b32 s10, 0x7f800001
	s_xor_b64 s[4:5], exec, -1
; %bb.25283:
	s_or_b64 exec, exec, s[8:9]
	s_and_b64 s[4:5], s[4:5], exec
	s_or_saveexec_b64 s[6:7], s[6:7]
	v_mov_b32_e32 v2, s10
	s_xor_b64 exec, exec, s[6:7]
	s_cbranch_execnz .LBB2_25284
; %bb.61121:
	s_getpc_b64 s[14:15]
.Lpost_getpc34144:
	s_add_u32 s14, s14, (.LBB2_10946-.Lpost_getpc34144)&4294967295
	s_addc_u32 s15, s15, (.LBB2_10946-.Lpost_getpc34144)>>32
	s_setpc_b64 s[14:15]
.LBB2_25284:
	v_mov_b32_e32 v2, 0
	v_cmp_ne_u16_sdwa s[8:9], v8, v2 src0_sel:BYTE_0 src1_sel:DWORD
	s_andn2_b64 s[4:5], s[4:5], exec
	s_and_b64 s[8:9], s[8:9], exec
	s_or_b64 s[4:5], s[4:5], s[8:9]
	s_or_b64 exec, exec, s[6:7]
	s_and_saveexec_b64 s[6:7], s[4:5]
	s_cbranch_execz .LBB2_34145
; %bb.61123:
	s_getpc_b64 s[14:15]
.Lpost_getpc34145:
	s_add_u32 s14, s14, (.LBB2_10947-.Lpost_getpc34145)&4294967295
	s_addc_u32 s15, s15, (.LBB2_10947-.Lpost_getpc34145)>>32
	s_setpc_b64 s[14:15]
.LBB2_34145:
	s_getpc_b64 s[14:15]
.Lpost_getpc20656:
	s_add_u32 s14, s14, (.LBB2_10948-.Lpost_getpc20656)&4294967295
	s_addc_u32 s15, s15, (.LBB2_10948-.Lpost_getpc20656)>>32
	s_setpc_b64 s[14:15]
.LBB2_25285:
	s_movk_i32 s4, 0x80
	v_cmp_eq_u16_sdwa s[12:13], v4, s4 src0_sel:BYTE_0 src1_sel:DWORD
	s_mov_b64 s[4:5], -1
                                        ; implicit-def: $sgpr10
	s_and_saveexec_b64 s[8:9], s[12:13]
; %bb.25286:
	s_mov_b32 s10, 0x7f800001
	s_xor_b64 s[4:5], exec, -1
; %bb.25287:
	s_or_b64 exec, exec, s[8:9]
	s_and_b64 s[4:5], s[4:5], exec
	s_or_saveexec_b64 s[6:7], s[6:7]
	v_mov_b32_e32 v3, s10
	s_xor_b64 exec, exec, s[6:7]
	s_cbranch_execnz .LBB2_25288
; %bb.61125:
	s_getpc_b64 s[14:15]
.Lpost_getpc34146:
	s_add_u32 s14, s14, (.LBB2_10950-.Lpost_getpc34146)&4294967295
	s_addc_u32 s15, s15, (.LBB2_10950-.Lpost_getpc34146)>>32
	s_setpc_b64 s[14:15]
.LBB2_25288:
	v_mov_b32_e32 v3, 0
	v_cmp_ne_u16_sdwa s[8:9], v4, v3 src0_sel:BYTE_0 src1_sel:DWORD
	s_andn2_b64 s[4:5], s[4:5], exec
	s_and_b64 s[8:9], s[8:9], exec
	s_or_b64 s[4:5], s[4:5], s[8:9]
	s_or_b64 exec, exec, s[6:7]
	s_and_saveexec_b64 s[6:7], s[4:5]
	s_cbranch_execz .LBB2_34147
; %bb.61127:
	s_getpc_b64 s[14:15]
.Lpost_getpc34147:
	s_add_u32 s14, s14, (.LBB2_10951-.Lpost_getpc34147)&4294967295
	s_addc_u32 s15, s15, (.LBB2_10951-.Lpost_getpc34147)>>32
	s_setpc_b64 s[14:15]
.LBB2_34147:
	s_getpc_b64 s[14:15]
.Lpost_getpc20657:
	s_add_u32 s14, s14, (.LBB2_10952-.Lpost_getpc20657)&4294967295
	s_addc_u32 s15, s15, (.LBB2_10952-.Lpost_getpc20657)>>32
	s_setpc_b64 s[14:15]
.LBB2_25289:
	s_movk_i32 s4, 0x80
	v_cmp_eq_u16_sdwa s[12:13], v3, s4 src0_sel:BYTE_0 src1_sel:DWORD
	s_mov_b64 s[4:5], -1
                                        ; implicit-def: $sgpr10
	s_and_saveexec_b64 s[8:9], s[12:13]
; %bb.25290:
	s_mov_b32 s10, 0x7f800001
	s_xor_b64 s[4:5], exec, -1
; %bb.25291:
	s_or_b64 exec, exec, s[8:9]
	s_and_b64 s[4:5], s[4:5], exec
	s_or_saveexec_b64 s[6:7], s[6:7]
	v_mov_b32_e32 v2, s10
	s_xor_b64 exec, exec, s[6:7]
	s_cbranch_execnz .LBB2_25292
; %bb.61129:
	s_getpc_b64 s[14:15]
.Lpost_getpc34148:
	s_add_u32 s14, s14, (.LBB2_10954-.Lpost_getpc34148)&4294967295
	s_addc_u32 s15, s15, (.LBB2_10954-.Lpost_getpc34148)>>32
	s_setpc_b64 s[14:15]
.LBB2_25292:
	v_mov_b32_e32 v2, 0
	v_cmp_ne_u16_sdwa s[8:9], v3, v2 src0_sel:BYTE_0 src1_sel:DWORD
	s_andn2_b64 s[4:5], s[4:5], exec
	s_and_b64 s[8:9], s[8:9], exec
	s_or_b64 s[4:5], s[4:5], s[8:9]
	s_or_b64 exec, exec, s[6:7]
	s_and_saveexec_b64 s[6:7], s[4:5]
	s_cbranch_execz .LBB2_34149
; %bb.61131:
	s_getpc_b64 s[14:15]
.Lpost_getpc34149:
	s_add_u32 s14, s14, (.LBB2_10955-.Lpost_getpc34149)&4294967295
	s_addc_u32 s15, s15, (.LBB2_10955-.Lpost_getpc34149)>>32
	s_setpc_b64 s[14:15]
.LBB2_34149:
	s_getpc_b64 s[14:15]
.Lpost_getpc20658:
	s_add_u32 s14, s14, (.LBB2_10956-.Lpost_getpc20658)&4294967295
	s_addc_u32 s15, s15, (.LBB2_10956-.Lpost_getpc20658)>>32
	s_setpc_b64 s[14:15]
.LBB2_25293:
	s_movk_i32 s4, 0x80
	v_cmp_eq_u16_sdwa s[12:13], v3, s4 src0_sel:BYTE_0 src1_sel:DWORD
	s_mov_b64 s[4:5], -1
                                        ; implicit-def: $sgpr10
	s_and_saveexec_b64 s[8:9], s[12:13]
; %bb.25294:
	s_mov_b32 s10, 0x7f800001
	s_xor_b64 s[4:5], exec, -1
; %bb.25295:
	s_or_b64 exec, exec, s[8:9]
	s_and_b64 s[4:5], s[4:5], exec
	s_or_saveexec_b64 s[6:7], s[6:7]
	v_mov_b32_e32 v6, s10
	s_xor_b64 exec, exec, s[6:7]
	s_cbranch_execnz .LBB2_25296
; %bb.61133:
	s_getpc_b64 s[14:15]
.Lpost_getpc34150:
	s_add_u32 s14, s14, (.LBB2_10958-.Lpost_getpc34150)&4294967295
	s_addc_u32 s15, s15, (.LBB2_10958-.Lpost_getpc34150)>>32
	s_setpc_b64 s[14:15]
.LBB2_25296:
	v_mov_b32_e32 v6, 0
	v_cmp_ne_u16_sdwa s[8:9], v3, v6 src0_sel:BYTE_0 src1_sel:DWORD
	s_andn2_b64 s[4:5], s[4:5], exec
	s_and_b64 s[8:9], s[8:9], exec
	s_or_b64 s[4:5], s[4:5], s[8:9]
	s_or_b64 exec, exec, s[6:7]
	s_and_saveexec_b64 s[6:7], s[4:5]
	s_cbranch_execz .LBB2_34151
; %bb.61135:
	s_getpc_b64 s[14:15]
.Lpost_getpc34151:
	s_add_u32 s14, s14, (.LBB2_10959-.Lpost_getpc34151)&4294967295
	s_addc_u32 s15, s15, (.LBB2_10959-.Lpost_getpc34151)>>32
	s_setpc_b64 s[14:15]
.LBB2_34151:
	s_getpc_b64 s[14:15]
.Lpost_getpc20659:
	s_add_u32 s14, s14, (.LBB2_10960-.Lpost_getpc20659)&4294967295
	s_addc_u32 s15, s15, (.LBB2_10960-.Lpost_getpc20659)>>32
	s_setpc_b64 s[14:15]
.LBB2_25297:
	s_movk_i32 s4, 0x80
	v_cmp_eq_u16_e32 vcc, s4, v3
	s_mov_b64 s[4:5], -1
                                        ; implicit-def: $sgpr10
	s_and_saveexec_b64 s[8:9], vcc
; %bb.25298:
	s_mov_b32 s10, 0x7f800001
	s_xor_b64 s[4:5], exec, -1
; %bb.25299:
	s_or_b64 exec, exec, s[8:9]
	s_and_b64 s[4:5], s[4:5], exec
                                        ; implicit-def: $vgpr3
	s_or_saveexec_b64 s[6:7], s[6:7]
	v_mov_b32_e32 v2, s10
	s_xor_b64 exec, exec, s[6:7]
	s_cbranch_execnz .LBB2_25300
; %bb.61137:
	s_getpc_b64 s[14:15]
.Lpost_getpc34152:
	s_add_u32 s14, s14, (.LBB2_10962-.Lpost_getpc34152)&4294967295
	s_addc_u32 s15, s15, (.LBB2_10962-.Lpost_getpc34152)>>32
	s_setpc_b64 s[14:15]
.LBB2_25300:
	v_cmp_ne_u16_e32 vcc, 0, v3
	s_andn2_b64 s[4:5], s[4:5], exec
	s_and_b64 s[8:9], vcc, exec
	v_mov_b32_e32 v2, 0
	s_or_b64 s[4:5], s[4:5], s[8:9]
	s_or_b64 exec, exec, s[6:7]
	s_and_saveexec_b64 s[6:7], s[4:5]
	s_cbranch_execz .LBB2_34153
; %bb.61139:
	s_getpc_b64 s[14:15]
.Lpost_getpc34153:
	s_add_u32 s14, s14, (.LBB2_10963-.Lpost_getpc34153)&4294967295
	s_addc_u32 s15, s15, (.LBB2_10963-.Lpost_getpc34153)>>32
	s_setpc_b64 s[14:15]
.LBB2_34153:
	s_getpc_b64 s[14:15]
.Lpost_getpc20660:
	s_add_u32 s14, s14, (.LBB2_10964-.Lpost_getpc20660)&4294967295
	s_addc_u32 s15, s15, (.LBB2_10964-.Lpost_getpc20660)>>32
	s_setpc_b64 s[14:15]
.LBB2_25301:
	s_movk_i32 s4, 0x80
	v_cmp_eq_u16_e32 vcc, s4, v3
	s_mov_b64 s[4:5], -1
                                        ; implicit-def: $sgpr10
	s_and_saveexec_b64 s[8:9], vcc
; %bb.25302:
	s_mov_b32 s10, 0x7f800001
	s_xor_b64 s[4:5], exec, -1
; %bb.25303:
	s_or_b64 exec, exec, s[8:9]
	s_and_b64 s[4:5], s[4:5], exec
                                        ; implicit-def: $vgpr3
	s_or_saveexec_b64 s[6:7], s[6:7]
	v_mov_b32_e32 v6, s10
	s_xor_b64 exec, exec, s[6:7]
	s_cbranch_execnz .LBB2_25304
; %bb.61141:
	s_getpc_b64 s[14:15]
.Lpost_getpc34154:
	s_add_u32 s14, s14, (.LBB2_10966-.Lpost_getpc34154)&4294967295
	s_addc_u32 s15, s15, (.LBB2_10966-.Lpost_getpc34154)>>32
	s_setpc_b64 s[14:15]
.LBB2_25304:
	v_cmp_ne_u16_e32 vcc, 0, v3
	s_andn2_b64 s[4:5], s[4:5], exec
	s_and_b64 s[8:9], vcc, exec
	v_mov_b32_e32 v6, 0
	s_or_b64 s[4:5], s[4:5], s[8:9]
	s_or_b64 exec, exec, s[6:7]
	s_and_saveexec_b64 s[6:7], s[4:5]
	s_cbranch_execz .LBB2_34155
; %bb.61143:
	s_getpc_b64 s[14:15]
.Lpost_getpc34155:
	s_add_u32 s14, s14, (.LBB2_10967-.Lpost_getpc34155)&4294967295
	s_addc_u32 s15, s15, (.LBB2_10967-.Lpost_getpc34155)>>32
	s_setpc_b64 s[14:15]
.LBB2_34155:
	s_getpc_b64 s[14:15]
.Lpost_getpc20661:
	s_add_u32 s14, s14, (.LBB2_10968-.Lpost_getpc20661)&4294967295
	s_addc_u32 s15, s15, (.LBB2_10968-.Lpost_getpc20661)>>32
	s_setpc_b64 s[14:15]
.LBB2_25305:
	s_movk_i32 s4, 0x80
	v_cmp_eq_u16_sdwa s[12:13], v8, s4 src0_sel:BYTE_3 src1_sel:DWORD
	s_mov_b64 s[4:5], -1
                                        ; implicit-def: $sgpr10
	s_and_saveexec_b64 s[8:9], s[12:13]
; %bb.25306:
	s_mov_b32 s10, 0x7f800001
	s_xor_b64 s[4:5], exec, -1
; %bb.25307:
	s_or_b64 exec, exec, s[8:9]
	s_and_b64 s[4:5], s[4:5], exec
	s_or_saveexec_b64 s[6:7], s[6:7]
	v_mov_b32_e32 v2, s10
	s_xor_b64 exec, exec, s[6:7]
	s_cbranch_execnz .LBB2_25308
; %bb.61145:
	s_getpc_b64 s[14:15]
.Lpost_getpc34156:
	s_add_u32 s14, s14, (.LBB2_10970-.Lpost_getpc34156)&4294967295
	s_addc_u32 s15, s15, (.LBB2_10970-.Lpost_getpc34156)>>32
	s_setpc_b64 s[14:15]
.LBB2_25308:
	v_mov_b32_e32 v2, 0
	v_cmp_ne_u16_sdwa s[8:9], v8, v2 src0_sel:BYTE_3 src1_sel:DWORD
	s_andn2_b64 s[4:5], s[4:5], exec
	s_and_b64 s[8:9], s[8:9], exec
	s_or_b64 s[4:5], s[4:5], s[8:9]
	s_or_b64 exec, exec, s[6:7]
	s_and_saveexec_b64 s[6:7], s[4:5]
	s_cbranch_execz .LBB2_34157
; %bb.61147:
	s_getpc_b64 s[14:15]
.Lpost_getpc34157:
	s_add_u32 s14, s14, (.LBB2_10971-.Lpost_getpc34157)&4294967295
	s_addc_u32 s15, s15, (.LBB2_10971-.Lpost_getpc34157)>>32
	s_setpc_b64 s[14:15]
.LBB2_34157:
	s_getpc_b64 s[14:15]
.Lpost_getpc20662:
	s_add_u32 s14, s14, (.LBB2_10972-.Lpost_getpc20662)&4294967295
	s_addc_u32 s15, s15, (.LBB2_10972-.Lpost_getpc20662)>>32
	s_setpc_b64 s[14:15]
.LBB2_25309:
	s_movk_i32 s4, 0x80
	v_cmp_eq_u16_sdwa s[12:13], v4, s4 src0_sel:BYTE_3 src1_sel:DWORD
	s_mov_b64 s[4:5], -1
                                        ; implicit-def: $sgpr10
	s_and_saveexec_b64 s[8:9], s[12:13]
; %bb.25310:
	s_mov_b32 s10, 0x7f800001
	s_xor_b64 s[4:5], exec, -1
; %bb.25311:
	s_or_b64 exec, exec, s[8:9]
	s_and_b64 s[4:5], s[4:5], exec
	s_or_saveexec_b64 s[6:7], s[6:7]
	v_mov_b32_e32 v3, s10
	s_xor_b64 exec, exec, s[6:7]
	s_cbranch_execnz .LBB2_25312
; %bb.61149:
	s_getpc_b64 s[14:15]
.Lpost_getpc34158:
	s_add_u32 s14, s14, (.LBB2_10974-.Lpost_getpc34158)&4294967295
	s_addc_u32 s15, s15, (.LBB2_10974-.Lpost_getpc34158)>>32
	s_setpc_b64 s[14:15]
.LBB2_25312:
	v_mov_b32_e32 v3, 0
	v_cmp_ne_u16_sdwa s[8:9], v4, v3 src0_sel:BYTE_3 src1_sel:DWORD
	s_andn2_b64 s[4:5], s[4:5], exec
	s_and_b64 s[8:9], s[8:9], exec
	s_or_b64 s[4:5], s[4:5], s[8:9]
	s_or_b64 exec, exec, s[6:7]
	s_and_saveexec_b64 s[6:7], s[4:5]
	s_cbranch_execz .LBB2_34159
; %bb.61151:
	s_getpc_b64 s[14:15]
.Lpost_getpc34159:
	s_add_u32 s14, s14, (.LBB2_10975-.Lpost_getpc34159)&4294967295
	s_addc_u32 s15, s15, (.LBB2_10975-.Lpost_getpc34159)>>32
	s_setpc_b64 s[14:15]
.LBB2_34159:
	s_getpc_b64 s[14:15]
.Lpost_getpc20663:
	s_add_u32 s14, s14, (.LBB2_10976-.Lpost_getpc20663)&4294967295
	s_addc_u32 s15, s15, (.LBB2_10976-.Lpost_getpc20663)>>32
	s_setpc_b64 s[14:15]
.LBB2_25313:
	s_movk_i32 s4, 0x80
	v_cmp_eq_u16_sdwa s[12:13], v9, s4 src0_sel:BYTE_0 src1_sel:DWORD
	s_mov_b64 s[4:5], -1
                                        ; implicit-def: $sgpr10
	s_and_saveexec_b64 s[8:9], s[12:13]
; %bb.25314:
	s_mov_b32 s10, 0x7f800001
	s_xor_b64 s[4:5], exec, -1
; %bb.25315:
	s_or_b64 exec, exec, s[8:9]
	s_and_b64 s[4:5], s[4:5], exec
	s_or_saveexec_b64 s[6:7], s[6:7]
	v_mov_b32_e32 v2, s10
	s_xor_b64 exec, exec, s[6:7]
	s_cbranch_execnz .LBB2_25316
; %bb.61153:
	s_getpc_b64 s[14:15]
.Lpost_getpc34160:
	s_add_u32 s14, s14, (.LBB2_10978-.Lpost_getpc34160)&4294967295
	s_addc_u32 s15, s15, (.LBB2_10978-.Lpost_getpc34160)>>32
	s_setpc_b64 s[14:15]
.LBB2_25316:
	v_mov_b32_e32 v2, 0
	v_cmp_ne_u16_sdwa s[8:9], v9, v2 src0_sel:BYTE_0 src1_sel:DWORD
	s_andn2_b64 s[4:5], s[4:5], exec
	s_and_b64 s[8:9], s[8:9], exec
	s_or_b64 s[4:5], s[4:5], s[8:9]
	s_or_b64 exec, exec, s[6:7]
	s_and_saveexec_b64 s[6:7], s[4:5]
	s_cbranch_execz .LBB2_34161
; %bb.61155:
	s_getpc_b64 s[14:15]
.Lpost_getpc34161:
	s_add_u32 s14, s14, (.LBB2_10979-.Lpost_getpc34161)&4294967295
	s_addc_u32 s15, s15, (.LBB2_10979-.Lpost_getpc34161)>>32
	s_setpc_b64 s[14:15]
.LBB2_34161:
	s_getpc_b64 s[14:15]
.Lpost_getpc20664:
	s_add_u32 s14, s14, (.LBB2_10980-.Lpost_getpc20664)&4294967295
	s_addc_u32 s15, s15, (.LBB2_10980-.Lpost_getpc20664)>>32
	s_setpc_b64 s[14:15]
.LBB2_25317:
	s_movk_i32 s4, 0x80
	v_cmp_eq_u16_sdwa s[12:13], v5, s4 src0_sel:BYTE_0 src1_sel:DWORD
	s_mov_b64 s[4:5], -1
                                        ; implicit-def: $sgpr10
	s_and_saveexec_b64 s[8:9], s[12:13]
; %bb.25318:
	s_mov_b32 s10, 0x7f800001
	s_xor_b64 s[4:5], exec, -1
; %bb.25319:
	s_or_b64 exec, exec, s[8:9]
	s_and_b64 s[4:5], s[4:5], exec
	s_or_saveexec_b64 s[6:7], s[6:7]
	v_mov_b32_e32 v3, s10
	s_xor_b64 exec, exec, s[6:7]
	s_cbranch_execnz .LBB2_25320
; %bb.61157:
	s_getpc_b64 s[14:15]
.Lpost_getpc34162:
	s_add_u32 s14, s14, (.LBB2_10982-.Lpost_getpc34162)&4294967295
	s_addc_u32 s15, s15, (.LBB2_10982-.Lpost_getpc34162)>>32
	s_setpc_b64 s[14:15]
.LBB2_25320:
	v_mov_b32_e32 v3, 0
	v_cmp_ne_u16_sdwa s[8:9], v5, v3 src0_sel:BYTE_0 src1_sel:DWORD
	s_andn2_b64 s[4:5], s[4:5], exec
	s_and_b64 s[8:9], s[8:9], exec
	s_or_b64 s[4:5], s[4:5], s[8:9]
	s_or_b64 exec, exec, s[6:7]
	s_and_saveexec_b64 s[6:7], s[4:5]
	s_cbranch_execz .LBB2_34163
; %bb.61159:
	s_getpc_b64 s[14:15]
.Lpost_getpc34163:
	s_add_u32 s14, s14, (.LBB2_10983-.Lpost_getpc34163)&4294967295
	s_addc_u32 s15, s15, (.LBB2_10983-.Lpost_getpc34163)>>32
	s_setpc_b64 s[14:15]
.LBB2_34163:
	s_getpc_b64 s[14:15]
.Lpost_getpc20665:
	s_add_u32 s14, s14, (.LBB2_10984-.Lpost_getpc20665)&4294967295
	s_addc_u32 s15, s15, (.LBB2_10984-.Lpost_getpc20665)>>32
	s_setpc_b64 s[14:15]
.LBB2_25321:
	s_movk_i32 s4, 0x80
	v_cmp_eq_u16_sdwa s[12:13], v3, s4 src0_sel:BYTE_0 src1_sel:DWORD
	s_mov_b64 s[4:5], -1
                                        ; implicit-def: $sgpr10
	s_and_saveexec_b64 s[8:9], s[12:13]
; %bb.25322:
	s_mov_b32 s10, 0x7f800001
	s_xor_b64 s[4:5], exec, -1
; %bb.25323:
	s_or_b64 exec, exec, s[8:9]
	s_and_b64 s[4:5], s[4:5], exec
	s_or_saveexec_b64 s[6:7], s[6:7]
	v_mov_b32_e32 v2, s10
	s_xor_b64 exec, exec, s[6:7]
	s_cbranch_execnz .LBB2_25324
; %bb.61161:
	s_getpc_b64 s[14:15]
.Lpost_getpc34164:
	s_add_u32 s14, s14, (.LBB2_10986-.Lpost_getpc34164)&4294967295
	s_addc_u32 s15, s15, (.LBB2_10986-.Lpost_getpc34164)>>32
	s_setpc_b64 s[14:15]
.LBB2_25324:
	v_mov_b32_e32 v2, 0
	v_cmp_ne_u16_sdwa s[8:9], v3, v2 src0_sel:BYTE_0 src1_sel:DWORD
	s_andn2_b64 s[4:5], s[4:5], exec
	s_and_b64 s[8:9], s[8:9], exec
	s_or_b64 s[4:5], s[4:5], s[8:9]
	s_or_b64 exec, exec, s[6:7]
	s_and_saveexec_b64 s[6:7], s[4:5]
	s_cbranch_execz .LBB2_34165
; %bb.61163:
	s_getpc_b64 s[14:15]
.Lpost_getpc34165:
	s_add_u32 s14, s14, (.LBB2_10987-.Lpost_getpc34165)&4294967295
	s_addc_u32 s15, s15, (.LBB2_10987-.Lpost_getpc34165)>>32
	s_setpc_b64 s[14:15]
.LBB2_34165:
	s_getpc_b64 s[14:15]
.Lpost_getpc20666:
	s_add_u32 s14, s14, (.LBB2_10988-.Lpost_getpc20666)&4294967295
	s_addc_u32 s15, s15, (.LBB2_10988-.Lpost_getpc20666)>>32
	s_setpc_b64 s[14:15]
.LBB2_25325:
	s_movk_i32 s4, 0x80
	v_cmp_eq_u16_sdwa s[12:13], v3, s4 src0_sel:BYTE_0 src1_sel:DWORD
	s_mov_b64 s[4:5], -1
                                        ; implicit-def: $sgpr10
	s_and_saveexec_b64 s[8:9], s[12:13]
; %bb.25326:
	s_mov_b32 s10, 0x7f800001
	s_xor_b64 s[4:5], exec, -1
; %bb.25327:
	s_or_b64 exec, exec, s[8:9]
	s_and_b64 s[4:5], s[4:5], exec
	s_or_saveexec_b64 s[6:7], s[6:7]
	v_mov_b32_e32 v4, s10
	s_xor_b64 exec, exec, s[6:7]
	s_cbranch_execnz .LBB2_25328
; %bb.61165:
	s_getpc_b64 s[14:15]
.Lpost_getpc34166:
	s_add_u32 s14, s14, (.LBB2_10990-.Lpost_getpc34166)&4294967295
	s_addc_u32 s15, s15, (.LBB2_10990-.Lpost_getpc34166)>>32
	s_setpc_b64 s[14:15]
.LBB2_25328:
	v_mov_b32_e32 v4, 0
	v_cmp_ne_u16_sdwa s[8:9], v3, v4 src0_sel:BYTE_0 src1_sel:DWORD
	s_andn2_b64 s[4:5], s[4:5], exec
	s_and_b64 s[8:9], s[8:9], exec
	s_or_b64 s[4:5], s[4:5], s[8:9]
	s_or_b64 exec, exec, s[6:7]
	s_and_saveexec_b64 s[6:7], s[4:5]
	s_cbranch_execz .LBB2_34167
; %bb.61167:
	s_getpc_b64 s[14:15]
.Lpost_getpc34167:
	s_add_u32 s14, s14, (.LBB2_10991-.Lpost_getpc34167)&4294967295
	s_addc_u32 s15, s15, (.LBB2_10991-.Lpost_getpc34167)>>32
	s_setpc_b64 s[14:15]
.LBB2_34167:
	s_getpc_b64 s[14:15]
.Lpost_getpc20667:
	s_add_u32 s14, s14, (.LBB2_10992-.Lpost_getpc20667)&4294967295
	s_addc_u32 s15, s15, (.LBB2_10992-.Lpost_getpc20667)>>32
	s_setpc_b64 s[14:15]
.LBB2_25329:
	s_movk_i32 s4, 0x80
	v_cmp_eq_u16_e32 vcc, s4, v3
	s_mov_b64 s[4:5], -1
                                        ; implicit-def: $sgpr10
	s_and_saveexec_b64 s[8:9], vcc
; %bb.25330:
	s_mov_b32 s10, 0x7f800001
	s_xor_b64 s[4:5], exec, -1
; %bb.25331:
	s_or_b64 exec, exec, s[8:9]
	s_and_b64 s[4:5], s[4:5], exec
                                        ; implicit-def: $vgpr3
	s_or_saveexec_b64 s[6:7], s[6:7]
	v_mov_b32_e32 v2, s10
	s_xor_b64 exec, exec, s[6:7]
	s_cbranch_execnz .LBB2_25332
; %bb.61169:
	s_getpc_b64 s[14:15]
.Lpost_getpc34168:
	s_add_u32 s14, s14, (.LBB2_10994-.Lpost_getpc34168)&4294967295
	s_addc_u32 s15, s15, (.LBB2_10994-.Lpost_getpc34168)>>32
	s_setpc_b64 s[14:15]
.LBB2_25332:
	v_cmp_ne_u16_e32 vcc, 0, v3
	s_andn2_b64 s[4:5], s[4:5], exec
	s_and_b64 s[8:9], vcc, exec
	v_mov_b32_e32 v2, 0
	s_or_b64 s[4:5], s[4:5], s[8:9]
	s_or_b64 exec, exec, s[6:7]
	s_and_saveexec_b64 s[6:7], s[4:5]
	s_cbranch_execz .LBB2_34169
; %bb.61171:
	s_getpc_b64 s[14:15]
.Lpost_getpc34169:
	s_add_u32 s14, s14, (.LBB2_10995-.Lpost_getpc34169)&4294967295
	s_addc_u32 s15, s15, (.LBB2_10995-.Lpost_getpc34169)>>32
	s_setpc_b64 s[14:15]
.LBB2_34169:
	s_getpc_b64 s[14:15]
.Lpost_getpc20668:
	s_add_u32 s14, s14, (.LBB2_10996-.Lpost_getpc20668)&4294967295
	s_addc_u32 s15, s15, (.LBB2_10996-.Lpost_getpc20668)>>32
	s_setpc_b64 s[14:15]
.LBB2_25333:
	s_movk_i32 s4, 0x80
	v_cmp_eq_u16_e32 vcc, s4, v3
	s_mov_b64 s[4:5], -1
                                        ; implicit-def: $sgpr10
	s_and_saveexec_b64 s[8:9], vcc
; %bb.25334:
	s_mov_b32 s10, 0x7f800001
	s_xor_b64 s[4:5], exec, -1
; %bb.25335:
	s_or_b64 exec, exec, s[8:9]
	s_and_b64 s[4:5], s[4:5], exec
                                        ; implicit-def: $vgpr3
	s_or_saveexec_b64 s[6:7], s[6:7]
	v_mov_b32_e32 v4, s10
	s_xor_b64 exec, exec, s[6:7]
	s_cbranch_execnz .LBB2_25336
; %bb.61173:
	s_getpc_b64 s[14:15]
.Lpost_getpc34170:
	s_add_u32 s14, s14, (.LBB2_10998-.Lpost_getpc34170)&4294967295
	s_addc_u32 s15, s15, (.LBB2_10998-.Lpost_getpc34170)>>32
	s_setpc_b64 s[14:15]
.LBB2_25336:
	v_cmp_ne_u16_e32 vcc, 0, v3
	s_andn2_b64 s[4:5], s[4:5], exec
	s_and_b64 s[8:9], vcc, exec
	v_mov_b32_e32 v4, 0
	s_or_b64 s[4:5], s[4:5], s[8:9]
	s_or_b64 exec, exec, s[6:7]
	s_and_saveexec_b64 s[6:7], s[4:5]
	s_cbranch_execz .LBB2_34171
; %bb.61175:
	s_getpc_b64 s[14:15]
.Lpost_getpc34171:
	s_add_u32 s14, s14, (.LBB2_10999-.Lpost_getpc34171)&4294967295
	s_addc_u32 s15, s15, (.LBB2_10999-.Lpost_getpc34171)>>32
	s_setpc_b64 s[14:15]
.LBB2_34171:
	s_getpc_b64 s[14:15]
.Lpost_getpc20669:
	s_add_u32 s14, s14, (.LBB2_11000-.Lpost_getpc20669)&4294967295
	s_addc_u32 s15, s15, (.LBB2_11000-.Lpost_getpc20669)>>32
	s_setpc_b64 s[14:15]
.LBB2_25337:
	s_movk_i32 s4, 0x80
	v_cmp_eq_u16_sdwa s[12:13], v9, s4 src0_sel:BYTE_3 src1_sel:DWORD
	s_mov_b64 s[4:5], -1
                                        ; implicit-def: $sgpr10
	s_and_saveexec_b64 s[8:9], s[12:13]
; %bb.25338:
	s_mov_b32 s10, 0x7f800001
	s_xor_b64 s[4:5], exec, -1
; %bb.25339:
	s_or_b64 exec, exec, s[8:9]
	s_and_b64 s[4:5], s[4:5], exec
	s_or_saveexec_b64 s[6:7], s[6:7]
	v_mov_b32_e32 v2, s10
	s_xor_b64 exec, exec, s[6:7]
	s_cbranch_execnz .LBB2_25340
; %bb.61177:
	s_getpc_b64 s[14:15]
.Lpost_getpc34172:
	s_add_u32 s14, s14, (.LBB2_11002-.Lpost_getpc34172)&4294967295
	s_addc_u32 s15, s15, (.LBB2_11002-.Lpost_getpc34172)>>32
	s_setpc_b64 s[14:15]
.LBB2_25340:
	v_mov_b32_e32 v2, 0
	v_cmp_ne_u16_sdwa s[8:9], v9, v2 src0_sel:BYTE_3 src1_sel:DWORD
	s_andn2_b64 s[4:5], s[4:5], exec
	s_and_b64 s[8:9], s[8:9], exec
	s_or_b64 s[4:5], s[4:5], s[8:9]
	s_or_b64 exec, exec, s[6:7]
	s_and_saveexec_b64 s[6:7], s[4:5]
	s_cbranch_execz .LBB2_34173
; %bb.61179:
	s_getpc_b64 s[14:15]
.Lpost_getpc34173:
	s_add_u32 s14, s14, (.LBB2_11003-.Lpost_getpc34173)&4294967295
	s_addc_u32 s15, s15, (.LBB2_11003-.Lpost_getpc34173)>>32
	s_setpc_b64 s[14:15]
.LBB2_34173:
	s_getpc_b64 s[14:15]
.Lpost_getpc20670:
	s_add_u32 s14, s14, (.LBB2_11004-.Lpost_getpc20670)&4294967295
	s_addc_u32 s15, s15, (.LBB2_11004-.Lpost_getpc20670)>>32
	s_setpc_b64 s[14:15]
.LBB2_25341:
	s_movk_i32 s4, 0x80
	v_cmp_eq_u16_sdwa s[12:13], v5, s4 src0_sel:BYTE_3 src1_sel:DWORD
	s_mov_b64 s[4:5], -1
                                        ; implicit-def: $sgpr10
	s_and_saveexec_b64 s[8:9], s[12:13]
; %bb.25342:
	s_mov_b32 s10, 0x7f800001
	s_xor_b64 s[4:5], exec, -1
; %bb.25343:
	s_or_b64 exec, exec, s[8:9]
	s_and_b64 s[4:5], s[4:5], exec
	s_or_saveexec_b64 s[6:7], s[6:7]
	v_mov_b32_e32 v3, s10
	s_xor_b64 exec, exec, s[6:7]
	s_cbranch_execnz .LBB2_25344
; %bb.61181:
	s_getpc_b64 s[14:15]
.Lpost_getpc34174:
	s_add_u32 s14, s14, (.LBB2_11006-.Lpost_getpc34174)&4294967295
	s_addc_u32 s15, s15, (.LBB2_11006-.Lpost_getpc34174)>>32
	s_setpc_b64 s[14:15]
.LBB2_25344:
	v_mov_b32_e32 v3, 0
	v_cmp_ne_u16_sdwa s[8:9], v5, v3 src0_sel:BYTE_3 src1_sel:DWORD
	s_andn2_b64 s[4:5], s[4:5], exec
	s_and_b64 s[8:9], s[8:9], exec
	s_or_b64 s[4:5], s[4:5], s[8:9]
	s_or_b64 exec, exec, s[6:7]
	s_and_saveexec_b64 s[6:7], s[4:5]
	s_cbranch_execz .LBB2_34175
; %bb.61183:
	s_getpc_b64 s[14:15]
.Lpost_getpc34175:
	s_add_u32 s14, s14, (.LBB2_11007-.Lpost_getpc34175)&4294967295
	s_addc_u32 s15, s15, (.LBB2_11007-.Lpost_getpc34175)>>32
	s_setpc_b64 s[14:15]
.LBB2_34175:
	s_getpc_b64 s[14:15]
.Lpost_getpc20671:
	s_add_u32 s14, s14, (.LBB2_11008-.Lpost_getpc20671)&4294967295
	s_addc_u32 s15, s15, (.LBB2_11008-.Lpost_getpc20671)>>32
	s_setpc_b64 s[14:15]
.LBB2_25345:
	s_movk_i32 s4, 0x80
	v_cmp_eq_u16_sdwa s[12:13], v6, s4 src0_sel:BYTE_0 src1_sel:DWORD
	s_mov_b64 s[4:5], -1
                                        ; implicit-def: $sgpr10
	s_and_saveexec_b64 s[8:9], s[12:13]
; %bb.25346:
	s_mov_b32 s10, 0x7f800001
	s_xor_b64 s[4:5], exec, -1
; %bb.25347:
	s_or_b64 exec, exec, s[8:9]
	s_and_b64 s[4:5], s[4:5], exec
	s_or_saveexec_b64 s[6:7], s[6:7]
	v_mov_b32_e32 v12, s10
	s_xor_b64 exec, exec, s[6:7]
	s_cbranch_execnz .LBB2_25348
; %bb.61185:
	s_getpc_b64 s[14:15]
.Lpost_getpc34176:
	s_add_u32 s14, s14, (.LBB2_11010-.Lpost_getpc34176)&4294967295
	s_addc_u32 s15, s15, (.LBB2_11010-.Lpost_getpc34176)>>32
	s_setpc_b64 s[14:15]
.LBB2_25348:
	v_mov_b32_e32 v12, 0
	v_cmp_ne_u16_sdwa s[8:9], v6, v12 src0_sel:BYTE_0 src1_sel:DWORD
	s_andn2_b64 s[4:5], s[4:5], exec
	s_and_b64 s[8:9], s[8:9], exec
	s_or_b64 s[4:5], s[4:5], s[8:9]
	s_or_b64 exec, exec, s[6:7]
	s_and_saveexec_b64 s[6:7], s[4:5]
	s_cbranch_execz .LBB2_34177
; %bb.61187:
	s_getpc_b64 s[14:15]
.Lpost_getpc34177:
	s_add_u32 s14, s14, (.LBB2_11011-.Lpost_getpc34177)&4294967295
	s_addc_u32 s15, s15, (.LBB2_11011-.Lpost_getpc34177)>>32
	s_setpc_b64 s[14:15]
.LBB2_34177:
	s_getpc_b64 s[14:15]
.Lpost_getpc20672:
	s_add_u32 s14, s14, (.LBB2_11012-.Lpost_getpc20672)&4294967295
	s_addc_u32 s15, s15, (.LBB2_11012-.Lpost_getpc20672)>>32
	s_setpc_b64 s[14:15]
.LBB2_25349:
	s_movk_i32 s4, 0x80
	v_cmp_eq_u16_sdwa s[12:13], v2, s4 src0_sel:BYTE_0 src1_sel:DWORD
	s_mov_b64 s[4:5], -1
                                        ; implicit-def: $sgpr10
	s_and_saveexec_b64 s[8:9], s[12:13]
; %bb.25350:
	s_mov_b32 s10, 0x7f800001
	s_xor_b64 s[4:5], exec, -1
; %bb.25351:
	s_or_b64 exec, exec, s[8:9]
	s_and_b64 s[4:5], s[4:5], exec
	s_or_saveexec_b64 s[6:7], s[6:7]
	v_mov_b32_e32 v13, s10
	s_xor_b64 exec, exec, s[6:7]
	s_cbranch_execnz .LBB2_25352
; %bb.61189:
	s_getpc_b64 s[14:15]
.Lpost_getpc34178:
	s_add_u32 s14, s14, (.LBB2_11014-.Lpost_getpc34178)&4294967295
	s_addc_u32 s15, s15, (.LBB2_11014-.Lpost_getpc34178)>>32
	s_setpc_b64 s[14:15]
.LBB2_25352:
	v_mov_b32_e32 v13, 0
	v_cmp_ne_u16_sdwa s[8:9], v2, v13 src0_sel:BYTE_0 src1_sel:DWORD
	s_andn2_b64 s[4:5], s[4:5], exec
	s_and_b64 s[8:9], s[8:9], exec
	s_or_b64 s[4:5], s[4:5], s[8:9]
	s_or_b64 exec, exec, s[6:7]
	s_and_saveexec_b64 s[6:7], s[4:5]
	s_cbranch_execz .LBB2_34179
; %bb.61191:
	s_getpc_b64 s[14:15]
.Lpost_getpc34179:
	s_add_u32 s14, s14, (.LBB2_11015-.Lpost_getpc34179)&4294967295
	s_addc_u32 s15, s15, (.LBB2_11015-.Lpost_getpc34179)>>32
	s_setpc_b64 s[14:15]
.LBB2_34179:
	s_getpc_b64 s[14:15]
.Lpost_getpc20673:
	s_add_u32 s14, s14, (.LBB2_11016-.Lpost_getpc20673)&4294967295
	s_addc_u32 s15, s15, (.LBB2_11016-.Lpost_getpc20673)>>32
	s_setpc_b64 s[14:15]
.LBB2_25353:
	s_movk_i32 s4, 0x80
	v_cmp_eq_u16_sdwa s[12:13], v13, s4 src0_sel:BYTE_0 src1_sel:DWORD
	s_mov_b64 s[4:5], -1
                                        ; implicit-def: $sgpr10
	s_and_saveexec_b64 s[8:9], s[12:13]
; %bb.25354:
	s_mov_b32 s10, 0x7f800001
	s_xor_b64 s[4:5], exec, -1
; %bb.25355:
	s_or_b64 exec, exec, s[8:9]
	s_and_b64 s[4:5], s[4:5], exec
	s_or_saveexec_b64 s[6:7], s[6:7]
	v_mov_b32_e32 v12, s10
	s_xor_b64 exec, exec, s[6:7]
	s_cbranch_execnz .LBB2_25356
; %bb.61193:
	s_getpc_b64 s[14:15]
.Lpost_getpc34180:
	s_add_u32 s14, s14, (.LBB2_11018-.Lpost_getpc34180)&4294967295
	s_addc_u32 s15, s15, (.LBB2_11018-.Lpost_getpc34180)>>32
	s_setpc_b64 s[14:15]
.LBB2_25356:
	v_mov_b32_e32 v12, 0
	v_cmp_ne_u16_sdwa s[8:9], v13, v12 src0_sel:BYTE_0 src1_sel:DWORD
	s_andn2_b64 s[4:5], s[4:5], exec
	s_and_b64 s[8:9], s[8:9], exec
	s_or_b64 s[4:5], s[4:5], s[8:9]
	s_or_b64 exec, exec, s[6:7]
	s_and_saveexec_b64 s[6:7], s[4:5]
	s_cbranch_execz .LBB2_34181
; %bb.61195:
	s_getpc_b64 s[14:15]
.Lpost_getpc34181:
	s_add_u32 s14, s14, (.LBB2_11019-.Lpost_getpc34181)&4294967295
	s_addc_u32 s15, s15, (.LBB2_11019-.Lpost_getpc34181)>>32
	s_setpc_b64 s[14:15]
.LBB2_34181:
	s_getpc_b64 s[14:15]
.Lpost_getpc20674:
	s_add_u32 s14, s14, (.LBB2_11020-.Lpost_getpc20674)&4294967295
	s_addc_u32 s15, s15, (.LBB2_11020-.Lpost_getpc20674)>>32
	s_setpc_b64 s[14:15]
.LBB2_25357:
	s_movk_i32 s4, 0x80
	v_cmp_eq_u16_sdwa s[12:13], v13, s4 src0_sel:BYTE_0 src1_sel:DWORD
	s_mov_b64 s[4:5], -1
                                        ; implicit-def: $sgpr10
	s_and_saveexec_b64 s[8:9], s[12:13]
; %bb.25358:
	s_mov_b32 s10, 0x7f800001
	s_xor_b64 s[4:5], exec, -1
; %bb.25359:
	s_or_b64 exec, exec, s[8:9]
	s_and_b64 s[4:5], s[4:5], exec
	s_or_saveexec_b64 s[6:7], s[6:7]
	v_mov_b32_e32 v14, s10
	s_xor_b64 exec, exec, s[6:7]
	s_cbranch_execnz .LBB2_25360
; %bb.61197:
	s_getpc_b64 s[14:15]
.Lpost_getpc34182:
	s_add_u32 s14, s14, (.LBB2_11022-.Lpost_getpc34182)&4294967295
	s_addc_u32 s15, s15, (.LBB2_11022-.Lpost_getpc34182)>>32
	s_setpc_b64 s[14:15]
.LBB2_25360:
	v_mov_b32_e32 v14, 0
	v_cmp_ne_u16_sdwa s[8:9], v13, v14 src0_sel:BYTE_0 src1_sel:DWORD
	s_andn2_b64 s[4:5], s[4:5], exec
	s_and_b64 s[8:9], s[8:9], exec
	s_or_b64 s[4:5], s[4:5], s[8:9]
	s_or_b64 exec, exec, s[6:7]
	s_and_saveexec_b64 s[6:7], s[4:5]
	s_cbranch_execz .LBB2_34183
; %bb.61199:
	s_getpc_b64 s[14:15]
.Lpost_getpc34183:
	s_add_u32 s14, s14, (.LBB2_11023-.Lpost_getpc34183)&4294967295
	s_addc_u32 s15, s15, (.LBB2_11023-.Lpost_getpc34183)>>32
	s_setpc_b64 s[14:15]
.LBB2_34183:
	s_getpc_b64 s[14:15]
.Lpost_getpc20675:
	s_add_u32 s14, s14, (.LBB2_11024-.Lpost_getpc20675)&4294967295
	s_addc_u32 s15, s15, (.LBB2_11024-.Lpost_getpc20675)>>32
	s_setpc_b64 s[14:15]
.LBB2_25361:
	s_movk_i32 s4, 0x80
	v_cmp_eq_u16_e32 vcc, s4, v13
	s_mov_b64 s[4:5], -1
                                        ; implicit-def: $sgpr10
	s_and_saveexec_b64 s[8:9], vcc
; %bb.25362:
	s_mov_b32 s10, 0x7f800001
	s_xor_b64 s[4:5], exec, -1
; %bb.25363:
	s_or_b64 exec, exec, s[8:9]
	s_and_b64 s[4:5], s[4:5], exec
                                        ; implicit-def: $vgpr13
	s_or_saveexec_b64 s[6:7], s[6:7]
	v_mov_b32_e32 v12, s10
	s_xor_b64 exec, exec, s[6:7]
	s_cbranch_execnz .LBB2_25364
; %bb.61201:
	s_getpc_b64 s[14:15]
.Lpost_getpc34184:
	s_add_u32 s14, s14, (.LBB2_11026-.Lpost_getpc34184)&4294967295
	s_addc_u32 s15, s15, (.LBB2_11026-.Lpost_getpc34184)>>32
	s_setpc_b64 s[14:15]
.LBB2_25364:
	v_cmp_ne_u16_e32 vcc, 0, v13
	s_andn2_b64 s[4:5], s[4:5], exec
	s_and_b64 s[8:9], vcc, exec
	v_mov_b32_e32 v12, 0
	s_or_b64 s[4:5], s[4:5], s[8:9]
	s_or_b64 exec, exec, s[6:7]
	s_and_saveexec_b64 s[6:7], s[4:5]
	s_cbranch_execz .LBB2_34185
; %bb.61203:
	s_getpc_b64 s[14:15]
.Lpost_getpc34185:
	s_add_u32 s14, s14, (.LBB2_11027-.Lpost_getpc34185)&4294967295
	s_addc_u32 s15, s15, (.LBB2_11027-.Lpost_getpc34185)>>32
	s_setpc_b64 s[14:15]
.LBB2_34185:
	s_getpc_b64 s[14:15]
.Lpost_getpc20676:
	s_add_u32 s14, s14, (.LBB2_11028-.Lpost_getpc20676)&4294967295
	s_addc_u32 s15, s15, (.LBB2_11028-.Lpost_getpc20676)>>32
	s_setpc_b64 s[14:15]
.LBB2_25365:
	s_movk_i32 s4, 0x80
	v_cmp_eq_u16_e32 vcc, s4, v13
	s_mov_b64 s[4:5], -1
                                        ; implicit-def: $sgpr10
	s_and_saveexec_b64 s[8:9], vcc
; %bb.25366:
	s_mov_b32 s10, 0x7f800001
	s_xor_b64 s[4:5], exec, -1
; %bb.25367:
	s_or_b64 exec, exec, s[8:9]
	s_and_b64 s[4:5], s[4:5], exec
                                        ; implicit-def: $vgpr13
	s_or_saveexec_b64 s[6:7], s[6:7]
	v_mov_b32_e32 v14, s10
	s_xor_b64 exec, exec, s[6:7]
	s_cbranch_execnz .LBB2_25368
; %bb.61205:
	s_getpc_b64 s[14:15]
.Lpost_getpc34186:
	s_add_u32 s14, s14, (.LBB2_11030-.Lpost_getpc34186)&4294967295
	s_addc_u32 s15, s15, (.LBB2_11030-.Lpost_getpc34186)>>32
	s_setpc_b64 s[14:15]
.LBB2_25368:
	v_cmp_ne_u16_e32 vcc, 0, v13
	s_andn2_b64 s[4:5], s[4:5], exec
	s_and_b64 s[8:9], vcc, exec
	v_mov_b32_e32 v14, 0
	s_or_b64 s[4:5], s[4:5], s[8:9]
	s_or_b64 exec, exec, s[6:7]
	s_and_saveexec_b64 s[6:7], s[4:5]
	s_cbranch_execz .LBB2_34187
; %bb.61207:
	s_getpc_b64 s[14:15]
.Lpost_getpc34187:
	s_add_u32 s14, s14, (.LBB2_11031-.Lpost_getpc34187)&4294967295
	s_addc_u32 s15, s15, (.LBB2_11031-.Lpost_getpc34187)>>32
	s_setpc_b64 s[14:15]
.LBB2_34187:
	s_getpc_b64 s[14:15]
.Lpost_getpc20677:
	s_add_u32 s14, s14, (.LBB2_11032-.Lpost_getpc20677)&4294967295
	s_addc_u32 s15, s15, (.LBB2_11032-.Lpost_getpc20677)>>32
	s_setpc_b64 s[14:15]
.LBB2_25369:
	s_movk_i32 s4, 0x80
	v_cmp_eq_u16_sdwa s[12:13], v6, s4 src0_sel:BYTE_3 src1_sel:DWORD
	s_mov_b64 s[4:5], -1
                                        ; implicit-def: $sgpr10
	s_and_saveexec_b64 s[8:9], s[12:13]
; %bb.25370:
	s_mov_b32 s10, 0x7f800001
	s_xor_b64 s[4:5], exec, -1
; %bb.25371:
	s_or_b64 exec, exec, s[8:9]
	s_and_b64 s[4:5], s[4:5], exec
	s_or_saveexec_b64 s[6:7], s[6:7]
	v_mov_b32_e32 v12, s10
	s_xor_b64 exec, exec, s[6:7]
	s_cbranch_execnz .LBB2_25372
; %bb.61209:
	s_getpc_b64 s[14:15]
.Lpost_getpc34188:
	s_add_u32 s14, s14, (.LBB2_11034-.Lpost_getpc34188)&4294967295
	s_addc_u32 s15, s15, (.LBB2_11034-.Lpost_getpc34188)>>32
	s_setpc_b64 s[14:15]
.LBB2_25372:
	v_mov_b32_e32 v12, 0
	v_cmp_ne_u16_sdwa s[8:9], v6, v12 src0_sel:BYTE_3 src1_sel:DWORD
	s_andn2_b64 s[4:5], s[4:5], exec
	s_and_b64 s[8:9], s[8:9], exec
	s_or_b64 s[4:5], s[4:5], s[8:9]
	s_or_b64 exec, exec, s[6:7]
	s_and_saveexec_b64 s[6:7], s[4:5]
	s_cbranch_execz .LBB2_34189
; %bb.61211:
	s_getpc_b64 s[14:15]
.Lpost_getpc34189:
	s_add_u32 s14, s14, (.LBB2_11035-.Lpost_getpc34189)&4294967295
	s_addc_u32 s15, s15, (.LBB2_11035-.Lpost_getpc34189)>>32
	s_setpc_b64 s[14:15]
.LBB2_34189:
	s_getpc_b64 s[14:15]
.Lpost_getpc20678:
	s_add_u32 s14, s14, (.LBB2_11036-.Lpost_getpc20678)&4294967295
	s_addc_u32 s15, s15, (.LBB2_11036-.Lpost_getpc20678)>>32
	s_setpc_b64 s[14:15]
.LBB2_25373:
	s_movk_i32 s4, 0x80
	v_cmp_eq_u16_sdwa s[12:13], v2, s4 src0_sel:BYTE_3 src1_sel:DWORD
	s_mov_b64 s[4:5], -1
                                        ; implicit-def: $sgpr10
	s_and_saveexec_b64 s[8:9], s[12:13]
; %bb.25374:
	s_mov_b32 s10, 0x7f800001
	s_xor_b64 s[4:5], exec, -1
; %bb.25375:
	s_or_b64 exec, exec, s[8:9]
	s_and_b64 s[4:5], s[4:5], exec
	s_or_saveexec_b64 s[6:7], s[6:7]
	v_mov_b32_e32 v6, s10
	s_xor_b64 exec, exec, s[6:7]
	s_cbranch_execnz .LBB2_25376
; %bb.61213:
	s_getpc_b64 s[14:15]
.Lpost_getpc34190:
	s_add_u32 s14, s14, (.LBB2_11038-.Lpost_getpc34190)&4294967295
	s_addc_u32 s15, s15, (.LBB2_11038-.Lpost_getpc34190)>>32
	s_setpc_b64 s[14:15]
.LBB2_25376:
	v_mov_b32_e32 v6, 0
	v_cmp_ne_u16_sdwa s[8:9], v2, v6 src0_sel:BYTE_3 src1_sel:DWORD
	s_andn2_b64 s[4:5], s[4:5], exec
	s_and_b64 s[8:9], s[8:9], exec
	s_or_b64 s[4:5], s[4:5], s[8:9]
	s_or_b64 exec, exec, s[6:7]
	s_and_saveexec_b64 s[6:7], s[4:5]
	s_cbranch_execz .LBB2_34191
; %bb.61215:
	s_getpc_b64 s[14:15]
.Lpost_getpc34191:
	s_add_u32 s14, s14, (.LBB2_11039-.Lpost_getpc34191)&4294967295
	s_addc_u32 s15, s15, (.LBB2_11039-.Lpost_getpc34191)>>32
	s_setpc_b64 s[14:15]
.LBB2_34191:
	s_getpc_b64 s[14:15]
.Lpost_getpc20679:
	s_add_u32 s14, s14, (.LBB2_11040-.Lpost_getpc20679)&4294967295
	s_addc_u32 s15, s15, (.LBB2_11040-.Lpost_getpc20679)>>32
	s_setpc_b64 s[14:15]
.LBB2_25377:
	s_movk_i32 s4, 0x80
	v_cmp_eq_u16_sdwa s[12:13], v7, s4 src0_sel:BYTE_0 src1_sel:DWORD
	s_mov_b64 s[4:5], -1
                                        ; implicit-def: $sgpr10
	s_and_saveexec_b64 s[8:9], s[12:13]
; %bb.25378:
	s_mov_b32 s10, 0x7f800001
	s_xor_b64 s[4:5], exec, -1
; %bb.25379:
	s_or_b64 exec, exec, s[8:9]
	s_and_b64 s[4:5], s[4:5], exec
	s_or_saveexec_b64 s[6:7], s[6:7]
	v_mov_b32_e32 v2, s10
	s_xor_b64 exec, exec, s[6:7]
	s_cbranch_execnz .LBB2_25380
; %bb.61217:
	s_getpc_b64 s[14:15]
.Lpost_getpc34192:
	s_add_u32 s14, s14, (.LBB2_11042-.Lpost_getpc34192)&4294967295
	s_addc_u32 s15, s15, (.LBB2_11042-.Lpost_getpc34192)>>32
	s_setpc_b64 s[14:15]
.LBB2_25380:
	v_mov_b32_e32 v2, 0
	v_cmp_ne_u16_sdwa s[8:9], v7, v2 src0_sel:BYTE_0 src1_sel:DWORD
	s_andn2_b64 s[4:5], s[4:5], exec
	s_and_b64 s[8:9], s[8:9], exec
	s_or_b64 s[4:5], s[4:5], s[8:9]
	s_or_b64 exec, exec, s[6:7]
	s_and_saveexec_b64 s[6:7], s[4:5]
	s_cbranch_execz .LBB2_34193
; %bb.61219:
	s_getpc_b64 s[14:15]
.Lpost_getpc34193:
	s_add_u32 s14, s14, (.LBB2_11043-.Lpost_getpc34193)&4294967295
	s_addc_u32 s15, s15, (.LBB2_11043-.Lpost_getpc34193)>>32
	s_setpc_b64 s[14:15]
.LBB2_34193:
	s_getpc_b64 s[14:15]
.Lpost_getpc20680:
	s_add_u32 s14, s14, (.LBB2_11044-.Lpost_getpc20680)&4294967295
	s_addc_u32 s15, s15, (.LBB2_11044-.Lpost_getpc20680)>>32
	s_setpc_b64 s[14:15]
.LBB2_25381:
	s_movk_i32 s4, 0x80
	v_cmp_eq_u16_sdwa s[12:13], v3, s4 src0_sel:BYTE_0 src1_sel:DWORD
	s_mov_b64 s[4:5], -1
                                        ; implicit-def: $sgpr10
	s_and_saveexec_b64 s[8:9], s[12:13]
; %bb.25382:
	s_mov_b32 s10, 0x7f800001
	s_xor_b64 s[4:5], exec, -1
; %bb.25383:
	s_or_b64 exec, exec, s[8:9]
	s_and_b64 s[4:5], s[4:5], exec
	s_or_saveexec_b64 s[6:7], s[6:7]
	v_mov_b32_e32 v6, s10
	s_xor_b64 exec, exec, s[6:7]
	s_cbranch_execnz .LBB2_25384
; %bb.61221:
	s_getpc_b64 s[14:15]
.Lpost_getpc34194:
	s_add_u32 s14, s14, (.LBB2_11046-.Lpost_getpc34194)&4294967295
	s_addc_u32 s15, s15, (.LBB2_11046-.Lpost_getpc34194)>>32
	s_setpc_b64 s[14:15]
.LBB2_25384:
	v_mov_b32_e32 v6, 0
	v_cmp_ne_u16_sdwa s[8:9], v3, v6 src0_sel:BYTE_0 src1_sel:DWORD
	s_andn2_b64 s[4:5], s[4:5], exec
	s_and_b64 s[8:9], s[8:9], exec
	s_or_b64 s[4:5], s[4:5], s[8:9]
	s_or_b64 exec, exec, s[6:7]
	s_and_saveexec_b64 s[6:7], s[4:5]
	s_cbranch_execz .LBB2_34195
; %bb.61223:
	s_getpc_b64 s[14:15]
.Lpost_getpc34195:
	s_add_u32 s14, s14, (.LBB2_11047-.Lpost_getpc34195)&4294967295
	s_addc_u32 s15, s15, (.LBB2_11047-.Lpost_getpc34195)>>32
	s_setpc_b64 s[14:15]
.LBB2_34195:
	s_getpc_b64 s[14:15]
.Lpost_getpc20681:
	s_add_u32 s14, s14, (.LBB2_11048-.Lpost_getpc20681)&4294967295
	s_addc_u32 s15, s15, (.LBB2_11048-.Lpost_getpc20681)>>32
	s_setpc_b64 s[14:15]
.LBB2_25385:
	s_movk_i32 s4, 0x80
	v_cmp_eq_u16_sdwa s[12:13], v6, s4 src0_sel:BYTE_0 src1_sel:DWORD
	s_mov_b64 s[4:5], -1
                                        ; implicit-def: $sgpr10
	s_and_saveexec_b64 s[8:9], s[12:13]
; %bb.25386:
	s_mov_b32 s10, 0x7f800001
	s_xor_b64 s[4:5], exec, -1
; %bb.25387:
	s_or_b64 exec, exec, s[8:9]
	s_and_b64 s[4:5], s[4:5], exec
	s_or_saveexec_b64 s[6:7], s[6:7]
	v_mov_b32_e32 v2, s10
	s_xor_b64 exec, exec, s[6:7]
	s_cbranch_execnz .LBB2_25388
; %bb.61225:
	s_getpc_b64 s[14:15]
.Lpost_getpc34196:
	s_add_u32 s14, s14, (.LBB2_11050-.Lpost_getpc34196)&4294967295
	s_addc_u32 s15, s15, (.LBB2_11050-.Lpost_getpc34196)>>32
	s_setpc_b64 s[14:15]
.LBB2_25388:
	v_mov_b32_e32 v2, 0
	v_cmp_ne_u16_sdwa s[8:9], v6, v2 src0_sel:BYTE_0 src1_sel:DWORD
	s_andn2_b64 s[4:5], s[4:5], exec
	s_and_b64 s[8:9], s[8:9], exec
	s_or_b64 s[4:5], s[4:5], s[8:9]
	s_or_b64 exec, exec, s[6:7]
	s_and_saveexec_b64 s[6:7], s[4:5]
	s_cbranch_execz .LBB2_34197
; %bb.61227:
	s_getpc_b64 s[14:15]
.Lpost_getpc34197:
	s_add_u32 s14, s14, (.LBB2_11051-.Lpost_getpc34197)&4294967295
	s_addc_u32 s15, s15, (.LBB2_11051-.Lpost_getpc34197)>>32
	s_setpc_b64 s[14:15]
.LBB2_34197:
	s_getpc_b64 s[14:15]
.Lpost_getpc20682:
	s_add_u32 s14, s14, (.LBB2_11052-.Lpost_getpc20682)&4294967295
	s_addc_u32 s15, s15, (.LBB2_11052-.Lpost_getpc20682)>>32
	s_setpc_b64 s[14:15]
.LBB2_25389:
	s_movk_i32 s4, 0x80
	v_cmp_eq_u16_sdwa s[12:13], v6, s4 src0_sel:BYTE_0 src1_sel:DWORD
	s_mov_b64 s[4:5], -1
                                        ; implicit-def: $sgpr10
	s_and_saveexec_b64 s[8:9], s[12:13]
; %bb.25390:
	s_mov_b32 s10, 0x7f800001
	s_xor_b64 s[4:5], exec, -1
; %bb.25391:
	s_or_b64 exec, exec, s[8:9]
	s_and_b64 s[4:5], s[4:5], exec
	s_or_saveexec_b64 s[6:7], s[6:7]
	v_mov_b32_e32 v12, s10
	s_xor_b64 exec, exec, s[6:7]
	s_cbranch_execnz .LBB2_25392
; %bb.61229:
	s_getpc_b64 s[14:15]
.Lpost_getpc34198:
	s_add_u32 s14, s14, (.LBB2_11054-.Lpost_getpc34198)&4294967295
	s_addc_u32 s15, s15, (.LBB2_11054-.Lpost_getpc34198)>>32
	s_setpc_b64 s[14:15]
.LBB2_25392:
	v_mov_b32_e32 v12, 0
	v_cmp_ne_u16_sdwa s[8:9], v6, v12 src0_sel:BYTE_0 src1_sel:DWORD
	s_andn2_b64 s[4:5], s[4:5], exec
	s_and_b64 s[8:9], s[8:9], exec
	s_or_b64 s[4:5], s[4:5], s[8:9]
	s_or_b64 exec, exec, s[6:7]
	s_and_saveexec_b64 s[6:7], s[4:5]
	s_cbranch_execz .LBB2_34199
; %bb.61231:
	s_getpc_b64 s[14:15]
.Lpost_getpc34199:
	s_add_u32 s14, s14, (.LBB2_11055-.Lpost_getpc34199)&4294967295
	s_addc_u32 s15, s15, (.LBB2_11055-.Lpost_getpc34199)>>32
	s_setpc_b64 s[14:15]
.LBB2_34199:
	s_getpc_b64 s[14:15]
.Lpost_getpc20683:
	s_add_u32 s14, s14, (.LBB2_11056-.Lpost_getpc20683)&4294967295
	s_addc_u32 s15, s15, (.LBB2_11056-.Lpost_getpc20683)>>32
	s_setpc_b64 s[14:15]
.LBB2_25393:
	s_movk_i32 s4, 0x80
	v_cmp_eq_u16_e32 vcc, s4, v6
	s_mov_b64 s[4:5], -1
                                        ; implicit-def: $sgpr10
	s_and_saveexec_b64 s[8:9], vcc
; %bb.25394:
	s_mov_b32 s10, 0x7f800001
	s_xor_b64 s[4:5], exec, -1
; %bb.25395:
	s_or_b64 exec, exec, s[8:9]
	s_and_b64 s[4:5], s[4:5], exec
                                        ; implicit-def: $vgpr6
	s_or_saveexec_b64 s[6:7], s[6:7]
	v_mov_b32_e32 v2, s10
	s_xor_b64 exec, exec, s[6:7]
	s_cbranch_execnz .LBB2_25396
; %bb.61233:
	s_getpc_b64 s[14:15]
.Lpost_getpc34200:
	s_add_u32 s14, s14, (.LBB2_11058-.Lpost_getpc34200)&4294967295
	s_addc_u32 s15, s15, (.LBB2_11058-.Lpost_getpc34200)>>32
	s_setpc_b64 s[14:15]
.LBB2_25396:
	v_cmp_ne_u16_e32 vcc, 0, v6
	s_andn2_b64 s[4:5], s[4:5], exec
	s_and_b64 s[8:9], vcc, exec
	v_mov_b32_e32 v2, 0
	s_or_b64 s[4:5], s[4:5], s[8:9]
	s_or_b64 exec, exec, s[6:7]
	s_and_saveexec_b64 s[6:7], s[4:5]
	s_cbranch_execz .LBB2_34201
; %bb.61235:
	s_getpc_b64 s[14:15]
.Lpost_getpc34201:
	s_add_u32 s14, s14, (.LBB2_11059-.Lpost_getpc34201)&4294967295
	s_addc_u32 s15, s15, (.LBB2_11059-.Lpost_getpc34201)>>32
	s_setpc_b64 s[14:15]
.LBB2_34201:
	s_getpc_b64 s[14:15]
.Lpost_getpc20684:
	s_add_u32 s14, s14, (.LBB2_11060-.Lpost_getpc20684)&4294967295
	s_addc_u32 s15, s15, (.LBB2_11060-.Lpost_getpc20684)>>32
	s_setpc_b64 s[14:15]
.LBB2_25397:
	s_movk_i32 s4, 0x80
	v_cmp_eq_u16_e32 vcc, s4, v6
	s_mov_b64 s[4:5], -1
                                        ; implicit-def: $sgpr10
	s_and_saveexec_b64 s[8:9], vcc
; %bb.25398:
	s_mov_b32 s10, 0x7f800001
	s_xor_b64 s[4:5], exec, -1
; %bb.25399:
	s_or_b64 exec, exec, s[8:9]
	s_and_b64 s[4:5], s[4:5], exec
                                        ; implicit-def: $vgpr6
	s_or_saveexec_b64 s[6:7], s[6:7]
	v_mov_b32_e32 v12, s10
	s_xor_b64 exec, exec, s[6:7]
	s_cbranch_execnz .LBB2_25400
; %bb.61237:
	s_getpc_b64 s[14:15]
.Lpost_getpc34202:
	s_add_u32 s14, s14, (.LBB2_11062-.Lpost_getpc34202)&4294967295
	s_addc_u32 s15, s15, (.LBB2_11062-.Lpost_getpc34202)>>32
	s_setpc_b64 s[14:15]
.LBB2_25400:
	v_cmp_ne_u16_e32 vcc, 0, v6
	s_andn2_b64 s[4:5], s[4:5], exec
	s_and_b64 s[8:9], vcc, exec
	v_mov_b32_e32 v12, 0
	s_or_b64 s[4:5], s[4:5], s[8:9]
	s_or_b64 exec, exec, s[6:7]
	s_and_saveexec_b64 s[6:7], s[4:5]
	s_cbranch_execz .LBB2_34203
; %bb.61239:
	s_getpc_b64 s[14:15]
.Lpost_getpc34203:
	s_add_u32 s14, s14, (.LBB2_11063-.Lpost_getpc34203)&4294967295
	s_addc_u32 s15, s15, (.LBB2_11063-.Lpost_getpc34203)>>32
	s_setpc_b64 s[14:15]
.LBB2_34203:
	s_getpc_b64 s[14:15]
.Lpost_getpc20685:
	s_add_u32 s14, s14, (.LBB2_11064-.Lpost_getpc20685)&4294967295
	s_addc_u32 s15, s15, (.LBB2_11064-.Lpost_getpc20685)>>32
	s_setpc_b64 s[14:15]
.LBB2_25401:
	s_movk_i32 s4, 0x80
	v_cmp_eq_u16_sdwa s[12:13], v7, s4 src0_sel:BYTE_3 src1_sel:DWORD
	s_mov_b64 s[4:5], -1
                                        ; implicit-def: $sgpr10
	s_and_saveexec_b64 s[8:9], s[12:13]
; %bb.25402:
	s_mov_b32 s10, 0x7f800001
	s_xor_b64 s[4:5], exec, -1
; %bb.25403:
	s_or_b64 exec, exec, s[8:9]
	s_and_b64 s[4:5], s[4:5], exec
	s_or_saveexec_b64 s[6:7], s[6:7]
	v_mov_b32_e32 v2, s10
	s_xor_b64 exec, exec, s[6:7]
	s_cbranch_execnz .LBB2_25404
; %bb.61241:
	s_getpc_b64 s[14:15]
.Lpost_getpc34204:
	s_add_u32 s14, s14, (.LBB2_11066-.Lpost_getpc34204)&4294967295
	s_addc_u32 s15, s15, (.LBB2_11066-.Lpost_getpc34204)>>32
	s_setpc_b64 s[14:15]
.LBB2_25404:
	v_mov_b32_e32 v2, 0
	v_cmp_ne_u16_sdwa s[8:9], v7, v2 src0_sel:BYTE_3 src1_sel:DWORD
	s_andn2_b64 s[4:5], s[4:5], exec
	s_and_b64 s[8:9], s[8:9], exec
	s_or_b64 s[4:5], s[4:5], s[8:9]
	s_or_b64 exec, exec, s[6:7]
	s_and_saveexec_b64 s[6:7], s[4:5]
	s_cbranch_execz .LBB2_34205
; %bb.61243:
	s_getpc_b64 s[14:15]
.Lpost_getpc34205:
	s_add_u32 s14, s14, (.LBB2_11067-.Lpost_getpc34205)&4294967295
	s_addc_u32 s15, s15, (.LBB2_11067-.Lpost_getpc34205)>>32
	s_setpc_b64 s[14:15]
.LBB2_34205:
	s_getpc_b64 s[14:15]
.Lpost_getpc20686:
	s_add_u32 s14, s14, (.LBB2_11068-.Lpost_getpc20686)&4294967295
	s_addc_u32 s15, s15, (.LBB2_11068-.Lpost_getpc20686)>>32
	s_setpc_b64 s[14:15]
.LBB2_25405:
	s_movk_i32 s4, 0x80
	v_cmp_eq_u16_sdwa s[12:13], v3, s4 src0_sel:BYTE_3 src1_sel:DWORD
	s_mov_b64 s[4:5], -1
                                        ; implicit-def: $sgpr10
	s_and_saveexec_b64 s[8:9], s[12:13]
; %bb.25406:
	s_mov_b32 s10, 0x7f800001
	s_xor_b64 s[4:5], exec, -1
; %bb.25407:
	s_or_b64 exec, exec, s[8:9]
	s_and_b64 s[4:5], s[4:5], exec
	s_or_saveexec_b64 s[6:7], s[6:7]
	v_mov_b32_e32 v6, s10
	s_xor_b64 exec, exec, s[6:7]
	s_cbranch_execnz .LBB2_25408
; %bb.61245:
	s_getpc_b64 s[14:15]
.Lpost_getpc34206:
	s_add_u32 s14, s14, (.LBB2_11070-.Lpost_getpc34206)&4294967295
	s_addc_u32 s15, s15, (.LBB2_11070-.Lpost_getpc34206)>>32
	s_setpc_b64 s[14:15]
.LBB2_25408:
	v_mov_b32_e32 v6, 0
	v_cmp_ne_u16_sdwa s[8:9], v3, v6 src0_sel:BYTE_3 src1_sel:DWORD
	s_andn2_b64 s[4:5], s[4:5], exec
	s_and_b64 s[8:9], s[8:9], exec
	s_or_b64 s[4:5], s[4:5], s[8:9]
	s_or_b64 exec, exec, s[6:7]
	s_and_saveexec_b64 s[6:7], s[4:5]
	s_cbranch_execz .LBB2_34207
; %bb.61247:
	s_getpc_b64 s[14:15]
.Lpost_getpc34207:
	s_add_u32 s14, s14, (.LBB2_11071-.Lpost_getpc34207)&4294967295
	s_addc_u32 s15, s15, (.LBB2_11071-.Lpost_getpc34207)>>32
	s_setpc_b64 s[14:15]
.LBB2_34207:
	s_getpc_b64 s[14:15]
.Lpost_getpc20687:
	s_add_u32 s14, s14, (.LBB2_11072-.Lpost_getpc20687)&4294967295
	s_addc_u32 s15, s15, (.LBB2_11072-.Lpost_getpc20687)>>32
	s_setpc_b64 s[14:15]
.LBB2_25409:
	s_movk_i32 s4, 0x80
	v_cmp_eq_u16_sdwa s[12:13], v8, s4 src0_sel:BYTE_0 src1_sel:DWORD
	s_mov_b64 s[4:5], -1
                                        ; implicit-def: $sgpr10
	s_and_saveexec_b64 s[8:9], s[12:13]
; %bb.25410:
	s_mov_b32 s10, 0x7f800001
	s_xor_b64 s[4:5], exec, -1
; %bb.25411:
	s_or_b64 exec, exec, s[8:9]
	s_and_b64 s[4:5], s[4:5], exec
	s_or_saveexec_b64 s[6:7], s[6:7]
	v_mov_b32_e32 v2, s10
	s_xor_b64 exec, exec, s[6:7]
	s_cbranch_execnz .LBB2_25412
; %bb.61249:
	s_getpc_b64 s[14:15]
.Lpost_getpc34208:
	s_add_u32 s14, s14, (.LBB2_11074-.Lpost_getpc34208)&4294967295
	s_addc_u32 s15, s15, (.LBB2_11074-.Lpost_getpc34208)>>32
	s_setpc_b64 s[14:15]
.LBB2_25412:
	v_mov_b32_e32 v2, 0
	v_cmp_ne_u16_sdwa s[8:9], v8, v2 src0_sel:BYTE_0 src1_sel:DWORD
	s_andn2_b64 s[4:5], s[4:5], exec
	s_and_b64 s[8:9], s[8:9], exec
	s_or_b64 s[4:5], s[4:5], s[8:9]
	s_or_b64 exec, exec, s[6:7]
	s_and_saveexec_b64 s[6:7], s[4:5]
	s_cbranch_execz .LBB2_34209
; %bb.61251:
	s_getpc_b64 s[14:15]
.Lpost_getpc34209:
	s_add_u32 s14, s14, (.LBB2_11075-.Lpost_getpc34209)&4294967295
	s_addc_u32 s15, s15, (.LBB2_11075-.Lpost_getpc34209)>>32
	s_setpc_b64 s[14:15]
.LBB2_34209:
	s_getpc_b64 s[14:15]
.Lpost_getpc20688:
	s_add_u32 s14, s14, (.LBB2_11076-.Lpost_getpc20688)&4294967295
	s_addc_u32 s15, s15, (.LBB2_11076-.Lpost_getpc20688)>>32
	s_setpc_b64 s[14:15]
.LBB2_25413:
	s_movk_i32 s4, 0x80
	v_cmp_eq_u16_sdwa s[12:13], v4, s4 src0_sel:BYTE_0 src1_sel:DWORD
	s_mov_b64 s[4:5], -1
                                        ; implicit-def: $sgpr10
	s_and_saveexec_b64 s[8:9], s[12:13]
; %bb.25414:
	s_mov_b32 s10, 0x7f800001
	s_xor_b64 s[4:5], exec, -1
; %bb.25415:
	s_or_b64 exec, exec, s[8:9]
	s_and_b64 s[4:5], s[4:5], exec
	s_or_saveexec_b64 s[6:7], s[6:7]
	v_mov_b32_e32 v3, s10
	s_xor_b64 exec, exec, s[6:7]
	s_cbranch_execnz .LBB2_25416
; %bb.61253:
	s_getpc_b64 s[14:15]
.Lpost_getpc34210:
	s_add_u32 s14, s14, (.LBB2_11078-.Lpost_getpc34210)&4294967295
	s_addc_u32 s15, s15, (.LBB2_11078-.Lpost_getpc34210)>>32
	s_setpc_b64 s[14:15]
.LBB2_25416:
	v_mov_b32_e32 v3, 0
	v_cmp_ne_u16_sdwa s[8:9], v4, v3 src0_sel:BYTE_0 src1_sel:DWORD
	s_andn2_b64 s[4:5], s[4:5], exec
	s_and_b64 s[8:9], s[8:9], exec
	s_or_b64 s[4:5], s[4:5], s[8:9]
	s_or_b64 exec, exec, s[6:7]
	s_and_saveexec_b64 s[6:7], s[4:5]
	s_cbranch_execz .LBB2_34211
; %bb.61255:
	s_getpc_b64 s[14:15]
.Lpost_getpc34211:
	s_add_u32 s14, s14, (.LBB2_11079-.Lpost_getpc34211)&4294967295
	s_addc_u32 s15, s15, (.LBB2_11079-.Lpost_getpc34211)>>32
	s_setpc_b64 s[14:15]
.LBB2_34211:
	s_getpc_b64 s[14:15]
.Lpost_getpc20689:
	s_add_u32 s14, s14, (.LBB2_11080-.Lpost_getpc20689)&4294967295
	s_addc_u32 s15, s15, (.LBB2_11080-.Lpost_getpc20689)>>32
	s_setpc_b64 s[14:15]
.LBB2_25417:
	s_movk_i32 s4, 0x80
	v_cmp_eq_u16_sdwa s[12:13], v3, s4 src0_sel:BYTE_0 src1_sel:DWORD
	s_mov_b64 s[4:5], -1
                                        ; implicit-def: $sgpr10
	s_and_saveexec_b64 s[8:9], s[12:13]
; %bb.25418:
	s_mov_b32 s10, 0x7f800001
	s_xor_b64 s[4:5], exec, -1
; %bb.25419:
	s_or_b64 exec, exec, s[8:9]
	s_and_b64 s[4:5], s[4:5], exec
	s_or_saveexec_b64 s[6:7], s[6:7]
	v_mov_b32_e32 v2, s10
	s_xor_b64 exec, exec, s[6:7]
	s_cbranch_execnz .LBB2_25420
; %bb.61257:
	s_getpc_b64 s[14:15]
.Lpost_getpc34212:
	s_add_u32 s14, s14, (.LBB2_11082-.Lpost_getpc34212)&4294967295
	s_addc_u32 s15, s15, (.LBB2_11082-.Lpost_getpc34212)>>32
	s_setpc_b64 s[14:15]
.LBB2_25420:
	v_mov_b32_e32 v2, 0
	v_cmp_ne_u16_sdwa s[8:9], v3, v2 src0_sel:BYTE_0 src1_sel:DWORD
	s_andn2_b64 s[4:5], s[4:5], exec
	s_and_b64 s[8:9], s[8:9], exec
	s_or_b64 s[4:5], s[4:5], s[8:9]
	s_or_b64 exec, exec, s[6:7]
	s_and_saveexec_b64 s[6:7], s[4:5]
	s_cbranch_execz .LBB2_34213
; %bb.61259:
	s_getpc_b64 s[14:15]
.Lpost_getpc34213:
	s_add_u32 s14, s14, (.LBB2_11083-.Lpost_getpc34213)&4294967295
	s_addc_u32 s15, s15, (.LBB2_11083-.Lpost_getpc34213)>>32
	s_setpc_b64 s[14:15]
.LBB2_34213:
	s_getpc_b64 s[14:15]
.Lpost_getpc20690:
	s_add_u32 s14, s14, (.LBB2_11084-.Lpost_getpc20690)&4294967295
	s_addc_u32 s15, s15, (.LBB2_11084-.Lpost_getpc20690)>>32
	s_setpc_b64 s[14:15]
.LBB2_25421:
	s_movk_i32 s4, 0x80
	v_cmp_eq_u16_sdwa s[12:13], v3, s4 src0_sel:BYTE_0 src1_sel:DWORD
	s_mov_b64 s[4:5], -1
                                        ; implicit-def: $sgpr10
	s_and_saveexec_b64 s[8:9], s[12:13]
; %bb.25422:
	s_mov_b32 s10, 0x7f800001
	s_xor_b64 s[4:5], exec, -1
; %bb.25423:
	s_or_b64 exec, exec, s[8:9]
	s_and_b64 s[4:5], s[4:5], exec
	s_or_saveexec_b64 s[6:7], s[6:7]
	v_mov_b32_e32 v6, s10
	s_xor_b64 exec, exec, s[6:7]
	s_cbranch_execnz .LBB2_25424
; %bb.61261:
	s_getpc_b64 s[14:15]
.Lpost_getpc34214:
	s_add_u32 s14, s14, (.LBB2_11086-.Lpost_getpc34214)&4294967295
	s_addc_u32 s15, s15, (.LBB2_11086-.Lpost_getpc34214)>>32
	s_setpc_b64 s[14:15]
.LBB2_25424:
	v_mov_b32_e32 v6, 0
	v_cmp_ne_u16_sdwa s[8:9], v3, v6 src0_sel:BYTE_0 src1_sel:DWORD
	s_andn2_b64 s[4:5], s[4:5], exec
	s_and_b64 s[8:9], s[8:9], exec
	s_or_b64 s[4:5], s[4:5], s[8:9]
	s_or_b64 exec, exec, s[6:7]
	s_and_saveexec_b64 s[6:7], s[4:5]
	s_cbranch_execz .LBB2_34215
; %bb.61263:
	s_getpc_b64 s[14:15]
.Lpost_getpc34215:
	s_add_u32 s14, s14, (.LBB2_11087-.Lpost_getpc34215)&4294967295
	s_addc_u32 s15, s15, (.LBB2_11087-.Lpost_getpc34215)>>32
	s_setpc_b64 s[14:15]
.LBB2_34215:
	s_getpc_b64 s[14:15]
.Lpost_getpc20691:
	s_add_u32 s14, s14, (.LBB2_11088-.Lpost_getpc20691)&4294967295
	s_addc_u32 s15, s15, (.LBB2_11088-.Lpost_getpc20691)>>32
	s_setpc_b64 s[14:15]
.LBB2_25425:
	s_movk_i32 s4, 0x80
	v_cmp_eq_u16_e32 vcc, s4, v3
	s_mov_b64 s[4:5], -1
                                        ; implicit-def: $sgpr10
	s_and_saveexec_b64 s[8:9], vcc
; %bb.25426:
	s_mov_b32 s10, 0x7f800001
	s_xor_b64 s[4:5], exec, -1
; %bb.25427:
	s_or_b64 exec, exec, s[8:9]
	s_and_b64 s[4:5], s[4:5], exec
                                        ; implicit-def: $vgpr3
	s_or_saveexec_b64 s[6:7], s[6:7]
	v_mov_b32_e32 v2, s10
	s_xor_b64 exec, exec, s[6:7]
	s_cbranch_execnz .LBB2_25428
; %bb.61265:
	s_getpc_b64 s[14:15]
.Lpost_getpc34216:
	s_add_u32 s14, s14, (.LBB2_11090-.Lpost_getpc34216)&4294967295
	s_addc_u32 s15, s15, (.LBB2_11090-.Lpost_getpc34216)>>32
	s_setpc_b64 s[14:15]
.LBB2_25428:
	v_cmp_ne_u16_e32 vcc, 0, v3
	s_andn2_b64 s[4:5], s[4:5], exec
	s_and_b64 s[8:9], vcc, exec
	v_mov_b32_e32 v2, 0
	s_or_b64 s[4:5], s[4:5], s[8:9]
	s_or_b64 exec, exec, s[6:7]
	s_and_saveexec_b64 s[6:7], s[4:5]
	s_cbranch_execz .LBB2_34217
; %bb.61267:
	s_getpc_b64 s[14:15]
.Lpost_getpc34217:
	s_add_u32 s14, s14, (.LBB2_11091-.Lpost_getpc34217)&4294967295
	s_addc_u32 s15, s15, (.LBB2_11091-.Lpost_getpc34217)>>32
	s_setpc_b64 s[14:15]
.LBB2_34217:
	s_getpc_b64 s[14:15]
.Lpost_getpc20692:
	s_add_u32 s14, s14, (.LBB2_11092-.Lpost_getpc20692)&4294967295
	s_addc_u32 s15, s15, (.LBB2_11092-.Lpost_getpc20692)>>32
	s_setpc_b64 s[14:15]
.LBB2_25429:
	s_movk_i32 s4, 0x80
	v_cmp_eq_u16_e32 vcc, s4, v3
	s_mov_b64 s[4:5], -1
                                        ; implicit-def: $sgpr10
	s_and_saveexec_b64 s[8:9], vcc
; %bb.25430:
	s_mov_b32 s10, 0x7f800001
	s_xor_b64 s[4:5], exec, -1
; %bb.25431:
	s_or_b64 exec, exec, s[8:9]
	s_and_b64 s[4:5], s[4:5], exec
                                        ; implicit-def: $vgpr3
	s_or_saveexec_b64 s[6:7], s[6:7]
	v_mov_b32_e32 v6, s10
	s_xor_b64 exec, exec, s[6:7]
	s_cbranch_execnz .LBB2_25432
; %bb.61269:
	s_getpc_b64 s[14:15]
.Lpost_getpc34218:
	s_add_u32 s14, s14, (.LBB2_11094-.Lpost_getpc34218)&4294967295
	s_addc_u32 s15, s15, (.LBB2_11094-.Lpost_getpc34218)>>32
	s_setpc_b64 s[14:15]
.LBB2_25432:
	v_cmp_ne_u16_e32 vcc, 0, v3
	s_andn2_b64 s[4:5], s[4:5], exec
	s_and_b64 s[8:9], vcc, exec
	v_mov_b32_e32 v6, 0
	s_or_b64 s[4:5], s[4:5], s[8:9]
	s_or_b64 exec, exec, s[6:7]
	s_and_saveexec_b64 s[6:7], s[4:5]
	s_cbranch_execz .LBB2_34219
; %bb.61271:
	s_getpc_b64 s[14:15]
.Lpost_getpc34219:
	s_add_u32 s14, s14, (.LBB2_11095-.Lpost_getpc34219)&4294967295
	s_addc_u32 s15, s15, (.LBB2_11095-.Lpost_getpc34219)>>32
	s_setpc_b64 s[14:15]
.LBB2_34219:
	s_getpc_b64 s[14:15]
.Lpost_getpc20693:
	s_add_u32 s14, s14, (.LBB2_11096-.Lpost_getpc20693)&4294967295
	s_addc_u32 s15, s15, (.LBB2_11096-.Lpost_getpc20693)>>32
	s_setpc_b64 s[14:15]
.LBB2_25433:
	s_movk_i32 s4, 0x80
	v_cmp_eq_u16_sdwa s[12:13], v8, s4 src0_sel:BYTE_3 src1_sel:DWORD
	s_mov_b64 s[4:5], -1
                                        ; implicit-def: $sgpr10
	s_and_saveexec_b64 s[8:9], s[12:13]
; %bb.25434:
	s_mov_b32 s10, 0x7f800001
	s_xor_b64 s[4:5], exec, -1
; %bb.25435:
	s_or_b64 exec, exec, s[8:9]
	s_and_b64 s[4:5], s[4:5], exec
	s_or_saveexec_b64 s[6:7], s[6:7]
	v_mov_b32_e32 v2, s10
	s_xor_b64 exec, exec, s[6:7]
	s_cbranch_execnz .LBB2_25436
; %bb.61273:
	s_getpc_b64 s[14:15]
.Lpost_getpc34220:
	s_add_u32 s14, s14, (.LBB2_11098-.Lpost_getpc34220)&4294967295
	s_addc_u32 s15, s15, (.LBB2_11098-.Lpost_getpc34220)>>32
	s_setpc_b64 s[14:15]
.LBB2_25436:
	v_mov_b32_e32 v2, 0
	v_cmp_ne_u16_sdwa s[8:9], v8, v2 src0_sel:BYTE_3 src1_sel:DWORD
	s_andn2_b64 s[4:5], s[4:5], exec
	s_and_b64 s[8:9], s[8:9], exec
	s_or_b64 s[4:5], s[4:5], s[8:9]
	s_or_b64 exec, exec, s[6:7]
	s_and_saveexec_b64 s[6:7], s[4:5]
	s_cbranch_execz .LBB2_34221
; %bb.61275:
	s_getpc_b64 s[14:15]
.Lpost_getpc34221:
	s_add_u32 s14, s14, (.LBB2_11099-.Lpost_getpc34221)&4294967295
	s_addc_u32 s15, s15, (.LBB2_11099-.Lpost_getpc34221)>>32
	s_setpc_b64 s[14:15]
.LBB2_34221:
	s_getpc_b64 s[14:15]
.Lpost_getpc20694:
	s_add_u32 s14, s14, (.LBB2_11100-.Lpost_getpc20694)&4294967295
	s_addc_u32 s15, s15, (.LBB2_11100-.Lpost_getpc20694)>>32
	s_setpc_b64 s[14:15]
.LBB2_25437:
	s_movk_i32 s4, 0x80
	v_cmp_eq_u16_sdwa s[12:13], v4, s4 src0_sel:BYTE_3 src1_sel:DWORD
	s_mov_b64 s[4:5], -1
                                        ; implicit-def: $sgpr10
	s_and_saveexec_b64 s[8:9], s[12:13]
; %bb.25438:
	s_mov_b32 s10, 0x7f800001
	s_xor_b64 s[4:5], exec, -1
; %bb.25439:
	s_or_b64 exec, exec, s[8:9]
	s_and_b64 s[4:5], s[4:5], exec
	s_or_saveexec_b64 s[6:7], s[6:7]
	v_mov_b32_e32 v3, s10
	s_xor_b64 exec, exec, s[6:7]
	s_cbranch_execnz .LBB2_25440
; %bb.61277:
	s_getpc_b64 s[14:15]
.Lpost_getpc34222:
	s_add_u32 s14, s14, (.LBB2_11102-.Lpost_getpc34222)&4294967295
	s_addc_u32 s15, s15, (.LBB2_11102-.Lpost_getpc34222)>>32
	s_setpc_b64 s[14:15]
.LBB2_25440:
	v_mov_b32_e32 v3, 0
	v_cmp_ne_u16_sdwa s[8:9], v4, v3 src0_sel:BYTE_3 src1_sel:DWORD
	s_andn2_b64 s[4:5], s[4:5], exec
	s_and_b64 s[8:9], s[8:9], exec
	s_or_b64 s[4:5], s[4:5], s[8:9]
	s_or_b64 exec, exec, s[6:7]
	s_and_saveexec_b64 s[6:7], s[4:5]
	s_cbranch_execz .LBB2_34223
; %bb.61279:
	s_getpc_b64 s[14:15]
.Lpost_getpc34223:
	s_add_u32 s14, s14, (.LBB2_11103-.Lpost_getpc34223)&4294967295
	s_addc_u32 s15, s15, (.LBB2_11103-.Lpost_getpc34223)>>32
	s_setpc_b64 s[14:15]
.LBB2_34223:
	s_getpc_b64 s[14:15]
.Lpost_getpc20695:
	s_add_u32 s14, s14, (.LBB2_11104-.Lpost_getpc20695)&4294967295
	s_addc_u32 s15, s15, (.LBB2_11104-.Lpost_getpc20695)>>32
	s_setpc_b64 s[14:15]
.LBB2_25441:
	s_movk_i32 s4, 0x80
	v_cmp_eq_u16_sdwa s[12:13], v9, s4 src0_sel:BYTE_0 src1_sel:DWORD
	s_mov_b64 s[4:5], -1
                                        ; implicit-def: $sgpr10
	s_and_saveexec_b64 s[8:9], s[12:13]
; %bb.25442:
	s_mov_b32 s10, 0x7f800001
	s_xor_b64 s[4:5], exec, -1
; %bb.25443:
	s_or_b64 exec, exec, s[8:9]
	s_and_b64 s[4:5], s[4:5], exec
	s_or_saveexec_b64 s[6:7], s[6:7]
	v_mov_b32_e32 v2, s10
	s_xor_b64 exec, exec, s[6:7]
	s_cbranch_execnz .LBB2_25444
; %bb.61281:
	s_getpc_b64 s[14:15]
.Lpost_getpc34224:
	s_add_u32 s14, s14, (.LBB2_11106-.Lpost_getpc34224)&4294967295
	s_addc_u32 s15, s15, (.LBB2_11106-.Lpost_getpc34224)>>32
	s_setpc_b64 s[14:15]
.LBB2_25444:
	v_mov_b32_e32 v2, 0
	v_cmp_ne_u16_sdwa s[8:9], v9, v2 src0_sel:BYTE_0 src1_sel:DWORD
	s_andn2_b64 s[4:5], s[4:5], exec
	s_and_b64 s[8:9], s[8:9], exec
	s_or_b64 s[4:5], s[4:5], s[8:9]
	s_or_b64 exec, exec, s[6:7]
	s_and_saveexec_b64 s[6:7], s[4:5]
	s_cbranch_execz .LBB2_34225
; %bb.61283:
	s_getpc_b64 s[14:15]
.Lpost_getpc34225:
	s_add_u32 s14, s14, (.LBB2_11107-.Lpost_getpc34225)&4294967295
	s_addc_u32 s15, s15, (.LBB2_11107-.Lpost_getpc34225)>>32
	s_setpc_b64 s[14:15]
.LBB2_34225:
	s_getpc_b64 s[14:15]
.Lpost_getpc20696:
	s_add_u32 s14, s14, (.LBB2_11108-.Lpost_getpc20696)&4294967295
	s_addc_u32 s15, s15, (.LBB2_11108-.Lpost_getpc20696)>>32
	s_setpc_b64 s[14:15]
.LBB2_25445:
	s_movk_i32 s4, 0x80
	v_cmp_eq_u16_sdwa s[12:13], v5, s4 src0_sel:BYTE_0 src1_sel:DWORD
	s_mov_b64 s[4:5], -1
                                        ; implicit-def: $sgpr10
	s_and_saveexec_b64 s[8:9], s[12:13]
; %bb.25446:
	s_mov_b32 s10, 0x7f800001
	s_xor_b64 s[4:5], exec, -1
; %bb.25447:
	s_or_b64 exec, exec, s[8:9]
	s_and_b64 s[4:5], s[4:5], exec
	s_or_saveexec_b64 s[6:7], s[6:7]
	v_mov_b32_e32 v3, s10
	s_xor_b64 exec, exec, s[6:7]
	s_cbranch_execnz .LBB2_25448
; %bb.61285:
	s_getpc_b64 s[14:15]
.Lpost_getpc34226:
	s_add_u32 s14, s14, (.LBB2_11110-.Lpost_getpc34226)&4294967295
	s_addc_u32 s15, s15, (.LBB2_11110-.Lpost_getpc34226)>>32
	s_setpc_b64 s[14:15]
.LBB2_25448:
	v_mov_b32_e32 v3, 0
	v_cmp_ne_u16_sdwa s[8:9], v5, v3 src0_sel:BYTE_0 src1_sel:DWORD
	s_andn2_b64 s[4:5], s[4:5], exec
	s_and_b64 s[8:9], s[8:9], exec
	s_or_b64 s[4:5], s[4:5], s[8:9]
	s_or_b64 exec, exec, s[6:7]
	s_and_saveexec_b64 s[6:7], s[4:5]
	s_cbranch_execz .LBB2_34227
; %bb.61287:
	s_getpc_b64 s[14:15]
.Lpost_getpc34227:
	s_add_u32 s14, s14, (.LBB2_11111-.Lpost_getpc34227)&4294967295
	s_addc_u32 s15, s15, (.LBB2_11111-.Lpost_getpc34227)>>32
	s_setpc_b64 s[14:15]
.LBB2_34227:
	s_getpc_b64 s[14:15]
.Lpost_getpc20697:
	s_add_u32 s14, s14, (.LBB2_11112-.Lpost_getpc20697)&4294967295
	s_addc_u32 s15, s15, (.LBB2_11112-.Lpost_getpc20697)>>32
	s_setpc_b64 s[14:15]
.LBB2_25449:
	s_movk_i32 s4, 0x80
	v_cmp_eq_u16_sdwa s[12:13], v3, s4 src0_sel:BYTE_0 src1_sel:DWORD
	s_mov_b64 s[4:5], -1
                                        ; implicit-def: $sgpr10
	s_and_saveexec_b64 s[8:9], s[12:13]
; %bb.25450:
	s_mov_b32 s10, 0x7f800001
	s_xor_b64 s[4:5], exec, -1
; %bb.25451:
	s_or_b64 exec, exec, s[8:9]
	s_and_b64 s[4:5], s[4:5], exec
	s_or_saveexec_b64 s[6:7], s[6:7]
	v_mov_b32_e32 v2, s10
	s_xor_b64 exec, exec, s[6:7]
	s_cbranch_execnz .LBB2_25452
; %bb.61289:
	s_getpc_b64 s[14:15]
.Lpost_getpc34228:
	s_add_u32 s14, s14, (.LBB2_11114-.Lpost_getpc34228)&4294967295
	s_addc_u32 s15, s15, (.LBB2_11114-.Lpost_getpc34228)>>32
	s_setpc_b64 s[14:15]
.LBB2_25452:
	v_mov_b32_e32 v2, 0
	v_cmp_ne_u16_sdwa s[8:9], v3, v2 src0_sel:BYTE_0 src1_sel:DWORD
	s_andn2_b64 s[4:5], s[4:5], exec
	s_and_b64 s[8:9], s[8:9], exec
	s_or_b64 s[4:5], s[4:5], s[8:9]
	s_or_b64 exec, exec, s[6:7]
	s_and_saveexec_b64 s[6:7], s[4:5]
	s_cbranch_execz .LBB2_34229
; %bb.61291:
	s_getpc_b64 s[14:15]
.Lpost_getpc34229:
	s_add_u32 s14, s14, (.LBB2_11115-.Lpost_getpc34229)&4294967295
	s_addc_u32 s15, s15, (.LBB2_11115-.Lpost_getpc34229)>>32
	s_setpc_b64 s[14:15]
.LBB2_34229:
	s_getpc_b64 s[14:15]
.Lpost_getpc20698:
	s_add_u32 s14, s14, (.LBB2_11116-.Lpost_getpc20698)&4294967295
	s_addc_u32 s15, s15, (.LBB2_11116-.Lpost_getpc20698)>>32
	s_setpc_b64 s[14:15]
.LBB2_25453:
	s_movk_i32 s4, 0x80
	v_cmp_eq_u16_sdwa s[12:13], v3, s4 src0_sel:BYTE_0 src1_sel:DWORD
	s_mov_b64 s[4:5], -1
                                        ; implicit-def: $sgpr10
	s_and_saveexec_b64 s[8:9], s[12:13]
; %bb.25454:
	s_mov_b32 s10, 0x7f800001
	s_xor_b64 s[4:5], exec, -1
; %bb.25455:
	s_or_b64 exec, exec, s[8:9]
	s_and_b64 s[4:5], s[4:5], exec
	s_or_saveexec_b64 s[6:7], s[6:7]
	v_mov_b32_e32 v4, s10
	s_xor_b64 exec, exec, s[6:7]
	s_cbranch_execnz .LBB2_25456
; %bb.61293:
	s_getpc_b64 s[14:15]
.Lpost_getpc34230:
	s_add_u32 s14, s14, (.LBB2_11118-.Lpost_getpc34230)&4294967295
	s_addc_u32 s15, s15, (.LBB2_11118-.Lpost_getpc34230)>>32
	s_setpc_b64 s[14:15]
.LBB2_25456:
	v_mov_b32_e32 v4, 0
	v_cmp_ne_u16_sdwa s[8:9], v3, v4 src0_sel:BYTE_0 src1_sel:DWORD
	s_andn2_b64 s[4:5], s[4:5], exec
	s_and_b64 s[8:9], s[8:9], exec
	s_or_b64 s[4:5], s[4:5], s[8:9]
	s_or_b64 exec, exec, s[6:7]
	s_and_saveexec_b64 s[6:7], s[4:5]
	s_cbranch_execz .LBB2_34231
; %bb.61295:
	s_getpc_b64 s[14:15]
.Lpost_getpc34231:
	s_add_u32 s14, s14, (.LBB2_11119-.Lpost_getpc34231)&4294967295
	s_addc_u32 s15, s15, (.LBB2_11119-.Lpost_getpc34231)>>32
	s_setpc_b64 s[14:15]
.LBB2_34231:
	s_getpc_b64 s[14:15]
.Lpost_getpc20699:
	s_add_u32 s14, s14, (.LBB2_11120-.Lpost_getpc20699)&4294967295
	s_addc_u32 s15, s15, (.LBB2_11120-.Lpost_getpc20699)>>32
	s_setpc_b64 s[14:15]
.LBB2_25457:
	s_movk_i32 s4, 0x80
	v_cmp_eq_u16_e32 vcc, s4, v3
	s_mov_b64 s[4:5], -1
                                        ; implicit-def: $sgpr10
	s_and_saveexec_b64 s[8:9], vcc
; %bb.25458:
	s_mov_b32 s10, 0x7f800001
	s_xor_b64 s[4:5], exec, -1
; %bb.25459:
	s_or_b64 exec, exec, s[8:9]
	s_and_b64 s[4:5], s[4:5], exec
                                        ; implicit-def: $vgpr3
	s_or_saveexec_b64 s[6:7], s[6:7]
	v_mov_b32_e32 v2, s10
	s_xor_b64 exec, exec, s[6:7]
	s_cbranch_execnz .LBB2_25460
; %bb.61297:
	s_getpc_b64 s[14:15]
.Lpost_getpc34232:
	s_add_u32 s14, s14, (.LBB2_11122-.Lpost_getpc34232)&4294967295
	s_addc_u32 s15, s15, (.LBB2_11122-.Lpost_getpc34232)>>32
	s_setpc_b64 s[14:15]
.LBB2_25460:
	v_cmp_ne_u16_e32 vcc, 0, v3
	s_andn2_b64 s[4:5], s[4:5], exec
	s_and_b64 s[8:9], vcc, exec
	v_mov_b32_e32 v2, 0
	s_or_b64 s[4:5], s[4:5], s[8:9]
	s_or_b64 exec, exec, s[6:7]
	s_and_saveexec_b64 s[6:7], s[4:5]
	s_cbranch_execz .LBB2_34233
; %bb.61299:
	s_getpc_b64 s[14:15]
.Lpost_getpc34233:
	s_add_u32 s14, s14, (.LBB2_11123-.Lpost_getpc34233)&4294967295
	s_addc_u32 s15, s15, (.LBB2_11123-.Lpost_getpc34233)>>32
	s_setpc_b64 s[14:15]
.LBB2_34233:
	s_getpc_b64 s[14:15]
.Lpost_getpc20700:
	s_add_u32 s14, s14, (.LBB2_11124-.Lpost_getpc20700)&4294967295
	s_addc_u32 s15, s15, (.LBB2_11124-.Lpost_getpc20700)>>32
	s_setpc_b64 s[14:15]
.LBB2_25461:
	s_movk_i32 s4, 0x80
	v_cmp_eq_u16_e32 vcc, s4, v3
	s_mov_b64 s[4:5], -1
                                        ; implicit-def: $sgpr10
	s_and_saveexec_b64 s[8:9], vcc
; %bb.25462:
	s_mov_b32 s10, 0x7f800001
	s_xor_b64 s[4:5], exec, -1
; %bb.25463:
	s_or_b64 exec, exec, s[8:9]
	s_and_b64 s[4:5], s[4:5], exec
                                        ; implicit-def: $vgpr3
	s_or_saveexec_b64 s[6:7], s[6:7]
	v_mov_b32_e32 v4, s10
	s_xor_b64 exec, exec, s[6:7]
	s_cbranch_execnz .LBB2_25464
; %bb.61301:
	s_getpc_b64 s[14:15]
.Lpost_getpc34234:
	s_add_u32 s14, s14, (.LBB2_11126-.Lpost_getpc34234)&4294967295
	s_addc_u32 s15, s15, (.LBB2_11126-.Lpost_getpc34234)>>32
	s_setpc_b64 s[14:15]
.LBB2_25464:
	v_cmp_ne_u16_e32 vcc, 0, v3
	s_andn2_b64 s[4:5], s[4:5], exec
	s_and_b64 s[8:9], vcc, exec
	v_mov_b32_e32 v4, 0
	s_or_b64 s[4:5], s[4:5], s[8:9]
	s_or_b64 exec, exec, s[6:7]
	s_and_saveexec_b64 s[6:7], s[4:5]
	s_cbranch_execz .LBB2_34235
; %bb.61303:
	s_getpc_b64 s[14:15]
.Lpost_getpc34235:
	s_add_u32 s14, s14, (.LBB2_11127-.Lpost_getpc34235)&4294967295
	s_addc_u32 s15, s15, (.LBB2_11127-.Lpost_getpc34235)>>32
	s_setpc_b64 s[14:15]
.LBB2_34235:
	s_getpc_b64 s[14:15]
.Lpost_getpc20701:
	s_add_u32 s14, s14, (.LBB2_11128-.Lpost_getpc20701)&4294967295
	s_addc_u32 s15, s15, (.LBB2_11128-.Lpost_getpc20701)>>32
	s_setpc_b64 s[14:15]
.LBB2_25465:
	s_movk_i32 s4, 0x80
	v_cmp_eq_u16_sdwa s[12:13], v9, s4 src0_sel:BYTE_3 src1_sel:DWORD
	s_mov_b64 s[4:5], -1
                                        ; implicit-def: $sgpr10
	s_and_saveexec_b64 s[8:9], s[12:13]
; %bb.25466:
	s_mov_b32 s10, 0x7f800001
	s_xor_b64 s[4:5], exec, -1
; %bb.25467:
	s_or_b64 exec, exec, s[8:9]
	s_and_b64 s[4:5], s[4:5], exec
	s_or_saveexec_b64 s[6:7], s[6:7]
	v_mov_b32_e32 v2, s10
	s_xor_b64 exec, exec, s[6:7]
	s_cbranch_execnz .LBB2_25468
; %bb.61305:
	s_getpc_b64 s[14:15]
.Lpost_getpc34236:
	s_add_u32 s14, s14, (.LBB2_11130-.Lpost_getpc34236)&4294967295
	s_addc_u32 s15, s15, (.LBB2_11130-.Lpost_getpc34236)>>32
	s_setpc_b64 s[14:15]
.LBB2_25468:
	v_mov_b32_e32 v2, 0
	v_cmp_ne_u16_sdwa s[8:9], v9, v2 src0_sel:BYTE_3 src1_sel:DWORD
	s_andn2_b64 s[4:5], s[4:5], exec
	s_and_b64 s[8:9], s[8:9], exec
	s_or_b64 s[4:5], s[4:5], s[8:9]
	s_or_b64 exec, exec, s[6:7]
	s_and_saveexec_b64 s[6:7], s[4:5]
	s_cbranch_execz .LBB2_34237
; %bb.61307:
	s_getpc_b64 s[14:15]
.Lpost_getpc34237:
	s_add_u32 s14, s14, (.LBB2_11131-.Lpost_getpc34237)&4294967295
	s_addc_u32 s15, s15, (.LBB2_11131-.Lpost_getpc34237)>>32
	s_setpc_b64 s[14:15]
.LBB2_34237:
	s_getpc_b64 s[14:15]
.Lpost_getpc20702:
	s_add_u32 s14, s14, (.LBB2_11132-.Lpost_getpc20702)&4294967295
	s_addc_u32 s15, s15, (.LBB2_11132-.Lpost_getpc20702)>>32
	s_setpc_b64 s[14:15]
.LBB2_25469:
	s_movk_i32 s4, 0x80
	v_cmp_eq_u16_sdwa s[12:13], v5, s4 src0_sel:BYTE_3 src1_sel:DWORD
	s_mov_b64 s[4:5], -1
                                        ; implicit-def: $sgpr10
	s_and_saveexec_b64 s[8:9], s[12:13]
; %bb.25470:
	s_mov_b32 s10, 0x7f800001
	s_xor_b64 s[4:5], exec, -1
; %bb.25471:
	s_or_b64 exec, exec, s[8:9]
	s_and_b64 s[4:5], s[4:5], exec
	s_or_saveexec_b64 s[6:7], s[6:7]
	v_mov_b32_e32 v3, s10
	s_xor_b64 exec, exec, s[6:7]
	s_cbranch_execnz .LBB2_25472
; %bb.61309:
	s_getpc_b64 s[14:15]
.Lpost_getpc34238:
	s_add_u32 s14, s14, (.LBB2_11134-.Lpost_getpc34238)&4294967295
	s_addc_u32 s15, s15, (.LBB2_11134-.Lpost_getpc34238)>>32
	s_setpc_b64 s[14:15]
.LBB2_25472:
	v_mov_b32_e32 v3, 0
	v_cmp_ne_u16_sdwa s[8:9], v5, v3 src0_sel:BYTE_3 src1_sel:DWORD
	s_andn2_b64 s[4:5], s[4:5], exec
	s_and_b64 s[8:9], s[8:9], exec
	s_or_b64 s[4:5], s[4:5], s[8:9]
	s_or_b64 exec, exec, s[6:7]
	s_and_saveexec_b64 s[6:7], s[4:5]
	s_cbranch_execz .LBB2_34239
; %bb.61311:
	s_getpc_b64 s[14:15]
.Lpost_getpc34239:
	s_add_u32 s14, s14, (.LBB2_11135-.Lpost_getpc34239)&4294967295
	s_addc_u32 s15, s15, (.LBB2_11135-.Lpost_getpc34239)>>32
	s_setpc_b64 s[14:15]
.LBB2_34239:
	s_getpc_b64 s[14:15]
.Lpost_getpc20703:
	s_add_u32 s14, s14, (.LBB2_11136-.Lpost_getpc20703)&4294967295
	s_addc_u32 s15, s15, (.LBB2_11136-.Lpost_getpc20703)>>32
	s_setpc_b64 s[14:15]
.LBB2_25473:
	s_movk_i32 s4, 0x80
	v_cmp_eq_u16_sdwa s[12:13], v6, s4 src0_sel:BYTE_0 src1_sel:DWORD
	s_mov_b64 s[4:5], -1
                                        ; implicit-def: $sgpr10
	s_and_saveexec_b64 s[8:9], s[12:13]
; %bb.25474:
	s_mov_b32 s10, 0x7f800001
	s_xor_b64 s[4:5], exec, -1
; %bb.25475:
	s_or_b64 exec, exec, s[8:9]
	s_and_b64 s[4:5], s[4:5], exec
	s_or_saveexec_b64 s[6:7], s[6:7]
	v_mov_b32_e32 v12, s10
	s_xor_b64 exec, exec, s[6:7]
	s_cbranch_execnz .LBB2_25476
; %bb.61313:
	s_getpc_b64 s[14:15]
.Lpost_getpc34240:
	s_add_u32 s14, s14, (.LBB2_11138-.Lpost_getpc34240)&4294967295
	s_addc_u32 s15, s15, (.LBB2_11138-.Lpost_getpc34240)>>32
	s_setpc_b64 s[14:15]
.LBB2_25476:
	v_mov_b32_e32 v12, 0
	v_cmp_ne_u16_sdwa s[8:9], v6, v12 src0_sel:BYTE_0 src1_sel:DWORD
	s_andn2_b64 s[4:5], s[4:5], exec
	s_and_b64 s[8:9], s[8:9], exec
	s_or_b64 s[4:5], s[4:5], s[8:9]
	s_or_b64 exec, exec, s[6:7]
	s_and_saveexec_b64 s[6:7], s[4:5]
	s_cbranch_execz .LBB2_34241
; %bb.61315:
	s_getpc_b64 s[14:15]
.Lpost_getpc34241:
	s_add_u32 s14, s14, (.LBB2_11139-.Lpost_getpc34241)&4294967295
	s_addc_u32 s15, s15, (.LBB2_11139-.Lpost_getpc34241)>>32
	s_setpc_b64 s[14:15]
.LBB2_34241:
	s_getpc_b64 s[14:15]
.Lpost_getpc20704:
	s_add_u32 s14, s14, (.LBB2_11140-.Lpost_getpc20704)&4294967295
	s_addc_u32 s15, s15, (.LBB2_11140-.Lpost_getpc20704)>>32
	s_setpc_b64 s[14:15]
.LBB2_25477:
	s_movk_i32 s4, 0x80
	v_cmp_eq_u16_sdwa s[12:13], v2, s4 src0_sel:BYTE_0 src1_sel:DWORD
	s_mov_b64 s[4:5], -1
                                        ; implicit-def: $sgpr10
	s_and_saveexec_b64 s[8:9], s[12:13]
; %bb.25478:
	s_mov_b32 s10, 0x7f800001
	s_xor_b64 s[4:5], exec, -1
; %bb.25479:
	s_or_b64 exec, exec, s[8:9]
	s_and_b64 s[4:5], s[4:5], exec
	s_or_saveexec_b64 s[6:7], s[6:7]
	v_mov_b32_e32 v13, s10
	s_xor_b64 exec, exec, s[6:7]
	s_cbranch_execnz .LBB2_25480
; %bb.61317:
	s_getpc_b64 s[14:15]
.Lpost_getpc34242:
	s_add_u32 s14, s14, (.LBB2_11142-.Lpost_getpc34242)&4294967295
	s_addc_u32 s15, s15, (.LBB2_11142-.Lpost_getpc34242)>>32
	s_setpc_b64 s[14:15]
.LBB2_25480:
	v_mov_b32_e32 v13, 0
	v_cmp_ne_u16_sdwa s[8:9], v2, v13 src0_sel:BYTE_0 src1_sel:DWORD
	s_andn2_b64 s[4:5], s[4:5], exec
	s_and_b64 s[8:9], s[8:9], exec
	s_or_b64 s[4:5], s[4:5], s[8:9]
	s_or_b64 exec, exec, s[6:7]
	s_and_saveexec_b64 s[6:7], s[4:5]
	s_cbranch_execz .LBB2_34243
; %bb.61319:
	s_getpc_b64 s[14:15]
.Lpost_getpc34243:
	s_add_u32 s14, s14, (.LBB2_11143-.Lpost_getpc34243)&4294967295
	s_addc_u32 s15, s15, (.LBB2_11143-.Lpost_getpc34243)>>32
	s_setpc_b64 s[14:15]
.LBB2_34243:
	s_getpc_b64 s[14:15]
.Lpost_getpc20705:
	s_add_u32 s14, s14, (.LBB2_11144-.Lpost_getpc20705)&4294967295
	s_addc_u32 s15, s15, (.LBB2_11144-.Lpost_getpc20705)>>32
	s_setpc_b64 s[14:15]
.LBB2_25481:
	s_movk_i32 s4, 0x80
	v_cmp_eq_u16_sdwa s[12:13], v13, s4 src0_sel:BYTE_0 src1_sel:DWORD
	s_mov_b64 s[4:5], -1
                                        ; implicit-def: $sgpr10
	s_and_saveexec_b64 s[8:9], s[12:13]
; %bb.25482:
	s_mov_b32 s10, 0x7f800001
	s_xor_b64 s[4:5], exec, -1
; %bb.25483:
	s_or_b64 exec, exec, s[8:9]
	s_and_b64 s[4:5], s[4:5], exec
	s_or_saveexec_b64 s[6:7], s[6:7]
	v_mov_b32_e32 v12, s10
	s_xor_b64 exec, exec, s[6:7]
	s_cbranch_execnz .LBB2_25484
; %bb.61321:
	s_getpc_b64 s[14:15]
.Lpost_getpc34244:
	s_add_u32 s14, s14, (.LBB2_11146-.Lpost_getpc34244)&4294967295
	s_addc_u32 s15, s15, (.LBB2_11146-.Lpost_getpc34244)>>32
	s_setpc_b64 s[14:15]
.LBB2_25484:
	v_mov_b32_e32 v12, 0
	v_cmp_ne_u16_sdwa s[8:9], v13, v12 src0_sel:BYTE_0 src1_sel:DWORD
	s_andn2_b64 s[4:5], s[4:5], exec
	s_and_b64 s[8:9], s[8:9], exec
	s_or_b64 s[4:5], s[4:5], s[8:9]
	s_or_b64 exec, exec, s[6:7]
	s_and_saveexec_b64 s[6:7], s[4:5]
	s_cbranch_execz .LBB2_34245
; %bb.61323:
	s_getpc_b64 s[14:15]
.Lpost_getpc34245:
	s_add_u32 s14, s14, (.LBB2_11147-.Lpost_getpc34245)&4294967295
	s_addc_u32 s15, s15, (.LBB2_11147-.Lpost_getpc34245)>>32
	s_setpc_b64 s[14:15]
.LBB2_34245:
	s_getpc_b64 s[14:15]
.Lpost_getpc20706:
	s_add_u32 s14, s14, (.LBB2_11148-.Lpost_getpc20706)&4294967295
	s_addc_u32 s15, s15, (.LBB2_11148-.Lpost_getpc20706)>>32
	s_setpc_b64 s[14:15]
.LBB2_25485:
	s_movk_i32 s4, 0x80
	v_cmp_eq_u16_sdwa s[12:13], v13, s4 src0_sel:BYTE_0 src1_sel:DWORD
	s_mov_b64 s[4:5], -1
                                        ; implicit-def: $sgpr10
	s_and_saveexec_b64 s[8:9], s[12:13]
; %bb.25486:
	s_mov_b32 s10, 0x7f800001
	s_xor_b64 s[4:5], exec, -1
; %bb.25487:
	s_or_b64 exec, exec, s[8:9]
	s_and_b64 s[4:5], s[4:5], exec
	s_or_saveexec_b64 s[6:7], s[6:7]
	v_mov_b32_e32 v14, s10
	s_xor_b64 exec, exec, s[6:7]
	s_cbranch_execnz .LBB2_25488
; %bb.61325:
	s_getpc_b64 s[14:15]
.Lpost_getpc34246:
	s_add_u32 s14, s14, (.LBB2_11150-.Lpost_getpc34246)&4294967295
	s_addc_u32 s15, s15, (.LBB2_11150-.Lpost_getpc34246)>>32
	s_setpc_b64 s[14:15]
.LBB2_25488:
	v_mov_b32_e32 v14, 0
	v_cmp_ne_u16_sdwa s[8:9], v13, v14 src0_sel:BYTE_0 src1_sel:DWORD
	s_andn2_b64 s[4:5], s[4:5], exec
	s_and_b64 s[8:9], s[8:9], exec
	s_or_b64 s[4:5], s[4:5], s[8:9]
	s_or_b64 exec, exec, s[6:7]
	s_and_saveexec_b64 s[6:7], s[4:5]
	s_cbranch_execz .LBB2_34247
; %bb.61327:
	s_getpc_b64 s[14:15]
.Lpost_getpc34247:
	s_add_u32 s14, s14, (.LBB2_11151-.Lpost_getpc34247)&4294967295
	s_addc_u32 s15, s15, (.LBB2_11151-.Lpost_getpc34247)>>32
	s_setpc_b64 s[14:15]
.LBB2_34247:
	s_getpc_b64 s[14:15]
.Lpost_getpc20707:
	s_add_u32 s14, s14, (.LBB2_11152-.Lpost_getpc20707)&4294967295
	s_addc_u32 s15, s15, (.LBB2_11152-.Lpost_getpc20707)>>32
	s_setpc_b64 s[14:15]
.LBB2_25489:
	s_movk_i32 s4, 0x80
	v_cmp_eq_u16_e32 vcc, s4, v13
	s_mov_b64 s[4:5], -1
                                        ; implicit-def: $sgpr10
	s_and_saveexec_b64 s[8:9], vcc
; %bb.25490:
	s_mov_b32 s10, 0x7f800001
	s_xor_b64 s[4:5], exec, -1
; %bb.25491:
	s_or_b64 exec, exec, s[8:9]
	s_and_b64 s[4:5], s[4:5], exec
                                        ; implicit-def: $vgpr13
	s_or_saveexec_b64 s[6:7], s[6:7]
	v_mov_b32_e32 v12, s10
	s_xor_b64 exec, exec, s[6:7]
	s_cbranch_execnz .LBB2_25492
; %bb.61329:
	s_getpc_b64 s[14:15]
.Lpost_getpc34248:
	s_add_u32 s14, s14, (.LBB2_11154-.Lpost_getpc34248)&4294967295
	s_addc_u32 s15, s15, (.LBB2_11154-.Lpost_getpc34248)>>32
	s_setpc_b64 s[14:15]
.LBB2_25492:
	v_cmp_ne_u16_e32 vcc, 0, v13
	s_andn2_b64 s[4:5], s[4:5], exec
	s_and_b64 s[8:9], vcc, exec
	v_mov_b32_e32 v12, 0
	s_or_b64 s[4:5], s[4:5], s[8:9]
	s_or_b64 exec, exec, s[6:7]
	s_and_saveexec_b64 s[6:7], s[4:5]
	s_cbranch_execz .LBB2_34249
; %bb.61331:
	s_getpc_b64 s[14:15]
.Lpost_getpc34249:
	s_add_u32 s14, s14, (.LBB2_11155-.Lpost_getpc34249)&4294967295
	s_addc_u32 s15, s15, (.LBB2_11155-.Lpost_getpc34249)>>32
	s_setpc_b64 s[14:15]
.LBB2_34249:
	s_getpc_b64 s[14:15]
.Lpost_getpc20708:
	s_add_u32 s14, s14, (.LBB2_11156-.Lpost_getpc20708)&4294967295
	s_addc_u32 s15, s15, (.LBB2_11156-.Lpost_getpc20708)>>32
	s_setpc_b64 s[14:15]
.LBB2_25493:
	s_movk_i32 s4, 0x80
	v_cmp_eq_u16_e32 vcc, s4, v13
	s_mov_b64 s[4:5], -1
                                        ; implicit-def: $sgpr10
	s_and_saveexec_b64 s[8:9], vcc
; %bb.25494:
	s_mov_b32 s10, 0x7f800001
	s_xor_b64 s[4:5], exec, -1
; %bb.25495:
	s_or_b64 exec, exec, s[8:9]
	s_and_b64 s[4:5], s[4:5], exec
                                        ; implicit-def: $vgpr13
	s_or_saveexec_b64 s[6:7], s[6:7]
	v_mov_b32_e32 v14, s10
	s_xor_b64 exec, exec, s[6:7]
	s_cbranch_execnz .LBB2_25496
; %bb.61333:
	s_getpc_b64 s[14:15]
.Lpost_getpc34250:
	s_add_u32 s14, s14, (.LBB2_11158-.Lpost_getpc34250)&4294967295
	s_addc_u32 s15, s15, (.LBB2_11158-.Lpost_getpc34250)>>32
	s_setpc_b64 s[14:15]
.LBB2_25496:
	v_cmp_ne_u16_e32 vcc, 0, v13
	s_andn2_b64 s[4:5], s[4:5], exec
	s_and_b64 s[8:9], vcc, exec
	v_mov_b32_e32 v14, 0
	s_or_b64 s[4:5], s[4:5], s[8:9]
	s_or_b64 exec, exec, s[6:7]
	s_and_saveexec_b64 s[6:7], s[4:5]
	s_cbranch_execz .LBB2_34251
; %bb.61335:
	s_getpc_b64 s[14:15]
.Lpost_getpc34251:
	s_add_u32 s14, s14, (.LBB2_11159-.Lpost_getpc34251)&4294967295
	s_addc_u32 s15, s15, (.LBB2_11159-.Lpost_getpc34251)>>32
	s_setpc_b64 s[14:15]
.LBB2_34251:
	s_getpc_b64 s[14:15]
.Lpost_getpc20709:
	s_add_u32 s14, s14, (.LBB2_11160-.Lpost_getpc20709)&4294967295
	s_addc_u32 s15, s15, (.LBB2_11160-.Lpost_getpc20709)>>32
	s_setpc_b64 s[14:15]
.LBB2_25497:
	s_movk_i32 s4, 0x80
	v_cmp_eq_u16_sdwa s[12:13], v6, s4 src0_sel:BYTE_3 src1_sel:DWORD
	s_mov_b64 s[4:5], -1
                                        ; implicit-def: $sgpr10
	s_and_saveexec_b64 s[8:9], s[12:13]
; %bb.25498:
	s_mov_b32 s10, 0x7f800001
	s_xor_b64 s[4:5], exec, -1
; %bb.25499:
	s_or_b64 exec, exec, s[8:9]
	s_and_b64 s[4:5], s[4:5], exec
	s_or_saveexec_b64 s[6:7], s[6:7]
	v_mov_b32_e32 v12, s10
	s_xor_b64 exec, exec, s[6:7]
	s_cbranch_execnz .LBB2_25500
; %bb.61337:
	s_getpc_b64 s[14:15]
.Lpost_getpc34252:
	s_add_u32 s14, s14, (.LBB2_11162-.Lpost_getpc34252)&4294967295
	s_addc_u32 s15, s15, (.LBB2_11162-.Lpost_getpc34252)>>32
	s_setpc_b64 s[14:15]
.LBB2_25500:
	v_mov_b32_e32 v12, 0
	v_cmp_ne_u16_sdwa s[8:9], v6, v12 src0_sel:BYTE_3 src1_sel:DWORD
	s_andn2_b64 s[4:5], s[4:5], exec
	s_and_b64 s[8:9], s[8:9], exec
	s_or_b64 s[4:5], s[4:5], s[8:9]
	s_or_b64 exec, exec, s[6:7]
	s_and_saveexec_b64 s[6:7], s[4:5]
	s_cbranch_execz .LBB2_34253
; %bb.61339:
	s_getpc_b64 s[14:15]
.Lpost_getpc34253:
	s_add_u32 s14, s14, (.LBB2_11163-.Lpost_getpc34253)&4294967295
	s_addc_u32 s15, s15, (.LBB2_11163-.Lpost_getpc34253)>>32
	s_setpc_b64 s[14:15]
.LBB2_34253:
	s_getpc_b64 s[14:15]
.Lpost_getpc20710:
	s_add_u32 s14, s14, (.LBB2_11164-.Lpost_getpc20710)&4294967295
	s_addc_u32 s15, s15, (.LBB2_11164-.Lpost_getpc20710)>>32
	s_setpc_b64 s[14:15]
.LBB2_25501:
	s_movk_i32 s4, 0x80
	v_cmp_eq_u16_sdwa s[12:13], v2, s4 src0_sel:BYTE_3 src1_sel:DWORD
	s_mov_b64 s[4:5], -1
                                        ; implicit-def: $sgpr10
	s_and_saveexec_b64 s[8:9], s[12:13]
; %bb.25502:
	s_mov_b32 s10, 0x7f800001
	s_xor_b64 s[4:5], exec, -1
; %bb.25503:
	s_or_b64 exec, exec, s[8:9]
	s_and_b64 s[4:5], s[4:5], exec
	s_or_saveexec_b64 s[6:7], s[6:7]
	v_mov_b32_e32 v6, s10
	s_xor_b64 exec, exec, s[6:7]
	s_cbranch_execnz .LBB2_25504
; %bb.61341:
	s_getpc_b64 s[14:15]
.Lpost_getpc34254:
	s_add_u32 s14, s14, (.LBB2_11166-.Lpost_getpc34254)&4294967295
	s_addc_u32 s15, s15, (.LBB2_11166-.Lpost_getpc34254)>>32
	s_setpc_b64 s[14:15]
.LBB2_25504:
	v_mov_b32_e32 v6, 0
	v_cmp_ne_u16_sdwa s[8:9], v2, v6 src0_sel:BYTE_3 src1_sel:DWORD
	s_andn2_b64 s[4:5], s[4:5], exec
	s_and_b64 s[8:9], s[8:9], exec
	s_or_b64 s[4:5], s[4:5], s[8:9]
	s_or_b64 exec, exec, s[6:7]
	s_and_saveexec_b64 s[6:7], s[4:5]
	s_cbranch_execz .LBB2_34255
; %bb.61343:
	s_getpc_b64 s[14:15]
.Lpost_getpc34255:
	s_add_u32 s14, s14, (.LBB2_11167-.Lpost_getpc34255)&4294967295
	s_addc_u32 s15, s15, (.LBB2_11167-.Lpost_getpc34255)>>32
	s_setpc_b64 s[14:15]
.LBB2_34255:
	s_getpc_b64 s[14:15]
.Lpost_getpc20711:
	s_add_u32 s14, s14, (.LBB2_11168-.Lpost_getpc20711)&4294967295
	s_addc_u32 s15, s15, (.LBB2_11168-.Lpost_getpc20711)>>32
	s_setpc_b64 s[14:15]
.LBB2_25505:
	s_movk_i32 s4, 0x80
	v_cmp_eq_u16_sdwa s[12:13], v7, s4 src0_sel:BYTE_0 src1_sel:DWORD
	s_mov_b64 s[4:5], -1
                                        ; implicit-def: $sgpr10
	s_and_saveexec_b64 s[8:9], s[12:13]
; %bb.25506:
	s_mov_b32 s10, 0x7f800001
	s_xor_b64 s[4:5], exec, -1
; %bb.25507:
	s_or_b64 exec, exec, s[8:9]
	s_and_b64 s[4:5], s[4:5], exec
	s_or_saveexec_b64 s[6:7], s[6:7]
	v_mov_b32_e32 v2, s10
	s_xor_b64 exec, exec, s[6:7]
	s_cbranch_execnz .LBB2_25508
; %bb.61345:
	s_getpc_b64 s[14:15]
.Lpost_getpc34256:
	s_add_u32 s14, s14, (.LBB2_11170-.Lpost_getpc34256)&4294967295
	s_addc_u32 s15, s15, (.LBB2_11170-.Lpost_getpc34256)>>32
	s_setpc_b64 s[14:15]
.LBB2_25508:
	v_mov_b32_e32 v2, 0
	v_cmp_ne_u16_sdwa s[8:9], v7, v2 src0_sel:BYTE_0 src1_sel:DWORD
	s_andn2_b64 s[4:5], s[4:5], exec
	s_and_b64 s[8:9], s[8:9], exec
	s_or_b64 s[4:5], s[4:5], s[8:9]
	s_or_b64 exec, exec, s[6:7]
	s_and_saveexec_b64 s[6:7], s[4:5]
	s_cbranch_execz .LBB2_34257
; %bb.61347:
	s_getpc_b64 s[14:15]
.Lpost_getpc34257:
	s_add_u32 s14, s14, (.LBB2_11171-.Lpost_getpc34257)&4294967295
	s_addc_u32 s15, s15, (.LBB2_11171-.Lpost_getpc34257)>>32
	s_setpc_b64 s[14:15]
.LBB2_34257:
	s_getpc_b64 s[14:15]
.Lpost_getpc20712:
	s_add_u32 s14, s14, (.LBB2_11172-.Lpost_getpc20712)&4294967295
	s_addc_u32 s15, s15, (.LBB2_11172-.Lpost_getpc20712)>>32
	s_setpc_b64 s[14:15]
.LBB2_25509:
	s_movk_i32 s4, 0x80
	v_cmp_eq_u16_sdwa s[12:13], v3, s4 src0_sel:BYTE_0 src1_sel:DWORD
	s_mov_b64 s[4:5], -1
                                        ; implicit-def: $sgpr10
	s_and_saveexec_b64 s[8:9], s[12:13]
; %bb.25510:
	s_mov_b32 s10, 0x7f800001
	s_xor_b64 s[4:5], exec, -1
; %bb.25511:
	s_or_b64 exec, exec, s[8:9]
	s_and_b64 s[4:5], s[4:5], exec
	s_or_saveexec_b64 s[6:7], s[6:7]
	v_mov_b32_e32 v6, s10
	s_xor_b64 exec, exec, s[6:7]
	s_cbranch_execnz .LBB2_25512
; %bb.61349:
	s_getpc_b64 s[14:15]
.Lpost_getpc34258:
	s_add_u32 s14, s14, (.LBB2_11174-.Lpost_getpc34258)&4294967295
	s_addc_u32 s15, s15, (.LBB2_11174-.Lpost_getpc34258)>>32
	s_setpc_b64 s[14:15]
.LBB2_25512:
	v_mov_b32_e32 v6, 0
	v_cmp_ne_u16_sdwa s[8:9], v3, v6 src0_sel:BYTE_0 src1_sel:DWORD
	s_andn2_b64 s[4:5], s[4:5], exec
	s_and_b64 s[8:9], s[8:9], exec
	s_or_b64 s[4:5], s[4:5], s[8:9]
	s_or_b64 exec, exec, s[6:7]
	s_and_saveexec_b64 s[6:7], s[4:5]
	s_cbranch_execz .LBB2_34259
; %bb.61351:
	s_getpc_b64 s[14:15]
.Lpost_getpc34259:
	s_add_u32 s14, s14, (.LBB2_11175-.Lpost_getpc34259)&4294967295
	s_addc_u32 s15, s15, (.LBB2_11175-.Lpost_getpc34259)>>32
	s_setpc_b64 s[14:15]
.LBB2_34259:
	s_getpc_b64 s[14:15]
.Lpost_getpc20713:
	s_add_u32 s14, s14, (.LBB2_11176-.Lpost_getpc20713)&4294967295
	s_addc_u32 s15, s15, (.LBB2_11176-.Lpost_getpc20713)>>32
	s_setpc_b64 s[14:15]
.LBB2_25513:
	s_movk_i32 s4, 0x80
	v_cmp_eq_u16_sdwa s[12:13], v6, s4 src0_sel:BYTE_0 src1_sel:DWORD
	s_mov_b64 s[4:5], -1
                                        ; implicit-def: $sgpr10
	s_and_saveexec_b64 s[8:9], s[12:13]
; %bb.25514:
	s_mov_b32 s10, 0x7f800001
	s_xor_b64 s[4:5], exec, -1
; %bb.25515:
	s_or_b64 exec, exec, s[8:9]
	s_and_b64 s[4:5], s[4:5], exec
	s_or_saveexec_b64 s[6:7], s[6:7]
	v_mov_b32_e32 v2, s10
	s_xor_b64 exec, exec, s[6:7]
	s_cbranch_execnz .LBB2_25516
; %bb.61353:
	s_getpc_b64 s[14:15]
.Lpost_getpc34260:
	s_add_u32 s14, s14, (.LBB2_11178-.Lpost_getpc34260)&4294967295
	s_addc_u32 s15, s15, (.LBB2_11178-.Lpost_getpc34260)>>32
	s_setpc_b64 s[14:15]
.LBB2_25516:
	v_mov_b32_e32 v2, 0
	v_cmp_ne_u16_sdwa s[8:9], v6, v2 src0_sel:BYTE_0 src1_sel:DWORD
	s_andn2_b64 s[4:5], s[4:5], exec
	s_and_b64 s[8:9], s[8:9], exec
	s_or_b64 s[4:5], s[4:5], s[8:9]
	s_or_b64 exec, exec, s[6:7]
	s_and_saveexec_b64 s[6:7], s[4:5]
	s_cbranch_execz .LBB2_34261
; %bb.61355:
	s_getpc_b64 s[14:15]
.Lpost_getpc34261:
	s_add_u32 s14, s14, (.LBB2_11179-.Lpost_getpc34261)&4294967295
	s_addc_u32 s15, s15, (.LBB2_11179-.Lpost_getpc34261)>>32
	s_setpc_b64 s[14:15]
.LBB2_34261:
	s_getpc_b64 s[14:15]
.Lpost_getpc20714:
	s_add_u32 s14, s14, (.LBB2_11180-.Lpost_getpc20714)&4294967295
	s_addc_u32 s15, s15, (.LBB2_11180-.Lpost_getpc20714)>>32
	s_setpc_b64 s[14:15]
.LBB2_25517:
	s_movk_i32 s4, 0x80
	v_cmp_eq_u16_sdwa s[12:13], v6, s4 src0_sel:BYTE_0 src1_sel:DWORD
	s_mov_b64 s[4:5], -1
                                        ; implicit-def: $sgpr10
	s_and_saveexec_b64 s[8:9], s[12:13]
; %bb.25518:
	s_mov_b32 s10, 0x7f800001
	s_xor_b64 s[4:5], exec, -1
; %bb.25519:
	s_or_b64 exec, exec, s[8:9]
	s_and_b64 s[4:5], s[4:5], exec
	s_or_saveexec_b64 s[6:7], s[6:7]
	v_mov_b32_e32 v12, s10
	s_xor_b64 exec, exec, s[6:7]
	s_cbranch_execnz .LBB2_25520
; %bb.61357:
	s_getpc_b64 s[14:15]
.Lpost_getpc34262:
	s_add_u32 s14, s14, (.LBB2_11182-.Lpost_getpc34262)&4294967295
	s_addc_u32 s15, s15, (.LBB2_11182-.Lpost_getpc34262)>>32
	s_setpc_b64 s[14:15]
.LBB2_25520:
	v_mov_b32_e32 v12, 0
	v_cmp_ne_u16_sdwa s[8:9], v6, v12 src0_sel:BYTE_0 src1_sel:DWORD
	s_andn2_b64 s[4:5], s[4:5], exec
	s_and_b64 s[8:9], s[8:9], exec
	s_or_b64 s[4:5], s[4:5], s[8:9]
	s_or_b64 exec, exec, s[6:7]
	s_and_saveexec_b64 s[6:7], s[4:5]
	s_cbranch_execz .LBB2_34263
; %bb.61359:
	s_getpc_b64 s[14:15]
.Lpost_getpc34263:
	s_add_u32 s14, s14, (.LBB2_11183-.Lpost_getpc34263)&4294967295
	s_addc_u32 s15, s15, (.LBB2_11183-.Lpost_getpc34263)>>32
	s_setpc_b64 s[14:15]
.LBB2_34263:
	s_getpc_b64 s[14:15]
.Lpost_getpc20715:
	s_add_u32 s14, s14, (.LBB2_11184-.Lpost_getpc20715)&4294967295
	s_addc_u32 s15, s15, (.LBB2_11184-.Lpost_getpc20715)>>32
	s_setpc_b64 s[14:15]
.LBB2_25521:
	s_movk_i32 s4, 0x80
	v_cmp_eq_u16_e32 vcc, s4, v6
	s_mov_b64 s[4:5], -1
                                        ; implicit-def: $sgpr10
	s_and_saveexec_b64 s[8:9], vcc
; %bb.25522:
	s_mov_b32 s10, 0x7f800001
	s_xor_b64 s[4:5], exec, -1
; %bb.25523:
	s_or_b64 exec, exec, s[8:9]
	s_and_b64 s[4:5], s[4:5], exec
                                        ; implicit-def: $vgpr6
	s_or_saveexec_b64 s[6:7], s[6:7]
	v_mov_b32_e32 v2, s10
	s_xor_b64 exec, exec, s[6:7]
	s_cbranch_execnz .LBB2_25524
; %bb.61361:
	s_getpc_b64 s[14:15]
.Lpost_getpc34264:
	s_add_u32 s14, s14, (.LBB2_11186-.Lpost_getpc34264)&4294967295
	s_addc_u32 s15, s15, (.LBB2_11186-.Lpost_getpc34264)>>32
	s_setpc_b64 s[14:15]
.LBB2_25524:
	v_cmp_ne_u16_e32 vcc, 0, v6
	s_andn2_b64 s[4:5], s[4:5], exec
	s_and_b64 s[8:9], vcc, exec
	v_mov_b32_e32 v2, 0
	s_or_b64 s[4:5], s[4:5], s[8:9]
	s_or_b64 exec, exec, s[6:7]
	s_and_saveexec_b64 s[6:7], s[4:5]
	s_cbranch_execz .LBB2_34265
; %bb.61363:
	s_getpc_b64 s[14:15]
.Lpost_getpc34265:
	s_add_u32 s14, s14, (.LBB2_11187-.Lpost_getpc34265)&4294967295
	s_addc_u32 s15, s15, (.LBB2_11187-.Lpost_getpc34265)>>32
	s_setpc_b64 s[14:15]
.LBB2_34265:
	s_getpc_b64 s[14:15]
.Lpost_getpc20716:
	s_add_u32 s14, s14, (.LBB2_11188-.Lpost_getpc20716)&4294967295
	s_addc_u32 s15, s15, (.LBB2_11188-.Lpost_getpc20716)>>32
	s_setpc_b64 s[14:15]
.LBB2_25525:
	s_movk_i32 s4, 0x80
	v_cmp_eq_u16_e32 vcc, s4, v6
	s_mov_b64 s[4:5], -1
                                        ; implicit-def: $sgpr10
	s_and_saveexec_b64 s[8:9], vcc
; %bb.25526:
	s_mov_b32 s10, 0x7f800001
	s_xor_b64 s[4:5], exec, -1
; %bb.25527:
	s_or_b64 exec, exec, s[8:9]
	s_and_b64 s[4:5], s[4:5], exec
                                        ; implicit-def: $vgpr6
	s_or_saveexec_b64 s[6:7], s[6:7]
	v_mov_b32_e32 v12, s10
	s_xor_b64 exec, exec, s[6:7]
	s_cbranch_execnz .LBB2_25528
; %bb.61365:
	s_getpc_b64 s[14:15]
.Lpost_getpc34266:
	s_add_u32 s14, s14, (.LBB2_11190-.Lpost_getpc34266)&4294967295
	s_addc_u32 s15, s15, (.LBB2_11190-.Lpost_getpc34266)>>32
	s_setpc_b64 s[14:15]
.LBB2_25528:
	v_cmp_ne_u16_e32 vcc, 0, v6
	s_andn2_b64 s[4:5], s[4:5], exec
	s_and_b64 s[8:9], vcc, exec
	v_mov_b32_e32 v12, 0
	s_or_b64 s[4:5], s[4:5], s[8:9]
	s_or_b64 exec, exec, s[6:7]
	s_and_saveexec_b64 s[6:7], s[4:5]
	s_cbranch_execz .LBB2_34267
; %bb.61367:
	s_getpc_b64 s[14:15]
.Lpost_getpc34267:
	s_add_u32 s14, s14, (.LBB2_11191-.Lpost_getpc34267)&4294967295
	s_addc_u32 s15, s15, (.LBB2_11191-.Lpost_getpc34267)>>32
	s_setpc_b64 s[14:15]
.LBB2_34267:
	s_getpc_b64 s[14:15]
.Lpost_getpc20717:
	s_add_u32 s14, s14, (.LBB2_11192-.Lpost_getpc20717)&4294967295
	s_addc_u32 s15, s15, (.LBB2_11192-.Lpost_getpc20717)>>32
	s_setpc_b64 s[14:15]
.LBB2_25529:
	s_movk_i32 s4, 0x80
	v_cmp_eq_u16_sdwa s[12:13], v7, s4 src0_sel:BYTE_3 src1_sel:DWORD
	s_mov_b64 s[4:5], -1
                                        ; implicit-def: $sgpr10
	s_and_saveexec_b64 s[8:9], s[12:13]
; %bb.25530:
	s_mov_b32 s10, 0x7f800001
	s_xor_b64 s[4:5], exec, -1
; %bb.25531:
	s_or_b64 exec, exec, s[8:9]
	s_and_b64 s[4:5], s[4:5], exec
	s_or_saveexec_b64 s[6:7], s[6:7]
	v_mov_b32_e32 v2, s10
	s_xor_b64 exec, exec, s[6:7]
	s_cbranch_execnz .LBB2_25532
; %bb.61369:
	s_getpc_b64 s[14:15]
.Lpost_getpc34268:
	s_add_u32 s14, s14, (.LBB2_11194-.Lpost_getpc34268)&4294967295
	s_addc_u32 s15, s15, (.LBB2_11194-.Lpost_getpc34268)>>32
	s_setpc_b64 s[14:15]
.LBB2_25532:
	v_mov_b32_e32 v2, 0
	v_cmp_ne_u16_sdwa s[8:9], v7, v2 src0_sel:BYTE_3 src1_sel:DWORD
	s_andn2_b64 s[4:5], s[4:5], exec
	s_and_b64 s[8:9], s[8:9], exec
	s_or_b64 s[4:5], s[4:5], s[8:9]
	s_or_b64 exec, exec, s[6:7]
	s_and_saveexec_b64 s[6:7], s[4:5]
	s_cbranch_execz .LBB2_34269
; %bb.61371:
	s_getpc_b64 s[14:15]
.Lpost_getpc34269:
	s_add_u32 s14, s14, (.LBB2_11195-.Lpost_getpc34269)&4294967295
	s_addc_u32 s15, s15, (.LBB2_11195-.Lpost_getpc34269)>>32
	s_setpc_b64 s[14:15]
.LBB2_34269:
	s_getpc_b64 s[14:15]
.Lpost_getpc20718:
	s_add_u32 s14, s14, (.LBB2_11196-.Lpost_getpc20718)&4294967295
	s_addc_u32 s15, s15, (.LBB2_11196-.Lpost_getpc20718)>>32
	s_setpc_b64 s[14:15]
.LBB2_25533:
	s_movk_i32 s4, 0x80
	v_cmp_eq_u16_sdwa s[12:13], v3, s4 src0_sel:BYTE_3 src1_sel:DWORD
	s_mov_b64 s[4:5], -1
                                        ; implicit-def: $sgpr10
	s_and_saveexec_b64 s[8:9], s[12:13]
; %bb.25534:
	s_mov_b32 s10, 0x7f800001
	s_xor_b64 s[4:5], exec, -1
; %bb.25535:
	s_or_b64 exec, exec, s[8:9]
	s_and_b64 s[4:5], s[4:5], exec
	s_or_saveexec_b64 s[6:7], s[6:7]
	v_mov_b32_e32 v6, s10
	s_xor_b64 exec, exec, s[6:7]
	s_cbranch_execnz .LBB2_25536
; %bb.61373:
	s_getpc_b64 s[14:15]
.Lpost_getpc34270:
	s_add_u32 s14, s14, (.LBB2_11198-.Lpost_getpc34270)&4294967295
	s_addc_u32 s15, s15, (.LBB2_11198-.Lpost_getpc34270)>>32
	s_setpc_b64 s[14:15]
.LBB2_25536:
	v_mov_b32_e32 v6, 0
	v_cmp_ne_u16_sdwa s[8:9], v3, v6 src0_sel:BYTE_3 src1_sel:DWORD
	s_andn2_b64 s[4:5], s[4:5], exec
	s_and_b64 s[8:9], s[8:9], exec
	s_or_b64 s[4:5], s[4:5], s[8:9]
	s_or_b64 exec, exec, s[6:7]
	s_and_saveexec_b64 s[6:7], s[4:5]
	s_cbranch_execz .LBB2_34271
; %bb.61375:
	s_getpc_b64 s[14:15]
.Lpost_getpc34271:
	s_add_u32 s14, s14, (.LBB2_11199-.Lpost_getpc34271)&4294967295
	s_addc_u32 s15, s15, (.LBB2_11199-.Lpost_getpc34271)>>32
	s_setpc_b64 s[14:15]
.LBB2_34271:
	s_getpc_b64 s[14:15]
.Lpost_getpc20719:
	s_add_u32 s14, s14, (.LBB2_11200-.Lpost_getpc20719)&4294967295
	s_addc_u32 s15, s15, (.LBB2_11200-.Lpost_getpc20719)>>32
	s_setpc_b64 s[14:15]
.LBB2_25537:
	s_movk_i32 s4, 0x80
	v_cmp_eq_u16_sdwa s[12:13], v8, s4 src0_sel:BYTE_0 src1_sel:DWORD
	s_mov_b64 s[4:5], -1
                                        ; implicit-def: $sgpr10
	s_and_saveexec_b64 s[8:9], s[12:13]
; %bb.25538:
	s_mov_b32 s10, 0x7f800001
	s_xor_b64 s[4:5], exec, -1
; %bb.25539:
	s_or_b64 exec, exec, s[8:9]
	s_and_b64 s[4:5], s[4:5], exec
	s_or_saveexec_b64 s[6:7], s[6:7]
	v_mov_b32_e32 v2, s10
	s_xor_b64 exec, exec, s[6:7]
	s_cbranch_execnz .LBB2_25540
; %bb.61377:
	s_getpc_b64 s[14:15]
.Lpost_getpc34272:
	s_add_u32 s14, s14, (.LBB2_11202-.Lpost_getpc34272)&4294967295
	s_addc_u32 s15, s15, (.LBB2_11202-.Lpost_getpc34272)>>32
	s_setpc_b64 s[14:15]
.LBB2_25540:
	v_mov_b32_e32 v2, 0
	v_cmp_ne_u16_sdwa s[8:9], v8, v2 src0_sel:BYTE_0 src1_sel:DWORD
	s_andn2_b64 s[4:5], s[4:5], exec
	s_and_b64 s[8:9], s[8:9], exec
	s_or_b64 s[4:5], s[4:5], s[8:9]
	s_or_b64 exec, exec, s[6:7]
	s_and_saveexec_b64 s[6:7], s[4:5]
	s_cbranch_execz .LBB2_34273
; %bb.61379:
	s_getpc_b64 s[14:15]
.Lpost_getpc34273:
	s_add_u32 s14, s14, (.LBB2_11203-.Lpost_getpc34273)&4294967295
	s_addc_u32 s15, s15, (.LBB2_11203-.Lpost_getpc34273)>>32
	s_setpc_b64 s[14:15]
.LBB2_34273:
	s_getpc_b64 s[14:15]
.Lpost_getpc20720:
	s_add_u32 s14, s14, (.LBB2_11204-.Lpost_getpc20720)&4294967295
	s_addc_u32 s15, s15, (.LBB2_11204-.Lpost_getpc20720)>>32
	s_setpc_b64 s[14:15]
.LBB2_25541:
	s_movk_i32 s4, 0x80
	v_cmp_eq_u16_sdwa s[12:13], v4, s4 src0_sel:BYTE_0 src1_sel:DWORD
	s_mov_b64 s[4:5], -1
                                        ; implicit-def: $sgpr10
	s_and_saveexec_b64 s[8:9], s[12:13]
; %bb.25542:
	s_mov_b32 s10, 0x7f800001
	s_xor_b64 s[4:5], exec, -1
; %bb.25543:
	s_or_b64 exec, exec, s[8:9]
	s_and_b64 s[4:5], s[4:5], exec
	s_or_saveexec_b64 s[6:7], s[6:7]
	v_mov_b32_e32 v3, s10
	s_xor_b64 exec, exec, s[6:7]
	s_cbranch_execnz .LBB2_25544
; %bb.61381:
	s_getpc_b64 s[14:15]
.Lpost_getpc34274:
	s_add_u32 s14, s14, (.LBB2_11206-.Lpost_getpc34274)&4294967295
	s_addc_u32 s15, s15, (.LBB2_11206-.Lpost_getpc34274)>>32
	s_setpc_b64 s[14:15]
.LBB2_25544:
	v_mov_b32_e32 v3, 0
	v_cmp_ne_u16_sdwa s[8:9], v4, v3 src0_sel:BYTE_0 src1_sel:DWORD
	s_andn2_b64 s[4:5], s[4:5], exec
	s_and_b64 s[8:9], s[8:9], exec
	s_or_b64 s[4:5], s[4:5], s[8:9]
	s_or_b64 exec, exec, s[6:7]
	s_and_saveexec_b64 s[6:7], s[4:5]
	s_cbranch_execz .LBB2_34275
; %bb.61383:
	s_getpc_b64 s[14:15]
.Lpost_getpc34275:
	s_add_u32 s14, s14, (.LBB2_11207-.Lpost_getpc34275)&4294967295
	s_addc_u32 s15, s15, (.LBB2_11207-.Lpost_getpc34275)>>32
	s_setpc_b64 s[14:15]
.LBB2_34275:
	s_getpc_b64 s[14:15]
.Lpost_getpc20721:
	s_add_u32 s14, s14, (.LBB2_11208-.Lpost_getpc20721)&4294967295
	s_addc_u32 s15, s15, (.LBB2_11208-.Lpost_getpc20721)>>32
	s_setpc_b64 s[14:15]
.LBB2_25545:
	s_movk_i32 s4, 0x80
	v_cmp_eq_u16_sdwa s[12:13], v3, s4 src0_sel:BYTE_0 src1_sel:DWORD
	s_mov_b64 s[4:5], -1
                                        ; implicit-def: $sgpr10
	s_and_saveexec_b64 s[8:9], s[12:13]
; %bb.25546:
	s_mov_b32 s10, 0x7f800001
	s_xor_b64 s[4:5], exec, -1
; %bb.25547:
	s_or_b64 exec, exec, s[8:9]
	s_and_b64 s[4:5], s[4:5], exec
	s_or_saveexec_b64 s[6:7], s[6:7]
	v_mov_b32_e32 v2, s10
	s_xor_b64 exec, exec, s[6:7]
	s_cbranch_execnz .LBB2_25548
; %bb.61385:
	s_getpc_b64 s[14:15]
.Lpost_getpc34276:
	s_add_u32 s14, s14, (.LBB2_11210-.Lpost_getpc34276)&4294967295
	s_addc_u32 s15, s15, (.LBB2_11210-.Lpost_getpc34276)>>32
	s_setpc_b64 s[14:15]
.LBB2_25548:
	v_mov_b32_e32 v2, 0
	v_cmp_ne_u16_sdwa s[8:9], v3, v2 src0_sel:BYTE_0 src1_sel:DWORD
	s_andn2_b64 s[4:5], s[4:5], exec
	s_and_b64 s[8:9], s[8:9], exec
	s_or_b64 s[4:5], s[4:5], s[8:9]
	s_or_b64 exec, exec, s[6:7]
	s_and_saveexec_b64 s[6:7], s[4:5]
	s_cbranch_execz .LBB2_34277
; %bb.61387:
	s_getpc_b64 s[14:15]
.Lpost_getpc34277:
	s_add_u32 s14, s14, (.LBB2_11211-.Lpost_getpc34277)&4294967295
	s_addc_u32 s15, s15, (.LBB2_11211-.Lpost_getpc34277)>>32
	s_setpc_b64 s[14:15]
.LBB2_34277:
	s_getpc_b64 s[14:15]
.Lpost_getpc20722:
	s_add_u32 s14, s14, (.LBB2_11212-.Lpost_getpc20722)&4294967295
	s_addc_u32 s15, s15, (.LBB2_11212-.Lpost_getpc20722)>>32
	s_setpc_b64 s[14:15]
.LBB2_25549:
	s_movk_i32 s4, 0x80
	v_cmp_eq_u16_sdwa s[12:13], v3, s4 src0_sel:BYTE_0 src1_sel:DWORD
	s_mov_b64 s[4:5], -1
                                        ; implicit-def: $sgpr10
	s_and_saveexec_b64 s[8:9], s[12:13]
; %bb.25550:
	s_mov_b32 s10, 0x7f800001
	s_xor_b64 s[4:5], exec, -1
; %bb.25551:
	s_or_b64 exec, exec, s[8:9]
	s_and_b64 s[4:5], s[4:5], exec
	s_or_saveexec_b64 s[6:7], s[6:7]
	v_mov_b32_e32 v6, s10
	s_xor_b64 exec, exec, s[6:7]
	s_cbranch_execnz .LBB2_25552
; %bb.61389:
	s_getpc_b64 s[14:15]
.Lpost_getpc34278:
	s_add_u32 s14, s14, (.LBB2_11214-.Lpost_getpc34278)&4294967295
	s_addc_u32 s15, s15, (.LBB2_11214-.Lpost_getpc34278)>>32
	s_setpc_b64 s[14:15]
.LBB2_25552:
	v_mov_b32_e32 v6, 0
	v_cmp_ne_u16_sdwa s[8:9], v3, v6 src0_sel:BYTE_0 src1_sel:DWORD
	s_andn2_b64 s[4:5], s[4:5], exec
	s_and_b64 s[8:9], s[8:9], exec
	s_or_b64 s[4:5], s[4:5], s[8:9]
	s_or_b64 exec, exec, s[6:7]
	s_and_saveexec_b64 s[6:7], s[4:5]
	s_cbranch_execz .LBB2_34279
; %bb.61391:
	s_getpc_b64 s[14:15]
.Lpost_getpc34279:
	s_add_u32 s14, s14, (.LBB2_11215-.Lpost_getpc34279)&4294967295
	s_addc_u32 s15, s15, (.LBB2_11215-.Lpost_getpc34279)>>32
	s_setpc_b64 s[14:15]
.LBB2_34279:
	s_getpc_b64 s[14:15]
.Lpost_getpc20723:
	s_add_u32 s14, s14, (.LBB2_11216-.Lpost_getpc20723)&4294967295
	s_addc_u32 s15, s15, (.LBB2_11216-.Lpost_getpc20723)>>32
	s_setpc_b64 s[14:15]
.LBB2_25553:
	s_movk_i32 s4, 0x80
	v_cmp_eq_u16_e32 vcc, s4, v3
	s_mov_b64 s[4:5], -1
                                        ; implicit-def: $sgpr10
	s_and_saveexec_b64 s[8:9], vcc
; %bb.25554:
	s_mov_b32 s10, 0x7f800001
	s_xor_b64 s[4:5], exec, -1
; %bb.25555:
	s_or_b64 exec, exec, s[8:9]
	s_and_b64 s[4:5], s[4:5], exec
                                        ; implicit-def: $vgpr3
	s_or_saveexec_b64 s[6:7], s[6:7]
	v_mov_b32_e32 v2, s10
	s_xor_b64 exec, exec, s[6:7]
	s_cbranch_execnz .LBB2_25556
; %bb.61393:
	s_getpc_b64 s[14:15]
.Lpost_getpc34280:
	s_add_u32 s14, s14, (.LBB2_11218-.Lpost_getpc34280)&4294967295
	s_addc_u32 s15, s15, (.LBB2_11218-.Lpost_getpc34280)>>32
	s_setpc_b64 s[14:15]
.LBB2_25556:
	v_cmp_ne_u16_e32 vcc, 0, v3
	s_andn2_b64 s[4:5], s[4:5], exec
	s_and_b64 s[8:9], vcc, exec
	v_mov_b32_e32 v2, 0
	s_or_b64 s[4:5], s[4:5], s[8:9]
	s_or_b64 exec, exec, s[6:7]
	s_and_saveexec_b64 s[6:7], s[4:5]
	s_cbranch_execz .LBB2_34281
; %bb.61395:
	s_getpc_b64 s[14:15]
.Lpost_getpc34281:
	s_add_u32 s14, s14, (.LBB2_11219-.Lpost_getpc34281)&4294967295
	s_addc_u32 s15, s15, (.LBB2_11219-.Lpost_getpc34281)>>32
	s_setpc_b64 s[14:15]
.LBB2_34281:
	s_getpc_b64 s[14:15]
.Lpost_getpc20724:
	s_add_u32 s14, s14, (.LBB2_11220-.Lpost_getpc20724)&4294967295
	s_addc_u32 s15, s15, (.LBB2_11220-.Lpost_getpc20724)>>32
	s_setpc_b64 s[14:15]
.LBB2_25557:
	s_movk_i32 s4, 0x80
	v_cmp_eq_u16_e32 vcc, s4, v3
	s_mov_b64 s[4:5], -1
                                        ; implicit-def: $sgpr10
	s_and_saveexec_b64 s[8:9], vcc
; %bb.25558:
	s_mov_b32 s10, 0x7f800001
	s_xor_b64 s[4:5], exec, -1
; %bb.25559:
	s_or_b64 exec, exec, s[8:9]
	s_and_b64 s[4:5], s[4:5], exec
                                        ; implicit-def: $vgpr3
	s_or_saveexec_b64 s[6:7], s[6:7]
	v_mov_b32_e32 v6, s10
	s_xor_b64 exec, exec, s[6:7]
	s_cbranch_execnz .LBB2_25560
; %bb.61397:
	s_getpc_b64 s[14:15]
.Lpost_getpc34282:
	s_add_u32 s14, s14, (.LBB2_11222-.Lpost_getpc34282)&4294967295
	s_addc_u32 s15, s15, (.LBB2_11222-.Lpost_getpc34282)>>32
	s_setpc_b64 s[14:15]
.LBB2_25560:
	v_cmp_ne_u16_e32 vcc, 0, v3
	s_andn2_b64 s[4:5], s[4:5], exec
	s_and_b64 s[8:9], vcc, exec
	v_mov_b32_e32 v6, 0
	s_or_b64 s[4:5], s[4:5], s[8:9]
	s_or_b64 exec, exec, s[6:7]
	s_and_saveexec_b64 s[6:7], s[4:5]
	s_cbranch_execz .LBB2_34283
; %bb.61399:
	s_getpc_b64 s[14:15]
.Lpost_getpc34283:
	s_add_u32 s14, s14, (.LBB2_11223-.Lpost_getpc34283)&4294967295
	s_addc_u32 s15, s15, (.LBB2_11223-.Lpost_getpc34283)>>32
	s_setpc_b64 s[14:15]
.LBB2_34283:
	s_getpc_b64 s[14:15]
.Lpost_getpc20725:
	s_add_u32 s14, s14, (.LBB2_11224-.Lpost_getpc20725)&4294967295
	s_addc_u32 s15, s15, (.LBB2_11224-.Lpost_getpc20725)>>32
	s_setpc_b64 s[14:15]
.LBB2_25561:
	s_movk_i32 s4, 0x80
	v_cmp_eq_u16_sdwa s[12:13], v8, s4 src0_sel:BYTE_3 src1_sel:DWORD
	s_mov_b64 s[4:5], -1
                                        ; implicit-def: $sgpr10
	s_and_saveexec_b64 s[8:9], s[12:13]
; %bb.25562:
	s_mov_b32 s10, 0x7f800001
	s_xor_b64 s[4:5], exec, -1
; %bb.25563:
	s_or_b64 exec, exec, s[8:9]
	s_and_b64 s[4:5], s[4:5], exec
	s_or_saveexec_b64 s[6:7], s[6:7]
	v_mov_b32_e32 v2, s10
	s_xor_b64 exec, exec, s[6:7]
	s_cbranch_execnz .LBB2_25564
; %bb.61401:
	s_getpc_b64 s[14:15]
.Lpost_getpc34284:
	s_add_u32 s14, s14, (.LBB2_11226-.Lpost_getpc34284)&4294967295
	s_addc_u32 s15, s15, (.LBB2_11226-.Lpost_getpc34284)>>32
	s_setpc_b64 s[14:15]
.LBB2_25564:
	v_mov_b32_e32 v2, 0
	v_cmp_ne_u16_sdwa s[8:9], v8, v2 src0_sel:BYTE_3 src1_sel:DWORD
	s_andn2_b64 s[4:5], s[4:5], exec
	s_and_b64 s[8:9], s[8:9], exec
	s_or_b64 s[4:5], s[4:5], s[8:9]
	s_or_b64 exec, exec, s[6:7]
	s_and_saveexec_b64 s[6:7], s[4:5]
	s_cbranch_execz .LBB2_34285
; %bb.61403:
	s_getpc_b64 s[14:15]
.Lpost_getpc34285:
	s_add_u32 s14, s14, (.LBB2_11227-.Lpost_getpc34285)&4294967295
	s_addc_u32 s15, s15, (.LBB2_11227-.Lpost_getpc34285)>>32
	s_setpc_b64 s[14:15]
.LBB2_34285:
	s_getpc_b64 s[14:15]
.Lpost_getpc20726:
	s_add_u32 s14, s14, (.LBB2_11228-.Lpost_getpc20726)&4294967295
	s_addc_u32 s15, s15, (.LBB2_11228-.Lpost_getpc20726)>>32
	s_setpc_b64 s[14:15]
.LBB2_25565:
	s_movk_i32 s4, 0x80
	v_cmp_eq_u16_sdwa s[12:13], v4, s4 src0_sel:BYTE_3 src1_sel:DWORD
	s_mov_b64 s[4:5], -1
                                        ; implicit-def: $sgpr10
	s_and_saveexec_b64 s[8:9], s[12:13]
; %bb.25566:
	s_mov_b32 s10, 0x7f800001
	s_xor_b64 s[4:5], exec, -1
; %bb.25567:
	s_or_b64 exec, exec, s[8:9]
	s_and_b64 s[4:5], s[4:5], exec
	s_or_saveexec_b64 s[6:7], s[6:7]
	v_mov_b32_e32 v3, s10
	s_xor_b64 exec, exec, s[6:7]
	s_cbranch_execnz .LBB2_25568
; %bb.61405:
	s_getpc_b64 s[14:15]
.Lpost_getpc34286:
	s_add_u32 s14, s14, (.LBB2_11230-.Lpost_getpc34286)&4294967295
	s_addc_u32 s15, s15, (.LBB2_11230-.Lpost_getpc34286)>>32
	s_setpc_b64 s[14:15]
.LBB2_25568:
	v_mov_b32_e32 v3, 0
	v_cmp_ne_u16_sdwa s[8:9], v4, v3 src0_sel:BYTE_3 src1_sel:DWORD
	s_andn2_b64 s[4:5], s[4:5], exec
	s_and_b64 s[8:9], s[8:9], exec
	s_or_b64 s[4:5], s[4:5], s[8:9]
	s_or_b64 exec, exec, s[6:7]
	s_and_saveexec_b64 s[6:7], s[4:5]
	s_cbranch_execz .LBB2_34287
; %bb.61407:
	s_getpc_b64 s[14:15]
.Lpost_getpc34287:
	s_add_u32 s14, s14, (.LBB2_11231-.Lpost_getpc34287)&4294967295
	s_addc_u32 s15, s15, (.LBB2_11231-.Lpost_getpc34287)>>32
	s_setpc_b64 s[14:15]
.LBB2_34287:
	s_getpc_b64 s[14:15]
.Lpost_getpc20727:
	s_add_u32 s14, s14, (.LBB2_11232-.Lpost_getpc20727)&4294967295
	s_addc_u32 s15, s15, (.LBB2_11232-.Lpost_getpc20727)>>32
	s_setpc_b64 s[14:15]
.LBB2_25569:
	s_movk_i32 s4, 0x80
	v_cmp_eq_u16_sdwa s[12:13], v9, s4 src0_sel:BYTE_0 src1_sel:DWORD
	s_mov_b64 s[4:5], -1
                                        ; implicit-def: $sgpr10
	s_and_saveexec_b64 s[8:9], s[12:13]
; %bb.25570:
	s_mov_b32 s10, 0x7f800001
	s_xor_b64 s[4:5], exec, -1
; %bb.25571:
	s_or_b64 exec, exec, s[8:9]
	s_and_b64 s[4:5], s[4:5], exec
	s_or_saveexec_b64 s[6:7], s[6:7]
	v_mov_b32_e32 v2, s10
	s_xor_b64 exec, exec, s[6:7]
	s_cbranch_execnz .LBB2_25572
; %bb.61409:
	s_getpc_b64 s[14:15]
.Lpost_getpc34288:
	s_add_u32 s14, s14, (.LBB2_11234-.Lpost_getpc34288)&4294967295
	s_addc_u32 s15, s15, (.LBB2_11234-.Lpost_getpc34288)>>32
	s_setpc_b64 s[14:15]
.LBB2_25572:
	v_mov_b32_e32 v2, 0
	v_cmp_ne_u16_sdwa s[8:9], v9, v2 src0_sel:BYTE_0 src1_sel:DWORD
	s_andn2_b64 s[4:5], s[4:5], exec
	s_and_b64 s[8:9], s[8:9], exec
	s_or_b64 s[4:5], s[4:5], s[8:9]
	s_or_b64 exec, exec, s[6:7]
	s_and_saveexec_b64 s[6:7], s[4:5]
	s_cbranch_execz .LBB2_34289
; %bb.61411:
	s_getpc_b64 s[14:15]
.Lpost_getpc34289:
	s_add_u32 s14, s14, (.LBB2_11235-.Lpost_getpc34289)&4294967295
	s_addc_u32 s15, s15, (.LBB2_11235-.Lpost_getpc34289)>>32
	s_setpc_b64 s[14:15]
.LBB2_34289:
	s_getpc_b64 s[14:15]
.Lpost_getpc20728:
	s_add_u32 s14, s14, (.LBB2_11236-.Lpost_getpc20728)&4294967295
	s_addc_u32 s15, s15, (.LBB2_11236-.Lpost_getpc20728)>>32
	s_setpc_b64 s[14:15]
.LBB2_25573:
	s_movk_i32 s4, 0x80
	v_cmp_eq_u16_sdwa s[12:13], v5, s4 src0_sel:BYTE_0 src1_sel:DWORD
	s_mov_b64 s[4:5], -1
                                        ; implicit-def: $sgpr10
	s_and_saveexec_b64 s[8:9], s[12:13]
; %bb.25574:
	s_mov_b32 s10, 0x7f800001
	s_xor_b64 s[4:5], exec, -1
; %bb.25575:
	s_or_b64 exec, exec, s[8:9]
	s_and_b64 s[4:5], s[4:5], exec
	s_or_saveexec_b64 s[6:7], s[6:7]
	v_mov_b32_e32 v3, s10
	s_xor_b64 exec, exec, s[6:7]
	s_cbranch_execnz .LBB2_25576
; %bb.61413:
	s_getpc_b64 s[14:15]
.Lpost_getpc34290:
	s_add_u32 s14, s14, (.LBB2_11238-.Lpost_getpc34290)&4294967295
	s_addc_u32 s15, s15, (.LBB2_11238-.Lpost_getpc34290)>>32
	s_setpc_b64 s[14:15]
.LBB2_25576:
	v_mov_b32_e32 v3, 0
	v_cmp_ne_u16_sdwa s[8:9], v5, v3 src0_sel:BYTE_0 src1_sel:DWORD
	s_andn2_b64 s[4:5], s[4:5], exec
	s_and_b64 s[8:9], s[8:9], exec
	s_or_b64 s[4:5], s[4:5], s[8:9]
	s_or_b64 exec, exec, s[6:7]
	s_and_saveexec_b64 s[6:7], s[4:5]
	s_cbranch_execz .LBB2_34291
; %bb.61415:
	s_getpc_b64 s[14:15]
.Lpost_getpc34291:
	s_add_u32 s14, s14, (.LBB2_11239-.Lpost_getpc34291)&4294967295
	s_addc_u32 s15, s15, (.LBB2_11239-.Lpost_getpc34291)>>32
	s_setpc_b64 s[14:15]
.LBB2_34291:
	s_getpc_b64 s[14:15]
.Lpost_getpc20729:
	s_add_u32 s14, s14, (.LBB2_11240-.Lpost_getpc20729)&4294967295
	s_addc_u32 s15, s15, (.LBB2_11240-.Lpost_getpc20729)>>32
	s_setpc_b64 s[14:15]
.LBB2_25577:
	s_movk_i32 s4, 0x80
	v_cmp_eq_u16_sdwa s[12:13], v3, s4 src0_sel:BYTE_0 src1_sel:DWORD
	s_mov_b64 s[4:5], -1
                                        ; implicit-def: $sgpr10
	s_and_saveexec_b64 s[8:9], s[12:13]
; %bb.25578:
	s_mov_b32 s10, 0x7f800001
	s_xor_b64 s[4:5], exec, -1
; %bb.25579:
	s_or_b64 exec, exec, s[8:9]
	s_and_b64 s[4:5], s[4:5], exec
	s_or_saveexec_b64 s[6:7], s[6:7]
	v_mov_b32_e32 v2, s10
	s_xor_b64 exec, exec, s[6:7]
	s_cbranch_execnz .LBB2_25580
; %bb.61417:
	s_getpc_b64 s[14:15]
.Lpost_getpc34292:
	s_add_u32 s14, s14, (.LBB2_11242-.Lpost_getpc34292)&4294967295
	s_addc_u32 s15, s15, (.LBB2_11242-.Lpost_getpc34292)>>32
	s_setpc_b64 s[14:15]
.LBB2_25580:
	v_mov_b32_e32 v2, 0
	v_cmp_ne_u16_sdwa s[8:9], v3, v2 src0_sel:BYTE_0 src1_sel:DWORD
	s_andn2_b64 s[4:5], s[4:5], exec
	s_and_b64 s[8:9], s[8:9], exec
	s_or_b64 s[4:5], s[4:5], s[8:9]
	s_or_b64 exec, exec, s[6:7]
	s_and_saveexec_b64 s[6:7], s[4:5]
	s_cbranch_execz .LBB2_34293
; %bb.61419:
	s_getpc_b64 s[14:15]
.Lpost_getpc34293:
	s_add_u32 s14, s14, (.LBB2_11243-.Lpost_getpc34293)&4294967295
	s_addc_u32 s15, s15, (.LBB2_11243-.Lpost_getpc34293)>>32
	s_setpc_b64 s[14:15]
.LBB2_34293:
	s_getpc_b64 s[14:15]
.Lpost_getpc20730:
	s_add_u32 s14, s14, (.LBB2_11244-.Lpost_getpc20730)&4294967295
	s_addc_u32 s15, s15, (.LBB2_11244-.Lpost_getpc20730)>>32
	s_setpc_b64 s[14:15]
.LBB2_25581:
	s_movk_i32 s4, 0x80
	v_cmp_eq_u16_sdwa s[12:13], v3, s4 src0_sel:BYTE_0 src1_sel:DWORD
	s_mov_b64 s[4:5], -1
                                        ; implicit-def: $sgpr10
	s_and_saveexec_b64 s[8:9], s[12:13]
; %bb.25582:
	s_mov_b32 s10, 0x7f800001
	s_xor_b64 s[4:5], exec, -1
; %bb.25583:
	s_or_b64 exec, exec, s[8:9]
	s_and_b64 s[4:5], s[4:5], exec
	s_or_saveexec_b64 s[6:7], s[6:7]
	v_mov_b32_e32 v4, s10
	s_xor_b64 exec, exec, s[6:7]
	s_cbranch_execnz .LBB2_25584
; %bb.61421:
	s_getpc_b64 s[14:15]
.Lpost_getpc34294:
	s_add_u32 s14, s14, (.LBB2_11246-.Lpost_getpc34294)&4294967295
	s_addc_u32 s15, s15, (.LBB2_11246-.Lpost_getpc34294)>>32
	s_setpc_b64 s[14:15]
.LBB2_25584:
	v_mov_b32_e32 v4, 0
	v_cmp_ne_u16_sdwa s[8:9], v3, v4 src0_sel:BYTE_0 src1_sel:DWORD
	s_andn2_b64 s[4:5], s[4:5], exec
	s_and_b64 s[8:9], s[8:9], exec
	s_or_b64 s[4:5], s[4:5], s[8:9]
	s_or_b64 exec, exec, s[6:7]
	s_and_saveexec_b64 s[6:7], s[4:5]
	s_cbranch_execz .LBB2_34295
; %bb.61423:
	s_getpc_b64 s[14:15]
.Lpost_getpc34295:
	s_add_u32 s14, s14, (.LBB2_11247-.Lpost_getpc34295)&4294967295
	s_addc_u32 s15, s15, (.LBB2_11247-.Lpost_getpc34295)>>32
	s_setpc_b64 s[14:15]
.LBB2_34295:
	s_getpc_b64 s[14:15]
.Lpost_getpc20731:
	s_add_u32 s14, s14, (.LBB2_11248-.Lpost_getpc20731)&4294967295
	s_addc_u32 s15, s15, (.LBB2_11248-.Lpost_getpc20731)>>32
	s_setpc_b64 s[14:15]
.LBB2_25585:
	s_movk_i32 s4, 0x80
	v_cmp_eq_u16_e32 vcc, s4, v3
	s_mov_b64 s[4:5], -1
                                        ; implicit-def: $sgpr10
	s_and_saveexec_b64 s[8:9], vcc
; %bb.25586:
	s_mov_b32 s10, 0x7f800001
	s_xor_b64 s[4:5], exec, -1
; %bb.25587:
	s_or_b64 exec, exec, s[8:9]
	s_and_b64 s[4:5], s[4:5], exec
                                        ; implicit-def: $vgpr3
	s_or_saveexec_b64 s[6:7], s[6:7]
	v_mov_b32_e32 v2, s10
	s_xor_b64 exec, exec, s[6:7]
	s_cbranch_execnz .LBB2_25588
; %bb.61425:
	s_getpc_b64 s[14:15]
.Lpost_getpc34296:
	s_add_u32 s14, s14, (.LBB2_11250-.Lpost_getpc34296)&4294967295
	s_addc_u32 s15, s15, (.LBB2_11250-.Lpost_getpc34296)>>32
	s_setpc_b64 s[14:15]
.LBB2_25588:
	v_cmp_ne_u16_e32 vcc, 0, v3
	s_andn2_b64 s[4:5], s[4:5], exec
	s_and_b64 s[8:9], vcc, exec
	v_mov_b32_e32 v2, 0
	s_or_b64 s[4:5], s[4:5], s[8:9]
	s_or_b64 exec, exec, s[6:7]
	s_and_saveexec_b64 s[6:7], s[4:5]
	s_cbranch_execz .LBB2_34297
; %bb.61427:
	s_getpc_b64 s[14:15]
.Lpost_getpc34297:
	s_add_u32 s14, s14, (.LBB2_11251-.Lpost_getpc34297)&4294967295
	s_addc_u32 s15, s15, (.LBB2_11251-.Lpost_getpc34297)>>32
	s_setpc_b64 s[14:15]
.LBB2_34297:
	s_getpc_b64 s[14:15]
.Lpost_getpc20732:
	s_add_u32 s14, s14, (.LBB2_11252-.Lpost_getpc20732)&4294967295
	s_addc_u32 s15, s15, (.LBB2_11252-.Lpost_getpc20732)>>32
	s_setpc_b64 s[14:15]
.LBB2_25589:
	s_movk_i32 s4, 0x80
	v_cmp_eq_u16_e32 vcc, s4, v3
	s_mov_b64 s[4:5], -1
                                        ; implicit-def: $sgpr10
	s_and_saveexec_b64 s[8:9], vcc
; %bb.25590:
	s_mov_b32 s10, 0x7f800001
	s_xor_b64 s[4:5], exec, -1
; %bb.25591:
	s_or_b64 exec, exec, s[8:9]
	s_and_b64 s[4:5], s[4:5], exec
                                        ; implicit-def: $vgpr3
	s_or_saveexec_b64 s[6:7], s[6:7]
	v_mov_b32_e32 v4, s10
	s_xor_b64 exec, exec, s[6:7]
	s_cbranch_execnz .LBB2_25592
; %bb.61429:
	s_getpc_b64 s[14:15]
.Lpost_getpc34298:
	s_add_u32 s14, s14, (.LBB2_11254-.Lpost_getpc34298)&4294967295
	s_addc_u32 s15, s15, (.LBB2_11254-.Lpost_getpc34298)>>32
	s_setpc_b64 s[14:15]
.LBB2_25592:
	v_cmp_ne_u16_e32 vcc, 0, v3
	s_andn2_b64 s[4:5], s[4:5], exec
	s_and_b64 s[8:9], vcc, exec
	v_mov_b32_e32 v4, 0
	s_or_b64 s[4:5], s[4:5], s[8:9]
	s_or_b64 exec, exec, s[6:7]
	s_and_saveexec_b64 s[6:7], s[4:5]
	s_cbranch_execz .LBB2_34299
; %bb.61431:
	s_getpc_b64 s[14:15]
.Lpost_getpc34299:
	s_add_u32 s14, s14, (.LBB2_11255-.Lpost_getpc34299)&4294967295
	s_addc_u32 s15, s15, (.LBB2_11255-.Lpost_getpc34299)>>32
	s_setpc_b64 s[14:15]
.LBB2_34299:
	s_getpc_b64 s[14:15]
.Lpost_getpc20733:
	s_add_u32 s14, s14, (.LBB2_11256-.Lpost_getpc20733)&4294967295
	s_addc_u32 s15, s15, (.LBB2_11256-.Lpost_getpc20733)>>32
	s_setpc_b64 s[14:15]
.LBB2_25593:
	s_movk_i32 s4, 0x80
	v_cmp_eq_u16_sdwa s[12:13], v9, s4 src0_sel:BYTE_3 src1_sel:DWORD
	s_mov_b64 s[4:5], -1
                                        ; implicit-def: $sgpr10
	s_and_saveexec_b64 s[8:9], s[12:13]
; %bb.25594:
	s_mov_b32 s10, 0x7f800001
	s_xor_b64 s[4:5], exec, -1
; %bb.25595:
	s_or_b64 exec, exec, s[8:9]
	s_and_b64 s[4:5], s[4:5], exec
	s_or_saveexec_b64 s[6:7], s[6:7]
	v_mov_b32_e32 v2, s10
	s_xor_b64 exec, exec, s[6:7]
	s_cbranch_execnz .LBB2_25596
; %bb.61433:
	s_getpc_b64 s[14:15]
.Lpost_getpc34300:
	s_add_u32 s14, s14, (.LBB2_11258-.Lpost_getpc34300)&4294967295
	s_addc_u32 s15, s15, (.LBB2_11258-.Lpost_getpc34300)>>32
	s_setpc_b64 s[14:15]
.LBB2_25596:
	v_mov_b32_e32 v2, 0
	v_cmp_ne_u16_sdwa s[8:9], v9, v2 src0_sel:BYTE_3 src1_sel:DWORD
	s_andn2_b64 s[4:5], s[4:5], exec
	s_and_b64 s[8:9], s[8:9], exec
	s_or_b64 s[4:5], s[4:5], s[8:9]
	s_or_b64 exec, exec, s[6:7]
	s_and_saveexec_b64 s[6:7], s[4:5]
	s_cbranch_execz .LBB2_34301
; %bb.61435:
	s_getpc_b64 s[14:15]
.Lpost_getpc34301:
	s_add_u32 s14, s14, (.LBB2_11259-.Lpost_getpc34301)&4294967295
	s_addc_u32 s15, s15, (.LBB2_11259-.Lpost_getpc34301)>>32
	s_setpc_b64 s[14:15]
.LBB2_34301:
	s_getpc_b64 s[14:15]
.Lpost_getpc20734:
	s_add_u32 s14, s14, (.LBB2_11260-.Lpost_getpc20734)&4294967295
	s_addc_u32 s15, s15, (.LBB2_11260-.Lpost_getpc20734)>>32
	s_setpc_b64 s[14:15]
.LBB2_25597:
	s_movk_i32 s4, 0x80
	v_cmp_eq_u16_sdwa s[12:13], v5, s4 src0_sel:BYTE_3 src1_sel:DWORD
	s_mov_b64 s[4:5], -1
                                        ; implicit-def: $sgpr10
	s_and_saveexec_b64 s[8:9], s[12:13]
; %bb.25598:
	s_mov_b32 s10, 0x7f800001
	s_xor_b64 s[4:5], exec, -1
; %bb.25599:
	s_or_b64 exec, exec, s[8:9]
	s_and_b64 s[4:5], s[4:5], exec
	s_or_saveexec_b64 s[6:7], s[6:7]
	v_mov_b32_e32 v3, s10
	s_xor_b64 exec, exec, s[6:7]
	s_cbranch_execnz .LBB2_25600
; %bb.61437:
	s_getpc_b64 s[14:15]
.Lpost_getpc34302:
	s_add_u32 s14, s14, (.LBB2_11262-.Lpost_getpc34302)&4294967295
	s_addc_u32 s15, s15, (.LBB2_11262-.Lpost_getpc34302)>>32
	s_setpc_b64 s[14:15]
.LBB2_25600:
	v_mov_b32_e32 v3, 0
	v_cmp_ne_u16_sdwa s[8:9], v5, v3 src0_sel:BYTE_3 src1_sel:DWORD
	s_andn2_b64 s[4:5], s[4:5], exec
	s_and_b64 s[8:9], s[8:9], exec
	s_or_b64 s[4:5], s[4:5], s[8:9]
	s_or_b64 exec, exec, s[6:7]
	s_and_saveexec_b64 s[6:7], s[4:5]
	s_cbranch_execz .LBB2_34303
; %bb.61439:
	s_getpc_b64 s[14:15]
.Lpost_getpc34303:
	s_add_u32 s14, s14, (.LBB2_11263-.Lpost_getpc34303)&4294967295
	s_addc_u32 s15, s15, (.LBB2_11263-.Lpost_getpc34303)>>32
	s_setpc_b64 s[14:15]
.LBB2_34303:
	s_getpc_b64 s[14:15]
.Lpost_getpc20735:
	s_add_u32 s14, s14, (.LBB2_11264-.Lpost_getpc20735)&4294967295
	s_addc_u32 s15, s15, (.LBB2_11264-.Lpost_getpc20735)>>32
	s_setpc_b64 s[14:15]
.LBB2_25601:
	s_movk_i32 s4, 0x80
	v_cmp_eq_u16_sdwa s[12:13], v6, s4 src0_sel:BYTE_0 src1_sel:DWORD
	s_mov_b64 s[4:5], -1
                                        ; implicit-def: $sgpr10
	s_and_saveexec_b64 s[8:9], s[12:13]
; %bb.25602:
	s_mov_b32 s10, 0x7f800001
	s_xor_b64 s[4:5], exec, -1
; %bb.25603:
	s_or_b64 exec, exec, s[8:9]
	s_and_b64 s[4:5], s[4:5], exec
	s_or_saveexec_b64 s[6:7], s[6:7]
	v_mov_b32_e32 v12, s10
	s_xor_b64 exec, exec, s[6:7]
	s_cbranch_execnz .LBB2_25604
; %bb.61441:
	s_getpc_b64 s[14:15]
.Lpost_getpc34304:
	s_add_u32 s14, s14, (.LBB2_11266-.Lpost_getpc34304)&4294967295
	s_addc_u32 s15, s15, (.LBB2_11266-.Lpost_getpc34304)>>32
	s_setpc_b64 s[14:15]
.LBB2_25604:
	v_mov_b32_e32 v12, 0
	v_cmp_ne_u16_sdwa s[8:9], v6, v12 src0_sel:BYTE_0 src1_sel:DWORD
	s_andn2_b64 s[4:5], s[4:5], exec
	s_and_b64 s[8:9], s[8:9], exec
	s_or_b64 s[4:5], s[4:5], s[8:9]
	s_or_b64 exec, exec, s[6:7]
	s_and_saveexec_b64 s[6:7], s[4:5]
	s_cbranch_execz .LBB2_34305
; %bb.61443:
	s_getpc_b64 s[14:15]
.Lpost_getpc34305:
	s_add_u32 s14, s14, (.LBB2_11267-.Lpost_getpc34305)&4294967295
	s_addc_u32 s15, s15, (.LBB2_11267-.Lpost_getpc34305)>>32
	s_setpc_b64 s[14:15]
.LBB2_34305:
	s_getpc_b64 s[14:15]
.Lpost_getpc20736:
	s_add_u32 s14, s14, (.LBB2_11268-.Lpost_getpc20736)&4294967295
	s_addc_u32 s15, s15, (.LBB2_11268-.Lpost_getpc20736)>>32
	s_setpc_b64 s[14:15]
.LBB2_25605:
	s_movk_i32 s4, 0x80
	v_cmp_eq_u16_sdwa s[12:13], v2, s4 src0_sel:BYTE_0 src1_sel:DWORD
	s_mov_b64 s[4:5], -1
                                        ; implicit-def: $sgpr10
	s_and_saveexec_b64 s[8:9], s[12:13]
; %bb.25606:
	s_mov_b32 s10, 0x7f800001
	s_xor_b64 s[4:5], exec, -1
; %bb.25607:
	s_or_b64 exec, exec, s[8:9]
	s_and_b64 s[4:5], s[4:5], exec
	s_or_saveexec_b64 s[6:7], s[6:7]
	v_mov_b32_e32 v13, s10
	s_xor_b64 exec, exec, s[6:7]
	s_cbranch_execnz .LBB2_25608
; %bb.61445:
	s_getpc_b64 s[14:15]
.Lpost_getpc34306:
	s_add_u32 s14, s14, (.LBB2_11270-.Lpost_getpc34306)&4294967295
	s_addc_u32 s15, s15, (.LBB2_11270-.Lpost_getpc34306)>>32
	s_setpc_b64 s[14:15]
.LBB2_25608:
	v_mov_b32_e32 v13, 0
	v_cmp_ne_u16_sdwa s[8:9], v2, v13 src0_sel:BYTE_0 src1_sel:DWORD
	s_andn2_b64 s[4:5], s[4:5], exec
	s_and_b64 s[8:9], s[8:9], exec
	s_or_b64 s[4:5], s[4:5], s[8:9]
	s_or_b64 exec, exec, s[6:7]
	s_and_saveexec_b64 s[6:7], s[4:5]
	s_cbranch_execz .LBB2_34307
; %bb.61447:
	s_getpc_b64 s[14:15]
.Lpost_getpc34307:
	s_add_u32 s14, s14, (.LBB2_11271-.Lpost_getpc34307)&4294967295
	s_addc_u32 s15, s15, (.LBB2_11271-.Lpost_getpc34307)>>32
	s_setpc_b64 s[14:15]
.LBB2_34307:
	s_getpc_b64 s[14:15]
.Lpost_getpc20737:
	s_add_u32 s14, s14, (.LBB2_11272-.Lpost_getpc20737)&4294967295
	s_addc_u32 s15, s15, (.LBB2_11272-.Lpost_getpc20737)>>32
	s_setpc_b64 s[14:15]
.LBB2_25609:
	s_movk_i32 s4, 0x80
	v_cmp_eq_u16_sdwa s[12:13], v13, s4 src0_sel:BYTE_0 src1_sel:DWORD
	s_mov_b64 s[4:5], -1
                                        ; implicit-def: $sgpr10
	s_and_saveexec_b64 s[8:9], s[12:13]
; %bb.25610:
	s_mov_b32 s10, 0x7f800001
	s_xor_b64 s[4:5], exec, -1
; %bb.25611:
	s_or_b64 exec, exec, s[8:9]
	s_and_b64 s[4:5], s[4:5], exec
	s_or_saveexec_b64 s[6:7], s[6:7]
	v_mov_b32_e32 v12, s10
	s_xor_b64 exec, exec, s[6:7]
	s_cbranch_execnz .LBB2_25612
; %bb.61449:
	s_getpc_b64 s[14:15]
.Lpost_getpc34308:
	s_add_u32 s14, s14, (.LBB2_11274-.Lpost_getpc34308)&4294967295
	s_addc_u32 s15, s15, (.LBB2_11274-.Lpost_getpc34308)>>32
	s_setpc_b64 s[14:15]
.LBB2_25612:
	v_mov_b32_e32 v12, 0
	v_cmp_ne_u16_sdwa s[8:9], v13, v12 src0_sel:BYTE_0 src1_sel:DWORD
	s_andn2_b64 s[4:5], s[4:5], exec
	s_and_b64 s[8:9], s[8:9], exec
	s_or_b64 s[4:5], s[4:5], s[8:9]
	s_or_b64 exec, exec, s[6:7]
	s_and_saveexec_b64 s[6:7], s[4:5]
	s_cbranch_execz .LBB2_34309
; %bb.61451:
	s_getpc_b64 s[14:15]
.Lpost_getpc34309:
	s_add_u32 s14, s14, (.LBB2_11275-.Lpost_getpc34309)&4294967295
	s_addc_u32 s15, s15, (.LBB2_11275-.Lpost_getpc34309)>>32
	s_setpc_b64 s[14:15]
.LBB2_34309:
	s_getpc_b64 s[14:15]
.Lpost_getpc20738:
	s_add_u32 s14, s14, (.LBB2_11276-.Lpost_getpc20738)&4294967295
	s_addc_u32 s15, s15, (.LBB2_11276-.Lpost_getpc20738)>>32
	s_setpc_b64 s[14:15]
.LBB2_25613:
	s_movk_i32 s4, 0x80
	v_cmp_eq_u16_sdwa s[12:13], v13, s4 src0_sel:BYTE_0 src1_sel:DWORD
	s_mov_b64 s[4:5], -1
                                        ; implicit-def: $sgpr10
	s_and_saveexec_b64 s[8:9], s[12:13]
; %bb.25614:
	s_mov_b32 s10, 0x7f800001
	s_xor_b64 s[4:5], exec, -1
; %bb.25615:
	s_or_b64 exec, exec, s[8:9]
	s_and_b64 s[4:5], s[4:5], exec
	s_or_saveexec_b64 s[6:7], s[6:7]
	v_mov_b32_e32 v14, s10
	s_xor_b64 exec, exec, s[6:7]
	s_cbranch_execnz .LBB2_25616
; %bb.61453:
	s_getpc_b64 s[14:15]
.Lpost_getpc34310:
	s_add_u32 s14, s14, (.LBB2_11278-.Lpost_getpc34310)&4294967295
	s_addc_u32 s15, s15, (.LBB2_11278-.Lpost_getpc34310)>>32
	s_setpc_b64 s[14:15]
.LBB2_25616:
	v_mov_b32_e32 v14, 0
	v_cmp_ne_u16_sdwa s[8:9], v13, v14 src0_sel:BYTE_0 src1_sel:DWORD
	s_andn2_b64 s[4:5], s[4:5], exec
	s_and_b64 s[8:9], s[8:9], exec
	s_or_b64 s[4:5], s[4:5], s[8:9]
	s_or_b64 exec, exec, s[6:7]
	s_and_saveexec_b64 s[6:7], s[4:5]
	s_cbranch_execz .LBB2_34311
; %bb.61455:
	s_getpc_b64 s[14:15]
.Lpost_getpc34311:
	s_add_u32 s14, s14, (.LBB2_11279-.Lpost_getpc34311)&4294967295
	s_addc_u32 s15, s15, (.LBB2_11279-.Lpost_getpc34311)>>32
	s_setpc_b64 s[14:15]
.LBB2_34311:
	s_getpc_b64 s[14:15]
.Lpost_getpc20739:
	s_add_u32 s14, s14, (.LBB2_11280-.Lpost_getpc20739)&4294967295
	s_addc_u32 s15, s15, (.LBB2_11280-.Lpost_getpc20739)>>32
	s_setpc_b64 s[14:15]
.LBB2_25617:
	s_movk_i32 s4, 0x80
	v_cmp_eq_u16_e32 vcc, s4, v13
	s_mov_b64 s[4:5], -1
                                        ; implicit-def: $sgpr10
	s_and_saveexec_b64 s[8:9], vcc
; %bb.25618:
	s_mov_b32 s10, 0x7f800001
	s_xor_b64 s[4:5], exec, -1
; %bb.25619:
	s_or_b64 exec, exec, s[8:9]
	s_and_b64 s[4:5], s[4:5], exec
                                        ; implicit-def: $vgpr13
	s_or_saveexec_b64 s[6:7], s[6:7]
	v_mov_b32_e32 v12, s10
	s_xor_b64 exec, exec, s[6:7]
	s_cbranch_execnz .LBB2_25620
; %bb.61457:
	s_getpc_b64 s[14:15]
.Lpost_getpc34312:
	s_add_u32 s14, s14, (.LBB2_11282-.Lpost_getpc34312)&4294967295
	s_addc_u32 s15, s15, (.LBB2_11282-.Lpost_getpc34312)>>32
	s_setpc_b64 s[14:15]
.LBB2_25620:
	v_cmp_ne_u16_e32 vcc, 0, v13
	s_andn2_b64 s[4:5], s[4:5], exec
	s_and_b64 s[8:9], vcc, exec
	v_mov_b32_e32 v12, 0
	s_or_b64 s[4:5], s[4:5], s[8:9]
	s_or_b64 exec, exec, s[6:7]
	s_and_saveexec_b64 s[6:7], s[4:5]
	s_cbranch_execz .LBB2_34313
; %bb.61459:
	s_getpc_b64 s[14:15]
.Lpost_getpc34313:
	s_add_u32 s14, s14, (.LBB2_11283-.Lpost_getpc34313)&4294967295
	s_addc_u32 s15, s15, (.LBB2_11283-.Lpost_getpc34313)>>32
	s_setpc_b64 s[14:15]
.LBB2_34313:
	s_getpc_b64 s[14:15]
.Lpost_getpc20740:
	s_add_u32 s14, s14, (.LBB2_11284-.Lpost_getpc20740)&4294967295
	s_addc_u32 s15, s15, (.LBB2_11284-.Lpost_getpc20740)>>32
	s_setpc_b64 s[14:15]
.LBB2_25621:
	s_movk_i32 s4, 0x80
	v_cmp_eq_u16_e32 vcc, s4, v13
	s_mov_b64 s[4:5], -1
                                        ; implicit-def: $sgpr10
	s_and_saveexec_b64 s[8:9], vcc
; %bb.25622:
	s_mov_b32 s10, 0x7f800001
	s_xor_b64 s[4:5], exec, -1
; %bb.25623:
	s_or_b64 exec, exec, s[8:9]
	s_and_b64 s[4:5], s[4:5], exec
                                        ; implicit-def: $vgpr13
	s_or_saveexec_b64 s[6:7], s[6:7]
	v_mov_b32_e32 v14, s10
	s_xor_b64 exec, exec, s[6:7]
	s_cbranch_execnz .LBB2_25624
; %bb.61461:
	s_getpc_b64 s[14:15]
.Lpost_getpc34314:
	s_add_u32 s14, s14, (.LBB2_11286-.Lpost_getpc34314)&4294967295
	s_addc_u32 s15, s15, (.LBB2_11286-.Lpost_getpc34314)>>32
	s_setpc_b64 s[14:15]
.LBB2_25624:
	v_cmp_ne_u16_e32 vcc, 0, v13
	s_andn2_b64 s[4:5], s[4:5], exec
	s_and_b64 s[8:9], vcc, exec
	v_mov_b32_e32 v14, 0
	s_or_b64 s[4:5], s[4:5], s[8:9]
	s_or_b64 exec, exec, s[6:7]
	s_and_saveexec_b64 s[6:7], s[4:5]
	s_cbranch_execz .LBB2_34315
; %bb.61463:
	s_getpc_b64 s[14:15]
.Lpost_getpc34315:
	s_add_u32 s14, s14, (.LBB2_11287-.Lpost_getpc34315)&4294967295
	s_addc_u32 s15, s15, (.LBB2_11287-.Lpost_getpc34315)>>32
	s_setpc_b64 s[14:15]
.LBB2_34315:
	s_getpc_b64 s[14:15]
.Lpost_getpc20741:
	s_add_u32 s14, s14, (.LBB2_11288-.Lpost_getpc20741)&4294967295
	s_addc_u32 s15, s15, (.LBB2_11288-.Lpost_getpc20741)>>32
	s_setpc_b64 s[14:15]
.LBB2_25625:
	s_movk_i32 s4, 0x80
	v_cmp_eq_u16_sdwa s[12:13], v6, s4 src0_sel:BYTE_3 src1_sel:DWORD
	s_mov_b64 s[4:5], -1
                                        ; implicit-def: $sgpr10
	s_and_saveexec_b64 s[8:9], s[12:13]
; %bb.25626:
	s_mov_b32 s10, 0x7f800001
	s_xor_b64 s[4:5], exec, -1
; %bb.25627:
	s_or_b64 exec, exec, s[8:9]
	s_and_b64 s[4:5], s[4:5], exec
	s_or_saveexec_b64 s[6:7], s[6:7]
	v_mov_b32_e32 v12, s10
	s_xor_b64 exec, exec, s[6:7]
	s_cbranch_execnz .LBB2_25628
; %bb.61465:
	s_getpc_b64 s[14:15]
.Lpost_getpc34316:
	s_add_u32 s14, s14, (.LBB2_11290-.Lpost_getpc34316)&4294967295
	s_addc_u32 s15, s15, (.LBB2_11290-.Lpost_getpc34316)>>32
	s_setpc_b64 s[14:15]
.LBB2_25628:
	v_mov_b32_e32 v12, 0
	v_cmp_ne_u16_sdwa s[8:9], v6, v12 src0_sel:BYTE_3 src1_sel:DWORD
	s_andn2_b64 s[4:5], s[4:5], exec
	s_and_b64 s[8:9], s[8:9], exec
	s_or_b64 s[4:5], s[4:5], s[8:9]
	s_or_b64 exec, exec, s[6:7]
	s_and_saveexec_b64 s[6:7], s[4:5]
	s_cbranch_execz .LBB2_34317
; %bb.61467:
	s_getpc_b64 s[14:15]
.Lpost_getpc34317:
	s_add_u32 s14, s14, (.LBB2_11291-.Lpost_getpc34317)&4294967295
	s_addc_u32 s15, s15, (.LBB2_11291-.Lpost_getpc34317)>>32
	s_setpc_b64 s[14:15]
.LBB2_34317:
	s_getpc_b64 s[14:15]
.Lpost_getpc20742:
	s_add_u32 s14, s14, (.LBB2_11292-.Lpost_getpc20742)&4294967295
	s_addc_u32 s15, s15, (.LBB2_11292-.Lpost_getpc20742)>>32
	s_setpc_b64 s[14:15]
.LBB2_25629:
	s_movk_i32 s4, 0x80
	v_cmp_eq_u16_sdwa s[12:13], v2, s4 src0_sel:BYTE_3 src1_sel:DWORD
	s_mov_b64 s[4:5], -1
                                        ; implicit-def: $sgpr10
	s_and_saveexec_b64 s[8:9], s[12:13]
; %bb.25630:
	s_mov_b32 s10, 0x7f800001
	s_xor_b64 s[4:5], exec, -1
; %bb.25631:
	s_or_b64 exec, exec, s[8:9]
	s_and_b64 s[4:5], s[4:5], exec
	s_or_saveexec_b64 s[6:7], s[6:7]
	v_mov_b32_e32 v6, s10
	s_xor_b64 exec, exec, s[6:7]
	s_cbranch_execnz .LBB2_25632
; %bb.61469:
	s_getpc_b64 s[14:15]
.Lpost_getpc34318:
	s_add_u32 s14, s14, (.LBB2_11294-.Lpost_getpc34318)&4294967295
	s_addc_u32 s15, s15, (.LBB2_11294-.Lpost_getpc34318)>>32
	s_setpc_b64 s[14:15]
.LBB2_25632:
	v_mov_b32_e32 v6, 0
	v_cmp_ne_u16_sdwa s[8:9], v2, v6 src0_sel:BYTE_3 src1_sel:DWORD
	s_andn2_b64 s[4:5], s[4:5], exec
	s_and_b64 s[8:9], s[8:9], exec
	s_or_b64 s[4:5], s[4:5], s[8:9]
	s_or_b64 exec, exec, s[6:7]
	s_and_saveexec_b64 s[6:7], s[4:5]
	s_cbranch_execz .LBB2_34319
; %bb.61471:
	s_getpc_b64 s[14:15]
.Lpost_getpc34319:
	s_add_u32 s14, s14, (.LBB2_11295-.Lpost_getpc34319)&4294967295
	s_addc_u32 s15, s15, (.LBB2_11295-.Lpost_getpc34319)>>32
	s_setpc_b64 s[14:15]
.LBB2_34319:
	s_getpc_b64 s[14:15]
.Lpost_getpc20743:
	s_add_u32 s14, s14, (.LBB2_11296-.Lpost_getpc20743)&4294967295
	s_addc_u32 s15, s15, (.LBB2_11296-.Lpost_getpc20743)>>32
	s_setpc_b64 s[14:15]
.LBB2_25633:
	s_movk_i32 s4, 0x80
	v_cmp_eq_u16_sdwa s[12:13], v7, s4 src0_sel:BYTE_0 src1_sel:DWORD
	s_mov_b64 s[4:5], -1
                                        ; implicit-def: $sgpr10
	s_and_saveexec_b64 s[8:9], s[12:13]
; %bb.25634:
	s_mov_b32 s10, 0x7f800001
	s_xor_b64 s[4:5], exec, -1
; %bb.25635:
	s_or_b64 exec, exec, s[8:9]
	s_and_b64 s[4:5], s[4:5], exec
	s_or_saveexec_b64 s[6:7], s[6:7]
	v_mov_b32_e32 v2, s10
	s_xor_b64 exec, exec, s[6:7]
	s_cbranch_execnz .LBB2_25636
; %bb.61473:
	s_getpc_b64 s[14:15]
.Lpost_getpc34320:
	s_add_u32 s14, s14, (.LBB2_11298-.Lpost_getpc34320)&4294967295
	s_addc_u32 s15, s15, (.LBB2_11298-.Lpost_getpc34320)>>32
	s_setpc_b64 s[14:15]
.LBB2_25636:
	v_mov_b32_e32 v2, 0
	v_cmp_ne_u16_sdwa s[8:9], v7, v2 src0_sel:BYTE_0 src1_sel:DWORD
	s_andn2_b64 s[4:5], s[4:5], exec
	s_and_b64 s[8:9], s[8:9], exec
	s_or_b64 s[4:5], s[4:5], s[8:9]
	s_or_b64 exec, exec, s[6:7]
	s_and_saveexec_b64 s[6:7], s[4:5]
	s_cbranch_execz .LBB2_34321
; %bb.61475:
	s_getpc_b64 s[14:15]
.Lpost_getpc34321:
	s_add_u32 s14, s14, (.LBB2_11299-.Lpost_getpc34321)&4294967295
	s_addc_u32 s15, s15, (.LBB2_11299-.Lpost_getpc34321)>>32
	s_setpc_b64 s[14:15]
.LBB2_34321:
	s_getpc_b64 s[14:15]
.Lpost_getpc20744:
	s_add_u32 s14, s14, (.LBB2_11300-.Lpost_getpc20744)&4294967295
	s_addc_u32 s15, s15, (.LBB2_11300-.Lpost_getpc20744)>>32
	s_setpc_b64 s[14:15]
.LBB2_25637:
	s_movk_i32 s4, 0x80
	v_cmp_eq_u16_sdwa s[12:13], v3, s4 src0_sel:BYTE_0 src1_sel:DWORD
	s_mov_b64 s[4:5], -1
                                        ; implicit-def: $sgpr10
	s_and_saveexec_b64 s[8:9], s[12:13]
; %bb.25638:
	s_mov_b32 s10, 0x7f800001
	s_xor_b64 s[4:5], exec, -1
; %bb.25639:
	s_or_b64 exec, exec, s[8:9]
	s_and_b64 s[4:5], s[4:5], exec
	s_or_saveexec_b64 s[6:7], s[6:7]
	v_mov_b32_e32 v6, s10
	s_xor_b64 exec, exec, s[6:7]
	s_cbranch_execnz .LBB2_25640
; %bb.61477:
	s_getpc_b64 s[14:15]
.Lpost_getpc34322:
	s_add_u32 s14, s14, (.LBB2_11302-.Lpost_getpc34322)&4294967295
	s_addc_u32 s15, s15, (.LBB2_11302-.Lpost_getpc34322)>>32
	s_setpc_b64 s[14:15]
.LBB2_25640:
	v_mov_b32_e32 v6, 0
	v_cmp_ne_u16_sdwa s[8:9], v3, v6 src0_sel:BYTE_0 src1_sel:DWORD
	s_andn2_b64 s[4:5], s[4:5], exec
	s_and_b64 s[8:9], s[8:9], exec
	s_or_b64 s[4:5], s[4:5], s[8:9]
	s_or_b64 exec, exec, s[6:7]
	s_and_saveexec_b64 s[6:7], s[4:5]
	s_cbranch_execz .LBB2_34323
; %bb.61479:
	s_getpc_b64 s[14:15]
.Lpost_getpc34323:
	s_add_u32 s14, s14, (.LBB2_11303-.Lpost_getpc34323)&4294967295
	s_addc_u32 s15, s15, (.LBB2_11303-.Lpost_getpc34323)>>32
	s_setpc_b64 s[14:15]
.LBB2_34323:
	s_getpc_b64 s[14:15]
.Lpost_getpc20745:
	s_add_u32 s14, s14, (.LBB2_11304-.Lpost_getpc20745)&4294967295
	s_addc_u32 s15, s15, (.LBB2_11304-.Lpost_getpc20745)>>32
	s_setpc_b64 s[14:15]
.LBB2_25641:
	s_movk_i32 s4, 0x80
	v_cmp_eq_u16_sdwa s[12:13], v6, s4 src0_sel:BYTE_0 src1_sel:DWORD
	s_mov_b64 s[4:5], -1
                                        ; implicit-def: $sgpr10
	s_and_saveexec_b64 s[8:9], s[12:13]
; %bb.25642:
	s_mov_b32 s10, 0x7f800001
	s_xor_b64 s[4:5], exec, -1
; %bb.25643:
	s_or_b64 exec, exec, s[8:9]
	s_and_b64 s[4:5], s[4:5], exec
	s_or_saveexec_b64 s[6:7], s[6:7]
	v_mov_b32_e32 v2, s10
	s_xor_b64 exec, exec, s[6:7]
	s_cbranch_execnz .LBB2_25644
; %bb.61481:
	s_getpc_b64 s[14:15]
.Lpost_getpc34324:
	s_add_u32 s14, s14, (.LBB2_11306-.Lpost_getpc34324)&4294967295
	s_addc_u32 s15, s15, (.LBB2_11306-.Lpost_getpc34324)>>32
	s_setpc_b64 s[14:15]
.LBB2_25644:
	v_mov_b32_e32 v2, 0
	v_cmp_ne_u16_sdwa s[8:9], v6, v2 src0_sel:BYTE_0 src1_sel:DWORD
	s_andn2_b64 s[4:5], s[4:5], exec
	s_and_b64 s[8:9], s[8:9], exec
	s_or_b64 s[4:5], s[4:5], s[8:9]
	s_or_b64 exec, exec, s[6:7]
	s_and_saveexec_b64 s[6:7], s[4:5]
	s_cbranch_execz .LBB2_34325
; %bb.61483:
	s_getpc_b64 s[14:15]
.Lpost_getpc34325:
	s_add_u32 s14, s14, (.LBB2_11307-.Lpost_getpc34325)&4294967295
	s_addc_u32 s15, s15, (.LBB2_11307-.Lpost_getpc34325)>>32
	s_setpc_b64 s[14:15]
.LBB2_34325:
	s_getpc_b64 s[14:15]
.Lpost_getpc20746:
	s_add_u32 s14, s14, (.LBB2_11308-.Lpost_getpc20746)&4294967295
	s_addc_u32 s15, s15, (.LBB2_11308-.Lpost_getpc20746)>>32
	s_setpc_b64 s[14:15]
.LBB2_25645:
	s_movk_i32 s4, 0x80
	v_cmp_eq_u16_sdwa s[12:13], v6, s4 src0_sel:BYTE_0 src1_sel:DWORD
	s_mov_b64 s[4:5], -1
                                        ; implicit-def: $sgpr10
	s_and_saveexec_b64 s[8:9], s[12:13]
; %bb.25646:
	s_mov_b32 s10, 0x7f800001
	s_xor_b64 s[4:5], exec, -1
; %bb.25647:
	s_or_b64 exec, exec, s[8:9]
	s_and_b64 s[4:5], s[4:5], exec
	s_or_saveexec_b64 s[6:7], s[6:7]
	v_mov_b32_e32 v12, s10
	s_xor_b64 exec, exec, s[6:7]
	s_cbranch_execnz .LBB2_25648
; %bb.61485:
	s_getpc_b64 s[14:15]
.Lpost_getpc34326:
	s_add_u32 s14, s14, (.LBB2_11310-.Lpost_getpc34326)&4294967295
	s_addc_u32 s15, s15, (.LBB2_11310-.Lpost_getpc34326)>>32
	s_setpc_b64 s[14:15]
.LBB2_25648:
	v_mov_b32_e32 v12, 0
	v_cmp_ne_u16_sdwa s[8:9], v6, v12 src0_sel:BYTE_0 src1_sel:DWORD
	s_andn2_b64 s[4:5], s[4:5], exec
	s_and_b64 s[8:9], s[8:9], exec
	s_or_b64 s[4:5], s[4:5], s[8:9]
	s_or_b64 exec, exec, s[6:7]
	s_and_saveexec_b64 s[6:7], s[4:5]
	s_cbranch_execz .LBB2_34327
; %bb.61487:
	s_getpc_b64 s[14:15]
.Lpost_getpc34327:
	s_add_u32 s14, s14, (.LBB2_11311-.Lpost_getpc34327)&4294967295
	s_addc_u32 s15, s15, (.LBB2_11311-.Lpost_getpc34327)>>32
	s_setpc_b64 s[14:15]
.LBB2_34327:
	s_getpc_b64 s[14:15]
.Lpost_getpc20747:
	s_add_u32 s14, s14, (.LBB2_11312-.Lpost_getpc20747)&4294967295
	s_addc_u32 s15, s15, (.LBB2_11312-.Lpost_getpc20747)>>32
	s_setpc_b64 s[14:15]
.LBB2_25649:
	s_movk_i32 s4, 0x80
	v_cmp_eq_u16_e32 vcc, s4, v6
	s_mov_b64 s[4:5], -1
                                        ; implicit-def: $sgpr10
	s_and_saveexec_b64 s[8:9], vcc
; %bb.25650:
	s_mov_b32 s10, 0x7f800001
	s_xor_b64 s[4:5], exec, -1
; %bb.25651:
	s_or_b64 exec, exec, s[8:9]
	s_and_b64 s[4:5], s[4:5], exec
                                        ; implicit-def: $vgpr6
	s_or_saveexec_b64 s[6:7], s[6:7]
	v_mov_b32_e32 v2, s10
	s_xor_b64 exec, exec, s[6:7]
	s_cbranch_execnz .LBB2_25652
; %bb.61489:
	s_getpc_b64 s[14:15]
.Lpost_getpc34328:
	s_add_u32 s14, s14, (.LBB2_11314-.Lpost_getpc34328)&4294967295
	s_addc_u32 s15, s15, (.LBB2_11314-.Lpost_getpc34328)>>32
	s_setpc_b64 s[14:15]
.LBB2_25652:
	v_cmp_ne_u16_e32 vcc, 0, v6
	s_andn2_b64 s[4:5], s[4:5], exec
	s_and_b64 s[8:9], vcc, exec
	v_mov_b32_e32 v2, 0
	s_or_b64 s[4:5], s[4:5], s[8:9]
	s_or_b64 exec, exec, s[6:7]
	s_and_saveexec_b64 s[6:7], s[4:5]
	s_cbranch_execz .LBB2_34329
; %bb.61491:
	s_getpc_b64 s[14:15]
.Lpost_getpc34329:
	s_add_u32 s14, s14, (.LBB2_11315-.Lpost_getpc34329)&4294967295
	s_addc_u32 s15, s15, (.LBB2_11315-.Lpost_getpc34329)>>32
	s_setpc_b64 s[14:15]
.LBB2_34329:
	s_getpc_b64 s[14:15]
.Lpost_getpc20748:
	s_add_u32 s14, s14, (.LBB2_11316-.Lpost_getpc20748)&4294967295
	s_addc_u32 s15, s15, (.LBB2_11316-.Lpost_getpc20748)>>32
	s_setpc_b64 s[14:15]
.LBB2_25653:
	s_movk_i32 s4, 0x80
	v_cmp_eq_u16_e32 vcc, s4, v6
	s_mov_b64 s[4:5], -1
                                        ; implicit-def: $sgpr10
	s_and_saveexec_b64 s[8:9], vcc
; %bb.25654:
	s_mov_b32 s10, 0x7f800001
	s_xor_b64 s[4:5], exec, -1
; %bb.25655:
	s_or_b64 exec, exec, s[8:9]
	s_and_b64 s[4:5], s[4:5], exec
                                        ; implicit-def: $vgpr6
	s_or_saveexec_b64 s[6:7], s[6:7]
	v_mov_b32_e32 v12, s10
	s_xor_b64 exec, exec, s[6:7]
	s_cbranch_execnz .LBB2_25656
; %bb.61493:
	s_getpc_b64 s[14:15]
.Lpost_getpc34330:
	s_add_u32 s14, s14, (.LBB2_11318-.Lpost_getpc34330)&4294967295
	s_addc_u32 s15, s15, (.LBB2_11318-.Lpost_getpc34330)>>32
	s_setpc_b64 s[14:15]
.LBB2_25656:
	v_cmp_ne_u16_e32 vcc, 0, v6
	s_andn2_b64 s[4:5], s[4:5], exec
	s_and_b64 s[8:9], vcc, exec
	v_mov_b32_e32 v12, 0
	s_or_b64 s[4:5], s[4:5], s[8:9]
	s_or_b64 exec, exec, s[6:7]
	s_and_saveexec_b64 s[6:7], s[4:5]
	s_cbranch_execz .LBB2_34331
; %bb.61495:
	s_getpc_b64 s[14:15]
.Lpost_getpc34331:
	s_add_u32 s14, s14, (.LBB2_11319-.Lpost_getpc34331)&4294967295
	s_addc_u32 s15, s15, (.LBB2_11319-.Lpost_getpc34331)>>32
	s_setpc_b64 s[14:15]
.LBB2_34331:
	s_getpc_b64 s[14:15]
.Lpost_getpc20749:
	s_add_u32 s14, s14, (.LBB2_11320-.Lpost_getpc20749)&4294967295
	s_addc_u32 s15, s15, (.LBB2_11320-.Lpost_getpc20749)>>32
	s_setpc_b64 s[14:15]
.LBB2_25657:
	s_movk_i32 s4, 0x80
	v_cmp_eq_u16_sdwa s[12:13], v7, s4 src0_sel:BYTE_3 src1_sel:DWORD
	s_mov_b64 s[4:5], -1
                                        ; implicit-def: $sgpr10
	s_and_saveexec_b64 s[8:9], s[12:13]
; %bb.25658:
	s_mov_b32 s10, 0x7f800001
	s_xor_b64 s[4:5], exec, -1
; %bb.25659:
	s_or_b64 exec, exec, s[8:9]
	s_and_b64 s[4:5], s[4:5], exec
	s_or_saveexec_b64 s[6:7], s[6:7]
	v_mov_b32_e32 v2, s10
	s_xor_b64 exec, exec, s[6:7]
	s_cbranch_execnz .LBB2_25660
; %bb.61497:
	s_getpc_b64 s[14:15]
.Lpost_getpc34332:
	s_add_u32 s14, s14, (.LBB2_11322-.Lpost_getpc34332)&4294967295
	s_addc_u32 s15, s15, (.LBB2_11322-.Lpost_getpc34332)>>32
	s_setpc_b64 s[14:15]
.LBB2_25660:
	v_mov_b32_e32 v2, 0
	v_cmp_ne_u16_sdwa s[8:9], v7, v2 src0_sel:BYTE_3 src1_sel:DWORD
	s_andn2_b64 s[4:5], s[4:5], exec
	s_and_b64 s[8:9], s[8:9], exec
	s_or_b64 s[4:5], s[4:5], s[8:9]
	s_or_b64 exec, exec, s[6:7]
	s_and_saveexec_b64 s[6:7], s[4:5]
	s_cbranch_execz .LBB2_34333
; %bb.61499:
	s_getpc_b64 s[14:15]
.Lpost_getpc34333:
	s_add_u32 s14, s14, (.LBB2_11323-.Lpost_getpc34333)&4294967295
	s_addc_u32 s15, s15, (.LBB2_11323-.Lpost_getpc34333)>>32
	s_setpc_b64 s[14:15]
.LBB2_34333:
	s_getpc_b64 s[14:15]
.Lpost_getpc20750:
	s_add_u32 s14, s14, (.LBB2_11324-.Lpost_getpc20750)&4294967295
	s_addc_u32 s15, s15, (.LBB2_11324-.Lpost_getpc20750)>>32
	s_setpc_b64 s[14:15]
.LBB2_25661:
	s_movk_i32 s4, 0x80
	v_cmp_eq_u16_sdwa s[12:13], v3, s4 src0_sel:BYTE_3 src1_sel:DWORD
	s_mov_b64 s[4:5], -1
                                        ; implicit-def: $sgpr10
	s_and_saveexec_b64 s[8:9], s[12:13]
; %bb.25662:
	s_mov_b32 s10, 0x7f800001
	s_xor_b64 s[4:5], exec, -1
; %bb.25663:
	s_or_b64 exec, exec, s[8:9]
	s_and_b64 s[4:5], s[4:5], exec
	s_or_saveexec_b64 s[6:7], s[6:7]
	v_mov_b32_e32 v6, s10
	s_xor_b64 exec, exec, s[6:7]
	s_cbranch_execnz .LBB2_25664
; %bb.61501:
	s_getpc_b64 s[14:15]
.Lpost_getpc34334:
	s_add_u32 s14, s14, (.LBB2_11326-.Lpost_getpc34334)&4294967295
	s_addc_u32 s15, s15, (.LBB2_11326-.Lpost_getpc34334)>>32
	s_setpc_b64 s[14:15]
.LBB2_25664:
	v_mov_b32_e32 v6, 0
	v_cmp_ne_u16_sdwa s[8:9], v3, v6 src0_sel:BYTE_3 src1_sel:DWORD
	s_andn2_b64 s[4:5], s[4:5], exec
	s_and_b64 s[8:9], s[8:9], exec
	s_or_b64 s[4:5], s[4:5], s[8:9]
	s_or_b64 exec, exec, s[6:7]
	s_and_saveexec_b64 s[6:7], s[4:5]
	s_cbranch_execz .LBB2_34335
; %bb.61503:
	s_getpc_b64 s[14:15]
.Lpost_getpc34335:
	s_add_u32 s14, s14, (.LBB2_11327-.Lpost_getpc34335)&4294967295
	s_addc_u32 s15, s15, (.LBB2_11327-.Lpost_getpc34335)>>32
	s_setpc_b64 s[14:15]
.LBB2_34335:
	s_getpc_b64 s[14:15]
.Lpost_getpc20751:
	s_add_u32 s14, s14, (.LBB2_11328-.Lpost_getpc20751)&4294967295
	s_addc_u32 s15, s15, (.LBB2_11328-.Lpost_getpc20751)>>32
	s_setpc_b64 s[14:15]
.LBB2_25665:
	s_movk_i32 s4, 0x80
	v_cmp_eq_u16_sdwa s[12:13], v8, s4 src0_sel:BYTE_0 src1_sel:DWORD
	s_mov_b64 s[4:5], -1
                                        ; implicit-def: $sgpr10
	s_and_saveexec_b64 s[8:9], s[12:13]
; %bb.25666:
	s_mov_b32 s10, 0x7f800001
	s_xor_b64 s[4:5], exec, -1
; %bb.25667:
	s_or_b64 exec, exec, s[8:9]
	s_and_b64 s[4:5], s[4:5], exec
	s_or_saveexec_b64 s[6:7], s[6:7]
	v_mov_b32_e32 v2, s10
	s_xor_b64 exec, exec, s[6:7]
	s_cbranch_execnz .LBB2_25668
; %bb.61505:
	s_getpc_b64 s[14:15]
.Lpost_getpc34336:
	s_add_u32 s14, s14, (.LBB2_11330-.Lpost_getpc34336)&4294967295
	s_addc_u32 s15, s15, (.LBB2_11330-.Lpost_getpc34336)>>32
	s_setpc_b64 s[14:15]
.LBB2_25668:
	v_mov_b32_e32 v2, 0
	v_cmp_ne_u16_sdwa s[8:9], v8, v2 src0_sel:BYTE_0 src1_sel:DWORD
	s_andn2_b64 s[4:5], s[4:5], exec
	s_and_b64 s[8:9], s[8:9], exec
	s_or_b64 s[4:5], s[4:5], s[8:9]
	s_or_b64 exec, exec, s[6:7]
	s_and_saveexec_b64 s[6:7], s[4:5]
	s_cbranch_execz .LBB2_34337
; %bb.61507:
	s_getpc_b64 s[14:15]
.Lpost_getpc34337:
	s_add_u32 s14, s14, (.LBB2_11331-.Lpost_getpc34337)&4294967295
	s_addc_u32 s15, s15, (.LBB2_11331-.Lpost_getpc34337)>>32
	s_setpc_b64 s[14:15]
.LBB2_34337:
	s_getpc_b64 s[14:15]
.Lpost_getpc20752:
	s_add_u32 s14, s14, (.LBB2_11332-.Lpost_getpc20752)&4294967295
	s_addc_u32 s15, s15, (.LBB2_11332-.Lpost_getpc20752)>>32
	s_setpc_b64 s[14:15]
.LBB2_25669:
	s_movk_i32 s4, 0x80
	v_cmp_eq_u16_sdwa s[12:13], v4, s4 src0_sel:BYTE_0 src1_sel:DWORD
	s_mov_b64 s[4:5], -1
                                        ; implicit-def: $sgpr10
	s_and_saveexec_b64 s[8:9], s[12:13]
; %bb.25670:
	s_mov_b32 s10, 0x7f800001
	s_xor_b64 s[4:5], exec, -1
; %bb.25671:
	s_or_b64 exec, exec, s[8:9]
	s_and_b64 s[4:5], s[4:5], exec
	s_or_saveexec_b64 s[6:7], s[6:7]
	v_mov_b32_e32 v3, s10
	s_xor_b64 exec, exec, s[6:7]
	s_cbranch_execnz .LBB2_25672
; %bb.61509:
	s_getpc_b64 s[14:15]
.Lpost_getpc34338:
	s_add_u32 s14, s14, (.LBB2_11334-.Lpost_getpc34338)&4294967295
	s_addc_u32 s15, s15, (.LBB2_11334-.Lpost_getpc34338)>>32
	s_setpc_b64 s[14:15]
.LBB2_25672:
	v_mov_b32_e32 v3, 0
	v_cmp_ne_u16_sdwa s[8:9], v4, v3 src0_sel:BYTE_0 src1_sel:DWORD
	s_andn2_b64 s[4:5], s[4:5], exec
	s_and_b64 s[8:9], s[8:9], exec
	s_or_b64 s[4:5], s[4:5], s[8:9]
	s_or_b64 exec, exec, s[6:7]
	s_and_saveexec_b64 s[6:7], s[4:5]
	s_cbranch_execz .LBB2_34339
; %bb.61511:
	s_getpc_b64 s[14:15]
.Lpost_getpc34339:
	s_add_u32 s14, s14, (.LBB2_11335-.Lpost_getpc34339)&4294967295
	s_addc_u32 s15, s15, (.LBB2_11335-.Lpost_getpc34339)>>32
	s_setpc_b64 s[14:15]
.LBB2_34339:
	s_getpc_b64 s[14:15]
.Lpost_getpc20753:
	s_add_u32 s14, s14, (.LBB2_11336-.Lpost_getpc20753)&4294967295
	s_addc_u32 s15, s15, (.LBB2_11336-.Lpost_getpc20753)>>32
	s_setpc_b64 s[14:15]
.LBB2_25673:
	s_movk_i32 s4, 0x80
	v_cmp_eq_u16_sdwa s[12:13], v3, s4 src0_sel:BYTE_0 src1_sel:DWORD
	s_mov_b64 s[4:5], -1
                                        ; implicit-def: $sgpr10
	s_and_saveexec_b64 s[8:9], s[12:13]
; %bb.25674:
	s_mov_b32 s10, 0x7f800001
	s_xor_b64 s[4:5], exec, -1
; %bb.25675:
	s_or_b64 exec, exec, s[8:9]
	s_and_b64 s[4:5], s[4:5], exec
	s_or_saveexec_b64 s[6:7], s[6:7]
	v_mov_b32_e32 v2, s10
	s_xor_b64 exec, exec, s[6:7]
	s_cbranch_execnz .LBB2_25676
; %bb.61513:
	s_getpc_b64 s[14:15]
.Lpost_getpc34340:
	s_add_u32 s14, s14, (.LBB2_11338-.Lpost_getpc34340)&4294967295
	s_addc_u32 s15, s15, (.LBB2_11338-.Lpost_getpc34340)>>32
	s_setpc_b64 s[14:15]
.LBB2_25676:
	v_mov_b32_e32 v2, 0
	v_cmp_ne_u16_sdwa s[8:9], v3, v2 src0_sel:BYTE_0 src1_sel:DWORD
	s_andn2_b64 s[4:5], s[4:5], exec
	s_and_b64 s[8:9], s[8:9], exec
	s_or_b64 s[4:5], s[4:5], s[8:9]
	s_or_b64 exec, exec, s[6:7]
	s_and_saveexec_b64 s[6:7], s[4:5]
	s_cbranch_execz .LBB2_34341
; %bb.61515:
	s_getpc_b64 s[14:15]
.Lpost_getpc34341:
	s_add_u32 s14, s14, (.LBB2_11339-.Lpost_getpc34341)&4294967295
	s_addc_u32 s15, s15, (.LBB2_11339-.Lpost_getpc34341)>>32
	s_setpc_b64 s[14:15]
.LBB2_34341:
	s_getpc_b64 s[14:15]
.Lpost_getpc20754:
	s_add_u32 s14, s14, (.LBB2_11340-.Lpost_getpc20754)&4294967295
	s_addc_u32 s15, s15, (.LBB2_11340-.Lpost_getpc20754)>>32
	s_setpc_b64 s[14:15]
.LBB2_25677:
	s_movk_i32 s4, 0x80
	v_cmp_eq_u16_sdwa s[12:13], v3, s4 src0_sel:BYTE_0 src1_sel:DWORD
	s_mov_b64 s[4:5], -1
                                        ; implicit-def: $sgpr10
	s_and_saveexec_b64 s[8:9], s[12:13]
; %bb.25678:
	s_mov_b32 s10, 0x7f800001
	s_xor_b64 s[4:5], exec, -1
; %bb.25679:
	s_or_b64 exec, exec, s[8:9]
	s_and_b64 s[4:5], s[4:5], exec
	s_or_saveexec_b64 s[6:7], s[6:7]
	v_mov_b32_e32 v6, s10
	s_xor_b64 exec, exec, s[6:7]
	s_cbranch_execnz .LBB2_25680
; %bb.61517:
	s_getpc_b64 s[14:15]
.Lpost_getpc34342:
	s_add_u32 s14, s14, (.LBB2_11342-.Lpost_getpc34342)&4294967295
	s_addc_u32 s15, s15, (.LBB2_11342-.Lpost_getpc34342)>>32
	s_setpc_b64 s[14:15]
.LBB2_25680:
	v_mov_b32_e32 v6, 0
	v_cmp_ne_u16_sdwa s[8:9], v3, v6 src0_sel:BYTE_0 src1_sel:DWORD
	s_andn2_b64 s[4:5], s[4:5], exec
	s_and_b64 s[8:9], s[8:9], exec
	s_or_b64 s[4:5], s[4:5], s[8:9]
	s_or_b64 exec, exec, s[6:7]
	s_and_saveexec_b64 s[6:7], s[4:5]
	s_cbranch_execz .LBB2_34343
; %bb.61519:
	s_getpc_b64 s[14:15]
.Lpost_getpc34343:
	s_add_u32 s14, s14, (.LBB2_11343-.Lpost_getpc34343)&4294967295
	s_addc_u32 s15, s15, (.LBB2_11343-.Lpost_getpc34343)>>32
	s_setpc_b64 s[14:15]
.LBB2_34343:
	s_getpc_b64 s[14:15]
.Lpost_getpc20755:
	s_add_u32 s14, s14, (.LBB2_11344-.Lpost_getpc20755)&4294967295
	s_addc_u32 s15, s15, (.LBB2_11344-.Lpost_getpc20755)>>32
	s_setpc_b64 s[14:15]
.LBB2_25681:
	s_movk_i32 s4, 0x80
	v_cmp_eq_u16_e32 vcc, s4, v3
	s_mov_b64 s[4:5], -1
                                        ; implicit-def: $sgpr10
	s_and_saveexec_b64 s[8:9], vcc
; %bb.25682:
	s_mov_b32 s10, 0x7f800001
	s_xor_b64 s[4:5], exec, -1
; %bb.25683:
	s_or_b64 exec, exec, s[8:9]
	s_and_b64 s[4:5], s[4:5], exec
                                        ; implicit-def: $vgpr3
	s_or_saveexec_b64 s[6:7], s[6:7]
	v_mov_b32_e32 v2, s10
	s_xor_b64 exec, exec, s[6:7]
	s_cbranch_execnz .LBB2_25684
; %bb.61521:
	s_getpc_b64 s[14:15]
.Lpost_getpc34344:
	s_add_u32 s14, s14, (.LBB2_11346-.Lpost_getpc34344)&4294967295
	s_addc_u32 s15, s15, (.LBB2_11346-.Lpost_getpc34344)>>32
	s_setpc_b64 s[14:15]
.LBB2_25684:
	v_cmp_ne_u16_e32 vcc, 0, v3
	s_andn2_b64 s[4:5], s[4:5], exec
	s_and_b64 s[8:9], vcc, exec
	v_mov_b32_e32 v2, 0
	s_or_b64 s[4:5], s[4:5], s[8:9]
	s_or_b64 exec, exec, s[6:7]
	s_and_saveexec_b64 s[6:7], s[4:5]
	s_cbranch_execz .LBB2_34345
; %bb.61523:
	s_getpc_b64 s[14:15]
.Lpost_getpc34345:
	s_add_u32 s14, s14, (.LBB2_11347-.Lpost_getpc34345)&4294967295
	s_addc_u32 s15, s15, (.LBB2_11347-.Lpost_getpc34345)>>32
	s_setpc_b64 s[14:15]
.LBB2_34345:
	s_getpc_b64 s[14:15]
.Lpost_getpc20756:
	s_add_u32 s14, s14, (.LBB2_11348-.Lpost_getpc20756)&4294967295
	s_addc_u32 s15, s15, (.LBB2_11348-.Lpost_getpc20756)>>32
	s_setpc_b64 s[14:15]
.LBB2_25685:
	s_movk_i32 s4, 0x80
	v_cmp_eq_u16_e32 vcc, s4, v3
	s_mov_b64 s[4:5], -1
                                        ; implicit-def: $sgpr10
	s_and_saveexec_b64 s[8:9], vcc
; %bb.25686:
	s_mov_b32 s10, 0x7f800001
	s_xor_b64 s[4:5], exec, -1
; %bb.25687:
	s_or_b64 exec, exec, s[8:9]
	s_and_b64 s[4:5], s[4:5], exec
                                        ; implicit-def: $vgpr3
	s_or_saveexec_b64 s[6:7], s[6:7]
	v_mov_b32_e32 v6, s10
	s_xor_b64 exec, exec, s[6:7]
	s_cbranch_execnz .LBB2_25688
; %bb.61525:
	s_getpc_b64 s[14:15]
.Lpost_getpc34346:
	s_add_u32 s14, s14, (.LBB2_11350-.Lpost_getpc34346)&4294967295
	s_addc_u32 s15, s15, (.LBB2_11350-.Lpost_getpc34346)>>32
	s_setpc_b64 s[14:15]
.LBB2_25688:
	v_cmp_ne_u16_e32 vcc, 0, v3
	s_andn2_b64 s[4:5], s[4:5], exec
	s_and_b64 s[8:9], vcc, exec
	v_mov_b32_e32 v6, 0
	s_or_b64 s[4:5], s[4:5], s[8:9]
	s_or_b64 exec, exec, s[6:7]
	s_and_saveexec_b64 s[6:7], s[4:5]
	s_cbranch_execz .LBB2_34347
; %bb.61527:
	s_getpc_b64 s[14:15]
.Lpost_getpc34347:
	s_add_u32 s14, s14, (.LBB2_11351-.Lpost_getpc34347)&4294967295
	s_addc_u32 s15, s15, (.LBB2_11351-.Lpost_getpc34347)>>32
	s_setpc_b64 s[14:15]
.LBB2_34347:
	s_getpc_b64 s[14:15]
.Lpost_getpc20757:
	s_add_u32 s14, s14, (.LBB2_11352-.Lpost_getpc20757)&4294967295
	s_addc_u32 s15, s15, (.LBB2_11352-.Lpost_getpc20757)>>32
	s_setpc_b64 s[14:15]
.LBB2_25689:
	s_movk_i32 s4, 0x80
	v_cmp_eq_u16_sdwa s[12:13], v8, s4 src0_sel:BYTE_3 src1_sel:DWORD
	s_mov_b64 s[4:5], -1
                                        ; implicit-def: $sgpr10
	s_and_saveexec_b64 s[8:9], s[12:13]
; %bb.25690:
	s_mov_b32 s10, 0x7f800001
	s_xor_b64 s[4:5], exec, -1
; %bb.25691:
	s_or_b64 exec, exec, s[8:9]
	s_and_b64 s[4:5], s[4:5], exec
	s_or_saveexec_b64 s[6:7], s[6:7]
	v_mov_b32_e32 v2, s10
	s_xor_b64 exec, exec, s[6:7]
	s_cbranch_execnz .LBB2_25692
; %bb.61529:
	s_getpc_b64 s[14:15]
.Lpost_getpc34348:
	s_add_u32 s14, s14, (.LBB2_11354-.Lpost_getpc34348)&4294967295
	s_addc_u32 s15, s15, (.LBB2_11354-.Lpost_getpc34348)>>32
	s_setpc_b64 s[14:15]
.LBB2_25692:
	v_mov_b32_e32 v2, 0
	v_cmp_ne_u16_sdwa s[8:9], v8, v2 src0_sel:BYTE_3 src1_sel:DWORD
	s_andn2_b64 s[4:5], s[4:5], exec
	s_and_b64 s[8:9], s[8:9], exec
	s_or_b64 s[4:5], s[4:5], s[8:9]
	s_or_b64 exec, exec, s[6:7]
	s_and_saveexec_b64 s[6:7], s[4:5]
	s_cbranch_execz .LBB2_34349
; %bb.61531:
	s_getpc_b64 s[14:15]
.Lpost_getpc34349:
	s_add_u32 s14, s14, (.LBB2_11355-.Lpost_getpc34349)&4294967295
	s_addc_u32 s15, s15, (.LBB2_11355-.Lpost_getpc34349)>>32
	s_setpc_b64 s[14:15]
.LBB2_34349:
	s_getpc_b64 s[14:15]
.Lpost_getpc20758:
	s_add_u32 s14, s14, (.LBB2_11356-.Lpost_getpc20758)&4294967295
	s_addc_u32 s15, s15, (.LBB2_11356-.Lpost_getpc20758)>>32
	s_setpc_b64 s[14:15]
.LBB2_25693:
	s_movk_i32 s4, 0x80
	v_cmp_eq_u16_sdwa s[12:13], v4, s4 src0_sel:BYTE_3 src1_sel:DWORD
	s_mov_b64 s[4:5], -1
                                        ; implicit-def: $sgpr10
	s_and_saveexec_b64 s[8:9], s[12:13]
; %bb.25694:
	s_mov_b32 s10, 0x7f800001
	s_xor_b64 s[4:5], exec, -1
; %bb.25695:
	s_or_b64 exec, exec, s[8:9]
	s_and_b64 s[4:5], s[4:5], exec
	s_or_saveexec_b64 s[6:7], s[6:7]
	v_mov_b32_e32 v3, s10
	s_xor_b64 exec, exec, s[6:7]
	s_cbranch_execnz .LBB2_25696
; %bb.61533:
	s_getpc_b64 s[14:15]
.Lpost_getpc34350:
	s_add_u32 s14, s14, (.LBB2_11358-.Lpost_getpc34350)&4294967295
	s_addc_u32 s15, s15, (.LBB2_11358-.Lpost_getpc34350)>>32
	s_setpc_b64 s[14:15]
.LBB2_25696:
	v_mov_b32_e32 v3, 0
	v_cmp_ne_u16_sdwa s[8:9], v4, v3 src0_sel:BYTE_3 src1_sel:DWORD
	s_andn2_b64 s[4:5], s[4:5], exec
	s_and_b64 s[8:9], s[8:9], exec
	s_or_b64 s[4:5], s[4:5], s[8:9]
	s_or_b64 exec, exec, s[6:7]
	s_and_saveexec_b64 s[6:7], s[4:5]
	s_cbranch_execz .LBB2_34351
; %bb.61535:
	s_getpc_b64 s[14:15]
.Lpost_getpc34351:
	s_add_u32 s14, s14, (.LBB2_11359-.Lpost_getpc34351)&4294967295
	s_addc_u32 s15, s15, (.LBB2_11359-.Lpost_getpc34351)>>32
	s_setpc_b64 s[14:15]
.LBB2_34351:
	s_getpc_b64 s[14:15]
.Lpost_getpc20759:
	s_add_u32 s14, s14, (.LBB2_11360-.Lpost_getpc20759)&4294967295
	s_addc_u32 s15, s15, (.LBB2_11360-.Lpost_getpc20759)>>32
	s_setpc_b64 s[14:15]
.LBB2_25697:
	s_movk_i32 s4, 0x80
	v_cmp_eq_u16_sdwa s[12:13], v9, s4 src0_sel:BYTE_0 src1_sel:DWORD
	s_mov_b64 s[4:5], -1
                                        ; implicit-def: $sgpr10
	s_and_saveexec_b64 s[8:9], s[12:13]
; %bb.25698:
	s_mov_b32 s10, 0x7f800001
	s_xor_b64 s[4:5], exec, -1
; %bb.25699:
	s_or_b64 exec, exec, s[8:9]
	s_and_b64 s[4:5], s[4:5], exec
	s_or_saveexec_b64 s[6:7], s[6:7]
	v_mov_b32_e32 v2, s10
	s_xor_b64 exec, exec, s[6:7]
	s_cbranch_execnz .LBB2_25700
; %bb.61537:
	s_getpc_b64 s[14:15]
.Lpost_getpc34352:
	s_add_u32 s14, s14, (.LBB2_11362-.Lpost_getpc34352)&4294967295
	s_addc_u32 s15, s15, (.LBB2_11362-.Lpost_getpc34352)>>32
	s_setpc_b64 s[14:15]
.LBB2_25700:
	v_mov_b32_e32 v2, 0
	v_cmp_ne_u16_sdwa s[8:9], v9, v2 src0_sel:BYTE_0 src1_sel:DWORD
	s_andn2_b64 s[4:5], s[4:5], exec
	s_and_b64 s[8:9], s[8:9], exec
	s_or_b64 s[4:5], s[4:5], s[8:9]
	s_or_b64 exec, exec, s[6:7]
	s_and_saveexec_b64 s[6:7], s[4:5]
	s_cbranch_execz .LBB2_34353
; %bb.61539:
	s_getpc_b64 s[14:15]
.Lpost_getpc34353:
	s_add_u32 s14, s14, (.LBB2_11363-.Lpost_getpc34353)&4294967295
	s_addc_u32 s15, s15, (.LBB2_11363-.Lpost_getpc34353)>>32
	s_setpc_b64 s[14:15]
.LBB2_34353:
	s_getpc_b64 s[14:15]
.Lpost_getpc20760:
	s_add_u32 s14, s14, (.LBB2_11364-.Lpost_getpc20760)&4294967295
	s_addc_u32 s15, s15, (.LBB2_11364-.Lpost_getpc20760)>>32
	s_setpc_b64 s[14:15]
.LBB2_25701:
	s_movk_i32 s4, 0x80
	v_cmp_eq_u16_sdwa s[12:13], v5, s4 src0_sel:BYTE_0 src1_sel:DWORD
	s_mov_b64 s[4:5], -1
                                        ; implicit-def: $sgpr10
	s_and_saveexec_b64 s[8:9], s[12:13]
; %bb.25702:
	s_mov_b32 s10, 0x7f800001
	s_xor_b64 s[4:5], exec, -1
; %bb.25703:
	s_or_b64 exec, exec, s[8:9]
	s_and_b64 s[4:5], s[4:5], exec
	s_or_saveexec_b64 s[6:7], s[6:7]
	v_mov_b32_e32 v3, s10
	s_xor_b64 exec, exec, s[6:7]
	s_cbranch_execnz .LBB2_25704
; %bb.61541:
	s_getpc_b64 s[14:15]
.Lpost_getpc34354:
	s_add_u32 s14, s14, (.LBB2_11366-.Lpost_getpc34354)&4294967295
	s_addc_u32 s15, s15, (.LBB2_11366-.Lpost_getpc34354)>>32
	s_setpc_b64 s[14:15]
.LBB2_25704:
	v_mov_b32_e32 v3, 0
	v_cmp_ne_u16_sdwa s[8:9], v5, v3 src0_sel:BYTE_0 src1_sel:DWORD
	s_andn2_b64 s[4:5], s[4:5], exec
	s_and_b64 s[8:9], s[8:9], exec
	s_or_b64 s[4:5], s[4:5], s[8:9]
	s_or_b64 exec, exec, s[6:7]
	s_and_saveexec_b64 s[6:7], s[4:5]
	s_cbranch_execz .LBB2_34355
; %bb.61543:
	s_getpc_b64 s[14:15]
.Lpost_getpc34355:
	s_add_u32 s14, s14, (.LBB2_11367-.Lpost_getpc34355)&4294967295
	s_addc_u32 s15, s15, (.LBB2_11367-.Lpost_getpc34355)>>32
	s_setpc_b64 s[14:15]
.LBB2_34355:
	s_getpc_b64 s[14:15]
.Lpost_getpc20761:
	s_add_u32 s14, s14, (.LBB2_11368-.Lpost_getpc20761)&4294967295
	s_addc_u32 s15, s15, (.LBB2_11368-.Lpost_getpc20761)>>32
	s_setpc_b64 s[14:15]
.LBB2_25705:
	s_movk_i32 s4, 0x80
	v_cmp_eq_u16_sdwa s[12:13], v3, s4 src0_sel:BYTE_0 src1_sel:DWORD
	s_mov_b64 s[4:5], -1
                                        ; implicit-def: $sgpr10
	s_and_saveexec_b64 s[8:9], s[12:13]
; %bb.25706:
	s_mov_b32 s10, 0x7f800001
	s_xor_b64 s[4:5], exec, -1
; %bb.25707:
	s_or_b64 exec, exec, s[8:9]
	s_and_b64 s[4:5], s[4:5], exec
	s_or_saveexec_b64 s[6:7], s[6:7]
	v_mov_b32_e32 v2, s10
	s_xor_b64 exec, exec, s[6:7]
	s_cbranch_execnz .LBB2_25708
; %bb.61545:
	s_getpc_b64 s[14:15]
.Lpost_getpc34356:
	s_add_u32 s14, s14, (.LBB2_11370-.Lpost_getpc34356)&4294967295
	s_addc_u32 s15, s15, (.LBB2_11370-.Lpost_getpc34356)>>32
	s_setpc_b64 s[14:15]
.LBB2_25708:
	v_mov_b32_e32 v2, 0
	v_cmp_ne_u16_sdwa s[8:9], v3, v2 src0_sel:BYTE_0 src1_sel:DWORD
	s_andn2_b64 s[4:5], s[4:5], exec
	s_and_b64 s[8:9], s[8:9], exec
	s_or_b64 s[4:5], s[4:5], s[8:9]
	s_or_b64 exec, exec, s[6:7]
	s_and_saveexec_b64 s[6:7], s[4:5]
	s_cbranch_execz .LBB2_34357
; %bb.61547:
	s_getpc_b64 s[14:15]
.Lpost_getpc34357:
	s_add_u32 s14, s14, (.LBB2_11371-.Lpost_getpc34357)&4294967295
	s_addc_u32 s15, s15, (.LBB2_11371-.Lpost_getpc34357)>>32
	s_setpc_b64 s[14:15]
.LBB2_34357:
	s_getpc_b64 s[14:15]
.Lpost_getpc20762:
	s_add_u32 s14, s14, (.LBB2_11372-.Lpost_getpc20762)&4294967295
	s_addc_u32 s15, s15, (.LBB2_11372-.Lpost_getpc20762)>>32
	s_setpc_b64 s[14:15]
.LBB2_25709:
	s_movk_i32 s4, 0x80
	v_cmp_eq_u16_sdwa s[12:13], v3, s4 src0_sel:BYTE_0 src1_sel:DWORD
	s_mov_b64 s[4:5], -1
                                        ; implicit-def: $sgpr10
	s_and_saveexec_b64 s[8:9], s[12:13]
; %bb.25710:
	s_mov_b32 s10, 0x7f800001
	s_xor_b64 s[4:5], exec, -1
; %bb.25711:
	s_or_b64 exec, exec, s[8:9]
	s_and_b64 s[4:5], s[4:5], exec
	s_or_saveexec_b64 s[6:7], s[6:7]
	v_mov_b32_e32 v4, s10
	s_xor_b64 exec, exec, s[6:7]
	s_cbranch_execnz .LBB2_25712
; %bb.61549:
	s_getpc_b64 s[14:15]
.Lpost_getpc34358:
	s_add_u32 s14, s14, (.LBB2_11374-.Lpost_getpc34358)&4294967295
	s_addc_u32 s15, s15, (.LBB2_11374-.Lpost_getpc34358)>>32
	s_setpc_b64 s[14:15]
.LBB2_25712:
	v_mov_b32_e32 v4, 0
	v_cmp_ne_u16_sdwa s[8:9], v3, v4 src0_sel:BYTE_0 src1_sel:DWORD
	s_andn2_b64 s[4:5], s[4:5], exec
	s_and_b64 s[8:9], s[8:9], exec
	s_or_b64 s[4:5], s[4:5], s[8:9]
	s_or_b64 exec, exec, s[6:7]
	s_and_saveexec_b64 s[6:7], s[4:5]
	s_cbranch_execz .LBB2_34359
; %bb.61551:
	s_getpc_b64 s[14:15]
.Lpost_getpc34359:
	s_add_u32 s14, s14, (.LBB2_11375-.Lpost_getpc34359)&4294967295
	s_addc_u32 s15, s15, (.LBB2_11375-.Lpost_getpc34359)>>32
	s_setpc_b64 s[14:15]
.LBB2_34359:
	s_getpc_b64 s[14:15]
.Lpost_getpc20763:
	s_add_u32 s14, s14, (.LBB2_11376-.Lpost_getpc20763)&4294967295
	s_addc_u32 s15, s15, (.LBB2_11376-.Lpost_getpc20763)>>32
	s_setpc_b64 s[14:15]
.LBB2_25713:
	s_movk_i32 s4, 0x80
	v_cmp_eq_u16_e32 vcc, s4, v3
	s_mov_b64 s[4:5], -1
                                        ; implicit-def: $sgpr10
	s_and_saveexec_b64 s[8:9], vcc
; %bb.25714:
	s_mov_b32 s10, 0x7f800001
	s_xor_b64 s[4:5], exec, -1
; %bb.25715:
	s_or_b64 exec, exec, s[8:9]
	s_and_b64 s[4:5], s[4:5], exec
                                        ; implicit-def: $vgpr3
	s_or_saveexec_b64 s[6:7], s[6:7]
	v_mov_b32_e32 v2, s10
	s_xor_b64 exec, exec, s[6:7]
	s_cbranch_execnz .LBB2_25716
; %bb.61553:
	s_getpc_b64 s[14:15]
.Lpost_getpc34360:
	s_add_u32 s14, s14, (.LBB2_11378-.Lpost_getpc34360)&4294967295
	s_addc_u32 s15, s15, (.LBB2_11378-.Lpost_getpc34360)>>32
	s_setpc_b64 s[14:15]
.LBB2_25716:
	v_cmp_ne_u16_e32 vcc, 0, v3
	s_andn2_b64 s[4:5], s[4:5], exec
	s_and_b64 s[8:9], vcc, exec
	v_mov_b32_e32 v2, 0
	s_or_b64 s[4:5], s[4:5], s[8:9]
	s_or_b64 exec, exec, s[6:7]
	s_and_saveexec_b64 s[6:7], s[4:5]
	s_cbranch_execz .LBB2_34361
; %bb.61555:
	s_getpc_b64 s[14:15]
.Lpost_getpc34361:
	s_add_u32 s14, s14, (.LBB2_11379-.Lpost_getpc34361)&4294967295
	s_addc_u32 s15, s15, (.LBB2_11379-.Lpost_getpc34361)>>32
	s_setpc_b64 s[14:15]
.LBB2_34361:
	s_getpc_b64 s[14:15]
.Lpost_getpc20764:
	s_add_u32 s14, s14, (.LBB2_11380-.Lpost_getpc20764)&4294967295
	s_addc_u32 s15, s15, (.LBB2_11380-.Lpost_getpc20764)>>32
	s_setpc_b64 s[14:15]
.LBB2_25717:
	s_movk_i32 s4, 0x80
	v_cmp_eq_u16_e32 vcc, s4, v3
	s_mov_b64 s[4:5], -1
                                        ; implicit-def: $sgpr10
	s_and_saveexec_b64 s[8:9], vcc
; %bb.25718:
	s_mov_b32 s10, 0x7f800001
	s_xor_b64 s[4:5], exec, -1
; %bb.25719:
	s_or_b64 exec, exec, s[8:9]
	s_and_b64 s[4:5], s[4:5], exec
                                        ; implicit-def: $vgpr3
	s_or_saveexec_b64 s[6:7], s[6:7]
	v_mov_b32_e32 v4, s10
	s_xor_b64 exec, exec, s[6:7]
	s_cbranch_execnz .LBB2_25720
; %bb.61557:
	s_getpc_b64 s[14:15]
.Lpost_getpc34362:
	s_add_u32 s14, s14, (.LBB2_11382-.Lpost_getpc34362)&4294967295
	s_addc_u32 s15, s15, (.LBB2_11382-.Lpost_getpc34362)>>32
	s_setpc_b64 s[14:15]
.LBB2_25720:
	v_cmp_ne_u16_e32 vcc, 0, v3
	s_andn2_b64 s[4:5], s[4:5], exec
	s_and_b64 s[8:9], vcc, exec
	v_mov_b32_e32 v4, 0
	s_or_b64 s[4:5], s[4:5], s[8:9]
	s_or_b64 exec, exec, s[6:7]
	s_and_saveexec_b64 s[6:7], s[4:5]
	s_cbranch_execz .LBB2_34363
; %bb.61559:
	s_getpc_b64 s[14:15]
.Lpost_getpc34363:
	s_add_u32 s14, s14, (.LBB2_11383-.Lpost_getpc34363)&4294967295
	s_addc_u32 s15, s15, (.LBB2_11383-.Lpost_getpc34363)>>32
	s_setpc_b64 s[14:15]
.LBB2_34363:
	s_getpc_b64 s[14:15]
.Lpost_getpc20765:
	s_add_u32 s14, s14, (.LBB2_11384-.Lpost_getpc20765)&4294967295
	s_addc_u32 s15, s15, (.LBB2_11384-.Lpost_getpc20765)>>32
	s_setpc_b64 s[14:15]
.LBB2_25721:
	s_movk_i32 s4, 0x80
	v_cmp_eq_u16_sdwa s[12:13], v9, s4 src0_sel:BYTE_3 src1_sel:DWORD
	s_mov_b64 s[4:5], -1
                                        ; implicit-def: $sgpr10
	s_and_saveexec_b64 s[8:9], s[12:13]
; %bb.25722:
	s_mov_b32 s10, 0x7f800001
	s_xor_b64 s[4:5], exec, -1
; %bb.25723:
	s_or_b64 exec, exec, s[8:9]
	s_and_b64 s[4:5], s[4:5], exec
	s_or_saveexec_b64 s[6:7], s[6:7]
	v_mov_b32_e32 v2, s10
	s_xor_b64 exec, exec, s[6:7]
	s_cbranch_execnz .LBB2_25724
; %bb.61561:
	s_getpc_b64 s[14:15]
.Lpost_getpc34364:
	s_add_u32 s14, s14, (.LBB2_11386-.Lpost_getpc34364)&4294967295
	s_addc_u32 s15, s15, (.LBB2_11386-.Lpost_getpc34364)>>32
	s_setpc_b64 s[14:15]
.LBB2_25724:
	v_mov_b32_e32 v2, 0
	v_cmp_ne_u16_sdwa s[8:9], v9, v2 src0_sel:BYTE_3 src1_sel:DWORD
	s_andn2_b64 s[4:5], s[4:5], exec
	s_and_b64 s[8:9], s[8:9], exec
	s_or_b64 s[4:5], s[4:5], s[8:9]
	s_or_b64 exec, exec, s[6:7]
	s_and_saveexec_b64 s[6:7], s[4:5]
	s_cbranch_execz .LBB2_34365
; %bb.61563:
	s_getpc_b64 s[14:15]
.Lpost_getpc34365:
	s_add_u32 s14, s14, (.LBB2_11387-.Lpost_getpc34365)&4294967295
	s_addc_u32 s15, s15, (.LBB2_11387-.Lpost_getpc34365)>>32
	s_setpc_b64 s[14:15]
.LBB2_34365:
	s_getpc_b64 s[14:15]
.Lpost_getpc20766:
	s_add_u32 s14, s14, (.LBB2_11388-.Lpost_getpc20766)&4294967295
	s_addc_u32 s15, s15, (.LBB2_11388-.Lpost_getpc20766)>>32
	s_setpc_b64 s[14:15]
.LBB2_25725:
	s_movk_i32 s4, 0x80
	v_cmp_eq_u16_sdwa s[12:13], v5, s4 src0_sel:BYTE_3 src1_sel:DWORD
	s_mov_b64 s[4:5], -1
                                        ; implicit-def: $sgpr10
	s_and_saveexec_b64 s[8:9], s[12:13]
; %bb.25726:
	s_mov_b32 s10, 0x7f800001
	s_xor_b64 s[4:5], exec, -1
; %bb.25727:
	s_or_b64 exec, exec, s[8:9]
	s_and_b64 s[4:5], s[4:5], exec
	s_or_saveexec_b64 s[6:7], s[6:7]
	v_mov_b32_e32 v3, s10
	s_xor_b64 exec, exec, s[6:7]
	s_cbranch_execnz .LBB2_25728
; %bb.61565:
	s_getpc_b64 s[14:15]
.Lpost_getpc34366:
	s_add_u32 s14, s14, (.LBB2_11390-.Lpost_getpc34366)&4294967295
	s_addc_u32 s15, s15, (.LBB2_11390-.Lpost_getpc34366)>>32
	s_setpc_b64 s[14:15]
.LBB2_25728:
	v_mov_b32_e32 v3, 0
	v_cmp_ne_u16_sdwa s[8:9], v5, v3 src0_sel:BYTE_3 src1_sel:DWORD
	s_andn2_b64 s[4:5], s[4:5], exec
	s_and_b64 s[8:9], s[8:9], exec
	s_or_b64 s[4:5], s[4:5], s[8:9]
	s_or_b64 exec, exec, s[6:7]
	s_and_saveexec_b64 s[6:7], s[4:5]
	s_cbranch_execz .LBB2_34367
; %bb.61567:
	s_getpc_b64 s[14:15]
.Lpost_getpc34367:
	s_add_u32 s14, s14, (.LBB2_11391-.Lpost_getpc34367)&4294967295
	s_addc_u32 s15, s15, (.LBB2_11391-.Lpost_getpc34367)>>32
	s_setpc_b64 s[14:15]
.LBB2_34367:
	s_getpc_b64 s[14:15]
.Lpost_getpc20767:
	s_add_u32 s14, s14, (.LBB2_11392-.Lpost_getpc20767)&4294967295
	s_addc_u32 s15, s15, (.LBB2_11392-.Lpost_getpc20767)>>32
	s_setpc_b64 s[14:15]
.LBB2_25729:
	s_movk_i32 s4, 0x80
	v_cmp_eq_u16_sdwa s[12:13], v6, s4 src0_sel:BYTE_0 src1_sel:DWORD
	s_mov_b64 s[4:5], -1
                                        ; implicit-def: $sgpr10
	s_and_saveexec_b64 s[8:9], s[12:13]
; %bb.25730:
	s_mov_b32 s10, 0x7f800001
	s_xor_b64 s[4:5], exec, -1
; %bb.25731:
	s_or_b64 exec, exec, s[8:9]
	s_and_b64 s[4:5], s[4:5], exec
	s_or_saveexec_b64 s[6:7], s[6:7]
	v_mov_b32_e32 v12, s10
	s_xor_b64 exec, exec, s[6:7]
	s_cbranch_execnz .LBB2_25732
; %bb.61569:
	s_getpc_b64 s[14:15]
.Lpost_getpc34368:
	s_add_u32 s14, s14, (.LBB2_11394-.Lpost_getpc34368)&4294967295
	s_addc_u32 s15, s15, (.LBB2_11394-.Lpost_getpc34368)>>32
	s_setpc_b64 s[14:15]
.LBB2_25732:
	v_mov_b32_e32 v12, 0
	v_cmp_ne_u16_sdwa s[8:9], v6, v12 src0_sel:BYTE_0 src1_sel:DWORD
	s_andn2_b64 s[4:5], s[4:5], exec
	s_and_b64 s[8:9], s[8:9], exec
	s_or_b64 s[4:5], s[4:5], s[8:9]
	s_or_b64 exec, exec, s[6:7]
	s_and_saveexec_b64 s[6:7], s[4:5]
	s_cbranch_execz .LBB2_34369
; %bb.61571:
	s_getpc_b64 s[14:15]
.Lpost_getpc34369:
	s_add_u32 s14, s14, (.LBB2_11395-.Lpost_getpc34369)&4294967295
	s_addc_u32 s15, s15, (.LBB2_11395-.Lpost_getpc34369)>>32
	s_setpc_b64 s[14:15]
.LBB2_34369:
	s_getpc_b64 s[14:15]
.Lpost_getpc20768:
	s_add_u32 s14, s14, (.LBB2_11396-.Lpost_getpc20768)&4294967295
	s_addc_u32 s15, s15, (.LBB2_11396-.Lpost_getpc20768)>>32
	s_setpc_b64 s[14:15]
.LBB2_25733:
	s_movk_i32 s4, 0x80
	v_cmp_eq_u16_sdwa s[12:13], v2, s4 src0_sel:BYTE_0 src1_sel:DWORD
	s_mov_b64 s[4:5], -1
                                        ; implicit-def: $sgpr10
	s_and_saveexec_b64 s[8:9], s[12:13]
; %bb.25734:
	s_mov_b32 s10, 0x7f800001
	s_xor_b64 s[4:5], exec, -1
; %bb.25735:
	s_or_b64 exec, exec, s[8:9]
	s_and_b64 s[4:5], s[4:5], exec
	s_or_saveexec_b64 s[6:7], s[6:7]
	v_mov_b32_e32 v13, s10
	s_xor_b64 exec, exec, s[6:7]
	s_cbranch_execnz .LBB2_25736
; %bb.61573:
	s_getpc_b64 s[14:15]
.Lpost_getpc34370:
	s_add_u32 s14, s14, (.LBB2_11398-.Lpost_getpc34370)&4294967295
	s_addc_u32 s15, s15, (.LBB2_11398-.Lpost_getpc34370)>>32
	s_setpc_b64 s[14:15]
.LBB2_25736:
	v_mov_b32_e32 v13, 0
	v_cmp_ne_u16_sdwa s[8:9], v2, v13 src0_sel:BYTE_0 src1_sel:DWORD
	s_andn2_b64 s[4:5], s[4:5], exec
	s_and_b64 s[8:9], s[8:9], exec
	s_or_b64 s[4:5], s[4:5], s[8:9]
	s_or_b64 exec, exec, s[6:7]
	s_and_saveexec_b64 s[6:7], s[4:5]
	s_cbranch_execz .LBB2_34371
; %bb.61575:
	s_getpc_b64 s[14:15]
.Lpost_getpc34371:
	s_add_u32 s14, s14, (.LBB2_11399-.Lpost_getpc34371)&4294967295
	s_addc_u32 s15, s15, (.LBB2_11399-.Lpost_getpc34371)>>32
	s_setpc_b64 s[14:15]
.LBB2_34371:
	s_getpc_b64 s[14:15]
.Lpost_getpc20769:
	s_add_u32 s14, s14, (.LBB2_11400-.Lpost_getpc20769)&4294967295
	s_addc_u32 s15, s15, (.LBB2_11400-.Lpost_getpc20769)>>32
	s_setpc_b64 s[14:15]
.LBB2_25737:
	s_movk_i32 s4, 0x80
	v_cmp_eq_u16_sdwa s[12:13], v13, s4 src0_sel:BYTE_0 src1_sel:DWORD
	s_mov_b64 s[4:5], -1
                                        ; implicit-def: $sgpr10
	s_and_saveexec_b64 s[8:9], s[12:13]
; %bb.25738:
	s_mov_b32 s10, 0x7f800001
	s_xor_b64 s[4:5], exec, -1
; %bb.25739:
	s_or_b64 exec, exec, s[8:9]
	s_and_b64 s[4:5], s[4:5], exec
	s_or_saveexec_b64 s[6:7], s[6:7]
	v_mov_b32_e32 v12, s10
	s_xor_b64 exec, exec, s[6:7]
	s_cbranch_execnz .LBB2_25740
; %bb.61577:
	s_getpc_b64 s[14:15]
.Lpost_getpc34372:
	s_add_u32 s14, s14, (.LBB2_11402-.Lpost_getpc34372)&4294967295
	s_addc_u32 s15, s15, (.LBB2_11402-.Lpost_getpc34372)>>32
	s_setpc_b64 s[14:15]
.LBB2_25740:
	v_mov_b32_e32 v12, 0
	v_cmp_ne_u16_sdwa s[8:9], v13, v12 src0_sel:BYTE_0 src1_sel:DWORD
	s_andn2_b64 s[4:5], s[4:5], exec
	s_and_b64 s[8:9], s[8:9], exec
	s_or_b64 s[4:5], s[4:5], s[8:9]
	s_or_b64 exec, exec, s[6:7]
	s_and_saveexec_b64 s[6:7], s[4:5]
	s_cbranch_execz .LBB2_34373
; %bb.61579:
	s_getpc_b64 s[14:15]
.Lpost_getpc34373:
	s_add_u32 s14, s14, (.LBB2_11403-.Lpost_getpc34373)&4294967295
	s_addc_u32 s15, s15, (.LBB2_11403-.Lpost_getpc34373)>>32
	s_setpc_b64 s[14:15]
.LBB2_34373:
	s_getpc_b64 s[14:15]
.Lpost_getpc20770:
	s_add_u32 s14, s14, (.LBB2_11404-.Lpost_getpc20770)&4294967295
	s_addc_u32 s15, s15, (.LBB2_11404-.Lpost_getpc20770)>>32
	s_setpc_b64 s[14:15]
.LBB2_25741:
	s_movk_i32 s4, 0x80
	v_cmp_eq_u16_sdwa s[12:13], v13, s4 src0_sel:BYTE_0 src1_sel:DWORD
	s_mov_b64 s[4:5], -1
                                        ; implicit-def: $sgpr10
	s_and_saveexec_b64 s[8:9], s[12:13]
; %bb.25742:
	s_mov_b32 s10, 0x7f800001
	s_xor_b64 s[4:5], exec, -1
; %bb.25743:
	s_or_b64 exec, exec, s[8:9]
	s_and_b64 s[4:5], s[4:5], exec
	s_or_saveexec_b64 s[6:7], s[6:7]
	v_mov_b32_e32 v14, s10
	s_xor_b64 exec, exec, s[6:7]
	s_cbranch_execnz .LBB2_25744
; %bb.61581:
	s_getpc_b64 s[14:15]
.Lpost_getpc34374:
	s_add_u32 s14, s14, (.LBB2_11406-.Lpost_getpc34374)&4294967295
	s_addc_u32 s15, s15, (.LBB2_11406-.Lpost_getpc34374)>>32
	s_setpc_b64 s[14:15]
.LBB2_25744:
	v_mov_b32_e32 v14, 0
	v_cmp_ne_u16_sdwa s[8:9], v13, v14 src0_sel:BYTE_0 src1_sel:DWORD
	s_andn2_b64 s[4:5], s[4:5], exec
	s_and_b64 s[8:9], s[8:9], exec
	s_or_b64 s[4:5], s[4:5], s[8:9]
	s_or_b64 exec, exec, s[6:7]
	s_and_saveexec_b64 s[6:7], s[4:5]
	s_cbranch_execz .LBB2_34375
; %bb.61583:
	s_getpc_b64 s[14:15]
.Lpost_getpc34375:
	s_add_u32 s14, s14, (.LBB2_11407-.Lpost_getpc34375)&4294967295
	s_addc_u32 s15, s15, (.LBB2_11407-.Lpost_getpc34375)>>32
	s_setpc_b64 s[14:15]
.LBB2_34375:
	s_getpc_b64 s[14:15]
.Lpost_getpc20771:
	s_add_u32 s14, s14, (.LBB2_11408-.Lpost_getpc20771)&4294967295
	s_addc_u32 s15, s15, (.LBB2_11408-.Lpost_getpc20771)>>32
	s_setpc_b64 s[14:15]
.LBB2_25745:
	s_movk_i32 s4, 0x80
	v_cmp_eq_u16_e32 vcc, s4, v13
	s_mov_b64 s[4:5], -1
                                        ; implicit-def: $sgpr10
	s_and_saveexec_b64 s[8:9], vcc
; %bb.25746:
	s_mov_b32 s10, 0x7f800001
	s_xor_b64 s[4:5], exec, -1
; %bb.25747:
	s_or_b64 exec, exec, s[8:9]
	s_and_b64 s[4:5], s[4:5], exec
                                        ; implicit-def: $vgpr13
	s_or_saveexec_b64 s[6:7], s[6:7]
	v_mov_b32_e32 v12, s10
	s_xor_b64 exec, exec, s[6:7]
	s_cbranch_execnz .LBB2_25748
; %bb.61585:
	s_getpc_b64 s[14:15]
.Lpost_getpc34376:
	s_add_u32 s14, s14, (.LBB2_11410-.Lpost_getpc34376)&4294967295
	s_addc_u32 s15, s15, (.LBB2_11410-.Lpost_getpc34376)>>32
	s_setpc_b64 s[14:15]
.LBB2_25748:
	v_cmp_ne_u16_e32 vcc, 0, v13
	s_andn2_b64 s[4:5], s[4:5], exec
	s_and_b64 s[8:9], vcc, exec
	v_mov_b32_e32 v12, 0
	s_or_b64 s[4:5], s[4:5], s[8:9]
	s_or_b64 exec, exec, s[6:7]
	s_and_saveexec_b64 s[6:7], s[4:5]
	s_cbranch_execz .LBB2_34377
; %bb.61587:
	s_getpc_b64 s[14:15]
.Lpost_getpc34377:
	s_add_u32 s14, s14, (.LBB2_11411-.Lpost_getpc34377)&4294967295
	s_addc_u32 s15, s15, (.LBB2_11411-.Lpost_getpc34377)>>32
	s_setpc_b64 s[14:15]
.LBB2_34377:
	s_getpc_b64 s[14:15]
.Lpost_getpc20772:
	s_add_u32 s14, s14, (.LBB2_11412-.Lpost_getpc20772)&4294967295
	s_addc_u32 s15, s15, (.LBB2_11412-.Lpost_getpc20772)>>32
	s_setpc_b64 s[14:15]
.LBB2_25749:
	s_movk_i32 s4, 0x80
	v_cmp_eq_u16_e32 vcc, s4, v13
	s_mov_b64 s[4:5], -1
                                        ; implicit-def: $sgpr10
	s_and_saveexec_b64 s[8:9], vcc
; %bb.25750:
	s_mov_b32 s10, 0x7f800001
	s_xor_b64 s[4:5], exec, -1
; %bb.25751:
	s_or_b64 exec, exec, s[8:9]
	s_and_b64 s[4:5], s[4:5], exec
                                        ; implicit-def: $vgpr13
	s_or_saveexec_b64 s[6:7], s[6:7]
	v_mov_b32_e32 v14, s10
	s_xor_b64 exec, exec, s[6:7]
	s_cbranch_execnz .LBB2_25752
; %bb.61589:
	s_getpc_b64 s[14:15]
.Lpost_getpc34378:
	s_add_u32 s14, s14, (.LBB2_11414-.Lpost_getpc34378)&4294967295
	s_addc_u32 s15, s15, (.LBB2_11414-.Lpost_getpc34378)>>32
	s_setpc_b64 s[14:15]
.LBB2_25752:
	v_cmp_ne_u16_e32 vcc, 0, v13
	s_andn2_b64 s[4:5], s[4:5], exec
	s_and_b64 s[8:9], vcc, exec
	v_mov_b32_e32 v14, 0
	s_or_b64 s[4:5], s[4:5], s[8:9]
	s_or_b64 exec, exec, s[6:7]
	s_and_saveexec_b64 s[6:7], s[4:5]
	s_cbranch_execz .LBB2_34379
; %bb.61591:
	s_getpc_b64 s[14:15]
.Lpost_getpc34379:
	s_add_u32 s14, s14, (.LBB2_11415-.Lpost_getpc34379)&4294967295
	s_addc_u32 s15, s15, (.LBB2_11415-.Lpost_getpc34379)>>32
	s_setpc_b64 s[14:15]
.LBB2_34379:
	s_getpc_b64 s[14:15]
.Lpost_getpc20773:
	s_add_u32 s14, s14, (.LBB2_11416-.Lpost_getpc20773)&4294967295
	s_addc_u32 s15, s15, (.LBB2_11416-.Lpost_getpc20773)>>32
	s_setpc_b64 s[14:15]
.LBB2_25753:
	s_movk_i32 s4, 0x80
	v_cmp_eq_u16_sdwa s[12:13], v6, s4 src0_sel:BYTE_3 src1_sel:DWORD
	s_mov_b64 s[4:5], -1
                                        ; implicit-def: $sgpr10
	s_and_saveexec_b64 s[8:9], s[12:13]
; %bb.25754:
	s_mov_b32 s10, 0x7f800001
	s_xor_b64 s[4:5], exec, -1
; %bb.25755:
	s_or_b64 exec, exec, s[8:9]
	s_and_b64 s[4:5], s[4:5], exec
	s_or_saveexec_b64 s[6:7], s[6:7]
	v_mov_b32_e32 v12, s10
	s_xor_b64 exec, exec, s[6:7]
	s_cbranch_execnz .LBB2_25756
; %bb.61593:
	s_getpc_b64 s[14:15]
.Lpost_getpc34380:
	s_add_u32 s14, s14, (.LBB2_11418-.Lpost_getpc34380)&4294967295
	s_addc_u32 s15, s15, (.LBB2_11418-.Lpost_getpc34380)>>32
	s_setpc_b64 s[14:15]
.LBB2_25756:
	v_mov_b32_e32 v12, 0
	v_cmp_ne_u16_sdwa s[8:9], v6, v12 src0_sel:BYTE_3 src1_sel:DWORD
	s_andn2_b64 s[4:5], s[4:5], exec
	s_and_b64 s[8:9], s[8:9], exec
	s_or_b64 s[4:5], s[4:5], s[8:9]
	s_or_b64 exec, exec, s[6:7]
	s_and_saveexec_b64 s[6:7], s[4:5]
	s_cbranch_execz .LBB2_34381
; %bb.61595:
	s_getpc_b64 s[14:15]
.Lpost_getpc34381:
	s_add_u32 s14, s14, (.LBB2_11419-.Lpost_getpc34381)&4294967295
	s_addc_u32 s15, s15, (.LBB2_11419-.Lpost_getpc34381)>>32
	s_setpc_b64 s[14:15]
.LBB2_34381:
	s_getpc_b64 s[14:15]
.Lpost_getpc20774:
	s_add_u32 s14, s14, (.LBB2_11420-.Lpost_getpc20774)&4294967295
	s_addc_u32 s15, s15, (.LBB2_11420-.Lpost_getpc20774)>>32
	s_setpc_b64 s[14:15]
.LBB2_25757:
	s_movk_i32 s4, 0x80
	v_cmp_eq_u16_sdwa s[12:13], v2, s4 src0_sel:BYTE_3 src1_sel:DWORD
	s_mov_b64 s[4:5], -1
                                        ; implicit-def: $sgpr10
	s_and_saveexec_b64 s[8:9], s[12:13]
; %bb.25758:
	s_mov_b32 s10, 0x7f800001
	s_xor_b64 s[4:5], exec, -1
; %bb.25759:
	s_or_b64 exec, exec, s[8:9]
	s_and_b64 s[4:5], s[4:5], exec
	s_or_saveexec_b64 s[6:7], s[6:7]
	v_mov_b32_e32 v6, s10
	s_xor_b64 exec, exec, s[6:7]
	s_cbranch_execnz .LBB2_25760
; %bb.61597:
	s_getpc_b64 s[14:15]
.Lpost_getpc34382:
	s_add_u32 s14, s14, (.LBB2_11422-.Lpost_getpc34382)&4294967295
	s_addc_u32 s15, s15, (.LBB2_11422-.Lpost_getpc34382)>>32
	s_setpc_b64 s[14:15]
.LBB2_25760:
	v_mov_b32_e32 v6, 0
	v_cmp_ne_u16_sdwa s[8:9], v2, v6 src0_sel:BYTE_3 src1_sel:DWORD
	s_andn2_b64 s[4:5], s[4:5], exec
	s_and_b64 s[8:9], s[8:9], exec
	s_or_b64 s[4:5], s[4:5], s[8:9]
	s_or_b64 exec, exec, s[6:7]
	s_and_saveexec_b64 s[6:7], s[4:5]
	s_cbranch_execz .LBB2_34383
; %bb.61599:
	s_getpc_b64 s[14:15]
.Lpost_getpc34383:
	s_add_u32 s14, s14, (.LBB2_11423-.Lpost_getpc34383)&4294967295
	s_addc_u32 s15, s15, (.LBB2_11423-.Lpost_getpc34383)>>32
	s_setpc_b64 s[14:15]
.LBB2_34383:
	s_getpc_b64 s[14:15]
.Lpost_getpc20775:
	s_add_u32 s14, s14, (.LBB2_11424-.Lpost_getpc20775)&4294967295
	s_addc_u32 s15, s15, (.LBB2_11424-.Lpost_getpc20775)>>32
	s_setpc_b64 s[14:15]
.LBB2_25761:
	s_movk_i32 s4, 0x80
	v_cmp_eq_u16_sdwa s[12:13], v7, s4 src0_sel:BYTE_0 src1_sel:DWORD
	s_mov_b64 s[4:5], -1
                                        ; implicit-def: $sgpr10
	s_and_saveexec_b64 s[8:9], s[12:13]
; %bb.25762:
	s_mov_b32 s10, 0x7f800001
	s_xor_b64 s[4:5], exec, -1
; %bb.25763:
	s_or_b64 exec, exec, s[8:9]
	s_and_b64 s[4:5], s[4:5], exec
	s_or_saveexec_b64 s[6:7], s[6:7]
	v_mov_b32_e32 v2, s10
	s_xor_b64 exec, exec, s[6:7]
	s_cbranch_execnz .LBB2_25764
; %bb.61601:
	s_getpc_b64 s[14:15]
.Lpost_getpc34384:
	s_add_u32 s14, s14, (.LBB2_11426-.Lpost_getpc34384)&4294967295
	s_addc_u32 s15, s15, (.LBB2_11426-.Lpost_getpc34384)>>32
	s_setpc_b64 s[14:15]
.LBB2_25764:
	v_mov_b32_e32 v2, 0
	v_cmp_ne_u16_sdwa s[8:9], v7, v2 src0_sel:BYTE_0 src1_sel:DWORD
	s_andn2_b64 s[4:5], s[4:5], exec
	s_and_b64 s[8:9], s[8:9], exec
	s_or_b64 s[4:5], s[4:5], s[8:9]
	s_or_b64 exec, exec, s[6:7]
	s_and_saveexec_b64 s[6:7], s[4:5]
	s_cbranch_execz .LBB2_34385
; %bb.61603:
	s_getpc_b64 s[14:15]
.Lpost_getpc34385:
	s_add_u32 s14, s14, (.LBB2_11427-.Lpost_getpc34385)&4294967295
	s_addc_u32 s15, s15, (.LBB2_11427-.Lpost_getpc34385)>>32
	s_setpc_b64 s[14:15]
.LBB2_34385:
	s_getpc_b64 s[14:15]
.Lpost_getpc20776:
	s_add_u32 s14, s14, (.LBB2_11428-.Lpost_getpc20776)&4294967295
	s_addc_u32 s15, s15, (.LBB2_11428-.Lpost_getpc20776)>>32
	s_setpc_b64 s[14:15]
.LBB2_25765:
	s_movk_i32 s4, 0x80
	v_cmp_eq_u16_sdwa s[12:13], v3, s4 src0_sel:BYTE_0 src1_sel:DWORD
	s_mov_b64 s[4:5], -1
                                        ; implicit-def: $sgpr10
	s_and_saveexec_b64 s[8:9], s[12:13]
; %bb.25766:
	s_mov_b32 s10, 0x7f800001
	s_xor_b64 s[4:5], exec, -1
; %bb.25767:
	s_or_b64 exec, exec, s[8:9]
	s_and_b64 s[4:5], s[4:5], exec
	s_or_saveexec_b64 s[6:7], s[6:7]
	v_mov_b32_e32 v6, s10
	s_xor_b64 exec, exec, s[6:7]
	s_cbranch_execnz .LBB2_25768
; %bb.61605:
	s_getpc_b64 s[14:15]
.Lpost_getpc34386:
	s_add_u32 s14, s14, (.LBB2_11430-.Lpost_getpc34386)&4294967295
	s_addc_u32 s15, s15, (.LBB2_11430-.Lpost_getpc34386)>>32
	s_setpc_b64 s[14:15]
.LBB2_25768:
	v_mov_b32_e32 v6, 0
	v_cmp_ne_u16_sdwa s[8:9], v3, v6 src0_sel:BYTE_0 src1_sel:DWORD
	s_andn2_b64 s[4:5], s[4:5], exec
	s_and_b64 s[8:9], s[8:9], exec
	s_or_b64 s[4:5], s[4:5], s[8:9]
	s_or_b64 exec, exec, s[6:7]
	s_and_saveexec_b64 s[6:7], s[4:5]
	s_cbranch_execz .LBB2_34387
; %bb.61607:
	s_getpc_b64 s[14:15]
.Lpost_getpc34387:
	s_add_u32 s14, s14, (.LBB2_11431-.Lpost_getpc34387)&4294967295
	s_addc_u32 s15, s15, (.LBB2_11431-.Lpost_getpc34387)>>32
	s_setpc_b64 s[14:15]
.LBB2_34387:
	s_getpc_b64 s[14:15]
.Lpost_getpc20777:
	s_add_u32 s14, s14, (.LBB2_11432-.Lpost_getpc20777)&4294967295
	s_addc_u32 s15, s15, (.LBB2_11432-.Lpost_getpc20777)>>32
	s_setpc_b64 s[14:15]
.LBB2_25769:
	s_movk_i32 s4, 0x80
	v_cmp_eq_u16_sdwa s[12:13], v6, s4 src0_sel:BYTE_0 src1_sel:DWORD
	s_mov_b64 s[4:5], -1
                                        ; implicit-def: $sgpr10
	s_and_saveexec_b64 s[8:9], s[12:13]
; %bb.25770:
	s_mov_b32 s10, 0x7f800001
	s_xor_b64 s[4:5], exec, -1
; %bb.25771:
	s_or_b64 exec, exec, s[8:9]
	s_and_b64 s[4:5], s[4:5], exec
	s_or_saveexec_b64 s[6:7], s[6:7]
	v_mov_b32_e32 v2, s10
	s_xor_b64 exec, exec, s[6:7]
	s_cbranch_execnz .LBB2_25772
; %bb.61609:
	s_getpc_b64 s[14:15]
.Lpost_getpc34388:
	s_add_u32 s14, s14, (.LBB2_11434-.Lpost_getpc34388)&4294967295
	s_addc_u32 s15, s15, (.LBB2_11434-.Lpost_getpc34388)>>32
	s_setpc_b64 s[14:15]
.LBB2_25772:
	v_mov_b32_e32 v2, 0
	v_cmp_ne_u16_sdwa s[8:9], v6, v2 src0_sel:BYTE_0 src1_sel:DWORD
	s_andn2_b64 s[4:5], s[4:5], exec
	s_and_b64 s[8:9], s[8:9], exec
	s_or_b64 s[4:5], s[4:5], s[8:9]
	s_or_b64 exec, exec, s[6:7]
	s_and_saveexec_b64 s[6:7], s[4:5]
	s_cbranch_execz .LBB2_34389
; %bb.61611:
	s_getpc_b64 s[14:15]
.Lpost_getpc34389:
	s_add_u32 s14, s14, (.LBB2_11435-.Lpost_getpc34389)&4294967295
	s_addc_u32 s15, s15, (.LBB2_11435-.Lpost_getpc34389)>>32
	s_setpc_b64 s[14:15]
.LBB2_34389:
	s_getpc_b64 s[14:15]
.Lpost_getpc20778:
	s_add_u32 s14, s14, (.LBB2_11436-.Lpost_getpc20778)&4294967295
	s_addc_u32 s15, s15, (.LBB2_11436-.Lpost_getpc20778)>>32
	s_setpc_b64 s[14:15]
.LBB2_25773:
	s_movk_i32 s4, 0x80
	v_cmp_eq_u16_sdwa s[12:13], v6, s4 src0_sel:BYTE_0 src1_sel:DWORD
	s_mov_b64 s[4:5], -1
                                        ; implicit-def: $sgpr10
	s_and_saveexec_b64 s[8:9], s[12:13]
; %bb.25774:
	s_mov_b32 s10, 0x7f800001
	s_xor_b64 s[4:5], exec, -1
; %bb.25775:
	s_or_b64 exec, exec, s[8:9]
	s_and_b64 s[4:5], s[4:5], exec
	s_or_saveexec_b64 s[6:7], s[6:7]
	v_mov_b32_e32 v12, s10
	s_xor_b64 exec, exec, s[6:7]
	s_cbranch_execnz .LBB2_25776
; %bb.61613:
	s_getpc_b64 s[14:15]
.Lpost_getpc34390:
	s_add_u32 s14, s14, (.LBB2_11438-.Lpost_getpc34390)&4294967295
	s_addc_u32 s15, s15, (.LBB2_11438-.Lpost_getpc34390)>>32
	s_setpc_b64 s[14:15]
.LBB2_25776:
	v_mov_b32_e32 v12, 0
	v_cmp_ne_u16_sdwa s[8:9], v6, v12 src0_sel:BYTE_0 src1_sel:DWORD
	s_andn2_b64 s[4:5], s[4:5], exec
	s_and_b64 s[8:9], s[8:9], exec
	s_or_b64 s[4:5], s[4:5], s[8:9]
	s_or_b64 exec, exec, s[6:7]
	s_and_saveexec_b64 s[6:7], s[4:5]
	s_cbranch_execz .LBB2_34391
; %bb.61615:
	s_getpc_b64 s[14:15]
.Lpost_getpc34391:
	s_add_u32 s14, s14, (.LBB2_11439-.Lpost_getpc34391)&4294967295
	s_addc_u32 s15, s15, (.LBB2_11439-.Lpost_getpc34391)>>32
	s_setpc_b64 s[14:15]
.LBB2_34391:
	s_getpc_b64 s[14:15]
.Lpost_getpc20779:
	s_add_u32 s14, s14, (.LBB2_11440-.Lpost_getpc20779)&4294967295
	s_addc_u32 s15, s15, (.LBB2_11440-.Lpost_getpc20779)>>32
	s_setpc_b64 s[14:15]
.LBB2_25777:
	s_movk_i32 s4, 0x80
	v_cmp_eq_u16_e32 vcc, s4, v6
	s_mov_b64 s[4:5], -1
                                        ; implicit-def: $sgpr10
	s_and_saveexec_b64 s[8:9], vcc
; %bb.25778:
	s_mov_b32 s10, 0x7f800001
	s_xor_b64 s[4:5], exec, -1
; %bb.25779:
	s_or_b64 exec, exec, s[8:9]
	s_and_b64 s[4:5], s[4:5], exec
                                        ; implicit-def: $vgpr6
	s_or_saveexec_b64 s[6:7], s[6:7]
	v_mov_b32_e32 v2, s10
	s_xor_b64 exec, exec, s[6:7]
	s_cbranch_execnz .LBB2_25780
; %bb.61617:
	s_getpc_b64 s[14:15]
.Lpost_getpc34392:
	s_add_u32 s14, s14, (.LBB2_11442-.Lpost_getpc34392)&4294967295
	s_addc_u32 s15, s15, (.LBB2_11442-.Lpost_getpc34392)>>32
	s_setpc_b64 s[14:15]
.LBB2_25780:
	v_cmp_ne_u16_e32 vcc, 0, v6
	s_andn2_b64 s[4:5], s[4:5], exec
	s_and_b64 s[8:9], vcc, exec
	v_mov_b32_e32 v2, 0
	s_or_b64 s[4:5], s[4:5], s[8:9]
	s_or_b64 exec, exec, s[6:7]
	s_and_saveexec_b64 s[6:7], s[4:5]
	s_cbranch_execz .LBB2_34393
; %bb.61619:
	s_getpc_b64 s[14:15]
.Lpost_getpc34393:
	s_add_u32 s14, s14, (.LBB2_11443-.Lpost_getpc34393)&4294967295
	s_addc_u32 s15, s15, (.LBB2_11443-.Lpost_getpc34393)>>32
	s_setpc_b64 s[14:15]
.LBB2_34393:
	s_getpc_b64 s[14:15]
.Lpost_getpc20780:
	s_add_u32 s14, s14, (.LBB2_11444-.Lpost_getpc20780)&4294967295
	s_addc_u32 s15, s15, (.LBB2_11444-.Lpost_getpc20780)>>32
	s_setpc_b64 s[14:15]
.LBB2_25781:
	s_movk_i32 s4, 0x80
	v_cmp_eq_u16_e32 vcc, s4, v6
	s_mov_b64 s[4:5], -1
                                        ; implicit-def: $sgpr10
	s_and_saveexec_b64 s[8:9], vcc
; %bb.25782:
	s_mov_b32 s10, 0x7f800001
	s_xor_b64 s[4:5], exec, -1
; %bb.25783:
	s_or_b64 exec, exec, s[8:9]
	s_and_b64 s[4:5], s[4:5], exec
                                        ; implicit-def: $vgpr6
	s_or_saveexec_b64 s[6:7], s[6:7]
	v_mov_b32_e32 v12, s10
	s_xor_b64 exec, exec, s[6:7]
	s_cbranch_execnz .LBB2_25784
; %bb.61621:
	s_getpc_b64 s[14:15]
.Lpost_getpc34394:
	s_add_u32 s14, s14, (.LBB2_11446-.Lpost_getpc34394)&4294967295
	s_addc_u32 s15, s15, (.LBB2_11446-.Lpost_getpc34394)>>32
	s_setpc_b64 s[14:15]
.LBB2_25784:
	v_cmp_ne_u16_e32 vcc, 0, v6
	s_andn2_b64 s[4:5], s[4:5], exec
	s_and_b64 s[8:9], vcc, exec
	v_mov_b32_e32 v12, 0
	s_or_b64 s[4:5], s[4:5], s[8:9]
	s_or_b64 exec, exec, s[6:7]
	s_and_saveexec_b64 s[6:7], s[4:5]
	s_cbranch_execz .LBB2_34395
; %bb.61623:
	s_getpc_b64 s[14:15]
.Lpost_getpc34395:
	s_add_u32 s14, s14, (.LBB2_11447-.Lpost_getpc34395)&4294967295
	s_addc_u32 s15, s15, (.LBB2_11447-.Lpost_getpc34395)>>32
	s_setpc_b64 s[14:15]
.LBB2_34395:
	s_getpc_b64 s[14:15]
.Lpost_getpc20781:
	s_add_u32 s14, s14, (.LBB2_11448-.Lpost_getpc20781)&4294967295
	s_addc_u32 s15, s15, (.LBB2_11448-.Lpost_getpc20781)>>32
	s_setpc_b64 s[14:15]
.LBB2_25785:
	s_movk_i32 s4, 0x80
	v_cmp_eq_u16_sdwa s[12:13], v7, s4 src0_sel:BYTE_3 src1_sel:DWORD
	s_mov_b64 s[4:5], -1
                                        ; implicit-def: $sgpr10
	s_and_saveexec_b64 s[8:9], s[12:13]
; %bb.25786:
	s_mov_b32 s10, 0x7f800001
	s_xor_b64 s[4:5], exec, -1
; %bb.25787:
	s_or_b64 exec, exec, s[8:9]
	s_and_b64 s[4:5], s[4:5], exec
	s_or_saveexec_b64 s[6:7], s[6:7]
	v_mov_b32_e32 v2, s10
	s_xor_b64 exec, exec, s[6:7]
	s_cbranch_execnz .LBB2_25788
; %bb.61625:
	s_getpc_b64 s[14:15]
.Lpost_getpc34396:
	s_add_u32 s14, s14, (.LBB2_11450-.Lpost_getpc34396)&4294967295
	s_addc_u32 s15, s15, (.LBB2_11450-.Lpost_getpc34396)>>32
	s_setpc_b64 s[14:15]
.LBB2_25788:
	v_mov_b32_e32 v2, 0
	v_cmp_ne_u16_sdwa s[8:9], v7, v2 src0_sel:BYTE_3 src1_sel:DWORD
	s_andn2_b64 s[4:5], s[4:5], exec
	s_and_b64 s[8:9], s[8:9], exec
	s_or_b64 s[4:5], s[4:5], s[8:9]
	s_or_b64 exec, exec, s[6:7]
	s_and_saveexec_b64 s[6:7], s[4:5]
	s_cbranch_execz .LBB2_34397
; %bb.61627:
	s_getpc_b64 s[14:15]
.Lpost_getpc34397:
	s_add_u32 s14, s14, (.LBB2_11451-.Lpost_getpc34397)&4294967295
	s_addc_u32 s15, s15, (.LBB2_11451-.Lpost_getpc34397)>>32
	s_setpc_b64 s[14:15]
.LBB2_34397:
	s_getpc_b64 s[14:15]
.Lpost_getpc20782:
	s_add_u32 s14, s14, (.LBB2_11452-.Lpost_getpc20782)&4294967295
	s_addc_u32 s15, s15, (.LBB2_11452-.Lpost_getpc20782)>>32
	s_setpc_b64 s[14:15]
.LBB2_25789:
	s_movk_i32 s4, 0x80
	v_cmp_eq_u16_sdwa s[12:13], v3, s4 src0_sel:BYTE_3 src1_sel:DWORD
	s_mov_b64 s[4:5], -1
                                        ; implicit-def: $sgpr10
	s_and_saveexec_b64 s[8:9], s[12:13]
; %bb.25790:
	s_mov_b32 s10, 0x7f800001
	s_xor_b64 s[4:5], exec, -1
; %bb.25791:
	s_or_b64 exec, exec, s[8:9]
	s_and_b64 s[4:5], s[4:5], exec
	s_or_saveexec_b64 s[6:7], s[6:7]
	v_mov_b32_e32 v6, s10
	s_xor_b64 exec, exec, s[6:7]
	s_cbranch_execnz .LBB2_25792
; %bb.61629:
	s_getpc_b64 s[14:15]
.Lpost_getpc34398:
	s_add_u32 s14, s14, (.LBB2_11454-.Lpost_getpc34398)&4294967295
	s_addc_u32 s15, s15, (.LBB2_11454-.Lpost_getpc34398)>>32
	s_setpc_b64 s[14:15]
.LBB2_25792:
	v_mov_b32_e32 v6, 0
	v_cmp_ne_u16_sdwa s[8:9], v3, v6 src0_sel:BYTE_3 src1_sel:DWORD
	s_andn2_b64 s[4:5], s[4:5], exec
	s_and_b64 s[8:9], s[8:9], exec
	s_or_b64 s[4:5], s[4:5], s[8:9]
	s_or_b64 exec, exec, s[6:7]
	s_and_saveexec_b64 s[6:7], s[4:5]
	s_cbranch_execz .LBB2_34399
; %bb.61631:
	s_getpc_b64 s[14:15]
.Lpost_getpc34399:
	s_add_u32 s14, s14, (.LBB2_11455-.Lpost_getpc34399)&4294967295
	s_addc_u32 s15, s15, (.LBB2_11455-.Lpost_getpc34399)>>32
	s_setpc_b64 s[14:15]
.LBB2_34399:
	s_getpc_b64 s[14:15]
.Lpost_getpc20783:
	s_add_u32 s14, s14, (.LBB2_11456-.Lpost_getpc20783)&4294967295
	s_addc_u32 s15, s15, (.LBB2_11456-.Lpost_getpc20783)>>32
	s_setpc_b64 s[14:15]
.LBB2_25793:
	s_movk_i32 s4, 0x80
	v_cmp_eq_u16_sdwa s[12:13], v8, s4 src0_sel:BYTE_0 src1_sel:DWORD
	s_mov_b64 s[4:5], -1
                                        ; implicit-def: $sgpr10
	s_and_saveexec_b64 s[8:9], s[12:13]
; %bb.25794:
	s_mov_b32 s10, 0x7f800001
	s_xor_b64 s[4:5], exec, -1
; %bb.25795:
	s_or_b64 exec, exec, s[8:9]
	s_and_b64 s[4:5], s[4:5], exec
	s_or_saveexec_b64 s[6:7], s[6:7]
	v_mov_b32_e32 v2, s10
	s_xor_b64 exec, exec, s[6:7]
	s_cbranch_execnz .LBB2_25796
; %bb.61633:
	s_getpc_b64 s[14:15]
.Lpost_getpc34400:
	s_add_u32 s14, s14, (.LBB2_11458-.Lpost_getpc34400)&4294967295
	s_addc_u32 s15, s15, (.LBB2_11458-.Lpost_getpc34400)>>32
	s_setpc_b64 s[14:15]
.LBB2_25796:
	v_mov_b32_e32 v2, 0
	v_cmp_ne_u16_sdwa s[8:9], v8, v2 src0_sel:BYTE_0 src1_sel:DWORD
	s_andn2_b64 s[4:5], s[4:5], exec
	s_and_b64 s[8:9], s[8:9], exec
	s_or_b64 s[4:5], s[4:5], s[8:9]
	s_or_b64 exec, exec, s[6:7]
	s_and_saveexec_b64 s[6:7], s[4:5]
	s_cbranch_execz .LBB2_34401
; %bb.61635:
	s_getpc_b64 s[14:15]
.Lpost_getpc34401:
	s_add_u32 s14, s14, (.LBB2_11459-.Lpost_getpc34401)&4294967295
	s_addc_u32 s15, s15, (.LBB2_11459-.Lpost_getpc34401)>>32
	s_setpc_b64 s[14:15]
.LBB2_34401:
	s_getpc_b64 s[14:15]
.Lpost_getpc20784:
	s_add_u32 s14, s14, (.LBB2_11460-.Lpost_getpc20784)&4294967295
	s_addc_u32 s15, s15, (.LBB2_11460-.Lpost_getpc20784)>>32
	s_setpc_b64 s[14:15]
.LBB2_25797:
	s_movk_i32 s4, 0x80
	v_cmp_eq_u16_sdwa s[12:13], v4, s4 src0_sel:BYTE_0 src1_sel:DWORD
	s_mov_b64 s[4:5], -1
                                        ; implicit-def: $sgpr10
	s_and_saveexec_b64 s[8:9], s[12:13]
; %bb.25798:
	s_mov_b32 s10, 0x7f800001
	s_xor_b64 s[4:5], exec, -1
; %bb.25799:
	s_or_b64 exec, exec, s[8:9]
	s_and_b64 s[4:5], s[4:5], exec
	s_or_saveexec_b64 s[6:7], s[6:7]
	v_mov_b32_e32 v3, s10
	s_xor_b64 exec, exec, s[6:7]
	s_cbranch_execnz .LBB2_25800
; %bb.61637:
	s_getpc_b64 s[14:15]
.Lpost_getpc34402:
	s_add_u32 s14, s14, (.LBB2_11462-.Lpost_getpc34402)&4294967295
	s_addc_u32 s15, s15, (.LBB2_11462-.Lpost_getpc34402)>>32
	s_setpc_b64 s[14:15]
.LBB2_25800:
	v_mov_b32_e32 v3, 0
	v_cmp_ne_u16_sdwa s[8:9], v4, v3 src0_sel:BYTE_0 src1_sel:DWORD
	s_andn2_b64 s[4:5], s[4:5], exec
	s_and_b64 s[8:9], s[8:9], exec
	s_or_b64 s[4:5], s[4:5], s[8:9]
	s_or_b64 exec, exec, s[6:7]
	s_and_saveexec_b64 s[6:7], s[4:5]
	s_cbranch_execz .LBB2_34403
; %bb.61639:
	s_getpc_b64 s[14:15]
.Lpost_getpc34403:
	s_add_u32 s14, s14, (.LBB2_11463-.Lpost_getpc34403)&4294967295
	s_addc_u32 s15, s15, (.LBB2_11463-.Lpost_getpc34403)>>32
	s_setpc_b64 s[14:15]
.LBB2_34403:
	s_getpc_b64 s[14:15]
.Lpost_getpc20785:
	s_add_u32 s14, s14, (.LBB2_11464-.Lpost_getpc20785)&4294967295
	s_addc_u32 s15, s15, (.LBB2_11464-.Lpost_getpc20785)>>32
	s_setpc_b64 s[14:15]
.LBB2_25801:
	s_movk_i32 s4, 0x80
	v_cmp_eq_u16_sdwa s[12:13], v3, s4 src0_sel:BYTE_0 src1_sel:DWORD
	s_mov_b64 s[4:5], -1
                                        ; implicit-def: $sgpr10
	s_and_saveexec_b64 s[8:9], s[12:13]
; %bb.25802:
	s_mov_b32 s10, 0x7f800001
	s_xor_b64 s[4:5], exec, -1
; %bb.25803:
	s_or_b64 exec, exec, s[8:9]
	s_and_b64 s[4:5], s[4:5], exec
	s_or_saveexec_b64 s[6:7], s[6:7]
	v_mov_b32_e32 v2, s10
	s_xor_b64 exec, exec, s[6:7]
	s_cbranch_execnz .LBB2_25804
; %bb.61641:
	s_getpc_b64 s[14:15]
.Lpost_getpc34404:
	s_add_u32 s14, s14, (.LBB2_11466-.Lpost_getpc34404)&4294967295
	s_addc_u32 s15, s15, (.LBB2_11466-.Lpost_getpc34404)>>32
	s_setpc_b64 s[14:15]
.LBB2_25804:
	v_mov_b32_e32 v2, 0
	v_cmp_ne_u16_sdwa s[8:9], v3, v2 src0_sel:BYTE_0 src1_sel:DWORD
	s_andn2_b64 s[4:5], s[4:5], exec
	s_and_b64 s[8:9], s[8:9], exec
	s_or_b64 s[4:5], s[4:5], s[8:9]
	s_or_b64 exec, exec, s[6:7]
	s_and_saveexec_b64 s[6:7], s[4:5]
	s_cbranch_execz .LBB2_34405
; %bb.61643:
	s_getpc_b64 s[14:15]
.Lpost_getpc34405:
	s_add_u32 s14, s14, (.LBB2_11467-.Lpost_getpc34405)&4294967295
	s_addc_u32 s15, s15, (.LBB2_11467-.Lpost_getpc34405)>>32
	s_setpc_b64 s[14:15]
.LBB2_34405:
	s_getpc_b64 s[14:15]
.Lpost_getpc20786:
	s_add_u32 s14, s14, (.LBB2_11468-.Lpost_getpc20786)&4294967295
	s_addc_u32 s15, s15, (.LBB2_11468-.Lpost_getpc20786)>>32
	s_setpc_b64 s[14:15]
.LBB2_25805:
	s_movk_i32 s4, 0x80
	v_cmp_eq_u16_sdwa s[12:13], v3, s4 src0_sel:BYTE_0 src1_sel:DWORD
	s_mov_b64 s[4:5], -1
                                        ; implicit-def: $sgpr10
	s_and_saveexec_b64 s[8:9], s[12:13]
; %bb.25806:
	s_mov_b32 s10, 0x7f800001
	s_xor_b64 s[4:5], exec, -1
; %bb.25807:
	s_or_b64 exec, exec, s[8:9]
	s_and_b64 s[4:5], s[4:5], exec
	s_or_saveexec_b64 s[6:7], s[6:7]
	v_mov_b32_e32 v6, s10
	s_xor_b64 exec, exec, s[6:7]
	s_cbranch_execnz .LBB2_25808
; %bb.61645:
	s_getpc_b64 s[14:15]
.Lpost_getpc34406:
	s_add_u32 s14, s14, (.LBB2_11470-.Lpost_getpc34406)&4294967295
	s_addc_u32 s15, s15, (.LBB2_11470-.Lpost_getpc34406)>>32
	s_setpc_b64 s[14:15]
.LBB2_25808:
	v_mov_b32_e32 v6, 0
	v_cmp_ne_u16_sdwa s[8:9], v3, v6 src0_sel:BYTE_0 src1_sel:DWORD
	s_andn2_b64 s[4:5], s[4:5], exec
	s_and_b64 s[8:9], s[8:9], exec
	s_or_b64 s[4:5], s[4:5], s[8:9]
	s_or_b64 exec, exec, s[6:7]
	s_and_saveexec_b64 s[6:7], s[4:5]
	s_cbranch_execz .LBB2_34407
; %bb.61647:
	s_getpc_b64 s[14:15]
.Lpost_getpc34407:
	s_add_u32 s14, s14, (.LBB2_11471-.Lpost_getpc34407)&4294967295
	s_addc_u32 s15, s15, (.LBB2_11471-.Lpost_getpc34407)>>32
	s_setpc_b64 s[14:15]
.LBB2_34407:
	s_getpc_b64 s[14:15]
.Lpost_getpc20787:
	s_add_u32 s14, s14, (.LBB2_11472-.Lpost_getpc20787)&4294967295
	s_addc_u32 s15, s15, (.LBB2_11472-.Lpost_getpc20787)>>32
	s_setpc_b64 s[14:15]
.LBB2_25809:
	s_movk_i32 s4, 0x80
	v_cmp_eq_u16_e32 vcc, s4, v3
	s_mov_b64 s[4:5], -1
                                        ; implicit-def: $sgpr10
	s_and_saveexec_b64 s[8:9], vcc
; %bb.25810:
	s_mov_b32 s10, 0x7f800001
	s_xor_b64 s[4:5], exec, -1
; %bb.25811:
	s_or_b64 exec, exec, s[8:9]
	s_and_b64 s[4:5], s[4:5], exec
                                        ; implicit-def: $vgpr3
	s_or_saveexec_b64 s[6:7], s[6:7]
	v_mov_b32_e32 v2, s10
	s_xor_b64 exec, exec, s[6:7]
	s_cbranch_execnz .LBB2_25812
; %bb.61649:
	s_getpc_b64 s[14:15]
.Lpost_getpc34408:
	s_add_u32 s14, s14, (.LBB2_11474-.Lpost_getpc34408)&4294967295
	s_addc_u32 s15, s15, (.LBB2_11474-.Lpost_getpc34408)>>32
	s_setpc_b64 s[14:15]
.LBB2_25812:
	v_cmp_ne_u16_e32 vcc, 0, v3
	s_andn2_b64 s[4:5], s[4:5], exec
	s_and_b64 s[8:9], vcc, exec
	v_mov_b32_e32 v2, 0
	s_or_b64 s[4:5], s[4:5], s[8:9]
	s_or_b64 exec, exec, s[6:7]
	s_and_saveexec_b64 s[6:7], s[4:5]
	s_cbranch_execz .LBB2_34409
; %bb.61651:
	s_getpc_b64 s[14:15]
.Lpost_getpc34409:
	s_add_u32 s14, s14, (.LBB2_11475-.Lpost_getpc34409)&4294967295
	s_addc_u32 s15, s15, (.LBB2_11475-.Lpost_getpc34409)>>32
	s_setpc_b64 s[14:15]
.LBB2_34409:
	s_getpc_b64 s[14:15]
.Lpost_getpc20788:
	s_add_u32 s14, s14, (.LBB2_11476-.Lpost_getpc20788)&4294967295
	s_addc_u32 s15, s15, (.LBB2_11476-.Lpost_getpc20788)>>32
	s_setpc_b64 s[14:15]
.LBB2_25813:
	s_movk_i32 s4, 0x80
	v_cmp_eq_u16_e32 vcc, s4, v3
	s_mov_b64 s[4:5], -1
                                        ; implicit-def: $sgpr10
	s_and_saveexec_b64 s[8:9], vcc
; %bb.25814:
	s_mov_b32 s10, 0x7f800001
	s_xor_b64 s[4:5], exec, -1
; %bb.25815:
	s_or_b64 exec, exec, s[8:9]
	s_and_b64 s[4:5], s[4:5], exec
                                        ; implicit-def: $vgpr3
	s_or_saveexec_b64 s[6:7], s[6:7]
	v_mov_b32_e32 v6, s10
	s_xor_b64 exec, exec, s[6:7]
	s_cbranch_execnz .LBB2_25816
; %bb.61653:
	s_getpc_b64 s[14:15]
.Lpost_getpc34410:
	s_add_u32 s14, s14, (.LBB2_11478-.Lpost_getpc34410)&4294967295
	s_addc_u32 s15, s15, (.LBB2_11478-.Lpost_getpc34410)>>32
	s_setpc_b64 s[14:15]
.LBB2_25816:
	v_cmp_ne_u16_e32 vcc, 0, v3
	s_andn2_b64 s[4:5], s[4:5], exec
	s_and_b64 s[8:9], vcc, exec
	v_mov_b32_e32 v6, 0
	s_or_b64 s[4:5], s[4:5], s[8:9]
	s_or_b64 exec, exec, s[6:7]
	s_and_saveexec_b64 s[6:7], s[4:5]
	s_cbranch_execz .LBB2_34411
; %bb.61655:
	s_getpc_b64 s[14:15]
.Lpost_getpc34411:
	s_add_u32 s14, s14, (.LBB2_11479-.Lpost_getpc34411)&4294967295
	s_addc_u32 s15, s15, (.LBB2_11479-.Lpost_getpc34411)>>32
	s_setpc_b64 s[14:15]
.LBB2_34411:
	s_getpc_b64 s[14:15]
.Lpost_getpc20789:
	s_add_u32 s14, s14, (.LBB2_11480-.Lpost_getpc20789)&4294967295
	s_addc_u32 s15, s15, (.LBB2_11480-.Lpost_getpc20789)>>32
	s_setpc_b64 s[14:15]
.LBB2_25817:
	s_movk_i32 s4, 0x80
	v_cmp_eq_u16_sdwa s[12:13], v8, s4 src0_sel:BYTE_3 src1_sel:DWORD
	s_mov_b64 s[4:5], -1
                                        ; implicit-def: $sgpr10
	s_and_saveexec_b64 s[8:9], s[12:13]
; %bb.25818:
	s_mov_b32 s10, 0x7f800001
	s_xor_b64 s[4:5], exec, -1
; %bb.25819:
	s_or_b64 exec, exec, s[8:9]
	s_and_b64 s[4:5], s[4:5], exec
	s_or_saveexec_b64 s[6:7], s[6:7]
	v_mov_b32_e32 v2, s10
	s_xor_b64 exec, exec, s[6:7]
	s_cbranch_execnz .LBB2_25820
; %bb.61657:
	s_getpc_b64 s[14:15]
.Lpost_getpc34412:
	s_add_u32 s14, s14, (.LBB2_11482-.Lpost_getpc34412)&4294967295
	s_addc_u32 s15, s15, (.LBB2_11482-.Lpost_getpc34412)>>32
	s_setpc_b64 s[14:15]
.LBB2_25820:
	v_mov_b32_e32 v2, 0
	v_cmp_ne_u16_sdwa s[8:9], v8, v2 src0_sel:BYTE_3 src1_sel:DWORD
	s_andn2_b64 s[4:5], s[4:5], exec
	s_and_b64 s[8:9], s[8:9], exec
	s_or_b64 s[4:5], s[4:5], s[8:9]
	s_or_b64 exec, exec, s[6:7]
	s_and_saveexec_b64 s[6:7], s[4:5]
	s_cbranch_execz .LBB2_34413
; %bb.61659:
	s_getpc_b64 s[14:15]
.Lpost_getpc34413:
	s_add_u32 s14, s14, (.LBB2_11483-.Lpost_getpc34413)&4294967295
	s_addc_u32 s15, s15, (.LBB2_11483-.Lpost_getpc34413)>>32
	s_setpc_b64 s[14:15]
.LBB2_34413:
	s_getpc_b64 s[14:15]
.Lpost_getpc20790:
	s_add_u32 s14, s14, (.LBB2_11484-.Lpost_getpc20790)&4294967295
	s_addc_u32 s15, s15, (.LBB2_11484-.Lpost_getpc20790)>>32
	s_setpc_b64 s[14:15]
.LBB2_25821:
	s_movk_i32 s4, 0x80
	v_cmp_eq_u16_sdwa s[12:13], v4, s4 src0_sel:BYTE_3 src1_sel:DWORD
	s_mov_b64 s[4:5], -1
                                        ; implicit-def: $sgpr10
	s_and_saveexec_b64 s[8:9], s[12:13]
; %bb.25822:
	s_mov_b32 s10, 0x7f800001
	s_xor_b64 s[4:5], exec, -1
; %bb.25823:
	s_or_b64 exec, exec, s[8:9]
	s_and_b64 s[4:5], s[4:5], exec
	s_or_saveexec_b64 s[6:7], s[6:7]
	v_mov_b32_e32 v3, s10
	s_xor_b64 exec, exec, s[6:7]
	s_cbranch_execnz .LBB2_25824
; %bb.61661:
	s_getpc_b64 s[14:15]
.Lpost_getpc34414:
	s_add_u32 s14, s14, (.LBB2_11486-.Lpost_getpc34414)&4294967295
	s_addc_u32 s15, s15, (.LBB2_11486-.Lpost_getpc34414)>>32
	s_setpc_b64 s[14:15]
.LBB2_25824:
	v_mov_b32_e32 v3, 0
	v_cmp_ne_u16_sdwa s[8:9], v4, v3 src0_sel:BYTE_3 src1_sel:DWORD
	s_andn2_b64 s[4:5], s[4:5], exec
	s_and_b64 s[8:9], s[8:9], exec
	s_or_b64 s[4:5], s[4:5], s[8:9]
	s_or_b64 exec, exec, s[6:7]
	s_and_saveexec_b64 s[6:7], s[4:5]
	s_cbranch_execz .LBB2_34415
; %bb.61663:
	s_getpc_b64 s[14:15]
.Lpost_getpc34415:
	s_add_u32 s14, s14, (.LBB2_11487-.Lpost_getpc34415)&4294967295
	s_addc_u32 s15, s15, (.LBB2_11487-.Lpost_getpc34415)>>32
	s_setpc_b64 s[14:15]
.LBB2_34415:
	s_getpc_b64 s[14:15]
.Lpost_getpc20791:
	s_add_u32 s14, s14, (.LBB2_11488-.Lpost_getpc20791)&4294967295
	s_addc_u32 s15, s15, (.LBB2_11488-.Lpost_getpc20791)>>32
	s_setpc_b64 s[14:15]
.LBB2_25825:
	s_movk_i32 s4, 0x80
	v_cmp_eq_u16_sdwa s[12:13], v9, s4 src0_sel:BYTE_0 src1_sel:DWORD
	s_mov_b64 s[4:5], -1
                                        ; implicit-def: $sgpr10
	s_and_saveexec_b64 s[8:9], s[12:13]
; %bb.25826:
	s_mov_b32 s10, 0x7f800001
	s_xor_b64 s[4:5], exec, -1
; %bb.25827:
	s_or_b64 exec, exec, s[8:9]
	s_and_b64 s[4:5], s[4:5], exec
	s_or_saveexec_b64 s[6:7], s[6:7]
	v_mov_b32_e32 v2, s10
	s_xor_b64 exec, exec, s[6:7]
	s_cbranch_execnz .LBB2_25828
; %bb.61665:
	s_getpc_b64 s[14:15]
.Lpost_getpc34416:
	s_add_u32 s14, s14, (.LBB2_11490-.Lpost_getpc34416)&4294967295
	s_addc_u32 s15, s15, (.LBB2_11490-.Lpost_getpc34416)>>32
	s_setpc_b64 s[14:15]
.LBB2_25828:
	v_mov_b32_e32 v2, 0
	v_cmp_ne_u16_sdwa s[8:9], v9, v2 src0_sel:BYTE_0 src1_sel:DWORD
	s_andn2_b64 s[4:5], s[4:5], exec
	s_and_b64 s[8:9], s[8:9], exec
	s_or_b64 s[4:5], s[4:5], s[8:9]
	s_or_b64 exec, exec, s[6:7]
	s_and_saveexec_b64 s[6:7], s[4:5]
	s_cbranch_execz .LBB2_34417
; %bb.61667:
	s_getpc_b64 s[14:15]
.Lpost_getpc34417:
	s_add_u32 s14, s14, (.LBB2_11491-.Lpost_getpc34417)&4294967295
	s_addc_u32 s15, s15, (.LBB2_11491-.Lpost_getpc34417)>>32
	s_setpc_b64 s[14:15]
.LBB2_34417:
	s_getpc_b64 s[14:15]
.Lpost_getpc20792:
	s_add_u32 s14, s14, (.LBB2_11492-.Lpost_getpc20792)&4294967295
	s_addc_u32 s15, s15, (.LBB2_11492-.Lpost_getpc20792)>>32
	s_setpc_b64 s[14:15]
.LBB2_25829:
	s_movk_i32 s4, 0x80
	v_cmp_eq_u16_sdwa s[12:13], v5, s4 src0_sel:BYTE_0 src1_sel:DWORD
	s_mov_b64 s[4:5], -1
                                        ; implicit-def: $sgpr10
	s_and_saveexec_b64 s[8:9], s[12:13]
; %bb.25830:
	s_mov_b32 s10, 0x7f800001
	s_xor_b64 s[4:5], exec, -1
; %bb.25831:
	s_or_b64 exec, exec, s[8:9]
	s_and_b64 s[4:5], s[4:5], exec
	s_or_saveexec_b64 s[6:7], s[6:7]
	v_mov_b32_e32 v3, s10
	s_xor_b64 exec, exec, s[6:7]
	s_cbranch_execnz .LBB2_25832
; %bb.61669:
	s_getpc_b64 s[14:15]
.Lpost_getpc34418:
	s_add_u32 s14, s14, (.LBB2_11494-.Lpost_getpc34418)&4294967295
	s_addc_u32 s15, s15, (.LBB2_11494-.Lpost_getpc34418)>>32
	s_setpc_b64 s[14:15]
.LBB2_25832:
	v_mov_b32_e32 v3, 0
	v_cmp_ne_u16_sdwa s[8:9], v5, v3 src0_sel:BYTE_0 src1_sel:DWORD
	s_andn2_b64 s[4:5], s[4:5], exec
	s_and_b64 s[8:9], s[8:9], exec
	s_or_b64 s[4:5], s[4:5], s[8:9]
	s_or_b64 exec, exec, s[6:7]
	s_and_saveexec_b64 s[6:7], s[4:5]
	s_cbranch_execz .LBB2_34419
; %bb.61671:
	s_getpc_b64 s[14:15]
.Lpost_getpc34419:
	s_add_u32 s14, s14, (.LBB2_11495-.Lpost_getpc34419)&4294967295
	s_addc_u32 s15, s15, (.LBB2_11495-.Lpost_getpc34419)>>32
	s_setpc_b64 s[14:15]
.LBB2_34419:
	s_getpc_b64 s[14:15]
.Lpost_getpc20793:
	s_add_u32 s14, s14, (.LBB2_11496-.Lpost_getpc20793)&4294967295
	s_addc_u32 s15, s15, (.LBB2_11496-.Lpost_getpc20793)>>32
	s_setpc_b64 s[14:15]
.LBB2_25833:
	s_movk_i32 s4, 0x80
	v_cmp_eq_u16_sdwa s[12:13], v3, s4 src0_sel:BYTE_0 src1_sel:DWORD
	s_mov_b64 s[4:5], -1
                                        ; implicit-def: $sgpr10
	s_and_saveexec_b64 s[8:9], s[12:13]
; %bb.25834:
	s_mov_b32 s10, 0x7f800001
	s_xor_b64 s[4:5], exec, -1
; %bb.25835:
	s_or_b64 exec, exec, s[8:9]
	s_and_b64 s[4:5], s[4:5], exec
	s_or_saveexec_b64 s[6:7], s[6:7]
	v_mov_b32_e32 v2, s10
	s_xor_b64 exec, exec, s[6:7]
	s_cbranch_execnz .LBB2_25836
; %bb.61673:
	s_getpc_b64 s[14:15]
.Lpost_getpc34420:
	s_add_u32 s14, s14, (.LBB2_11498-.Lpost_getpc34420)&4294967295
	s_addc_u32 s15, s15, (.LBB2_11498-.Lpost_getpc34420)>>32
	s_setpc_b64 s[14:15]
.LBB2_25836:
	v_mov_b32_e32 v2, 0
	v_cmp_ne_u16_sdwa s[8:9], v3, v2 src0_sel:BYTE_0 src1_sel:DWORD
	s_andn2_b64 s[4:5], s[4:5], exec
	s_and_b64 s[8:9], s[8:9], exec
	s_or_b64 s[4:5], s[4:5], s[8:9]
	s_or_b64 exec, exec, s[6:7]
	s_and_saveexec_b64 s[6:7], s[4:5]
	s_cbranch_execz .LBB2_34421
; %bb.61675:
	s_getpc_b64 s[14:15]
.Lpost_getpc34421:
	s_add_u32 s14, s14, (.LBB2_11499-.Lpost_getpc34421)&4294967295
	s_addc_u32 s15, s15, (.LBB2_11499-.Lpost_getpc34421)>>32
	s_setpc_b64 s[14:15]
.LBB2_34421:
	s_getpc_b64 s[14:15]
.Lpost_getpc20794:
	s_add_u32 s14, s14, (.LBB2_11500-.Lpost_getpc20794)&4294967295
	s_addc_u32 s15, s15, (.LBB2_11500-.Lpost_getpc20794)>>32
	s_setpc_b64 s[14:15]
.LBB2_25837:
	s_movk_i32 s4, 0x80
	v_cmp_eq_u16_sdwa s[12:13], v3, s4 src0_sel:BYTE_0 src1_sel:DWORD
	s_mov_b64 s[4:5], -1
                                        ; implicit-def: $sgpr10
	s_and_saveexec_b64 s[8:9], s[12:13]
; %bb.25838:
	s_mov_b32 s10, 0x7f800001
	s_xor_b64 s[4:5], exec, -1
; %bb.25839:
	s_or_b64 exec, exec, s[8:9]
	s_and_b64 s[4:5], s[4:5], exec
	s_or_saveexec_b64 s[6:7], s[6:7]
	v_mov_b32_e32 v4, s10
	s_xor_b64 exec, exec, s[6:7]
	s_cbranch_execnz .LBB2_25840
; %bb.61677:
	s_getpc_b64 s[14:15]
.Lpost_getpc34422:
	s_add_u32 s14, s14, (.LBB2_11502-.Lpost_getpc34422)&4294967295
	s_addc_u32 s15, s15, (.LBB2_11502-.Lpost_getpc34422)>>32
	s_setpc_b64 s[14:15]
.LBB2_25840:
	v_mov_b32_e32 v4, 0
	v_cmp_ne_u16_sdwa s[8:9], v3, v4 src0_sel:BYTE_0 src1_sel:DWORD
	s_andn2_b64 s[4:5], s[4:5], exec
	s_and_b64 s[8:9], s[8:9], exec
	s_or_b64 s[4:5], s[4:5], s[8:9]
	s_or_b64 exec, exec, s[6:7]
	s_and_saveexec_b64 s[6:7], s[4:5]
	s_cbranch_execz .LBB2_34423
; %bb.61679:
	s_getpc_b64 s[14:15]
.Lpost_getpc34423:
	s_add_u32 s14, s14, (.LBB2_11503-.Lpost_getpc34423)&4294967295
	s_addc_u32 s15, s15, (.LBB2_11503-.Lpost_getpc34423)>>32
	s_setpc_b64 s[14:15]
.LBB2_34423:
	s_getpc_b64 s[14:15]
.Lpost_getpc20795:
	s_add_u32 s14, s14, (.LBB2_11504-.Lpost_getpc20795)&4294967295
	s_addc_u32 s15, s15, (.LBB2_11504-.Lpost_getpc20795)>>32
	s_setpc_b64 s[14:15]
.LBB2_25841:
	s_movk_i32 s4, 0x80
	v_cmp_eq_u16_e32 vcc, s4, v3
	s_mov_b64 s[4:5], -1
                                        ; implicit-def: $sgpr10
	s_and_saveexec_b64 s[8:9], vcc
; %bb.25842:
	s_mov_b32 s10, 0x7f800001
	s_xor_b64 s[4:5], exec, -1
; %bb.25843:
	s_or_b64 exec, exec, s[8:9]
	s_and_b64 s[4:5], s[4:5], exec
                                        ; implicit-def: $vgpr3
	s_or_saveexec_b64 s[6:7], s[6:7]
	v_mov_b32_e32 v2, s10
	s_xor_b64 exec, exec, s[6:7]
	s_cbranch_execnz .LBB2_25844
; %bb.61681:
	s_getpc_b64 s[14:15]
.Lpost_getpc34424:
	s_add_u32 s14, s14, (.LBB2_11506-.Lpost_getpc34424)&4294967295
	s_addc_u32 s15, s15, (.LBB2_11506-.Lpost_getpc34424)>>32
	s_setpc_b64 s[14:15]
.LBB2_25844:
	v_cmp_ne_u16_e32 vcc, 0, v3
	s_andn2_b64 s[4:5], s[4:5], exec
	s_and_b64 s[8:9], vcc, exec
	v_mov_b32_e32 v2, 0
	s_or_b64 s[4:5], s[4:5], s[8:9]
	s_or_b64 exec, exec, s[6:7]
	s_and_saveexec_b64 s[6:7], s[4:5]
	s_cbranch_execz .LBB2_34425
; %bb.61683:
	s_getpc_b64 s[14:15]
.Lpost_getpc34425:
	s_add_u32 s14, s14, (.LBB2_11507-.Lpost_getpc34425)&4294967295
	s_addc_u32 s15, s15, (.LBB2_11507-.Lpost_getpc34425)>>32
	s_setpc_b64 s[14:15]
.LBB2_34425:
	s_getpc_b64 s[14:15]
.Lpost_getpc20796:
	s_add_u32 s14, s14, (.LBB2_11508-.Lpost_getpc20796)&4294967295
	s_addc_u32 s15, s15, (.LBB2_11508-.Lpost_getpc20796)>>32
	s_setpc_b64 s[14:15]
.LBB2_25845:
	s_movk_i32 s4, 0x80
	v_cmp_eq_u16_e32 vcc, s4, v3
	s_mov_b64 s[4:5], -1
                                        ; implicit-def: $sgpr10
	s_and_saveexec_b64 s[8:9], vcc
; %bb.25846:
	s_mov_b32 s10, 0x7f800001
	s_xor_b64 s[4:5], exec, -1
; %bb.25847:
	s_or_b64 exec, exec, s[8:9]
	s_and_b64 s[4:5], s[4:5], exec
                                        ; implicit-def: $vgpr3
	s_or_saveexec_b64 s[6:7], s[6:7]
	v_mov_b32_e32 v4, s10
	s_xor_b64 exec, exec, s[6:7]
	s_cbranch_execnz .LBB2_25848
; %bb.61685:
	s_getpc_b64 s[14:15]
.Lpost_getpc34426:
	s_add_u32 s14, s14, (.LBB2_11510-.Lpost_getpc34426)&4294967295
	s_addc_u32 s15, s15, (.LBB2_11510-.Lpost_getpc34426)>>32
	s_setpc_b64 s[14:15]
.LBB2_25848:
	v_cmp_ne_u16_e32 vcc, 0, v3
	s_andn2_b64 s[4:5], s[4:5], exec
	s_and_b64 s[8:9], vcc, exec
	v_mov_b32_e32 v4, 0
	s_or_b64 s[4:5], s[4:5], s[8:9]
	s_or_b64 exec, exec, s[6:7]
	s_and_saveexec_b64 s[6:7], s[4:5]
	s_cbranch_execz .LBB2_34427
; %bb.61687:
	s_getpc_b64 s[14:15]
.Lpost_getpc34427:
	s_add_u32 s14, s14, (.LBB2_11511-.Lpost_getpc34427)&4294967295
	s_addc_u32 s15, s15, (.LBB2_11511-.Lpost_getpc34427)>>32
	s_setpc_b64 s[14:15]
.LBB2_34427:
	s_getpc_b64 s[14:15]
.Lpost_getpc20797:
	s_add_u32 s14, s14, (.LBB2_11512-.Lpost_getpc20797)&4294967295
	s_addc_u32 s15, s15, (.LBB2_11512-.Lpost_getpc20797)>>32
	s_setpc_b64 s[14:15]
.LBB2_25849:
	s_movk_i32 s4, 0x80
	v_cmp_eq_u16_sdwa s[12:13], v9, s4 src0_sel:BYTE_3 src1_sel:DWORD
	s_mov_b64 s[4:5], -1
                                        ; implicit-def: $sgpr10
	s_and_saveexec_b64 s[8:9], s[12:13]
; %bb.25850:
	s_mov_b32 s10, 0x7f800001
	s_xor_b64 s[4:5], exec, -1
; %bb.25851:
	s_or_b64 exec, exec, s[8:9]
	s_and_b64 s[4:5], s[4:5], exec
	s_or_saveexec_b64 s[6:7], s[6:7]
	v_mov_b32_e32 v2, s10
	s_xor_b64 exec, exec, s[6:7]
	s_cbranch_execnz .LBB2_25852
; %bb.61689:
	s_getpc_b64 s[14:15]
.Lpost_getpc34428:
	s_add_u32 s14, s14, (.LBB2_11514-.Lpost_getpc34428)&4294967295
	s_addc_u32 s15, s15, (.LBB2_11514-.Lpost_getpc34428)>>32
	s_setpc_b64 s[14:15]
.LBB2_25852:
	v_mov_b32_e32 v2, 0
	v_cmp_ne_u16_sdwa s[8:9], v9, v2 src0_sel:BYTE_3 src1_sel:DWORD
	s_andn2_b64 s[4:5], s[4:5], exec
	s_and_b64 s[8:9], s[8:9], exec
	s_or_b64 s[4:5], s[4:5], s[8:9]
	s_or_b64 exec, exec, s[6:7]
	s_and_saveexec_b64 s[6:7], s[4:5]
	s_cbranch_execz .LBB2_34429
; %bb.61691:
	s_getpc_b64 s[14:15]
.Lpost_getpc34429:
	s_add_u32 s14, s14, (.LBB2_11515-.Lpost_getpc34429)&4294967295
	s_addc_u32 s15, s15, (.LBB2_11515-.Lpost_getpc34429)>>32
	s_setpc_b64 s[14:15]
.LBB2_34429:
	s_getpc_b64 s[14:15]
.Lpost_getpc20798:
	s_add_u32 s14, s14, (.LBB2_11516-.Lpost_getpc20798)&4294967295
	s_addc_u32 s15, s15, (.LBB2_11516-.Lpost_getpc20798)>>32
	s_setpc_b64 s[14:15]
.LBB2_25853:
	s_movk_i32 s4, 0x80
	v_cmp_eq_u16_sdwa s[12:13], v5, s4 src0_sel:BYTE_3 src1_sel:DWORD
	s_mov_b64 s[4:5], -1
                                        ; implicit-def: $sgpr10
	s_and_saveexec_b64 s[8:9], s[12:13]
; %bb.25854:
	s_mov_b32 s10, 0x7f800001
	s_xor_b64 s[4:5], exec, -1
; %bb.25855:
	s_or_b64 exec, exec, s[8:9]
	s_and_b64 s[4:5], s[4:5], exec
	s_or_saveexec_b64 s[6:7], s[6:7]
	v_mov_b32_e32 v3, s10
	s_xor_b64 exec, exec, s[6:7]
	s_cbranch_execnz .LBB2_25856
; %bb.61693:
	s_getpc_b64 s[14:15]
.Lpost_getpc34430:
	s_add_u32 s14, s14, (.LBB2_11518-.Lpost_getpc34430)&4294967295
	s_addc_u32 s15, s15, (.LBB2_11518-.Lpost_getpc34430)>>32
	s_setpc_b64 s[14:15]
.LBB2_25856:
	v_mov_b32_e32 v3, 0
	v_cmp_ne_u16_sdwa s[8:9], v5, v3 src0_sel:BYTE_3 src1_sel:DWORD
	s_andn2_b64 s[4:5], s[4:5], exec
	s_and_b64 s[8:9], s[8:9], exec
	s_or_b64 s[4:5], s[4:5], s[8:9]
	s_or_b64 exec, exec, s[6:7]
	s_and_saveexec_b64 s[6:7], s[4:5]
	s_cbranch_execz .LBB2_34431
; %bb.61695:
	s_getpc_b64 s[14:15]
.Lpost_getpc34431:
	s_add_u32 s14, s14, (.LBB2_11519-.Lpost_getpc34431)&4294967295
	s_addc_u32 s15, s15, (.LBB2_11519-.Lpost_getpc34431)>>32
	s_setpc_b64 s[14:15]
.LBB2_34431:
	s_getpc_b64 s[14:15]
.Lpost_getpc20799:
	s_add_u32 s14, s14, (.LBB2_11520-.Lpost_getpc20799)&4294967295
	s_addc_u32 s15, s15, (.LBB2_11520-.Lpost_getpc20799)>>32
	s_setpc_b64 s[14:15]
.LBB2_25857:
	s_movk_i32 s4, 0x80
	v_cmp_eq_u16_sdwa s[12:13], v6, s4 src0_sel:BYTE_0 src1_sel:DWORD
	s_mov_b64 s[4:5], -1
                                        ; implicit-def: $sgpr10
	s_and_saveexec_b64 s[8:9], s[12:13]
; %bb.25858:
	s_mov_b32 s10, 0x7f800001
	s_xor_b64 s[4:5], exec, -1
; %bb.25859:
	s_or_b64 exec, exec, s[8:9]
	s_and_b64 s[4:5], s[4:5], exec
	s_or_saveexec_b64 s[6:7], s[6:7]
	v_mov_b32_e32 v12, s10
	s_xor_b64 exec, exec, s[6:7]
	s_cbranch_execnz .LBB2_25860
; %bb.61697:
	s_getpc_b64 s[14:15]
.Lpost_getpc34432:
	s_add_u32 s14, s14, (.LBB2_11522-.Lpost_getpc34432)&4294967295
	s_addc_u32 s15, s15, (.LBB2_11522-.Lpost_getpc34432)>>32
	s_setpc_b64 s[14:15]
.LBB2_25860:
	v_mov_b32_e32 v12, 0
	v_cmp_ne_u16_sdwa s[8:9], v6, v12 src0_sel:BYTE_0 src1_sel:DWORD
	s_andn2_b64 s[4:5], s[4:5], exec
	s_and_b64 s[8:9], s[8:9], exec
	s_or_b64 s[4:5], s[4:5], s[8:9]
	s_or_b64 exec, exec, s[6:7]
	s_and_saveexec_b64 s[6:7], s[4:5]
	s_cbranch_execz .LBB2_34433
; %bb.61699:
	s_getpc_b64 s[14:15]
.Lpost_getpc34433:
	s_add_u32 s14, s14, (.LBB2_11523-.Lpost_getpc34433)&4294967295
	s_addc_u32 s15, s15, (.LBB2_11523-.Lpost_getpc34433)>>32
	s_setpc_b64 s[14:15]
.LBB2_34433:
	s_getpc_b64 s[14:15]
.Lpost_getpc20800:
	s_add_u32 s14, s14, (.LBB2_11524-.Lpost_getpc20800)&4294967295
	s_addc_u32 s15, s15, (.LBB2_11524-.Lpost_getpc20800)>>32
	s_setpc_b64 s[14:15]
.LBB2_25861:
	s_movk_i32 s4, 0x80
	v_cmp_eq_u16_sdwa s[12:13], v2, s4 src0_sel:BYTE_0 src1_sel:DWORD
	s_mov_b64 s[4:5], -1
                                        ; implicit-def: $sgpr10
	s_and_saveexec_b64 s[8:9], s[12:13]
; %bb.25862:
	s_mov_b32 s10, 0x7f800001
	s_xor_b64 s[4:5], exec, -1
; %bb.25863:
	s_or_b64 exec, exec, s[8:9]
	s_and_b64 s[4:5], s[4:5], exec
	s_or_saveexec_b64 s[6:7], s[6:7]
	v_mov_b32_e32 v13, s10
	s_xor_b64 exec, exec, s[6:7]
	s_cbranch_execnz .LBB2_25864
; %bb.61701:
	s_getpc_b64 s[14:15]
.Lpost_getpc34434:
	s_add_u32 s14, s14, (.LBB2_11526-.Lpost_getpc34434)&4294967295
	s_addc_u32 s15, s15, (.LBB2_11526-.Lpost_getpc34434)>>32
	s_setpc_b64 s[14:15]
.LBB2_25864:
	v_mov_b32_e32 v13, 0
	v_cmp_ne_u16_sdwa s[8:9], v2, v13 src0_sel:BYTE_0 src1_sel:DWORD
	s_andn2_b64 s[4:5], s[4:5], exec
	s_and_b64 s[8:9], s[8:9], exec
	s_or_b64 s[4:5], s[4:5], s[8:9]
	s_or_b64 exec, exec, s[6:7]
	s_and_saveexec_b64 s[6:7], s[4:5]
	s_cbranch_execz .LBB2_34435
; %bb.61703:
	s_getpc_b64 s[14:15]
.Lpost_getpc34435:
	s_add_u32 s14, s14, (.LBB2_11527-.Lpost_getpc34435)&4294967295
	s_addc_u32 s15, s15, (.LBB2_11527-.Lpost_getpc34435)>>32
	s_setpc_b64 s[14:15]
.LBB2_34435:
	s_getpc_b64 s[14:15]
.Lpost_getpc20801:
	s_add_u32 s14, s14, (.LBB2_11528-.Lpost_getpc20801)&4294967295
	s_addc_u32 s15, s15, (.LBB2_11528-.Lpost_getpc20801)>>32
	s_setpc_b64 s[14:15]
.LBB2_25865:
	s_movk_i32 s4, 0x80
	v_cmp_eq_u16_sdwa s[12:13], v13, s4 src0_sel:BYTE_0 src1_sel:DWORD
	s_mov_b64 s[4:5], -1
                                        ; implicit-def: $sgpr10
	s_and_saveexec_b64 s[8:9], s[12:13]
; %bb.25866:
	s_mov_b32 s10, 0x7f800001
	s_xor_b64 s[4:5], exec, -1
; %bb.25867:
	s_or_b64 exec, exec, s[8:9]
	s_and_b64 s[4:5], s[4:5], exec
	s_or_saveexec_b64 s[6:7], s[6:7]
	v_mov_b32_e32 v12, s10
	s_xor_b64 exec, exec, s[6:7]
	s_cbranch_execnz .LBB2_25868
; %bb.61705:
	s_getpc_b64 s[14:15]
.Lpost_getpc34436:
	s_add_u32 s14, s14, (.LBB2_11530-.Lpost_getpc34436)&4294967295
	s_addc_u32 s15, s15, (.LBB2_11530-.Lpost_getpc34436)>>32
	s_setpc_b64 s[14:15]
.LBB2_25868:
	v_mov_b32_e32 v12, 0
	v_cmp_ne_u16_sdwa s[8:9], v13, v12 src0_sel:BYTE_0 src1_sel:DWORD
	s_andn2_b64 s[4:5], s[4:5], exec
	s_and_b64 s[8:9], s[8:9], exec
	s_or_b64 s[4:5], s[4:5], s[8:9]
	s_or_b64 exec, exec, s[6:7]
	s_and_saveexec_b64 s[6:7], s[4:5]
	s_cbranch_execz .LBB2_34437
; %bb.61707:
	s_getpc_b64 s[14:15]
.Lpost_getpc34437:
	s_add_u32 s14, s14, (.LBB2_11531-.Lpost_getpc34437)&4294967295
	s_addc_u32 s15, s15, (.LBB2_11531-.Lpost_getpc34437)>>32
	s_setpc_b64 s[14:15]
.LBB2_34437:
	s_getpc_b64 s[14:15]
.Lpost_getpc20802:
	s_add_u32 s14, s14, (.LBB2_11532-.Lpost_getpc20802)&4294967295
	s_addc_u32 s15, s15, (.LBB2_11532-.Lpost_getpc20802)>>32
	s_setpc_b64 s[14:15]
.LBB2_25869:
	s_movk_i32 s4, 0x80
	v_cmp_eq_u16_sdwa s[12:13], v13, s4 src0_sel:BYTE_0 src1_sel:DWORD
	s_mov_b64 s[4:5], -1
                                        ; implicit-def: $sgpr10
	s_and_saveexec_b64 s[8:9], s[12:13]
; %bb.25870:
	s_mov_b32 s10, 0x7f800001
	s_xor_b64 s[4:5], exec, -1
; %bb.25871:
	s_or_b64 exec, exec, s[8:9]
	s_and_b64 s[4:5], s[4:5], exec
	s_or_saveexec_b64 s[6:7], s[6:7]
	v_mov_b32_e32 v14, s10
	s_xor_b64 exec, exec, s[6:7]
	s_cbranch_execnz .LBB2_25872
; %bb.61709:
	s_getpc_b64 s[14:15]
.Lpost_getpc34438:
	s_add_u32 s14, s14, (.LBB2_11534-.Lpost_getpc34438)&4294967295
	s_addc_u32 s15, s15, (.LBB2_11534-.Lpost_getpc34438)>>32
	s_setpc_b64 s[14:15]
.LBB2_25872:
	v_mov_b32_e32 v14, 0
	v_cmp_ne_u16_sdwa s[8:9], v13, v14 src0_sel:BYTE_0 src1_sel:DWORD
	s_andn2_b64 s[4:5], s[4:5], exec
	s_and_b64 s[8:9], s[8:9], exec
	s_or_b64 s[4:5], s[4:5], s[8:9]
	s_or_b64 exec, exec, s[6:7]
	s_and_saveexec_b64 s[6:7], s[4:5]
	s_cbranch_execz .LBB2_34439
; %bb.61711:
	s_getpc_b64 s[14:15]
.Lpost_getpc34439:
	s_add_u32 s14, s14, (.LBB2_11535-.Lpost_getpc34439)&4294967295
	s_addc_u32 s15, s15, (.LBB2_11535-.Lpost_getpc34439)>>32
	s_setpc_b64 s[14:15]
.LBB2_34439:
	s_getpc_b64 s[14:15]
.Lpost_getpc20803:
	s_add_u32 s14, s14, (.LBB2_11536-.Lpost_getpc20803)&4294967295
	s_addc_u32 s15, s15, (.LBB2_11536-.Lpost_getpc20803)>>32
	s_setpc_b64 s[14:15]
.LBB2_25873:
	s_movk_i32 s4, 0x80
	v_cmp_eq_u16_e32 vcc, s4, v13
	s_mov_b64 s[4:5], -1
                                        ; implicit-def: $sgpr10
	s_and_saveexec_b64 s[8:9], vcc
; %bb.25874:
	s_mov_b32 s10, 0x7f800001
	s_xor_b64 s[4:5], exec, -1
; %bb.25875:
	s_or_b64 exec, exec, s[8:9]
	s_and_b64 s[4:5], s[4:5], exec
                                        ; implicit-def: $vgpr13
	s_or_saveexec_b64 s[6:7], s[6:7]
	v_mov_b32_e32 v12, s10
	s_xor_b64 exec, exec, s[6:7]
	s_cbranch_execnz .LBB2_25876
; %bb.61713:
	s_getpc_b64 s[14:15]
.Lpost_getpc34440:
	s_add_u32 s14, s14, (.LBB2_11538-.Lpost_getpc34440)&4294967295
	s_addc_u32 s15, s15, (.LBB2_11538-.Lpost_getpc34440)>>32
	s_setpc_b64 s[14:15]
.LBB2_25876:
	v_cmp_ne_u16_e32 vcc, 0, v13
	s_andn2_b64 s[4:5], s[4:5], exec
	s_and_b64 s[8:9], vcc, exec
	v_mov_b32_e32 v12, 0
	s_or_b64 s[4:5], s[4:5], s[8:9]
	s_or_b64 exec, exec, s[6:7]
	s_and_saveexec_b64 s[6:7], s[4:5]
	s_cbranch_execz .LBB2_34441
; %bb.61715:
	s_getpc_b64 s[14:15]
.Lpost_getpc34441:
	s_add_u32 s14, s14, (.LBB2_11539-.Lpost_getpc34441)&4294967295
	s_addc_u32 s15, s15, (.LBB2_11539-.Lpost_getpc34441)>>32
	s_setpc_b64 s[14:15]
.LBB2_34441:
	s_getpc_b64 s[14:15]
.Lpost_getpc20804:
	s_add_u32 s14, s14, (.LBB2_11540-.Lpost_getpc20804)&4294967295
	s_addc_u32 s15, s15, (.LBB2_11540-.Lpost_getpc20804)>>32
	s_setpc_b64 s[14:15]
.LBB2_25877:
	s_movk_i32 s4, 0x80
	v_cmp_eq_u16_e32 vcc, s4, v13
	s_mov_b64 s[4:5], -1
                                        ; implicit-def: $sgpr10
	s_and_saveexec_b64 s[8:9], vcc
; %bb.25878:
	s_mov_b32 s10, 0x7f800001
	s_xor_b64 s[4:5], exec, -1
; %bb.25879:
	s_or_b64 exec, exec, s[8:9]
	s_and_b64 s[4:5], s[4:5], exec
                                        ; implicit-def: $vgpr13
	s_or_saveexec_b64 s[6:7], s[6:7]
	v_mov_b32_e32 v14, s10
	s_xor_b64 exec, exec, s[6:7]
	s_cbranch_execnz .LBB2_25880
; %bb.61717:
	s_getpc_b64 s[14:15]
.Lpost_getpc34442:
	s_add_u32 s14, s14, (.LBB2_11542-.Lpost_getpc34442)&4294967295
	s_addc_u32 s15, s15, (.LBB2_11542-.Lpost_getpc34442)>>32
	s_setpc_b64 s[14:15]
.LBB2_25880:
	v_cmp_ne_u16_e32 vcc, 0, v13
	s_andn2_b64 s[4:5], s[4:5], exec
	s_and_b64 s[8:9], vcc, exec
	v_mov_b32_e32 v14, 0
	s_or_b64 s[4:5], s[4:5], s[8:9]
	s_or_b64 exec, exec, s[6:7]
	s_and_saveexec_b64 s[6:7], s[4:5]
	s_cbranch_execz .LBB2_34443
; %bb.61719:
	s_getpc_b64 s[14:15]
.Lpost_getpc34443:
	s_add_u32 s14, s14, (.LBB2_11543-.Lpost_getpc34443)&4294967295
	s_addc_u32 s15, s15, (.LBB2_11543-.Lpost_getpc34443)>>32
	s_setpc_b64 s[14:15]
.LBB2_34443:
	s_getpc_b64 s[14:15]
.Lpost_getpc20805:
	s_add_u32 s14, s14, (.LBB2_11544-.Lpost_getpc20805)&4294967295
	s_addc_u32 s15, s15, (.LBB2_11544-.Lpost_getpc20805)>>32
	s_setpc_b64 s[14:15]
.LBB2_25881:
	s_movk_i32 s4, 0x80
	v_cmp_eq_u16_sdwa s[12:13], v6, s4 src0_sel:BYTE_3 src1_sel:DWORD
	s_mov_b64 s[4:5], -1
                                        ; implicit-def: $sgpr10
	s_and_saveexec_b64 s[8:9], s[12:13]
; %bb.25882:
	s_mov_b32 s10, 0x7f800001
	s_xor_b64 s[4:5], exec, -1
; %bb.25883:
	s_or_b64 exec, exec, s[8:9]
	s_and_b64 s[4:5], s[4:5], exec
	s_or_saveexec_b64 s[6:7], s[6:7]
	v_mov_b32_e32 v12, s10
	s_xor_b64 exec, exec, s[6:7]
	s_cbranch_execnz .LBB2_25884
; %bb.61721:
	s_getpc_b64 s[14:15]
.Lpost_getpc34444:
	s_add_u32 s14, s14, (.LBB2_11546-.Lpost_getpc34444)&4294967295
	s_addc_u32 s15, s15, (.LBB2_11546-.Lpost_getpc34444)>>32
	s_setpc_b64 s[14:15]
.LBB2_25884:
	v_mov_b32_e32 v12, 0
	v_cmp_ne_u16_sdwa s[8:9], v6, v12 src0_sel:BYTE_3 src1_sel:DWORD
	s_andn2_b64 s[4:5], s[4:5], exec
	s_and_b64 s[8:9], s[8:9], exec
	s_or_b64 s[4:5], s[4:5], s[8:9]
	s_or_b64 exec, exec, s[6:7]
	s_and_saveexec_b64 s[6:7], s[4:5]
	s_cbranch_execz .LBB2_34445
; %bb.61723:
	s_getpc_b64 s[14:15]
.Lpost_getpc34445:
	s_add_u32 s14, s14, (.LBB2_11547-.Lpost_getpc34445)&4294967295
	s_addc_u32 s15, s15, (.LBB2_11547-.Lpost_getpc34445)>>32
	s_setpc_b64 s[14:15]
.LBB2_34445:
	s_getpc_b64 s[14:15]
.Lpost_getpc20806:
	s_add_u32 s14, s14, (.LBB2_11548-.Lpost_getpc20806)&4294967295
	s_addc_u32 s15, s15, (.LBB2_11548-.Lpost_getpc20806)>>32
	s_setpc_b64 s[14:15]
.LBB2_25885:
	s_movk_i32 s4, 0x80
	v_cmp_eq_u16_sdwa s[12:13], v2, s4 src0_sel:BYTE_3 src1_sel:DWORD
	s_mov_b64 s[4:5], -1
                                        ; implicit-def: $sgpr10
	s_and_saveexec_b64 s[8:9], s[12:13]
; %bb.25886:
	s_mov_b32 s10, 0x7f800001
	s_xor_b64 s[4:5], exec, -1
; %bb.25887:
	s_or_b64 exec, exec, s[8:9]
	s_and_b64 s[4:5], s[4:5], exec
	s_or_saveexec_b64 s[6:7], s[6:7]
	v_mov_b32_e32 v6, s10
	s_xor_b64 exec, exec, s[6:7]
	s_cbranch_execnz .LBB2_25888
; %bb.61725:
	s_getpc_b64 s[14:15]
.Lpost_getpc34446:
	s_add_u32 s14, s14, (.LBB2_11550-.Lpost_getpc34446)&4294967295
	s_addc_u32 s15, s15, (.LBB2_11550-.Lpost_getpc34446)>>32
	s_setpc_b64 s[14:15]
.LBB2_25888:
	v_mov_b32_e32 v6, 0
	v_cmp_ne_u16_sdwa s[8:9], v2, v6 src0_sel:BYTE_3 src1_sel:DWORD
	s_andn2_b64 s[4:5], s[4:5], exec
	s_and_b64 s[8:9], s[8:9], exec
	s_or_b64 s[4:5], s[4:5], s[8:9]
	s_or_b64 exec, exec, s[6:7]
	s_and_saveexec_b64 s[6:7], s[4:5]
	s_cbranch_execz .LBB2_34447
; %bb.61727:
	s_getpc_b64 s[14:15]
.Lpost_getpc34447:
	s_add_u32 s14, s14, (.LBB2_11551-.Lpost_getpc34447)&4294967295
	s_addc_u32 s15, s15, (.LBB2_11551-.Lpost_getpc34447)>>32
	s_setpc_b64 s[14:15]
.LBB2_34447:
	s_getpc_b64 s[14:15]
.Lpost_getpc20807:
	s_add_u32 s14, s14, (.LBB2_11552-.Lpost_getpc20807)&4294967295
	s_addc_u32 s15, s15, (.LBB2_11552-.Lpost_getpc20807)>>32
	s_setpc_b64 s[14:15]
.LBB2_25889:
	s_movk_i32 s4, 0x80
	v_cmp_eq_u16_sdwa s[12:13], v7, s4 src0_sel:BYTE_0 src1_sel:DWORD
	s_mov_b64 s[4:5], -1
                                        ; implicit-def: $sgpr10
	s_and_saveexec_b64 s[8:9], s[12:13]
; %bb.25890:
	s_mov_b32 s10, 0x7f800001
	s_xor_b64 s[4:5], exec, -1
; %bb.25891:
	s_or_b64 exec, exec, s[8:9]
	s_and_b64 s[4:5], s[4:5], exec
	s_or_saveexec_b64 s[6:7], s[6:7]
	v_mov_b32_e32 v2, s10
	s_xor_b64 exec, exec, s[6:7]
	s_cbranch_execnz .LBB2_25892
; %bb.61729:
	s_getpc_b64 s[14:15]
.Lpost_getpc34448:
	s_add_u32 s14, s14, (.LBB2_11554-.Lpost_getpc34448)&4294967295
	s_addc_u32 s15, s15, (.LBB2_11554-.Lpost_getpc34448)>>32
	s_setpc_b64 s[14:15]
.LBB2_25892:
	v_mov_b32_e32 v2, 0
	v_cmp_ne_u16_sdwa s[8:9], v7, v2 src0_sel:BYTE_0 src1_sel:DWORD
	s_andn2_b64 s[4:5], s[4:5], exec
	s_and_b64 s[8:9], s[8:9], exec
	s_or_b64 s[4:5], s[4:5], s[8:9]
	s_or_b64 exec, exec, s[6:7]
	s_and_saveexec_b64 s[6:7], s[4:5]
	s_cbranch_execz .LBB2_34449
; %bb.61731:
	s_getpc_b64 s[14:15]
.Lpost_getpc34449:
	s_add_u32 s14, s14, (.LBB2_11555-.Lpost_getpc34449)&4294967295
	s_addc_u32 s15, s15, (.LBB2_11555-.Lpost_getpc34449)>>32
	s_setpc_b64 s[14:15]
.LBB2_34449:
	s_getpc_b64 s[14:15]
.Lpost_getpc20808:
	s_add_u32 s14, s14, (.LBB2_11556-.Lpost_getpc20808)&4294967295
	s_addc_u32 s15, s15, (.LBB2_11556-.Lpost_getpc20808)>>32
	s_setpc_b64 s[14:15]
.LBB2_25893:
	s_movk_i32 s4, 0x80
	v_cmp_eq_u16_sdwa s[12:13], v3, s4 src0_sel:BYTE_0 src1_sel:DWORD
	s_mov_b64 s[4:5], -1
                                        ; implicit-def: $sgpr10
	s_and_saveexec_b64 s[8:9], s[12:13]
; %bb.25894:
	s_mov_b32 s10, 0x7f800001
	s_xor_b64 s[4:5], exec, -1
; %bb.25895:
	s_or_b64 exec, exec, s[8:9]
	s_and_b64 s[4:5], s[4:5], exec
	s_or_saveexec_b64 s[6:7], s[6:7]
	v_mov_b32_e32 v6, s10
	s_xor_b64 exec, exec, s[6:7]
	s_cbranch_execnz .LBB2_25896
; %bb.61733:
	s_getpc_b64 s[14:15]
.Lpost_getpc34450:
	s_add_u32 s14, s14, (.LBB2_11558-.Lpost_getpc34450)&4294967295
	s_addc_u32 s15, s15, (.LBB2_11558-.Lpost_getpc34450)>>32
	s_setpc_b64 s[14:15]
.LBB2_25896:
	v_mov_b32_e32 v6, 0
	v_cmp_ne_u16_sdwa s[8:9], v3, v6 src0_sel:BYTE_0 src1_sel:DWORD
	s_andn2_b64 s[4:5], s[4:5], exec
	s_and_b64 s[8:9], s[8:9], exec
	s_or_b64 s[4:5], s[4:5], s[8:9]
	s_or_b64 exec, exec, s[6:7]
	s_and_saveexec_b64 s[6:7], s[4:5]
	s_cbranch_execz .LBB2_34451
; %bb.61735:
	s_getpc_b64 s[14:15]
.Lpost_getpc34451:
	s_add_u32 s14, s14, (.LBB2_11559-.Lpost_getpc34451)&4294967295
	s_addc_u32 s15, s15, (.LBB2_11559-.Lpost_getpc34451)>>32
	s_setpc_b64 s[14:15]
.LBB2_34451:
	s_getpc_b64 s[14:15]
.Lpost_getpc20809:
	s_add_u32 s14, s14, (.LBB2_11560-.Lpost_getpc20809)&4294967295
	s_addc_u32 s15, s15, (.LBB2_11560-.Lpost_getpc20809)>>32
	s_setpc_b64 s[14:15]
.LBB2_25897:
	s_movk_i32 s4, 0x80
	v_cmp_eq_u16_sdwa s[12:13], v6, s4 src0_sel:BYTE_0 src1_sel:DWORD
	s_mov_b64 s[4:5], -1
                                        ; implicit-def: $sgpr10
	s_and_saveexec_b64 s[8:9], s[12:13]
; %bb.25898:
	s_mov_b32 s10, 0x7f800001
	s_xor_b64 s[4:5], exec, -1
; %bb.25899:
	s_or_b64 exec, exec, s[8:9]
	s_and_b64 s[4:5], s[4:5], exec
	s_or_saveexec_b64 s[6:7], s[6:7]
	v_mov_b32_e32 v2, s10
	s_xor_b64 exec, exec, s[6:7]
	s_cbranch_execnz .LBB2_25900
; %bb.61737:
	s_getpc_b64 s[14:15]
.Lpost_getpc34452:
	s_add_u32 s14, s14, (.LBB2_11562-.Lpost_getpc34452)&4294967295
	s_addc_u32 s15, s15, (.LBB2_11562-.Lpost_getpc34452)>>32
	s_setpc_b64 s[14:15]
.LBB2_25900:
	v_mov_b32_e32 v2, 0
	v_cmp_ne_u16_sdwa s[8:9], v6, v2 src0_sel:BYTE_0 src1_sel:DWORD
	s_andn2_b64 s[4:5], s[4:5], exec
	s_and_b64 s[8:9], s[8:9], exec
	s_or_b64 s[4:5], s[4:5], s[8:9]
	s_or_b64 exec, exec, s[6:7]
	s_and_saveexec_b64 s[6:7], s[4:5]
	s_cbranch_execz .LBB2_34453
; %bb.61739:
	s_getpc_b64 s[14:15]
.Lpost_getpc34453:
	s_add_u32 s14, s14, (.LBB2_11563-.Lpost_getpc34453)&4294967295
	s_addc_u32 s15, s15, (.LBB2_11563-.Lpost_getpc34453)>>32
	s_setpc_b64 s[14:15]
.LBB2_34453:
	s_getpc_b64 s[14:15]
.Lpost_getpc20810:
	s_add_u32 s14, s14, (.LBB2_11564-.Lpost_getpc20810)&4294967295
	s_addc_u32 s15, s15, (.LBB2_11564-.Lpost_getpc20810)>>32
	s_setpc_b64 s[14:15]
.LBB2_25901:
	s_movk_i32 s4, 0x80
	v_cmp_eq_u16_sdwa s[12:13], v6, s4 src0_sel:BYTE_0 src1_sel:DWORD
	s_mov_b64 s[4:5], -1
                                        ; implicit-def: $sgpr10
	s_and_saveexec_b64 s[8:9], s[12:13]
; %bb.25902:
	s_mov_b32 s10, 0x7f800001
	s_xor_b64 s[4:5], exec, -1
; %bb.25903:
	s_or_b64 exec, exec, s[8:9]
	s_and_b64 s[4:5], s[4:5], exec
	s_or_saveexec_b64 s[6:7], s[6:7]
	v_mov_b32_e32 v12, s10
	s_xor_b64 exec, exec, s[6:7]
	s_cbranch_execnz .LBB2_25904
; %bb.61741:
	s_getpc_b64 s[14:15]
.Lpost_getpc34454:
	s_add_u32 s14, s14, (.LBB2_11566-.Lpost_getpc34454)&4294967295
	s_addc_u32 s15, s15, (.LBB2_11566-.Lpost_getpc34454)>>32
	s_setpc_b64 s[14:15]
.LBB2_25904:
	v_mov_b32_e32 v12, 0
	v_cmp_ne_u16_sdwa s[8:9], v6, v12 src0_sel:BYTE_0 src1_sel:DWORD
	s_andn2_b64 s[4:5], s[4:5], exec
	s_and_b64 s[8:9], s[8:9], exec
	s_or_b64 s[4:5], s[4:5], s[8:9]
	s_or_b64 exec, exec, s[6:7]
	s_and_saveexec_b64 s[6:7], s[4:5]
	s_cbranch_execz .LBB2_34455
; %bb.61743:
	s_getpc_b64 s[14:15]
.Lpost_getpc34455:
	s_add_u32 s14, s14, (.LBB2_11567-.Lpost_getpc34455)&4294967295
	s_addc_u32 s15, s15, (.LBB2_11567-.Lpost_getpc34455)>>32
	s_setpc_b64 s[14:15]
.LBB2_34455:
	s_getpc_b64 s[14:15]
.Lpost_getpc20811:
	s_add_u32 s14, s14, (.LBB2_11568-.Lpost_getpc20811)&4294967295
	s_addc_u32 s15, s15, (.LBB2_11568-.Lpost_getpc20811)>>32
	s_setpc_b64 s[14:15]
.LBB2_25905:
	s_movk_i32 s4, 0x80
	v_cmp_eq_u16_e32 vcc, s4, v6
	s_mov_b64 s[4:5], -1
                                        ; implicit-def: $sgpr10
	s_and_saveexec_b64 s[8:9], vcc
; %bb.25906:
	s_mov_b32 s10, 0x7f800001
	s_xor_b64 s[4:5], exec, -1
; %bb.25907:
	s_or_b64 exec, exec, s[8:9]
	s_and_b64 s[4:5], s[4:5], exec
                                        ; implicit-def: $vgpr6
	s_or_saveexec_b64 s[6:7], s[6:7]
	v_mov_b32_e32 v2, s10
	s_xor_b64 exec, exec, s[6:7]
	s_cbranch_execnz .LBB2_25908
; %bb.61745:
	s_getpc_b64 s[14:15]
.Lpost_getpc34456:
	s_add_u32 s14, s14, (.LBB2_11570-.Lpost_getpc34456)&4294967295
	s_addc_u32 s15, s15, (.LBB2_11570-.Lpost_getpc34456)>>32
	s_setpc_b64 s[14:15]
.LBB2_25908:
	v_cmp_ne_u16_e32 vcc, 0, v6
	s_andn2_b64 s[4:5], s[4:5], exec
	s_and_b64 s[8:9], vcc, exec
	v_mov_b32_e32 v2, 0
	s_or_b64 s[4:5], s[4:5], s[8:9]
	s_or_b64 exec, exec, s[6:7]
	s_and_saveexec_b64 s[6:7], s[4:5]
	s_cbranch_execz .LBB2_34457
; %bb.61747:
	s_getpc_b64 s[14:15]
.Lpost_getpc34457:
	s_add_u32 s14, s14, (.LBB2_11571-.Lpost_getpc34457)&4294967295
	s_addc_u32 s15, s15, (.LBB2_11571-.Lpost_getpc34457)>>32
	s_setpc_b64 s[14:15]
.LBB2_34457:
	s_getpc_b64 s[14:15]
.Lpost_getpc20812:
	s_add_u32 s14, s14, (.LBB2_11572-.Lpost_getpc20812)&4294967295
	s_addc_u32 s15, s15, (.LBB2_11572-.Lpost_getpc20812)>>32
	s_setpc_b64 s[14:15]
.LBB2_25909:
	s_movk_i32 s4, 0x80
	v_cmp_eq_u16_e32 vcc, s4, v6
	s_mov_b64 s[4:5], -1
                                        ; implicit-def: $sgpr10
	s_and_saveexec_b64 s[8:9], vcc
; %bb.25910:
	s_mov_b32 s10, 0x7f800001
	s_xor_b64 s[4:5], exec, -1
; %bb.25911:
	s_or_b64 exec, exec, s[8:9]
	s_and_b64 s[4:5], s[4:5], exec
                                        ; implicit-def: $vgpr6
	s_or_saveexec_b64 s[6:7], s[6:7]
	v_mov_b32_e32 v12, s10
	s_xor_b64 exec, exec, s[6:7]
	s_cbranch_execnz .LBB2_25912
; %bb.61749:
	s_getpc_b64 s[14:15]
.Lpost_getpc34458:
	s_add_u32 s14, s14, (.LBB2_11574-.Lpost_getpc34458)&4294967295
	s_addc_u32 s15, s15, (.LBB2_11574-.Lpost_getpc34458)>>32
	s_setpc_b64 s[14:15]
.LBB2_25912:
	v_cmp_ne_u16_e32 vcc, 0, v6
	s_andn2_b64 s[4:5], s[4:5], exec
	s_and_b64 s[8:9], vcc, exec
	v_mov_b32_e32 v12, 0
	s_or_b64 s[4:5], s[4:5], s[8:9]
	s_or_b64 exec, exec, s[6:7]
	s_and_saveexec_b64 s[6:7], s[4:5]
	s_cbranch_execz .LBB2_34459
; %bb.61751:
	s_getpc_b64 s[14:15]
.Lpost_getpc34459:
	s_add_u32 s14, s14, (.LBB2_11575-.Lpost_getpc34459)&4294967295
	s_addc_u32 s15, s15, (.LBB2_11575-.Lpost_getpc34459)>>32
	s_setpc_b64 s[14:15]
.LBB2_34459:
	s_getpc_b64 s[14:15]
.Lpost_getpc20813:
	s_add_u32 s14, s14, (.LBB2_11576-.Lpost_getpc20813)&4294967295
	s_addc_u32 s15, s15, (.LBB2_11576-.Lpost_getpc20813)>>32
	s_setpc_b64 s[14:15]
.LBB2_25913:
	s_movk_i32 s4, 0x80
	v_cmp_eq_u16_sdwa s[12:13], v7, s4 src0_sel:BYTE_3 src1_sel:DWORD
	s_mov_b64 s[4:5], -1
                                        ; implicit-def: $sgpr10
	s_and_saveexec_b64 s[8:9], s[12:13]
; %bb.25914:
	s_mov_b32 s10, 0x7f800001
	s_xor_b64 s[4:5], exec, -1
; %bb.25915:
	s_or_b64 exec, exec, s[8:9]
	s_and_b64 s[4:5], s[4:5], exec
	s_or_saveexec_b64 s[6:7], s[6:7]
	v_mov_b32_e32 v2, s10
	s_xor_b64 exec, exec, s[6:7]
	s_cbranch_execnz .LBB2_25916
; %bb.61753:
	s_getpc_b64 s[14:15]
.Lpost_getpc34460:
	s_add_u32 s14, s14, (.LBB2_11578-.Lpost_getpc34460)&4294967295
	s_addc_u32 s15, s15, (.LBB2_11578-.Lpost_getpc34460)>>32
	s_setpc_b64 s[14:15]
.LBB2_25916:
	v_mov_b32_e32 v2, 0
	v_cmp_ne_u16_sdwa s[8:9], v7, v2 src0_sel:BYTE_3 src1_sel:DWORD
	s_andn2_b64 s[4:5], s[4:5], exec
	s_and_b64 s[8:9], s[8:9], exec
	s_or_b64 s[4:5], s[4:5], s[8:9]
	s_or_b64 exec, exec, s[6:7]
	s_and_saveexec_b64 s[6:7], s[4:5]
	s_cbranch_execz .LBB2_34461
; %bb.61755:
	s_getpc_b64 s[14:15]
.Lpost_getpc34461:
	s_add_u32 s14, s14, (.LBB2_11579-.Lpost_getpc34461)&4294967295
	s_addc_u32 s15, s15, (.LBB2_11579-.Lpost_getpc34461)>>32
	s_setpc_b64 s[14:15]
.LBB2_34461:
	s_getpc_b64 s[14:15]
.Lpost_getpc20814:
	s_add_u32 s14, s14, (.LBB2_11580-.Lpost_getpc20814)&4294967295
	s_addc_u32 s15, s15, (.LBB2_11580-.Lpost_getpc20814)>>32
	s_setpc_b64 s[14:15]
.LBB2_25917:
	s_movk_i32 s4, 0x80
	v_cmp_eq_u16_sdwa s[12:13], v3, s4 src0_sel:BYTE_3 src1_sel:DWORD
	s_mov_b64 s[4:5], -1
                                        ; implicit-def: $sgpr10
	s_and_saveexec_b64 s[8:9], s[12:13]
; %bb.25918:
	s_mov_b32 s10, 0x7f800001
	s_xor_b64 s[4:5], exec, -1
; %bb.25919:
	s_or_b64 exec, exec, s[8:9]
	s_and_b64 s[4:5], s[4:5], exec
	s_or_saveexec_b64 s[6:7], s[6:7]
	v_mov_b32_e32 v6, s10
	s_xor_b64 exec, exec, s[6:7]
	s_cbranch_execnz .LBB2_25920
; %bb.61757:
	s_getpc_b64 s[14:15]
.Lpost_getpc34462:
	s_add_u32 s14, s14, (.LBB2_11582-.Lpost_getpc34462)&4294967295
	s_addc_u32 s15, s15, (.LBB2_11582-.Lpost_getpc34462)>>32
	s_setpc_b64 s[14:15]
.LBB2_25920:
	v_mov_b32_e32 v6, 0
	v_cmp_ne_u16_sdwa s[8:9], v3, v6 src0_sel:BYTE_3 src1_sel:DWORD
	s_andn2_b64 s[4:5], s[4:5], exec
	s_and_b64 s[8:9], s[8:9], exec
	s_or_b64 s[4:5], s[4:5], s[8:9]
	s_or_b64 exec, exec, s[6:7]
	s_and_saveexec_b64 s[6:7], s[4:5]
	s_cbranch_execz .LBB2_34463
; %bb.61759:
	s_getpc_b64 s[14:15]
.Lpost_getpc34463:
	s_add_u32 s14, s14, (.LBB2_11583-.Lpost_getpc34463)&4294967295
	s_addc_u32 s15, s15, (.LBB2_11583-.Lpost_getpc34463)>>32
	s_setpc_b64 s[14:15]
.LBB2_34463:
	s_getpc_b64 s[14:15]
.Lpost_getpc20815:
	s_add_u32 s14, s14, (.LBB2_11584-.Lpost_getpc20815)&4294967295
	s_addc_u32 s15, s15, (.LBB2_11584-.Lpost_getpc20815)>>32
	s_setpc_b64 s[14:15]
.LBB2_25921:
	s_movk_i32 s4, 0x80
	v_cmp_eq_u16_sdwa s[12:13], v8, s4 src0_sel:BYTE_0 src1_sel:DWORD
	s_mov_b64 s[4:5], -1
                                        ; implicit-def: $sgpr10
	s_and_saveexec_b64 s[8:9], s[12:13]
; %bb.25922:
	s_mov_b32 s10, 0x7f800001
	s_xor_b64 s[4:5], exec, -1
; %bb.25923:
	s_or_b64 exec, exec, s[8:9]
	s_and_b64 s[4:5], s[4:5], exec
	s_or_saveexec_b64 s[6:7], s[6:7]
	v_mov_b32_e32 v2, s10
	s_xor_b64 exec, exec, s[6:7]
	s_cbranch_execnz .LBB2_25924
; %bb.61761:
	s_getpc_b64 s[14:15]
.Lpost_getpc34464:
	s_add_u32 s14, s14, (.LBB2_11586-.Lpost_getpc34464)&4294967295
	s_addc_u32 s15, s15, (.LBB2_11586-.Lpost_getpc34464)>>32
	s_setpc_b64 s[14:15]
.LBB2_25924:
	v_mov_b32_e32 v2, 0
	v_cmp_ne_u16_sdwa s[8:9], v8, v2 src0_sel:BYTE_0 src1_sel:DWORD
	s_andn2_b64 s[4:5], s[4:5], exec
	s_and_b64 s[8:9], s[8:9], exec
	s_or_b64 s[4:5], s[4:5], s[8:9]
	s_or_b64 exec, exec, s[6:7]
	s_and_saveexec_b64 s[6:7], s[4:5]
	s_cbranch_execz .LBB2_34465
; %bb.61763:
	s_getpc_b64 s[14:15]
.Lpost_getpc34465:
	s_add_u32 s14, s14, (.LBB2_11587-.Lpost_getpc34465)&4294967295
	s_addc_u32 s15, s15, (.LBB2_11587-.Lpost_getpc34465)>>32
	s_setpc_b64 s[14:15]
.LBB2_34465:
	s_getpc_b64 s[14:15]
.Lpost_getpc20816:
	s_add_u32 s14, s14, (.LBB2_11588-.Lpost_getpc20816)&4294967295
	s_addc_u32 s15, s15, (.LBB2_11588-.Lpost_getpc20816)>>32
	s_setpc_b64 s[14:15]
.LBB2_25925:
	s_movk_i32 s4, 0x80
	v_cmp_eq_u16_sdwa s[12:13], v4, s4 src0_sel:BYTE_0 src1_sel:DWORD
	s_mov_b64 s[4:5], -1
                                        ; implicit-def: $sgpr10
	s_and_saveexec_b64 s[8:9], s[12:13]
; %bb.25926:
	s_mov_b32 s10, 0x7f800001
	s_xor_b64 s[4:5], exec, -1
; %bb.25927:
	s_or_b64 exec, exec, s[8:9]
	s_and_b64 s[4:5], s[4:5], exec
	s_or_saveexec_b64 s[6:7], s[6:7]
	v_mov_b32_e32 v3, s10
	s_xor_b64 exec, exec, s[6:7]
	s_cbranch_execnz .LBB2_25928
; %bb.61765:
	s_getpc_b64 s[14:15]
.Lpost_getpc34466:
	s_add_u32 s14, s14, (.LBB2_11590-.Lpost_getpc34466)&4294967295
	s_addc_u32 s15, s15, (.LBB2_11590-.Lpost_getpc34466)>>32
	s_setpc_b64 s[14:15]
.LBB2_25928:
	v_mov_b32_e32 v3, 0
	v_cmp_ne_u16_sdwa s[8:9], v4, v3 src0_sel:BYTE_0 src1_sel:DWORD
	s_andn2_b64 s[4:5], s[4:5], exec
	s_and_b64 s[8:9], s[8:9], exec
	s_or_b64 s[4:5], s[4:5], s[8:9]
	s_or_b64 exec, exec, s[6:7]
	s_and_saveexec_b64 s[6:7], s[4:5]
	s_cbranch_execz .LBB2_34467
; %bb.61767:
	s_getpc_b64 s[14:15]
.Lpost_getpc34467:
	s_add_u32 s14, s14, (.LBB2_11591-.Lpost_getpc34467)&4294967295
	s_addc_u32 s15, s15, (.LBB2_11591-.Lpost_getpc34467)>>32
	s_setpc_b64 s[14:15]
.LBB2_34467:
	s_getpc_b64 s[14:15]
.Lpost_getpc20817:
	s_add_u32 s14, s14, (.LBB2_11592-.Lpost_getpc20817)&4294967295
	s_addc_u32 s15, s15, (.LBB2_11592-.Lpost_getpc20817)>>32
	s_setpc_b64 s[14:15]
.LBB2_25929:
	s_movk_i32 s4, 0x80
	v_cmp_eq_u16_sdwa s[12:13], v3, s4 src0_sel:BYTE_0 src1_sel:DWORD
	s_mov_b64 s[4:5], -1
                                        ; implicit-def: $sgpr10
	s_and_saveexec_b64 s[8:9], s[12:13]
; %bb.25930:
	s_mov_b32 s10, 0x7f800001
	s_xor_b64 s[4:5], exec, -1
; %bb.25931:
	s_or_b64 exec, exec, s[8:9]
	s_and_b64 s[4:5], s[4:5], exec
	s_or_saveexec_b64 s[6:7], s[6:7]
	v_mov_b32_e32 v2, s10
	s_xor_b64 exec, exec, s[6:7]
	s_cbranch_execnz .LBB2_25932
; %bb.61769:
	s_getpc_b64 s[14:15]
.Lpost_getpc34468:
	s_add_u32 s14, s14, (.LBB2_11594-.Lpost_getpc34468)&4294967295
	s_addc_u32 s15, s15, (.LBB2_11594-.Lpost_getpc34468)>>32
	s_setpc_b64 s[14:15]
.LBB2_25932:
	v_mov_b32_e32 v2, 0
	v_cmp_ne_u16_sdwa s[8:9], v3, v2 src0_sel:BYTE_0 src1_sel:DWORD
	s_andn2_b64 s[4:5], s[4:5], exec
	s_and_b64 s[8:9], s[8:9], exec
	s_or_b64 s[4:5], s[4:5], s[8:9]
	s_or_b64 exec, exec, s[6:7]
	s_and_saveexec_b64 s[6:7], s[4:5]
	s_cbranch_execz .LBB2_34469
; %bb.61771:
	s_getpc_b64 s[14:15]
.Lpost_getpc34469:
	s_add_u32 s14, s14, (.LBB2_11595-.Lpost_getpc34469)&4294967295
	s_addc_u32 s15, s15, (.LBB2_11595-.Lpost_getpc34469)>>32
	s_setpc_b64 s[14:15]
.LBB2_34469:
	s_getpc_b64 s[14:15]
.Lpost_getpc20818:
	s_add_u32 s14, s14, (.LBB2_11596-.Lpost_getpc20818)&4294967295
	s_addc_u32 s15, s15, (.LBB2_11596-.Lpost_getpc20818)>>32
	s_setpc_b64 s[14:15]
.LBB2_25933:
	s_movk_i32 s4, 0x80
	v_cmp_eq_u16_sdwa s[12:13], v3, s4 src0_sel:BYTE_0 src1_sel:DWORD
	s_mov_b64 s[4:5], -1
                                        ; implicit-def: $sgpr10
	s_and_saveexec_b64 s[8:9], s[12:13]
; %bb.25934:
	s_mov_b32 s10, 0x7f800001
	s_xor_b64 s[4:5], exec, -1
; %bb.25935:
	s_or_b64 exec, exec, s[8:9]
	s_and_b64 s[4:5], s[4:5], exec
	s_or_saveexec_b64 s[6:7], s[6:7]
	v_mov_b32_e32 v6, s10
	s_xor_b64 exec, exec, s[6:7]
	s_cbranch_execnz .LBB2_25936
; %bb.61773:
	s_getpc_b64 s[14:15]
.Lpost_getpc34470:
	s_add_u32 s14, s14, (.LBB2_11598-.Lpost_getpc34470)&4294967295
	s_addc_u32 s15, s15, (.LBB2_11598-.Lpost_getpc34470)>>32
	s_setpc_b64 s[14:15]
.LBB2_25936:
	v_mov_b32_e32 v6, 0
	v_cmp_ne_u16_sdwa s[8:9], v3, v6 src0_sel:BYTE_0 src1_sel:DWORD
	s_andn2_b64 s[4:5], s[4:5], exec
	s_and_b64 s[8:9], s[8:9], exec
	s_or_b64 s[4:5], s[4:5], s[8:9]
	s_or_b64 exec, exec, s[6:7]
	s_and_saveexec_b64 s[6:7], s[4:5]
	s_cbranch_execz .LBB2_34471
; %bb.61775:
	s_getpc_b64 s[14:15]
.Lpost_getpc34471:
	s_add_u32 s14, s14, (.LBB2_11599-.Lpost_getpc34471)&4294967295
	s_addc_u32 s15, s15, (.LBB2_11599-.Lpost_getpc34471)>>32
	s_setpc_b64 s[14:15]
.LBB2_34471:
	s_getpc_b64 s[14:15]
.Lpost_getpc20819:
	s_add_u32 s14, s14, (.LBB2_11600-.Lpost_getpc20819)&4294967295
	s_addc_u32 s15, s15, (.LBB2_11600-.Lpost_getpc20819)>>32
	s_setpc_b64 s[14:15]
.LBB2_25937:
	s_movk_i32 s4, 0x80
	v_cmp_eq_u16_e32 vcc, s4, v3
	s_mov_b64 s[4:5], -1
                                        ; implicit-def: $sgpr10
	s_and_saveexec_b64 s[8:9], vcc
; %bb.25938:
	s_mov_b32 s10, 0x7f800001
	s_xor_b64 s[4:5], exec, -1
; %bb.25939:
	s_or_b64 exec, exec, s[8:9]
	s_and_b64 s[4:5], s[4:5], exec
                                        ; implicit-def: $vgpr3
	s_or_saveexec_b64 s[6:7], s[6:7]
	v_mov_b32_e32 v2, s10
	s_xor_b64 exec, exec, s[6:7]
	s_cbranch_execnz .LBB2_25940
; %bb.61777:
	s_getpc_b64 s[14:15]
.Lpost_getpc34472:
	s_add_u32 s14, s14, (.LBB2_11602-.Lpost_getpc34472)&4294967295
	s_addc_u32 s15, s15, (.LBB2_11602-.Lpost_getpc34472)>>32
	s_setpc_b64 s[14:15]
.LBB2_25940:
	v_cmp_ne_u16_e32 vcc, 0, v3
	s_andn2_b64 s[4:5], s[4:5], exec
	s_and_b64 s[8:9], vcc, exec
	v_mov_b32_e32 v2, 0
	s_or_b64 s[4:5], s[4:5], s[8:9]
	s_or_b64 exec, exec, s[6:7]
	s_and_saveexec_b64 s[6:7], s[4:5]
	s_cbranch_execz .LBB2_34473
; %bb.61779:
	s_getpc_b64 s[14:15]
.Lpost_getpc34473:
	s_add_u32 s14, s14, (.LBB2_11603-.Lpost_getpc34473)&4294967295
	s_addc_u32 s15, s15, (.LBB2_11603-.Lpost_getpc34473)>>32
	s_setpc_b64 s[14:15]
.LBB2_34473:
	s_getpc_b64 s[14:15]
.Lpost_getpc20820:
	s_add_u32 s14, s14, (.LBB2_11604-.Lpost_getpc20820)&4294967295
	s_addc_u32 s15, s15, (.LBB2_11604-.Lpost_getpc20820)>>32
	s_setpc_b64 s[14:15]
.LBB2_25941:
	s_movk_i32 s4, 0x80
	v_cmp_eq_u16_e32 vcc, s4, v3
	s_mov_b64 s[4:5], -1
                                        ; implicit-def: $sgpr10
	s_and_saveexec_b64 s[8:9], vcc
; %bb.25942:
	s_mov_b32 s10, 0x7f800001
	s_xor_b64 s[4:5], exec, -1
; %bb.25943:
	s_or_b64 exec, exec, s[8:9]
	s_and_b64 s[4:5], s[4:5], exec
                                        ; implicit-def: $vgpr3
	s_or_saveexec_b64 s[6:7], s[6:7]
	v_mov_b32_e32 v6, s10
	s_xor_b64 exec, exec, s[6:7]
	s_cbranch_execnz .LBB2_25944
; %bb.61781:
	s_getpc_b64 s[14:15]
.Lpost_getpc34474:
	s_add_u32 s14, s14, (.LBB2_11606-.Lpost_getpc34474)&4294967295
	s_addc_u32 s15, s15, (.LBB2_11606-.Lpost_getpc34474)>>32
	s_setpc_b64 s[14:15]
.LBB2_25944:
	v_cmp_ne_u16_e32 vcc, 0, v3
	s_andn2_b64 s[4:5], s[4:5], exec
	s_and_b64 s[8:9], vcc, exec
	v_mov_b32_e32 v6, 0
	s_or_b64 s[4:5], s[4:5], s[8:9]
	s_or_b64 exec, exec, s[6:7]
	s_and_saveexec_b64 s[6:7], s[4:5]
	s_cbranch_execz .LBB2_34475
; %bb.61783:
	s_getpc_b64 s[14:15]
.Lpost_getpc34475:
	s_add_u32 s14, s14, (.LBB2_11607-.Lpost_getpc34475)&4294967295
	s_addc_u32 s15, s15, (.LBB2_11607-.Lpost_getpc34475)>>32
	s_setpc_b64 s[14:15]
.LBB2_34475:
	s_getpc_b64 s[14:15]
.Lpost_getpc20821:
	s_add_u32 s14, s14, (.LBB2_11608-.Lpost_getpc20821)&4294967295
	s_addc_u32 s15, s15, (.LBB2_11608-.Lpost_getpc20821)>>32
	s_setpc_b64 s[14:15]
.LBB2_25945:
	s_movk_i32 s4, 0x80
	v_cmp_eq_u16_sdwa s[12:13], v8, s4 src0_sel:BYTE_3 src1_sel:DWORD
	s_mov_b64 s[4:5], -1
                                        ; implicit-def: $sgpr10
	s_and_saveexec_b64 s[8:9], s[12:13]
; %bb.25946:
	s_mov_b32 s10, 0x7f800001
	s_xor_b64 s[4:5], exec, -1
; %bb.25947:
	s_or_b64 exec, exec, s[8:9]
	s_and_b64 s[4:5], s[4:5], exec
	s_or_saveexec_b64 s[6:7], s[6:7]
	v_mov_b32_e32 v2, s10
	s_xor_b64 exec, exec, s[6:7]
	s_cbranch_execnz .LBB2_25948
; %bb.61785:
	s_getpc_b64 s[14:15]
.Lpost_getpc34476:
	s_add_u32 s14, s14, (.LBB2_11610-.Lpost_getpc34476)&4294967295
	s_addc_u32 s15, s15, (.LBB2_11610-.Lpost_getpc34476)>>32
	s_setpc_b64 s[14:15]
.LBB2_25948:
	v_mov_b32_e32 v2, 0
	v_cmp_ne_u16_sdwa s[8:9], v8, v2 src0_sel:BYTE_3 src1_sel:DWORD
	s_andn2_b64 s[4:5], s[4:5], exec
	s_and_b64 s[8:9], s[8:9], exec
	s_or_b64 s[4:5], s[4:5], s[8:9]
	s_or_b64 exec, exec, s[6:7]
	s_and_saveexec_b64 s[6:7], s[4:5]
	s_cbranch_execz .LBB2_34477
; %bb.61787:
	s_getpc_b64 s[14:15]
.Lpost_getpc34477:
	s_add_u32 s14, s14, (.LBB2_11611-.Lpost_getpc34477)&4294967295
	s_addc_u32 s15, s15, (.LBB2_11611-.Lpost_getpc34477)>>32
	s_setpc_b64 s[14:15]
.LBB2_34477:
	s_getpc_b64 s[14:15]
.Lpost_getpc20822:
	s_add_u32 s14, s14, (.LBB2_11612-.Lpost_getpc20822)&4294967295
	s_addc_u32 s15, s15, (.LBB2_11612-.Lpost_getpc20822)>>32
	s_setpc_b64 s[14:15]
.LBB2_25949:
	s_movk_i32 s4, 0x80
	v_cmp_eq_u16_sdwa s[12:13], v4, s4 src0_sel:BYTE_3 src1_sel:DWORD
	s_mov_b64 s[4:5], -1
                                        ; implicit-def: $sgpr10
	s_and_saveexec_b64 s[8:9], s[12:13]
; %bb.25950:
	s_mov_b32 s10, 0x7f800001
	s_xor_b64 s[4:5], exec, -1
; %bb.25951:
	s_or_b64 exec, exec, s[8:9]
	s_and_b64 s[4:5], s[4:5], exec
	s_or_saveexec_b64 s[6:7], s[6:7]
	v_mov_b32_e32 v3, s10
	s_xor_b64 exec, exec, s[6:7]
	s_cbranch_execnz .LBB2_25952
; %bb.61789:
	s_getpc_b64 s[14:15]
.Lpost_getpc34478:
	s_add_u32 s14, s14, (.LBB2_11614-.Lpost_getpc34478)&4294967295
	s_addc_u32 s15, s15, (.LBB2_11614-.Lpost_getpc34478)>>32
	s_setpc_b64 s[14:15]
.LBB2_25952:
	v_mov_b32_e32 v3, 0
	v_cmp_ne_u16_sdwa s[8:9], v4, v3 src0_sel:BYTE_3 src1_sel:DWORD
	s_andn2_b64 s[4:5], s[4:5], exec
	s_and_b64 s[8:9], s[8:9], exec
	s_or_b64 s[4:5], s[4:5], s[8:9]
	s_or_b64 exec, exec, s[6:7]
	s_and_saveexec_b64 s[6:7], s[4:5]
	s_cbranch_execz .LBB2_34479
; %bb.61791:
	s_getpc_b64 s[14:15]
.Lpost_getpc34479:
	s_add_u32 s14, s14, (.LBB2_11615-.Lpost_getpc34479)&4294967295
	s_addc_u32 s15, s15, (.LBB2_11615-.Lpost_getpc34479)>>32
	s_setpc_b64 s[14:15]
.LBB2_34479:
	s_getpc_b64 s[14:15]
.Lpost_getpc20823:
	s_add_u32 s14, s14, (.LBB2_11616-.Lpost_getpc20823)&4294967295
	s_addc_u32 s15, s15, (.LBB2_11616-.Lpost_getpc20823)>>32
	s_setpc_b64 s[14:15]
.LBB2_25953:
	s_movk_i32 s4, 0x80
	v_cmp_eq_u16_sdwa s[12:13], v9, s4 src0_sel:BYTE_0 src1_sel:DWORD
	s_mov_b64 s[4:5], -1
                                        ; implicit-def: $sgpr10
	s_and_saveexec_b64 s[8:9], s[12:13]
; %bb.25954:
	s_mov_b32 s10, 0x7f800001
	s_xor_b64 s[4:5], exec, -1
; %bb.25955:
	s_or_b64 exec, exec, s[8:9]
	s_and_b64 s[4:5], s[4:5], exec
	s_or_saveexec_b64 s[6:7], s[6:7]
	v_mov_b32_e32 v2, s10
	s_xor_b64 exec, exec, s[6:7]
	s_cbranch_execnz .LBB2_25956
; %bb.61793:
	s_getpc_b64 s[14:15]
.Lpost_getpc34480:
	s_add_u32 s14, s14, (.LBB2_11618-.Lpost_getpc34480)&4294967295
	s_addc_u32 s15, s15, (.LBB2_11618-.Lpost_getpc34480)>>32
	s_setpc_b64 s[14:15]
.LBB2_25956:
	v_mov_b32_e32 v2, 0
	v_cmp_ne_u16_sdwa s[8:9], v9, v2 src0_sel:BYTE_0 src1_sel:DWORD
	s_andn2_b64 s[4:5], s[4:5], exec
	s_and_b64 s[8:9], s[8:9], exec
	s_or_b64 s[4:5], s[4:5], s[8:9]
	s_or_b64 exec, exec, s[6:7]
	s_and_saveexec_b64 s[6:7], s[4:5]
	s_cbranch_execz .LBB2_34481
; %bb.61795:
	s_getpc_b64 s[14:15]
.Lpost_getpc34481:
	s_add_u32 s14, s14, (.LBB2_11619-.Lpost_getpc34481)&4294967295
	s_addc_u32 s15, s15, (.LBB2_11619-.Lpost_getpc34481)>>32
	s_setpc_b64 s[14:15]
.LBB2_34481:
	s_getpc_b64 s[14:15]
.Lpost_getpc20824:
	s_add_u32 s14, s14, (.LBB2_11620-.Lpost_getpc20824)&4294967295
	s_addc_u32 s15, s15, (.LBB2_11620-.Lpost_getpc20824)>>32
	s_setpc_b64 s[14:15]
.LBB2_25957:
	s_movk_i32 s4, 0x80
	v_cmp_eq_u16_sdwa s[12:13], v5, s4 src0_sel:BYTE_0 src1_sel:DWORD
	s_mov_b64 s[4:5], -1
                                        ; implicit-def: $sgpr10
	s_and_saveexec_b64 s[8:9], s[12:13]
; %bb.25958:
	s_mov_b32 s10, 0x7f800001
	s_xor_b64 s[4:5], exec, -1
; %bb.25959:
	s_or_b64 exec, exec, s[8:9]
	s_and_b64 s[4:5], s[4:5], exec
	s_or_saveexec_b64 s[6:7], s[6:7]
	v_mov_b32_e32 v3, s10
	s_xor_b64 exec, exec, s[6:7]
	s_cbranch_execnz .LBB2_25960
; %bb.61797:
	s_getpc_b64 s[14:15]
.Lpost_getpc34482:
	s_add_u32 s14, s14, (.LBB2_11622-.Lpost_getpc34482)&4294967295
	s_addc_u32 s15, s15, (.LBB2_11622-.Lpost_getpc34482)>>32
	s_setpc_b64 s[14:15]
.LBB2_25960:
	v_mov_b32_e32 v3, 0
	v_cmp_ne_u16_sdwa s[8:9], v5, v3 src0_sel:BYTE_0 src1_sel:DWORD
	s_andn2_b64 s[4:5], s[4:5], exec
	s_and_b64 s[8:9], s[8:9], exec
	s_or_b64 s[4:5], s[4:5], s[8:9]
	s_or_b64 exec, exec, s[6:7]
	s_and_saveexec_b64 s[6:7], s[4:5]
	s_cbranch_execz .LBB2_34483
; %bb.61799:
	s_getpc_b64 s[14:15]
.Lpost_getpc34483:
	s_add_u32 s14, s14, (.LBB2_11623-.Lpost_getpc34483)&4294967295
	s_addc_u32 s15, s15, (.LBB2_11623-.Lpost_getpc34483)>>32
	s_setpc_b64 s[14:15]
.LBB2_34483:
	s_getpc_b64 s[14:15]
.Lpost_getpc20825:
	s_add_u32 s14, s14, (.LBB2_11624-.Lpost_getpc20825)&4294967295
	s_addc_u32 s15, s15, (.LBB2_11624-.Lpost_getpc20825)>>32
	s_setpc_b64 s[14:15]
.LBB2_25961:
	s_movk_i32 s4, 0x80
	v_cmp_eq_u16_sdwa s[12:13], v3, s4 src0_sel:BYTE_0 src1_sel:DWORD
	s_mov_b64 s[4:5], -1
                                        ; implicit-def: $sgpr10
	s_and_saveexec_b64 s[8:9], s[12:13]
; %bb.25962:
	s_mov_b32 s10, 0x7f800001
	s_xor_b64 s[4:5], exec, -1
; %bb.25963:
	s_or_b64 exec, exec, s[8:9]
	s_and_b64 s[4:5], s[4:5], exec
	s_or_saveexec_b64 s[6:7], s[6:7]
	v_mov_b32_e32 v2, s10
	s_xor_b64 exec, exec, s[6:7]
	s_cbranch_execnz .LBB2_25964
; %bb.61801:
	s_getpc_b64 s[14:15]
.Lpost_getpc34484:
	s_add_u32 s14, s14, (.LBB2_11626-.Lpost_getpc34484)&4294967295
	s_addc_u32 s15, s15, (.LBB2_11626-.Lpost_getpc34484)>>32
	s_setpc_b64 s[14:15]
.LBB2_25964:
	v_mov_b32_e32 v2, 0
	v_cmp_ne_u16_sdwa s[8:9], v3, v2 src0_sel:BYTE_0 src1_sel:DWORD
	s_andn2_b64 s[4:5], s[4:5], exec
	s_and_b64 s[8:9], s[8:9], exec
	s_or_b64 s[4:5], s[4:5], s[8:9]
	s_or_b64 exec, exec, s[6:7]
	s_and_saveexec_b64 s[6:7], s[4:5]
	s_cbranch_execz .LBB2_34485
; %bb.61803:
	s_getpc_b64 s[14:15]
.Lpost_getpc34485:
	s_add_u32 s14, s14, (.LBB2_11627-.Lpost_getpc34485)&4294967295
	s_addc_u32 s15, s15, (.LBB2_11627-.Lpost_getpc34485)>>32
	s_setpc_b64 s[14:15]
.LBB2_34485:
	s_getpc_b64 s[14:15]
.Lpost_getpc20826:
	s_add_u32 s14, s14, (.LBB2_11628-.Lpost_getpc20826)&4294967295
	s_addc_u32 s15, s15, (.LBB2_11628-.Lpost_getpc20826)>>32
	s_setpc_b64 s[14:15]
.LBB2_25965:
	s_movk_i32 s4, 0x80
	v_cmp_eq_u16_sdwa s[12:13], v3, s4 src0_sel:BYTE_0 src1_sel:DWORD
	s_mov_b64 s[4:5], -1
                                        ; implicit-def: $sgpr10
	s_and_saveexec_b64 s[8:9], s[12:13]
; %bb.25966:
	s_mov_b32 s10, 0x7f800001
	s_xor_b64 s[4:5], exec, -1
; %bb.25967:
	s_or_b64 exec, exec, s[8:9]
	s_and_b64 s[4:5], s[4:5], exec
	s_or_saveexec_b64 s[6:7], s[6:7]
	v_mov_b32_e32 v4, s10
	s_xor_b64 exec, exec, s[6:7]
	s_cbranch_execnz .LBB2_25968
; %bb.61805:
	s_getpc_b64 s[14:15]
.Lpost_getpc34486:
	s_add_u32 s14, s14, (.LBB2_11630-.Lpost_getpc34486)&4294967295
	s_addc_u32 s15, s15, (.LBB2_11630-.Lpost_getpc34486)>>32
	s_setpc_b64 s[14:15]
.LBB2_25968:
	v_mov_b32_e32 v4, 0
	v_cmp_ne_u16_sdwa s[8:9], v3, v4 src0_sel:BYTE_0 src1_sel:DWORD
	s_andn2_b64 s[4:5], s[4:5], exec
	s_and_b64 s[8:9], s[8:9], exec
	s_or_b64 s[4:5], s[4:5], s[8:9]
	s_or_b64 exec, exec, s[6:7]
	s_and_saveexec_b64 s[6:7], s[4:5]
	s_cbranch_execz .LBB2_34487
; %bb.61807:
	s_getpc_b64 s[14:15]
.Lpost_getpc34487:
	s_add_u32 s14, s14, (.LBB2_11631-.Lpost_getpc34487)&4294967295
	s_addc_u32 s15, s15, (.LBB2_11631-.Lpost_getpc34487)>>32
	s_setpc_b64 s[14:15]
.LBB2_34487:
	s_getpc_b64 s[14:15]
.Lpost_getpc20827:
	s_add_u32 s14, s14, (.LBB2_11632-.Lpost_getpc20827)&4294967295
	s_addc_u32 s15, s15, (.LBB2_11632-.Lpost_getpc20827)>>32
	s_setpc_b64 s[14:15]
.LBB2_25969:
	s_movk_i32 s4, 0x80
	v_cmp_eq_u16_e32 vcc, s4, v3
	s_mov_b64 s[4:5], -1
                                        ; implicit-def: $sgpr10
	s_and_saveexec_b64 s[8:9], vcc
; %bb.25970:
	s_mov_b32 s10, 0x7f800001
	s_xor_b64 s[4:5], exec, -1
; %bb.25971:
	s_or_b64 exec, exec, s[8:9]
	s_and_b64 s[4:5], s[4:5], exec
                                        ; implicit-def: $vgpr3
	s_or_saveexec_b64 s[6:7], s[6:7]
	v_mov_b32_e32 v2, s10
	s_xor_b64 exec, exec, s[6:7]
	s_cbranch_execnz .LBB2_25972
; %bb.61809:
	s_getpc_b64 s[14:15]
.Lpost_getpc34488:
	s_add_u32 s14, s14, (.LBB2_11634-.Lpost_getpc34488)&4294967295
	s_addc_u32 s15, s15, (.LBB2_11634-.Lpost_getpc34488)>>32
	s_setpc_b64 s[14:15]
.LBB2_25972:
	v_cmp_ne_u16_e32 vcc, 0, v3
	s_andn2_b64 s[4:5], s[4:5], exec
	s_and_b64 s[8:9], vcc, exec
	v_mov_b32_e32 v2, 0
	s_or_b64 s[4:5], s[4:5], s[8:9]
	s_or_b64 exec, exec, s[6:7]
	s_and_saveexec_b64 s[6:7], s[4:5]
	s_cbranch_execz .LBB2_34489
; %bb.61811:
	s_getpc_b64 s[14:15]
.Lpost_getpc34489:
	s_add_u32 s14, s14, (.LBB2_11635-.Lpost_getpc34489)&4294967295
	s_addc_u32 s15, s15, (.LBB2_11635-.Lpost_getpc34489)>>32
	s_setpc_b64 s[14:15]
.LBB2_34489:
	s_getpc_b64 s[14:15]
.Lpost_getpc20828:
	s_add_u32 s14, s14, (.LBB2_11636-.Lpost_getpc20828)&4294967295
	s_addc_u32 s15, s15, (.LBB2_11636-.Lpost_getpc20828)>>32
	s_setpc_b64 s[14:15]
.LBB2_25973:
	s_movk_i32 s4, 0x80
	v_cmp_eq_u16_e32 vcc, s4, v3
	s_mov_b64 s[4:5], -1
                                        ; implicit-def: $sgpr10
	s_and_saveexec_b64 s[8:9], vcc
; %bb.25974:
	s_mov_b32 s10, 0x7f800001
	s_xor_b64 s[4:5], exec, -1
; %bb.25975:
	s_or_b64 exec, exec, s[8:9]
	s_and_b64 s[4:5], s[4:5], exec
                                        ; implicit-def: $vgpr3
	s_or_saveexec_b64 s[6:7], s[6:7]
	v_mov_b32_e32 v4, s10
	s_xor_b64 exec, exec, s[6:7]
	s_cbranch_execnz .LBB2_25976
; %bb.61813:
	s_getpc_b64 s[14:15]
.Lpost_getpc34490:
	s_add_u32 s14, s14, (.LBB2_11638-.Lpost_getpc34490)&4294967295
	s_addc_u32 s15, s15, (.LBB2_11638-.Lpost_getpc34490)>>32
	s_setpc_b64 s[14:15]
.LBB2_25976:
	v_cmp_ne_u16_e32 vcc, 0, v3
	s_andn2_b64 s[4:5], s[4:5], exec
	s_and_b64 s[8:9], vcc, exec
	v_mov_b32_e32 v4, 0
	s_or_b64 s[4:5], s[4:5], s[8:9]
	s_or_b64 exec, exec, s[6:7]
	s_and_saveexec_b64 s[6:7], s[4:5]
	s_cbranch_execz .LBB2_34491
; %bb.61815:
	s_getpc_b64 s[14:15]
.Lpost_getpc34491:
	s_add_u32 s14, s14, (.LBB2_11639-.Lpost_getpc34491)&4294967295
	s_addc_u32 s15, s15, (.LBB2_11639-.Lpost_getpc34491)>>32
	s_setpc_b64 s[14:15]
.LBB2_34491:
	s_getpc_b64 s[14:15]
.Lpost_getpc20829:
	s_add_u32 s14, s14, (.LBB2_11640-.Lpost_getpc20829)&4294967295
	s_addc_u32 s15, s15, (.LBB2_11640-.Lpost_getpc20829)>>32
	s_setpc_b64 s[14:15]
.LBB2_25977:
	s_movk_i32 s4, 0x80
	v_cmp_eq_u16_sdwa s[12:13], v9, s4 src0_sel:BYTE_3 src1_sel:DWORD
	s_mov_b64 s[4:5], -1
                                        ; implicit-def: $sgpr10
	s_and_saveexec_b64 s[8:9], s[12:13]
; %bb.25978:
	s_mov_b32 s10, 0x7f800001
	s_xor_b64 s[4:5], exec, -1
; %bb.25979:
	s_or_b64 exec, exec, s[8:9]
	s_and_b64 s[4:5], s[4:5], exec
	s_or_saveexec_b64 s[6:7], s[6:7]
	v_mov_b32_e32 v2, s10
	s_xor_b64 exec, exec, s[6:7]
	s_cbranch_execnz .LBB2_25980
; %bb.61817:
	s_getpc_b64 s[14:15]
.Lpost_getpc34492:
	s_add_u32 s14, s14, (.LBB2_11642-.Lpost_getpc34492)&4294967295
	s_addc_u32 s15, s15, (.LBB2_11642-.Lpost_getpc34492)>>32
	s_setpc_b64 s[14:15]
.LBB2_25980:
	v_mov_b32_e32 v2, 0
	v_cmp_ne_u16_sdwa s[8:9], v9, v2 src0_sel:BYTE_3 src1_sel:DWORD
	s_andn2_b64 s[4:5], s[4:5], exec
	s_and_b64 s[8:9], s[8:9], exec
	s_or_b64 s[4:5], s[4:5], s[8:9]
	s_or_b64 exec, exec, s[6:7]
	s_and_saveexec_b64 s[6:7], s[4:5]
	s_cbranch_execz .LBB2_34493
; %bb.61819:
	s_getpc_b64 s[14:15]
.Lpost_getpc34493:
	s_add_u32 s14, s14, (.LBB2_11643-.Lpost_getpc34493)&4294967295
	s_addc_u32 s15, s15, (.LBB2_11643-.Lpost_getpc34493)>>32
	s_setpc_b64 s[14:15]
.LBB2_34493:
	s_getpc_b64 s[14:15]
.Lpost_getpc20830:
	s_add_u32 s14, s14, (.LBB2_11644-.Lpost_getpc20830)&4294967295
	s_addc_u32 s15, s15, (.LBB2_11644-.Lpost_getpc20830)>>32
	s_setpc_b64 s[14:15]
.LBB2_25981:
	s_movk_i32 s4, 0x80
	v_cmp_eq_u16_sdwa s[12:13], v5, s4 src0_sel:BYTE_3 src1_sel:DWORD
	s_mov_b64 s[4:5], -1
                                        ; implicit-def: $sgpr10
	s_and_saveexec_b64 s[8:9], s[12:13]
; %bb.25982:
	s_mov_b32 s10, 0x7f800001
	s_xor_b64 s[4:5], exec, -1
; %bb.25983:
	s_or_b64 exec, exec, s[8:9]
	s_and_b64 s[4:5], s[4:5], exec
	s_or_saveexec_b64 s[6:7], s[6:7]
	v_mov_b32_e32 v3, s10
	s_xor_b64 exec, exec, s[6:7]
	s_cbranch_execnz .LBB2_25984
; %bb.61821:
	s_getpc_b64 s[14:15]
.Lpost_getpc34494:
	s_add_u32 s14, s14, (.LBB2_11646-.Lpost_getpc34494)&4294967295
	s_addc_u32 s15, s15, (.LBB2_11646-.Lpost_getpc34494)>>32
	s_setpc_b64 s[14:15]
.LBB2_25984:
	v_mov_b32_e32 v3, 0
	v_cmp_ne_u16_sdwa s[8:9], v5, v3 src0_sel:BYTE_3 src1_sel:DWORD
	s_andn2_b64 s[4:5], s[4:5], exec
	s_and_b64 s[8:9], s[8:9], exec
	s_or_b64 s[4:5], s[4:5], s[8:9]
	s_or_b64 exec, exec, s[6:7]
	s_and_saveexec_b64 s[6:7], s[4:5]
	s_cbranch_execz .LBB2_34495
; %bb.61823:
	s_getpc_b64 s[14:15]
.Lpost_getpc34495:
	s_add_u32 s14, s14, (.LBB2_11647-.Lpost_getpc34495)&4294967295
	s_addc_u32 s15, s15, (.LBB2_11647-.Lpost_getpc34495)>>32
	s_setpc_b64 s[14:15]
.LBB2_34495:
	s_getpc_b64 s[14:15]
.Lpost_getpc20831:
	s_add_u32 s14, s14, (.LBB2_11648-.Lpost_getpc20831)&4294967295
	s_addc_u32 s15, s15, (.LBB2_11648-.Lpost_getpc20831)>>32
	s_setpc_b64 s[14:15]
.LBB2_25985:
	s_movk_i32 s4, 0x80
	v_cmp_eq_u16_sdwa s[12:13], v6, s4 src0_sel:BYTE_0 src1_sel:DWORD
	s_mov_b64 s[4:5], -1
                                        ; implicit-def: $sgpr10
	s_and_saveexec_b64 s[8:9], s[12:13]
; %bb.25986:
	s_mov_b32 s10, 0x7f800001
	s_xor_b64 s[4:5], exec, -1
; %bb.25987:
	s_or_b64 exec, exec, s[8:9]
	s_and_b64 s[4:5], s[4:5], exec
	s_or_saveexec_b64 s[6:7], s[6:7]
	v_mov_b32_e32 v12, s10
	s_xor_b64 exec, exec, s[6:7]
	s_cbranch_execnz .LBB2_25988
; %bb.61825:
	s_getpc_b64 s[14:15]
.Lpost_getpc34496:
	s_add_u32 s14, s14, (.LBB2_11650-.Lpost_getpc34496)&4294967295
	s_addc_u32 s15, s15, (.LBB2_11650-.Lpost_getpc34496)>>32
	s_setpc_b64 s[14:15]
.LBB2_25988:
	v_mov_b32_e32 v12, 0
	v_cmp_ne_u16_sdwa s[8:9], v6, v12 src0_sel:BYTE_0 src1_sel:DWORD
	s_andn2_b64 s[4:5], s[4:5], exec
	s_and_b64 s[8:9], s[8:9], exec
	s_or_b64 s[4:5], s[4:5], s[8:9]
	s_or_b64 exec, exec, s[6:7]
	s_and_saveexec_b64 s[6:7], s[4:5]
	s_cbranch_execz .LBB2_34497
; %bb.61827:
	s_getpc_b64 s[14:15]
.Lpost_getpc34497:
	s_add_u32 s14, s14, (.LBB2_11651-.Lpost_getpc34497)&4294967295
	s_addc_u32 s15, s15, (.LBB2_11651-.Lpost_getpc34497)>>32
	s_setpc_b64 s[14:15]
.LBB2_34497:
	s_getpc_b64 s[14:15]
.Lpost_getpc20832:
	s_add_u32 s14, s14, (.LBB2_11652-.Lpost_getpc20832)&4294967295
	s_addc_u32 s15, s15, (.LBB2_11652-.Lpost_getpc20832)>>32
	s_setpc_b64 s[14:15]
.LBB2_25989:
	s_movk_i32 s4, 0x80
	v_cmp_eq_u16_sdwa s[12:13], v2, s4 src0_sel:BYTE_0 src1_sel:DWORD
	s_mov_b64 s[4:5], -1
                                        ; implicit-def: $sgpr10
	s_and_saveexec_b64 s[8:9], s[12:13]
; %bb.25990:
	s_mov_b32 s10, 0x7f800001
	s_xor_b64 s[4:5], exec, -1
; %bb.25991:
	s_or_b64 exec, exec, s[8:9]
	s_and_b64 s[4:5], s[4:5], exec
	s_or_saveexec_b64 s[6:7], s[6:7]
	v_mov_b32_e32 v13, s10
	s_xor_b64 exec, exec, s[6:7]
	s_cbranch_execnz .LBB2_25992
; %bb.61829:
	s_getpc_b64 s[14:15]
.Lpost_getpc34498:
	s_add_u32 s14, s14, (.LBB2_11654-.Lpost_getpc34498)&4294967295
	s_addc_u32 s15, s15, (.LBB2_11654-.Lpost_getpc34498)>>32
	s_setpc_b64 s[14:15]
.LBB2_25992:
	v_mov_b32_e32 v13, 0
	v_cmp_ne_u16_sdwa s[8:9], v2, v13 src0_sel:BYTE_0 src1_sel:DWORD
	s_andn2_b64 s[4:5], s[4:5], exec
	s_and_b64 s[8:9], s[8:9], exec
	s_or_b64 s[4:5], s[4:5], s[8:9]
	s_or_b64 exec, exec, s[6:7]
	s_and_saveexec_b64 s[6:7], s[4:5]
	s_cbranch_execz .LBB2_34499
; %bb.61831:
	s_getpc_b64 s[14:15]
.Lpost_getpc34499:
	s_add_u32 s14, s14, (.LBB2_11655-.Lpost_getpc34499)&4294967295
	s_addc_u32 s15, s15, (.LBB2_11655-.Lpost_getpc34499)>>32
	s_setpc_b64 s[14:15]
.LBB2_34499:
	s_getpc_b64 s[14:15]
.Lpost_getpc20833:
	s_add_u32 s14, s14, (.LBB2_11656-.Lpost_getpc20833)&4294967295
	s_addc_u32 s15, s15, (.LBB2_11656-.Lpost_getpc20833)>>32
	s_setpc_b64 s[14:15]
.LBB2_25993:
	s_movk_i32 s4, 0x80
	v_cmp_eq_u16_sdwa s[12:13], v13, s4 src0_sel:BYTE_0 src1_sel:DWORD
	s_mov_b64 s[4:5], -1
                                        ; implicit-def: $sgpr10
	s_and_saveexec_b64 s[8:9], s[12:13]
; %bb.25994:
	s_mov_b32 s10, 0x7f800001
	s_xor_b64 s[4:5], exec, -1
; %bb.25995:
	s_or_b64 exec, exec, s[8:9]
	s_and_b64 s[4:5], s[4:5], exec
	s_or_saveexec_b64 s[6:7], s[6:7]
	v_mov_b32_e32 v12, s10
	s_xor_b64 exec, exec, s[6:7]
	s_cbranch_execnz .LBB2_25996
; %bb.61833:
	s_getpc_b64 s[14:15]
.Lpost_getpc34500:
	s_add_u32 s14, s14, (.LBB2_11658-.Lpost_getpc34500)&4294967295
	s_addc_u32 s15, s15, (.LBB2_11658-.Lpost_getpc34500)>>32
	s_setpc_b64 s[14:15]
.LBB2_25996:
	v_mov_b32_e32 v12, 0
	v_cmp_ne_u16_sdwa s[8:9], v13, v12 src0_sel:BYTE_0 src1_sel:DWORD
	s_andn2_b64 s[4:5], s[4:5], exec
	s_and_b64 s[8:9], s[8:9], exec
	s_or_b64 s[4:5], s[4:5], s[8:9]
	s_or_b64 exec, exec, s[6:7]
	s_and_saveexec_b64 s[6:7], s[4:5]
	s_cbranch_execz .LBB2_34501
; %bb.61835:
	s_getpc_b64 s[14:15]
.Lpost_getpc34501:
	s_add_u32 s14, s14, (.LBB2_11659-.Lpost_getpc34501)&4294967295
	s_addc_u32 s15, s15, (.LBB2_11659-.Lpost_getpc34501)>>32
	s_setpc_b64 s[14:15]
.LBB2_34501:
	s_getpc_b64 s[14:15]
.Lpost_getpc20834:
	s_add_u32 s14, s14, (.LBB2_11660-.Lpost_getpc20834)&4294967295
	s_addc_u32 s15, s15, (.LBB2_11660-.Lpost_getpc20834)>>32
	s_setpc_b64 s[14:15]
.LBB2_25997:
	s_movk_i32 s4, 0x80
	v_cmp_eq_u16_sdwa s[12:13], v13, s4 src0_sel:BYTE_0 src1_sel:DWORD
	s_mov_b64 s[4:5], -1
                                        ; implicit-def: $sgpr10
	s_and_saveexec_b64 s[8:9], s[12:13]
; %bb.25998:
	s_mov_b32 s10, 0x7f800001
	s_xor_b64 s[4:5], exec, -1
; %bb.25999:
	s_or_b64 exec, exec, s[8:9]
	s_and_b64 s[4:5], s[4:5], exec
	s_or_saveexec_b64 s[6:7], s[6:7]
	v_mov_b32_e32 v14, s10
	s_xor_b64 exec, exec, s[6:7]
	s_cbranch_execnz .LBB2_26000
; %bb.61837:
	s_getpc_b64 s[14:15]
.Lpost_getpc34502:
	s_add_u32 s14, s14, (.LBB2_11662-.Lpost_getpc34502)&4294967295
	s_addc_u32 s15, s15, (.LBB2_11662-.Lpost_getpc34502)>>32
	s_setpc_b64 s[14:15]
.LBB2_26000:
	v_mov_b32_e32 v14, 0
	v_cmp_ne_u16_sdwa s[8:9], v13, v14 src0_sel:BYTE_0 src1_sel:DWORD
	s_andn2_b64 s[4:5], s[4:5], exec
	s_and_b64 s[8:9], s[8:9], exec
	s_or_b64 s[4:5], s[4:5], s[8:9]
	s_or_b64 exec, exec, s[6:7]
	s_and_saveexec_b64 s[6:7], s[4:5]
	s_cbranch_execz .LBB2_34503
; %bb.61839:
	s_getpc_b64 s[14:15]
.Lpost_getpc34503:
	s_add_u32 s14, s14, (.LBB2_11663-.Lpost_getpc34503)&4294967295
	s_addc_u32 s15, s15, (.LBB2_11663-.Lpost_getpc34503)>>32
	s_setpc_b64 s[14:15]
.LBB2_34503:
	s_getpc_b64 s[14:15]
.Lpost_getpc20835:
	s_add_u32 s14, s14, (.LBB2_11664-.Lpost_getpc20835)&4294967295
	s_addc_u32 s15, s15, (.LBB2_11664-.Lpost_getpc20835)>>32
	s_setpc_b64 s[14:15]
.LBB2_26001:
	s_movk_i32 s4, 0x80
	v_cmp_eq_u16_e32 vcc, s4, v13
	s_mov_b64 s[4:5], -1
                                        ; implicit-def: $sgpr10
	s_and_saveexec_b64 s[8:9], vcc
; %bb.26002:
	s_mov_b32 s10, 0x7f800001
	s_xor_b64 s[4:5], exec, -1
; %bb.26003:
	s_or_b64 exec, exec, s[8:9]
	s_and_b64 s[4:5], s[4:5], exec
                                        ; implicit-def: $vgpr13
	s_or_saveexec_b64 s[6:7], s[6:7]
	v_mov_b32_e32 v12, s10
	s_xor_b64 exec, exec, s[6:7]
	s_cbranch_execnz .LBB2_26004
; %bb.61841:
	s_getpc_b64 s[14:15]
.Lpost_getpc34504:
	s_add_u32 s14, s14, (.LBB2_11666-.Lpost_getpc34504)&4294967295
	s_addc_u32 s15, s15, (.LBB2_11666-.Lpost_getpc34504)>>32
	s_setpc_b64 s[14:15]
.LBB2_26004:
	v_cmp_ne_u16_e32 vcc, 0, v13
	s_andn2_b64 s[4:5], s[4:5], exec
	s_and_b64 s[8:9], vcc, exec
	v_mov_b32_e32 v12, 0
	s_or_b64 s[4:5], s[4:5], s[8:9]
	s_or_b64 exec, exec, s[6:7]
	s_and_saveexec_b64 s[6:7], s[4:5]
	s_cbranch_execz .LBB2_34505
; %bb.61843:
	s_getpc_b64 s[14:15]
.Lpost_getpc34505:
	s_add_u32 s14, s14, (.LBB2_11667-.Lpost_getpc34505)&4294967295
	s_addc_u32 s15, s15, (.LBB2_11667-.Lpost_getpc34505)>>32
	s_setpc_b64 s[14:15]
.LBB2_34505:
	s_getpc_b64 s[14:15]
.Lpost_getpc20836:
	s_add_u32 s14, s14, (.LBB2_11668-.Lpost_getpc20836)&4294967295
	s_addc_u32 s15, s15, (.LBB2_11668-.Lpost_getpc20836)>>32
	s_setpc_b64 s[14:15]
.LBB2_26005:
	s_movk_i32 s4, 0x80
	v_cmp_eq_u16_e32 vcc, s4, v13
	s_mov_b64 s[4:5], -1
                                        ; implicit-def: $sgpr10
	s_and_saveexec_b64 s[8:9], vcc
; %bb.26006:
	s_mov_b32 s10, 0x7f800001
	s_xor_b64 s[4:5], exec, -1
; %bb.26007:
	s_or_b64 exec, exec, s[8:9]
	s_and_b64 s[4:5], s[4:5], exec
                                        ; implicit-def: $vgpr13
	s_or_saveexec_b64 s[6:7], s[6:7]
	v_mov_b32_e32 v14, s10
	s_xor_b64 exec, exec, s[6:7]
	s_cbranch_execnz .LBB2_26008
; %bb.61845:
	s_getpc_b64 s[14:15]
.Lpost_getpc34506:
	s_add_u32 s14, s14, (.LBB2_11670-.Lpost_getpc34506)&4294967295
	s_addc_u32 s15, s15, (.LBB2_11670-.Lpost_getpc34506)>>32
	s_setpc_b64 s[14:15]
.LBB2_26008:
	v_cmp_ne_u16_e32 vcc, 0, v13
	s_andn2_b64 s[4:5], s[4:5], exec
	s_and_b64 s[8:9], vcc, exec
	v_mov_b32_e32 v14, 0
	s_or_b64 s[4:5], s[4:5], s[8:9]
	s_or_b64 exec, exec, s[6:7]
	s_and_saveexec_b64 s[6:7], s[4:5]
	s_cbranch_execz .LBB2_34507
; %bb.61847:
	s_getpc_b64 s[14:15]
.Lpost_getpc34507:
	s_add_u32 s14, s14, (.LBB2_11671-.Lpost_getpc34507)&4294967295
	s_addc_u32 s15, s15, (.LBB2_11671-.Lpost_getpc34507)>>32
	s_setpc_b64 s[14:15]
.LBB2_34507:
	s_getpc_b64 s[14:15]
.Lpost_getpc20837:
	s_add_u32 s14, s14, (.LBB2_11672-.Lpost_getpc20837)&4294967295
	s_addc_u32 s15, s15, (.LBB2_11672-.Lpost_getpc20837)>>32
	s_setpc_b64 s[14:15]
.LBB2_26009:
	s_movk_i32 s4, 0x80
	v_cmp_eq_u16_sdwa s[12:13], v6, s4 src0_sel:BYTE_3 src1_sel:DWORD
	s_mov_b64 s[4:5], -1
                                        ; implicit-def: $sgpr10
	s_and_saveexec_b64 s[8:9], s[12:13]
; %bb.26010:
	s_mov_b32 s10, 0x7f800001
	s_xor_b64 s[4:5], exec, -1
; %bb.26011:
	s_or_b64 exec, exec, s[8:9]
	s_and_b64 s[4:5], s[4:5], exec
	s_or_saveexec_b64 s[6:7], s[6:7]
	v_mov_b32_e32 v12, s10
	s_xor_b64 exec, exec, s[6:7]
	s_cbranch_execnz .LBB2_26012
; %bb.61849:
	s_getpc_b64 s[14:15]
.Lpost_getpc34508:
	s_add_u32 s14, s14, (.LBB2_11674-.Lpost_getpc34508)&4294967295
	s_addc_u32 s15, s15, (.LBB2_11674-.Lpost_getpc34508)>>32
	s_setpc_b64 s[14:15]
.LBB2_26012:
	v_mov_b32_e32 v12, 0
	v_cmp_ne_u16_sdwa s[8:9], v6, v12 src0_sel:BYTE_3 src1_sel:DWORD
	s_andn2_b64 s[4:5], s[4:5], exec
	s_and_b64 s[8:9], s[8:9], exec
	s_or_b64 s[4:5], s[4:5], s[8:9]
	s_or_b64 exec, exec, s[6:7]
	s_and_saveexec_b64 s[6:7], s[4:5]
	s_cbranch_execz .LBB2_34509
; %bb.61851:
	s_getpc_b64 s[14:15]
.Lpost_getpc34509:
	s_add_u32 s14, s14, (.LBB2_11675-.Lpost_getpc34509)&4294967295
	s_addc_u32 s15, s15, (.LBB2_11675-.Lpost_getpc34509)>>32
	s_setpc_b64 s[14:15]
.LBB2_34509:
	s_getpc_b64 s[14:15]
.Lpost_getpc20838:
	s_add_u32 s14, s14, (.LBB2_11676-.Lpost_getpc20838)&4294967295
	s_addc_u32 s15, s15, (.LBB2_11676-.Lpost_getpc20838)>>32
	s_setpc_b64 s[14:15]
.LBB2_26013:
	s_movk_i32 s4, 0x80
	v_cmp_eq_u16_sdwa s[12:13], v2, s4 src0_sel:BYTE_3 src1_sel:DWORD
	s_mov_b64 s[4:5], -1
                                        ; implicit-def: $sgpr10
	s_and_saveexec_b64 s[8:9], s[12:13]
; %bb.26014:
	s_mov_b32 s10, 0x7f800001
	s_xor_b64 s[4:5], exec, -1
; %bb.26015:
	s_or_b64 exec, exec, s[8:9]
	s_and_b64 s[4:5], s[4:5], exec
	s_or_saveexec_b64 s[6:7], s[6:7]
	v_mov_b32_e32 v6, s10
	s_xor_b64 exec, exec, s[6:7]
	s_cbranch_execnz .LBB2_26016
; %bb.61853:
	s_getpc_b64 s[14:15]
.Lpost_getpc34510:
	s_add_u32 s14, s14, (.LBB2_11678-.Lpost_getpc34510)&4294967295
	s_addc_u32 s15, s15, (.LBB2_11678-.Lpost_getpc34510)>>32
	s_setpc_b64 s[14:15]
.LBB2_26016:
	v_mov_b32_e32 v6, 0
	v_cmp_ne_u16_sdwa s[8:9], v2, v6 src0_sel:BYTE_3 src1_sel:DWORD
	s_andn2_b64 s[4:5], s[4:5], exec
	s_and_b64 s[8:9], s[8:9], exec
	s_or_b64 s[4:5], s[4:5], s[8:9]
	s_or_b64 exec, exec, s[6:7]
	s_and_saveexec_b64 s[6:7], s[4:5]
	s_cbranch_execz .LBB2_34511
; %bb.61855:
	s_getpc_b64 s[14:15]
.Lpost_getpc34511:
	s_add_u32 s14, s14, (.LBB2_11679-.Lpost_getpc34511)&4294967295
	s_addc_u32 s15, s15, (.LBB2_11679-.Lpost_getpc34511)>>32
	s_setpc_b64 s[14:15]
.LBB2_34511:
	s_getpc_b64 s[14:15]
.Lpost_getpc20839:
	s_add_u32 s14, s14, (.LBB2_11680-.Lpost_getpc20839)&4294967295
	s_addc_u32 s15, s15, (.LBB2_11680-.Lpost_getpc20839)>>32
	s_setpc_b64 s[14:15]
.LBB2_26017:
	s_movk_i32 s4, 0x80
	v_cmp_eq_u16_sdwa s[12:13], v7, s4 src0_sel:BYTE_0 src1_sel:DWORD
	s_mov_b64 s[4:5], -1
                                        ; implicit-def: $sgpr10
	s_and_saveexec_b64 s[8:9], s[12:13]
; %bb.26018:
	s_mov_b32 s10, 0x7f800001
	s_xor_b64 s[4:5], exec, -1
; %bb.26019:
	s_or_b64 exec, exec, s[8:9]
	s_and_b64 s[4:5], s[4:5], exec
	s_or_saveexec_b64 s[6:7], s[6:7]
	v_mov_b32_e32 v2, s10
	s_xor_b64 exec, exec, s[6:7]
	s_cbranch_execnz .LBB2_26020
; %bb.61857:
	s_getpc_b64 s[14:15]
.Lpost_getpc34512:
	s_add_u32 s14, s14, (.LBB2_11682-.Lpost_getpc34512)&4294967295
	s_addc_u32 s15, s15, (.LBB2_11682-.Lpost_getpc34512)>>32
	s_setpc_b64 s[14:15]
.LBB2_26020:
	v_mov_b32_e32 v2, 0
	v_cmp_ne_u16_sdwa s[8:9], v7, v2 src0_sel:BYTE_0 src1_sel:DWORD
	s_andn2_b64 s[4:5], s[4:5], exec
	s_and_b64 s[8:9], s[8:9], exec
	s_or_b64 s[4:5], s[4:5], s[8:9]
	s_or_b64 exec, exec, s[6:7]
	s_and_saveexec_b64 s[6:7], s[4:5]
	s_cbranch_execz .LBB2_34513
; %bb.61859:
	s_getpc_b64 s[14:15]
.Lpost_getpc34513:
	s_add_u32 s14, s14, (.LBB2_11683-.Lpost_getpc34513)&4294967295
	s_addc_u32 s15, s15, (.LBB2_11683-.Lpost_getpc34513)>>32
	s_setpc_b64 s[14:15]
.LBB2_34513:
	s_getpc_b64 s[14:15]
.Lpost_getpc20840:
	s_add_u32 s14, s14, (.LBB2_11684-.Lpost_getpc20840)&4294967295
	s_addc_u32 s15, s15, (.LBB2_11684-.Lpost_getpc20840)>>32
	s_setpc_b64 s[14:15]
.LBB2_26021:
	s_movk_i32 s4, 0x80
	v_cmp_eq_u16_sdwa s[12:13], v3, s4 src0_sel:BYTE_0 src1_sel:DWORD
	s_mov_b64 s[4:5], -1
                                        ; implicit-def: $sgpr10
	s_and_saveexec_b64 s[8:9], s[12:13]
; %bb.26022:
	s_mov_b32 s10, 0x7f800001
	s_xor_b64 s[4:5], exec, -1
; %bb.26023:
	s_or_b64 exec, exec, s[8:9]
	s_and_b64 s[4:5], s[4:5], exec
	s_or_saveexec_b64 s[6:7], s[6:7]
	v_mov_b32_e32 v6, s10
	s_xor_b64 exec, exec, s[6:7]
	s_cbranch_execnz .LBB2_26024
; %bb.61861:
	s_getpc_b64 s[14:15]
.Lpost_getpc34514:
	s_add_u32 s14, s14, (.LBB2_11686-.Lpost_getpc34514)&4294967295
	s_addc_u32 s15, s15, (.LBB2_11686-.Lpost_getpc34514)>>32
	s_setpc_b64 s[14:15]
.LBB2_26024:
	v_mov_b32_e32 v6, 0
	v_cmp_ne_u16_sdwa s[8:9], v3, v6 src0_sel:BYTE_0 src1_sel:DWORD
	s_andn2_b64 s[4:5], s[4:5], exec
	s_and_b64 s[8:9], s[8:9], exec
	s_or_b64 s[4:5], s[4:5], s[8:9]
	s_or_b64 exec, exec, s[6:7]
	s_and_saveexec_b64 s[6:7], s[4:5]
	s_cbranch_execz .LBB2_34515
; %bb.61863:
	s_getpc_b64 s[14:15]
.Lpost_getpc34515:
	s_add_u32 s14, s14, (.LBB2_11687-.Lpost_getpc34515)&4294967295
	s_addc_u32 s15, s15, (.LBB2_11687-.Lpost_getpc34515)>>32
	s_setpc_b64 s[14:15]
.LBB2_34515:
	s_getpc_b64 s[14:15]
.Lpost_getpc20841:
	s_add_u32 s14, s14, (.LBB2_11688-.Lpost_getpc20841)&4294967295
	s_addc_u32 s15, s15, (.LBB2_11688-.Lpost_getpc20841)>>32
	s_setpc_b64 s[14:15]
.LBB2_26025:
	s_movk_i32 s4, 0x80
	v_cmp_eq_u16_sdwa s[12:13], v6, s4 src0_sel:BYTE_0 src1_sel:DWORD
	s_mov_b64 s[4:5], -1
                                        ; implicit-def: $sgpr10
	s_and_saveexec_b64 s[8:9], s[12:13]
; %bb.26026:
	s_mov_b32 s10, 0x7f800001
	s_xor_b64 s[4:5], exec, -1
; %bb.26027:
	s_or_b64 exec, exec, s[8:9]
	s_and_b64 s[4:5], s[4:5], exec
	s_or_saveexec_b64 s[6:7], s[6:7]
	v_mov_b32_e32 v2, s10
	s_xor_b64 exec, exec, s[6:7]
	s_cbranch_execnz .LBB2_26028
; %bb.61865:
	s_getpc_b64 s[14:15]
.Lpost_getpc34516:
	s_add_u32 s14, s14, (.LBB2_11690-.Lpost_getpc34516)&4294967295
	s_addc_u32 s15, s15, (.LBB2_11690-.Lpost_getpc34516)>>32
	s_setpc_b64 s[14:15]
.LBB2_26028:
	v_mov_b32_e32 v2, 0
	v_cmp_ne_u16_sdwa s[8:9], v6, v2 src0_sel:BYTE_0 src1_sel:DWORD
	s_andn2_b64 s[4:5], s[4:5], exec
	s_and_b64 s[8:9], s[8:9], exec
	s_or_b64 s[4:5], s[4:5], s[8:9]
	s_or_b64 exec, exec, s[6:7]
	s_and_saveexec_b64 s[6:7], s[4:5]
	s_cbranch_execz .LBB2_34517
; %bb.61867:
	s_getpc_b64 s[14:15]
.Lpost_getpc34517:
	s_add_u32 s14, s14, (.LBB2_11691-.Lpost_getpc34517)&4294967295
	s_addc_u32 s15, s15, (.LBB2_11691-.Lpost_getpc34517)>>32
	s_setpc_b64 s[14:15]
.LBB2_34517:
	s_getpc_b64 s[14:15]
.Lpost_getpc20842:
	s_add_u32 s14, s14, (.LBB2_11692-.Lpost_getpc20842)&4294967295
	s_addc_u32 s15, s15, (.LBB2_11692-.Lpost_getpc20842)>>32
	s_setpc_b64 s[14:15]
.LBB2_26029:
	s_movk_i32 s4, 0x80
	v_cmp_eq_u16_sdwa s[12:13], v6, s4 src0_sel:BYTE_0 src1_sel:DWORD
	s_mov_b64 s[4:5], -1
                                        ; implicit-def: $sgpr10
	s_and_saveexec_b64 s[8:9], s[12:13]
; %bb.26030:
	s_mov_b32 s10, 0x7f800001
	s_xor_b64 s[4:5], exec, -1
; %bb.26031:
	s_or_b64 exec, exec, s[8:9]
	s_and_b64 s[4:5], s[4:5], exec
	s_or_saveexec_b64 s[6:7], s[6:7]
	v_mov_b32_e32 v12, s10
	s_xor_b64 exec, exec, s[6:7]
	s_cbranch_execnz .LBB2_26032
; %bb.61869:
	s_getpc_b64 s[14:15]
.Lpost_getpc34518:
	s_add_u32 s14, s14, (.LBB2_11694-.Lpost_getpc34518)&4294967295
	s_addc_u32 s15, s15, (.LBB2_11694-.Lpost_getpc34518)>>32
	s_setpc_b64 s[14:15]
.LBB2_26032:
	v_mov_b32_e32 v12, 0
	v_cmp_ne_u16_sdwa s[8:9], v6, v12 src0_sel:BYTE_0 src1_sel:DWORD
	s_andn2_b64 s[4:5], s[4:5], exec
	s_and_b64 s[8:9], s[8:9], exec
	s_or_b64 s[4:5], s[4:5], s[8:9]
	s_or_b64 exec, exec, s[6:7]
	s_and_saveexec_b64 s[6:7], s[4:5]
	s_cbranch_execz .LBB2_34519
; %bb.61871:
	s_getpc_b64 s[14:15]
.Lpost_getpc34519:
	s_add_u32 s14, s14, (.LBB2_11695-.Lpost_getpc34519)&4294967295
	s_addc_u32 s15, s15, (.LBB2_11695-.Lpost_getpc34519)>>32
	s_setpc_b64 s[14:15]
.LBB2_34519:
	s_getpc_b64 s[14:15]
.Lpost_getpc20843:
	s_add_u32 s14, s14, (.LBB2_11696-.Lpost_getpc20843)&4294967295
	s_addc_u32 s15, s15, (.LBB2_11696-.Lpost_getpc20843)>>32
	s_setpc_b64 s[14:15]
.LBB2_26033:
	s_movk_i32 s4, 0x80
	v_cmp_eq_u16_e32 vcc, s4, v6
	s_mov_b64 s[4:5], -1
                                        ; implicit-def: $sgpr10
	s_and_saveexec_b64 s[8:9], vcc
; %bb.26034:
	s_mov_b32 s10, 0x7f800001
	s_xor_b64 s[4:5], exec, -1
; %bb.26035:
	s_or_b64 exec, exec, s[8:9]
	s_and_b64 s[4:5], s[4:5], exec
                                        ; implicit-def: $vgpr6
	s_or_saveexec_b64 s[6:7], s[6:7]
	v_mov_b32_e32 v2, s10
	s_xor_b64 exec, exec, s[6:7]
	s_cbranch_execnz .LBB2_26036
; %bb.61873:
	s_getpc_b64 s[14:15]
.Lpost_getpc34520:
	s_add_u32 s14, s14, (.LBB2_11698-.Lpost_getpc34520)&4294967295
	s_addc_u32 s15, s15, (.LBB2_11698-.Lpost_getpc34520)>>32
	s_setpc_b64 s[14:15]
.LBB2_26036:
	v_cmp_ne_u16_e32 vcc, 0, v6
	s_andn2_b64 s[4:5], s[4:5], exec
	s_and_b64 s[8:9], vcc, exec
	v_mov_b32_e32 v2, 0
	s_or_b64 s[4:5], s[4:5], s[8:9]
	s_or_b64 exec, exec, s[6:7]
	s_and_saveexec_b64 s[6:7], s[4:5]
	s_cbranch_execz .LBB2_34521
; %bb.61875:
	s_getpc_b64 s[14:15]
.Lpost_getpc34521:
	s_add_u32 s14, s14, (.LBB2_11699-.Lpost_getpc34521)&4294967295
	s_addc_u32 s15, s15, (.LBB2_11699-.Lpost_getpc34521)>>32
	s_setpc_b64 s[14:15]
.LBB2_34521:
	s_getpc_b64 s[14:15]
.Lpost_getpc20844:
	s_add_u32 s14, s14, (.LBB2_11700-.Lpost_getpc20844)&4294967295
	s_addc_u32 s15, s15, (.LBB2_11700-.Lpost_getpc20844)>>32
	s_setpc_b64 s[14:15]
.LBB2_26037:
	s_movk_i32 s4, 0x80
	v_cmp_eq_u16_e32 vcc, s4, v6
	s_mov_b64 s[4:5], -1
                                        ; implicit-def: $sgpr10
	s_and_saveexec_b64 s[8:9], vcc
; %bb.26038:
	s_mov_b32 s10, 0x7f800001
	s_xor_b64 s[4:5], exec, -1
; %bb.26039:
	s_or_b64 exec, exec, s[8:9]
	s_and_b64 s[4:5], s[4:5], exec
                                        ; implicit-def: $vgpr6
	s_or_saveexec_b64 s[6:7], s[6:7]
	v_mov_b32_e32 v12, s10
	s_xor_b64 exec, exec, s[6:7]
	s_cbranch_execnz .LBB2_26040
; %bb.61877:
	s_getpc_b64 s[14:15]
.Lpost_getpc34522:
	s_add_u32 s14, s14, (.LBB2_11702-.Lpost_getpc34522)&4294967295
	s_addc_u32 s15, s15, (.LBB2_11702-.Lpost_getpc34522)>>32
	s_setpc_b64 s[14:15]
.LBB2_26040:
	v_cmp_ne_u16_e32 vcc, 0, v6
	s_andn2_b64 s[4:5], s[4:5], exec
	s_and_b64 s[8:9], vcc, exec
	v_mov_b32_e32 v12, 0
	s_or_b64 s[4:5], s[4:5], s[8:9]
	s_or_b64 exec, exec, s[6:7]
	s_and_saveexec_b64 s[6:7], s[4:5]
	s_cbranch_execz .LBB2_34523
; %bb.61879:
	s_getpc_b64 s[14:15]
.Lpost_getpc34523:
	s_add_u32 s14, s14, (.LBB2_11703-.Lpost_getpc34523)&4294967295
	s_addc_u32 s15, s15, (.LBB2_11703-.Lpost_getpc34523)>>32
	s_setpc_b64 s[14:15]
.LBB2_34523:
	s_getpc_b64 s[14:15]
.Lpost_getpc20845:
	s_add_u32 s14, s14, (.LBB2_11704-.Lpost_getpc20845)&4294967295
	s_addc_u32 s15, s15, (.LBB2_11704-.Lpost_getpc20845)>>32
	s_setpc_b64 s[14:15]
.LBB2_26041:
	s_movk_i32 s4, 0x80
	v_cmp_eq_u16_sdwa s[12:13], v7, s4 src0_sel:BYTE_3 src1_sel:DWORD
	s_mov_b64 s[4:5], -1
                                        ; implicit-def: $sgpr10
	s_and_saveexec_b64 s[8:9], s[12:13]
; %bb.26042:
	s_mov_b32 s10, 0x7f800001
	s_xor_b64 s[4:5], exec, -1
; %bb.26043:
	s_or_b64 exec, exec, s[8:9]
	s_and_b64 s[4:5], s[4:5], exec
	s_or_saveexec_b64 s[6:7], s[6:7]
	v_mov_b32_e32 v2, s10
	s_xor_b64 exec, exec, s[6:7]
	s_cbranch_execnz .LBB2_26044
; %bb.61881:
	s_getpc_b64 s[14:15]
.Lpost_getpc34524:
	s_add_u32 s14, s14, (.LBB2_11706-.Lpost_getpc34524)&4294967295
	s_addc_u32 s15, s15, (.LBB2_11706-.Lpost_getpc34524)>>32
	s_setpc_b64 s[14:15]
.LBB2_26044:
	v_mov_b32_e32 v2, 0
	v_cmp_ne_u16_sdwa s[8:9], v7, v2 src0_sel:BYTE_3 src1_sel:DWORD
	s_andn2_b64 s[4:5], s[4:5], exec
	s_and_b64 s[8:9], s[8:9], exec
	s_or_b64 s[4:5], s[4:5], s[8:9]
	s_or_b64 exec, exec, s[6:7]
	s_and_saveexec_b64 s[6:7], s[4:5]
	s_cbranch_execz .LBB2_34525
; %bb.61883:
	s_getpc_b64 s[14:15]
.Lpost_getpc34525:
	s_add_u32 s14, s14, (.LBB2_11707-.Lpost_getpc34525)&4294967295
	s_addc_u32 s15, s15, (.LBB2_11707-.Lpost_getpc34525)>>32
	s_setpc_b64 s[14:15]
.LBB2_34525:
	s_getpc_b64 s[14:15]
.Lpost_getpc20846:
	s_add_u32 s14, s14, (.LBB2_11708-.Lpost_getpc20846)&4294967295
	s_addc_u32 s15, s15, (.LBB2_11708-.Lpost_getpc20846)>>32
	s_setpc_b64 s[14:15]
.LBB2_26045:
	s_movk_i32 s4, 0x80
	v_cmp_eq_u16_sdwa s[12:13], v3, s4 src0_sel:BYTE_3 src1_sel:DWORD
	s_mov_b64 s[4:5], -1
                                        ; implicit-def: $sgpr10
	s_and_saveexec_b64 s[8:9], s[12:13]
; %bb.26046:
	s_mov_b32 s10, 0x7f800001
	s_xor_b64 s[4:5], exec, -1
; %bb.26047:
	s_or_b64 exec, exec, s[8:9]
	s_and_b64 s[4:5], s[4:5], exec
	s_or_saveexec_b64 s[6:7], s[6:7]
	v_mov_b32_e32 v6, s10
	s_xor_b64 exec, exec, s[6:7]
	s_cbranch_execnz .LBB2_26048
; %bb.61885:
	s_getpc_b64 s[14:15]
.Lpost_getpc34526:
	s_add_u32 s14, s14, (.LBB2_11710-.Lpost_getpc34526)&4294967295
	s_addc_u32 s15, s15, (.LBB2_11710-.Lpost_getpc34526)>>32
	s_setpc_b64 s[14:15]
.LBB2_26048:
	v_mov_b32_e32 v6, 0
	v_cmp_ne_u16_sdwa s[8:9], v3, v6 src0_sel:BYTE_3 src1_sel:DWORD
	s_andn2_b64 s[4:5], s[4:5], exec
	s_and_b64 s[8:9], s[8:9], exec
	s_or_b64 s[4:5], s[4:5], s[8:9]
	s_or_b64 exec, exec, s[6:7]
	s_and_saveexec_b64 s[6:7], s[4:5]
	s_cbranch_execz .LBB2_34527
; %bb.61887:
	s_getpc_b64 s[14:15]
.Lpost_getpc34527:
	s_add_u32 s14, s14, (.LBB2_11711-.Lpost_getpc34527)&4294967295
	s_addc_u32 s15, s15, (.LBB2_11711-.Lpost_getpc34527)>>32
	s_setpc_b64 s[14:15]
.LBB2_34527:
	s_getpc_b64 s[14:15]
.Lpost_getpc20847:
	s_add_u32 s14, s14, (.LBB2_11712-.Lpost_getpc20847)&4294967295
	s_addc_u32 s15, s15, (.LBB2_11712-.Lpost_getpc20847)>>32
	s_setpc_b64 s[14:15]
.LBB2_26049:
	s_movk_i32 s4, 0x80
	v_cmp_eq_u16_sdwa s[12:13], v8, s4 src0_sel:BYTE_0 src1_sel:DWORD
	s_mov_b64 s[4:5], -1
                                        ; implicit-def: $sgpr10
	s_and_saveexec_b64 s[8:9], s[12:13]
; %bb.26050:
	s_mov_b32 s10, 0x7f800001
	s_xor_b64 s[4:5], exec, -1
; %bb.26051:
	s_or_b64 exec, exec, s[8:9]
	s_and_b64 s[4:5], s[4:5], exec
	s_or_saveexec_b64 s[6:7], s[6:7]
	v_mov_b32_e32 v2, s10
	s_xor_b64 exec, exec, s[6:7]
	s_cbranch_execnz .LBB2_26052
; %bb.61889:
	s_getpc_b64 s[14:15]
.Lpost_getpc34528:
	s_add_u32 s14, s14, (.LBB2_11714-.Lpost_getpc34528)&4294967295
	s_addc_u32 s15, s15, (.LBB2_11714-.Lpost_getpc34528)>>32
	s_setpc_b64 s[14:15]
.LBB2_26052:
	v_mov_b32_e32 v2, 0
	v_cmp_ne_u16_sdwa s[8:9], v8, v2 src0_sel:BYTE_0 src1_sel:DWORD
	s_andn2_b64 s[4:5], s[4:5], exec
	s_and_b64 s[8:9], s[8:9], exec
	s_or_b64 s[4:5], s[4:5], s[8:9]
	s_or_b64 exec, exec, s[6:7]
	s_and_saveexec_b64 s[6:7], s[4:5]
	s_cbranch_execz .LBB2_34529
; %bb.61891:
	s_getpc_b64 s[14:15]
.Lpost_getpc34529:
	s_add_u32 s14, s14, (.LBB2_11715-.Lpost_getpc34529)&4294967295
	s_addc_u32 s15, s15, (.LBB2_11715-.Lpost_getpc34529)>>32
	s_setpc_b64 s[14:15]
.LBB2_34529:
	s_getpc_b64 s[14:15]
.Lpost_getpc20848:
	s_add_u32 s14, s14, (.LBB2_11716-.Lpost_getpc20848)&4294967295
	s_addc_u32 s15, s15, (.LBB2_11716-.Lpost_getpc20848)>>32
	s_setpc_b64 s[14:15]
.LBB2_26053:
	s_movk_i32 s4, 0x80
	v_cmp_eq_u16_sdwa s[12:13], v4, s4 src0_sel:BYTE_0 src1_sel:DWORD
	s_mov_b64 s[4:5], -1
                                        ; implicit-def: $sgpr10
	s_and_saveexec_b64 s[8:9], s[12:13]
; %bb.26054:
	s_mov_b32 s10, 0x7f800001
	s_xor_b64 s[4:5], exec, -1
; %bb.26055:
	s_or_b64 exec, exec, s[8:9]
	s_and_b64 s[4:5], s[4:5], exec
	s_or_saveexec_b64 s[6:7], s[6:7]
	v_mov_b32_e32 v3, s10
	s_xor_b64 exec, exec, s[6:7]
	s_cbranch_execnz .LBB2_26056
; %bb.61893:
	s_getpc_b64 s[14:15]
.Lpost_getpc34530:
	s_add_u32 s14, s14, (.LBB2_11718-.Lpost_getpc34530)&4294967295
	s_addc_u32 s15, s15, (.LBB2_11718-.Lpost_getpc34530)>>32
	s_setpc_b64 s[14:15]
.LBB2_26056:
	v_mov_b32_e32 v3, 0
	v_cmp_ne_u16_sdwa s[8:9], v4, v3 src0_sel:BYTE_0 src1_sel:DWORD
	s_andn2_b64 s[4:5], s[4:5], exec
	s_and_b64 s[8:9], s[8:9], exec
	s_or_b64 s[4:5], s[4:5], s[8:9]
	s_or_b64 exec, exec, s[6:7]
	s_and_saveexec_b64 s[6:7], s[4:5]
	s_cbranch_execz .LBB2_34531
; %bb.61895:
	s_getpc_b64 s[14:15]
.Lpost_getpc34531:
	s_add_u32 s14, s14, (.LBB2_11719-.Lpost_getpc34531)&4294967295
	s_addc_u32 s15, s15, (.LBB2_11719-.Lpost_getpc34531)>>32
	s_setpc_b64 s[14:15]
.LBB2_34531:
	s_getpc_b64 s[14:15]
.Lpost_getpc20849:
	s_add_u32 s14, s14, (.LBB2_11720-.Lpost_getpc20849)&4294967295
	s_addc_u32 s15, s15, (.LBB2_11720-.Lpost_getpc20849)>>32
	s_setpc_b64 s[14:15]
.LBB2_26057:
	s_movk_i32 s4, 0x80
	v_cmp_eq_u16_sdwa s[12:13], v3, s4 src0_sel:BYTE_0 src1_sel:DWORD
	s_mov_b64 s[4:5], -1
                                        ; implicit-def: $sgpr10
	s_and_saveexec_b64 s[8:9], s[12:13]
; %bb.26058:
	s_mov_b32 s10, 0x7f800001
	s_xor_b64 s[4:5], exec, -1
; %bb.26059:
	s_or_b64 exec, exec, s[8:9]
	s_and_b64 s[4:5], s[4:5], exec
	s_or_saveexec_b64 s[6:7], s[6:7]
	v_mov_b32_e32 v2, s10
	s_xor_b64 exec, exec, s[6:7]
	s_cbranch_execnz .LBB2_26060
; %bb.61897:
	s_getpc_b64 s[14:15]
.Lpost_getpc34532:
	s_add_u32 s14, s14, (.LBB2_11722-.Lpost_getpc34532)&4294967295
	s_addc_u32 s15, s15, (.LBB2_11722-.Lpost_getpc34532)>>32
	s_setpc_b64 s[14:15]
.LBB2_26060:
	v_mov_b32_e32 v2, 0
	v_cmp_ne_u16_sdwa s[8:9], v3, v2 src0_sel:BYTE_0 src1_sel:DWORD
	s_andn2_b64 s[4:5], s[4:5], exec
	s_and_b64 s[8:9], s[8:9], exec
	s_or_b64 s[4:5], s[4:5], s[8:9]
	s_or_b64 exec, exec, s[6:7]
	s_and_saveexec_b64 s[6:7], s[4:5]
	s_cbranch_execz .LBB2_34533
; %bb.61899:
	s_getpc_b64 s[14:15]
.Lpost_getpc34533:
	s_add_u32 s14, s14, (.LBB2_11723-.Lpost_getpc34533)&4294967295
	s_addc_u32 s15, s15, (.LBB2_11723-.Lpost_getpc34533)>>32
	s_setpc_b64 s[14:15]
.LBB2_34533:
	s_getpc_b64 s[14:15]
.Lpost_getpc20850:
	s_add_u32 s14, s14, (.LBB2_11724-.Lpost_getpc20850)&4294967295
	s_addc_u32 s15, s15, (.LBB2_11724-.Lpost_getpc20850)>>32
	s_setpc_b64 s[14:15]
.LBB2_26061:
	s_movk_i32 s4, 0x80
	v_cmp_eq_u16_sdwa s[12:13], v3, s4 src0_sel:BYTE_0 src1_sel:DWORD
	s_mov_b64 s[4:5], -1
                                        ; implicit-def: $sgpr10
	s_and_saveexec_b64 s[8:9], s[12:13]
; %bb.26062:
	s_mov_b32 s10, 0x7f800001
	s_xor_b64 s[4:5], exec, -1
; %bb.26063:
	s_or_b64 exec, exec, s[8:9]
	s_and_b64 s[4:5], s[4:5], exec
	s_or_saveexec_b64 s[6:7], s[6:7]
	v_mov_b32_e32 v6, s10
	s_xor_b64 exec, exec, s[6:7]
	s_cbranch_execnz .LBB2_26064
; %bb.61901:
	s_getpc_b64 s[14:15]
.Lpost_getpc34534:
	s_add_u32 s14, s14, (.LBB2_11726-.Lpost_getpc34534)&4294967295
	s_addc_u32 s15, s15, (.LBB2_11726-.Lpost_getpc34534)>>32
	s_setpc_b64 s[14:15]
.LBB2_26064:
	v_mov_b32_e32 v6, 0
	v_cmp_ne_u16_sdwa s[8:9], v3, v6 src0_sel:BYTE_0 src1_sel:DWORD
	s_andn2_b64 s[4:5], s[4:5], exec
	s_and_b64 s[8:9], s[8:9], exec
	s_or_b64 s[4:5], s[4:5], s[8:9]
	s_or_b64 exec, exec, s[6:7]
	s_and_saveexec_b64 s[6:7], s[4:5]
	s_cbranch_execz .LBB2_34535
; %bb.61903:
	s_getpc_b64 s[14:15]
.Lpost_getpc34535:
	s_add_u32 s14, s14, (.LBB2_11727-.Lpost_getpc34535)&4294967295
	s_addc_u32 s15, s15, (.LBB2_11727-.Lpost_getpc34535)>>32
	s_setpc_b64 s[14:15]
.LBB2_34535:
	s_getpc_b64 s[14:15]
.Lpost_getpc20851:
	s_add_u32 s14, s14, (.LBB2_11728-.Lpost_getpc20851)&4294967295
	s_addc_u32 s15, s15, (.LBB2_11728-.Lpost_getpc20851)>>32
	s_setpc_b64 s[14:15]
.LBB2_26065:
	s_movk_i32 s4, 0x80
	v_cmp_eq_u16_e32 vcc, s4, v3
	s_mov_b64 s[4:5], -1
                                        ; implicit-def: $sgpr10
	s_and_saveexec_b64 s[8:9], vcc
; %bb.26066:
	s_mov_b32 s10, 0x7f800001
	s_xor_b64 s[4:5], exec, -1
; %bb.26067:
	s_or_b64 exec, exec, s[8:9]
	s_and_b64 s[4:5], s[4:5], exec
                                        ; implicit-def: $vgpr3
	s_or_saveexec_b64 s[6:7], s[6:7]
	v_mov_b32_e32 v2, s10
	s_xor_b64 exec, exec, s[6:7]
	s_cbranch_execnz .LBB2_26068
; %bb.61905:
	s_getpc_b64 s[14:15]
.Lpost_getpc34536:
	s_add_u32 s14, s14, (.LBB2_11730-.Lpost_getpc34536)&4294967295
	s_addc_u32 s15, s15, (.LBB2_11730-.Lpost_getpc34536)>>32
	s_setpc_b64 s[14:15]
.LBB2_26068:
	v_cmp_ne_u16_e32 vcc, 0, v3
	s_andn2_b64 s[4:5], s[4:5], exec
	s_and_b64 s[8:9], vcc, exec
	v_mov_b32_e32 v2, 0
	s_or_b64 s[4:5], s[4:5], s[8:9]
	s_or_b64 exec, exec, s[6:7]
	s_and_saveexec_b64 s[6:7], s[4:5]
	s_cbranch_execz .LBB2_34537
; %bb.61907:
	s_getpc_b64 s[14:15]
.Lpost_getpc34537:
	s_add_u32 s14, s14, (.LBB2_11731-.Lpost_getpc34537)&4294967295
	s_addc_u32 s15, s15, (.LBB2_11731-.Lpost_getpc34537)>>32
	s_setpc_b64 s[14:15]
.LBB2_34537:
	s_getpc_b64 s[14:15]
.Lpost_getpc20852:
	s_add_u32 s14, s14, (.LBB2_11732-.Lpost_getpc20852)&4294967295
	s_addc_u32 s15, s15, (.LBB2_11732-.Lpost_getpc20852)>>32
	s_setpc_b64 s[14:15]
.LBB2_26069:
	s_movk_i32 s4, 0x80
	v_cmp_eq_u16_e32 vcc, s4, v3
	s_mov_b64 s[4:5], -1
                                        ; implicit-def: $sgpr10
	s_and_saveexec_b64 s[8:9], vcc
; %bb.26070:
	s_mov_b32 s10, 0x7f800001
	s_xor_b64 s[4:5], exec, -1
; %bb.26071:
	s_or_b64 exec, exec, s[8:9]
	s_and_b64 s[4:5], s[4:5], exec
                                        ; implicit-def: $vgpr3
	s_or_saveexec_b64 s[6:7], s[6:7]
	v_mov_b32_e32 v6, s10
	s_xor_b64 exec, exec, s[6:7]
	s_cbranch_execnz .LBB2_26072
; %bb.61909:
	s_getpc_b64 s[14:15]
.Lpost_getpc34538:
	s_add_u32 s14, s14, (.LBB2_11734-.Lpost_getpc34538)&4294967295
	s_addc_u32 s15, s15, (.LBB2_11734-.Lpost_getpc34538)>>32
	s_setpc_b64 s[14:15]
.LBB2_26072:
	v_cmp_ne_u16_e32 vcc, 0, v3
	s_andn2_b64 s[4:5], s[4:5], exec
	s_and_b64 s[8:9], vcc, exec
	v_mov_b32_e32 v6, 0
	s_or_b64 s[4:5], s[4:5], s[8:9]
	s_or_b64 exec, exec, s[6:7]
	s_and_saveexec_b64 s[6:7], s[4:5]
	s_cbranch_execz .LBB2_34539
; %bb.61911:
	s_getpc_b64 s[14:15]
.Lpost_getpc34539:
	s_add_u32 s14, s14, (.LBB2_11735-.Lpost_getpc34539)&4294967295
	s_addc_u32 s15, s15, (.LBB2_11735-.Lpost_getpc34539)>>32
	s_setpc_b64 s[14:15]
.LBB2_34539:
	s_getpc_b64 s[14:15]
.Lpost_getpc20853:
	s_add_u32 s14, s14, (.LBB2_11736-.Lpost_getpc20853)&4294967295
	s_addc_u32 s15, s15, (.LBB2_11736-.Lpost_getpc20853)>>32
	s_setpc_b64 s[14:15]
.LBB2_26073:
	s_movk_i32 s4, 0x80
	v_cmp_eq_u16_sdwa s[12:13], v8, s4 src0_sel:BYTE_3 src1_sel:DWORD
	s_mov_b64 s[4:5], -1
                                        ; implicit-def: $sgpr10
	s_and_saveexec_b64 s[8:9], s[12:13]
; %bb.26074:
	s_mov_b32 s10, 0x7f800001
	s_xor_b64 s[4:5], exec, -1
; %bb.26075:
	s_or_b64 exec, exec, s[8:9]
	s_and_b64 s[4:5], s[4:5], exec
	s_or_saveexec_b64 s[6:7], s[6:7]
	v_mov_b32_e32 v2, s10
	s_xor_b64 exec, exec, s[6:7]
	s_cbranch_execnz .LBB2_26076
; %bb.61913:
	s_getpc_b64 s[14:15]
.Lpost_getpc34540:
	s_add_u32 s14, s14, (.LBB2_11738-.Lpost_getpc34540)&4294967295
	s_addc_u32 s15, s15, (.LBB2_11738-.Lpost_getpc34540)>>32
	s_setpc_b64 s[14:15]
.LBB2_26076:
	v_mov_b32_e32 v2, 0
	v_cmp_ne_u16_sdwa s[8:9], v8, v2 src0_sel:BYTE_3 src1_sel:DWORD
	s_andn2_b64 s[4:5], s[4:5], exec
	s_and_b64 s[8:9], s[8:9], exec
	s_or_b64 s[4:5], s[4:5], s[8:9]
	s_or_b64 exec, exec, s[6:7]
	s_and_saveexec_b64 s[6:7], s[4:5]
	s_cbranch_execz .LBB2_34541
; %bb.61915:
	s_getpc_b64 s[14:15]
.Lpost_getpc34541:
	s_add_u32 s14, s14, (.LBB2_11739-.Lpost_getpc34541)&4294967295
	s_addc_u32 s15, s15, (.LBB2_11739-.Lpost_getpc34541)>>32
	s_setpc_b64 s[14:15]
.LBB2_34541:
	s_getpc_b64 s[14:15]
.Lpost_getpc20854:
	s_add_u32 s14, s14, (.LBB2_11740-.Lpost_getpc20854)&4294967295
	s_addc_u32 s15, s15, (.LBB2_11740-.Lpost_getpc20854)>>32
	s_setpc_b64 s[14:15]
.LBB2_26077:
	s_movk_i32 s4, 0x80
	v_cmp_eq_u16_sdwa s[12:13], v4, s4 src0_sel:BYTE_3 src1_sel:DWORD
	s_mov_b64 s[4:5], -1
                                        ; implicit-def: $sgpr10
	s_and_saveexec_b64 s[8:9], s[12:13]
; %bb.26078:
	s_mov_b32 s10, 0x7f800001
	s_xor_b64 s[4:5], exec, -1
; %bb.26079:
	s_or_b64 exec, exec, s[8:9]
	s_and_b64 s[4:5], s[4:5], exec
	s_or_saveexec_b64 s[6:7], s[6:7]
	v_mov_b32_e32 v3, s10
	s_xor_b64 exec, exec, s[6:7]
	s_cbranch_execnz .LBB2_26080
; %bb.61917:
	s_getpc_b64 s[14:15]
.Lpost_getpc34542:
	s_add_u32 s14, s14, (.LBB2_11742-.Lpost_getpc34542)&4294967295
	s_addc_u32 s15, s15, (.LBB2_11742-.Lpost_getpc34542)>>32
	s_setpc_b64 s[14:15]
.LBB2_26080:
	v_mov_b32_e32 v3, 0
	v_cmp_ne_u16_sdwa s[8:9], v4, v3 src0_sel:BYTE_3 src1_sel:DWORD
	s_andn2_b64 s[4:5], s[4:5], exec
	s_and_b64 s[8:9], s[8:9], exec
	s_or_b64 s[4:5], s[4:5], s[8:9]
	s_or_b64 exec, exec, s[6:7]
	s_and_saveexec_b64 s[6:7], s[4:5]
	s_cbranch_execz .LBB2_34543
; %bb.61919:
	s_getpc_b64 s[14:15]
.Lpost_getpc34543:
	s_add_u32 s14, s14, (.LBB2_11743-.Lpost_getpc34543)&4294967295
	s_addc_u32 s15, s15, (.LBB2_11743-.Lpost_getpc34543)>>32
	s_setpc_b64 s[14:15]
.LBB2_34543:
	s_getpc_b64 s[14:15]
.Lpost_getpc20855:
	s_add_u32 s14, s14, (.LBB2_11744-.Lpost_getpc20855)&4294967295
	s_addc_u32 s15, s15, (.LBB2_11744-.Lpost_getpc20855)>>32
	s_setpc_b64 s[14:15]
.LBB2_26081:
	s_movk_i32 s4, 0x80
	v_cmp_eq_u16_sdwa s[12:13], v9, s4 src0_sel:BYTE_0 src1_sel:DWORD
	s_mov_b64 s[4:5], -1
                                        ; implicit-def: $sgpr10
	s_and_saveexec_b64 s[8:9], s[12:13]
; %bb.26082:
	s_mov_b32 s10, 0x7f800001
	s_xor_b64 s[4:5], exec, -1
; %bb.26083:
	s_or_b64 exec, exec, s[8:9]
	s_and_b64 s[4:5], s[4:5], exec
	s_or_saveexec_b64 s[6:7], s[6:7]
	v_mov_b32_e32 v2, s10
	s_xor_b64 exec, exec, s[6:7]
	s_cbranch_execnz .LBB2_26084
; %bb.61921:
	s_getpc_b64 s[14:15]
.Lpost_getpc34544:
	s_add_u32 s14, s14, (.LBB2_11746-.Lpost_getpc34544)&4294967295
	s_addc_u32 s15, s15, (.LBB2_11746-.Lpost_getpc34544)>>32
	s_setpc_b64 s[14:15]
.LBB2_26084:
	v_mov_b32_e32 v2, 0
	v_cmp_ne_u16_sdwa s[8:9], v9, v2 src0_sel:BYTE_0 src1_sel:DWORD
	s_andn2_b64 s[4:5], s[4:5], exec
	s_and_b64 s[8:9], s[8:9], exec
	s_or_b64 s[4:5], s[4:5], s[8:9]
	s_or_b64 exec, exec, s[6:7]
	s_and_saveexec_b64 s[6:7], s[4:5]
	s_cbranch_execz .LBB2_34545
; %bb.61923:
	s_getpc_b64 s[14:15]
.Lpost_getpc34545:
	s_add_u32 s14, s14, (.LBB2_11747-.Lpost_getpc34545)&4294967295
	s_addc_u32 s15, s15, (.LBB2_11747-.Lpost_getpc34545)>>32
	s_setpc_b64 s[14:15]
.LBB2_34545:
	s_getpc_b64 s[14:15]
.Lpost_getpc20856:
	s_add_u32 s14, s14, (.LBB2_11748-.Lpost_getpc20856)&4294967295
	s_addc_u32 s15, s15, (.LBB2_11748-.Lpost_getpc20856)>>32
	s_setpc_b64 s[14:15]
.LBB2_26085:
	s_movk_i32 s4, 0x80
	v_cmp_eq_u16_sdwa s[12:13], v5, s4 src0_sel:BYTE_0 src1_sel:DWORD
	s_mov_b64 s[4:5], -1
                                        ; implicit-def: $sgpr10
	s_and_saveexec_b64 s[8:9], s[12:13]
; %bb.26086:
	s_mov_b32 s10, 0x7f800001
	s_xor_b64 s[4:5], exec, -1
; %bb.26087:
	s_or_b64 exec, exec, s[8:9]
	s_and_b64 s[4:5], s[4:5], exec
	s_or_saveexec_b64 s[6:7], s[6:7]
	v_mov_b32_e32 v3, s10
	s_xor_b64 exec, exec, s[6:7]
	s_cbranch_execnz .LBB2_26088
; %bb.61925:
	s_getpc_b64 s[14:15]
.Lpost_getpc34546:
	s_add_u32 s14, s14, (.LBB2_11750-.Lpost_getpc34546)&4294967295
	s_addc_u32 s15, s15, (.LBB2_11750-.Lpost_getpc34546)>>32
	s_setpc_b64 s[14:15]
.LBB2_26088:
	v_mov_b32_e32 v3, 0
	v_cmp_ne_u16_sdwa s[8:9], v5, v3 src0_sel:BYTE_0 src1_sel:DWORD
	s_andn2_b64 s[4:5], s[4:5], exec
	s_and_b64 s[8:9], s[8:9], exec
	s_or_b64 s[4:5], s[4:5], s[8:9]
	s_or_b64 exec, exec, s[6:7]
	s_and_saveexec_b64 s[6:7], s[4:5]
	s_cbranch_execz .LBB2_34547
; %bb.61927:
	s_getpc_b64 s[14:15]
.Lpost_getpc34547:
	s_add_u32 s14, s14, (.LBB2_11751-.Lpost_getpc34547)&4294967295
	s_addc_u32 s15, s15, (.LBB2_11751-.Lpost_getpc34547)>>32
	s_setpc_b64 s[14:15]
.LBB2_34547:
	s_getpc_b64 s[14:15]
.Lpost_getpc20857:
	s_add_u32 s14, s14, (.LBB2_11752-.Lpost_getpc20857)&4294967295
	s_addc_u32 s15, s15, (.LBB2_11752-.Lpost_getpc20857)>>32
	s_setpc_b64 s[14:15]
.LBB2_26089:
	s_movk_i32 s4, 0x80
	v_cmp_eq_u16_sdwa s[12:13], v3, s4 src0_sel:BYTE_0 src1_sel:DWORD
	s_mov_b64 s[4:5], -1
                                        ; implicit-def: $sgpr10
	s_and_saveexec_b64 s[8:9], s[12:13]
; %bb.26090:
	s_mov_b32 s10, 0x7f800001
	s_xor_b64 s[4:5], exec, -1
; %bb.26091:
	s_or_b64 exec, exec, s[8:9]
	s_and_b64 s[4:5], s[4:5], exec
	s_or_saveexec_b64 s[6:7], s[6:7]
	v_mov_b32_e32 v2, s10
	s_xor_b64 exec, exec, s[6:7]
	s_cbranch_execnz .LBB2_26092
; %bb.61929:
	s_getpc_b64 s[14:15]
.Lpost_getpc34548:
	s_add_u32 s14, s14, (.LBB2_11754-.Lpost_getpc34548)&4294967295
	s_addc_u32 s15, s15, (.LBB2_11754-.Lpost_getpc34548)>>32
	s_setpc_b64 s[14:15]
.LBB2_26092:
	v_mov_b32_e32 v2, 0
	v_cmp_ne_u16_sdwa s[8:9], v3, v2 src0_sel:BYTE_0 src1_sel:DWORD
	s_andn2_b64 s[4:5], s[4:5], exec
	s_and_b64 s[8:9], s[8:9], exec
	s_or_b64 s[4:5], s[4:5], s[8:9]
	s_or_b64 exec, exec, s[6:7]
	s_and_saveexec_b64 s[6:7], s[4:5]
	s_cbranch_execz .LBB2_34549
; %bb.61931:
	s_getpc_b64 s[14:15]
.Lpost_getpc34549:
	s_add_u32 s14, s14, (.LBB2_11755-.Lpost_getpc34549)&4294967295
	s_addc_u32 s15, s15, (.LBB2_11755-.Lpost_getpc34549)>>32
	s_setpc_b64 s[14:15]
.LBB2_34549:
	s_getpc_b64 s[14:15]
.Lpost_getpc20858:
	s_add_u32 s14, s14, (.LBB2_11756-.Lpost_getpc20858)&4294967295
	s_addc_u32 s15, s15, (.LBB2_11756-.Lpost_getpc20858)>>32
	s_setpc_b64 s[14:15]
.LBB2_26093:
	s_movk_i32 s4, 0x80
	v_cmp_eq_u16_sdwa s[12:13], v3, s4 src0_sel:BYTE_0 src1_sel:DWORD
	s_mov_b64 s[4:5], -1
                                        ; implicit-def: $sgpr10
	s_and_saveexec_b64 s[8:9], s[12:13]
; %bb.26094:
	s_mov_b32 s10, 0x7f800001
	s_xor_b64 s[4:5], exec, -1
; %bb.26095:
	s_or_b64 exec, exec, s[8:9]
	s_and_b64 s[4:5], s[4:5], exec
	s_or_saveexec_b64 s[6:7], s[6:7]
	v_mov_b32_e32 v4, s10
	s_xor_b64 exec, exec, s[6:7]
	s_cbranch_execnz .LBB2_26096
; %bb.61933:
	s_getpc_b64 s[14:15]
.Lpost_getpc34550:
	s_add_u32 s14, s14, (.LBB2_11758-.Lpost_getpc34550)&4294967295
	s_addc_u32 s15, s15, (.LBB2_11758-.Lpost_getpc34550)>>32
	s_setpc_b64 s[14:15]
.LBB2_26096:
	v_mov_b32_e32 v4, 0
	v_cmp_ne_u16_sdwa s[8:9], v3, v4 src0_sel:BYTE_0 src1_sel:DWORD
	s_andn2_b64 s[4:5], s[4:5], exec
	s_and_b64 s[8:9], s[8:9], exec
	s_or_b64 s[4:5], s[4:5], s[8:9]
	s_or_b64 exec, exec, s[6:7]
	s_and_saveexec_b64 s[6:7], s[4:5]
	s_cbranch_execz .LBB2_34551
; %bb.61935:
	s_getpc_b64 s[14:15]
.Lpost_getpc34551:
	s_add_u32 s14, s14, (.LBB2_11759-.Lpost_getpc34551)&4294967295
	s_addc_u32 s15, s15, (.LBB2_11759-.Lpost_getpc34551)>>32
	s_setpc_b64 s[14:15]
.LBB2_34551:
	s_getpc_b64 s[14:15]
.Lpost_getpc20859:
	s_add_u32 s14, s14, (.LBB2_11760-.Lpost_getpc20859)&4294967295
	s_addc_u32 s15, s15, (.LBB2_11760-.Lpost_getpc20859)>>32
	s_setpc_b64 s[14:15]
.LBB2_26097:
	s_movk_i32 s4, 0x80
	v_cmp_eq_u16_e32 vcc, s4, v3
	s_mov_b64 s[4:5], -1
                                        ; implicit-def: $sgpr10
	s_and_saveexec_b64 s[8:9], vcc
; %bb.26098:
	s_mov_b32 s10, 0x7f800001
	s_xor_b64 s[4:5], exec, -1
; %bb.26099:
	s_or_b64 exec, exec, s[8:9]
	s_and_b64 s[4:5], s[4:5], exec
                                        ; implicit-def: $vgpr3
	s_or_saveexec_b64 s[6:7], s[6:7]
	v_mov_b32_e32 v2, s10
	s_xor_b64 exec, exec, s[6:7]
	s_cbranch_execnz .LBB2_26100
; %bb.61937:
	s_getpc_b64 s[14:15]
.Lpost_getpc34552:
	s_add_u32 s14, s14, (.LBB2_11762-.Lpost_getpc34552)&4294967295
	s_addc_u32 s15, s15, (.LBB2_11762-.Lpost_getpc34552)>>32
	s_setpc_b64 s[14:15]
.LBB2_26100:
	v_cmp_ne_u16_e32 vcc, 0, v3
	s_andn2_b64 s[4:5], s[4:5], exec
	s_and_b64 s[8:9], vcc, exec
	v_mov_b32_e32 v2, 0
	s_or_b64 s[4:5], s[4:5], s[8:9]
	s_or_b64 exec, exec, s[6:7]
	s_and_saveexec_b64 s[6:7], s[4:5]
	s_cbranch_execz .LBB2_34553
; %bb.61939:
	s_getpc_b64 s[14:15]
.Lpost_getpc34553:
	s_add_u32 s14, s14, (.LBB2_11763-.Lpost_getpc34553)&4294967295
	s_addc_u32 s15, s15, (.LBB2_11763-.Lpost_getpc34553)>>32
	s_setpc_b64 s[14:15]
.LBB2_34553:
	s_getpc_b64 s[14:15]
.Lpost_getpc20860:
	s_add_u32 s14, s14, (.LBB2_11764-.Lpost_getpc20860)&4294967295
	s_addc_u32 s15, s15, (.LBB2_11764-.Lpost_getpc20860)>>32
	s_setpc_b64 s[14:15]
.LBB2_26101:
	s_movk_i32 s4, 0x80
	v_cmp_eq_u16_e32 vcc, s4, v3
	s_mov_b64 s[4:5], -1
                                        ; implicit-def: $sgpr10
	s_and_saveexec_b64 s[8:9], vcc
; %bb.26102:
	s_mov_b32 s10, 0x7f800001
	s_xor_b64 s[4:5], exec, -1
; %bb.26103:
	s_or_b64 exec, exec, s[8:9]
	s_and_b64 s[4:5], s[4:5], exec
                                        ; implicit-def: $vgpr3
	s_or_saveexec_b64 s[6:7], s[6:7]
	v_mov_b32_e32 v4, s10
	s_xor_b64 exec, exec, s[6:7]
	s_cbranch_execnz .LBB2_26104
; %bb.61941:
	s_getpc_b64 s[14:15]
.Lpost_getpc34554:
	s_add_u32 s14, s14, (.LBB2_11766-.Lpost_getpc34554)&4294967295
	s_addc_u32 s15, s15, (.LBB2_11766-.Lpost_getpc34554)>>32
	s_setpc_b64 s[14:15]
.LBB2_26104:
	v_cmp_ne_u16_e32 vcc, 0, v3
	s_andn2_b64 s[4:5], s[4:5], exec
	s_and_b64 s[8:9], vcc, exec
	v_mov_b32_e32 v4, 0
	s_or_b64 s[4:5], s[4:5], s[8:9]
	s_or_b64 exec, exec, s[6:7]
	s_and_saveexec_b64 s[6:7], s[4:5]
	s_cbranch_execz .LBB2_34555
; %bb.61943:
	s_getpc_b64 s[14:15]
.Lpost_getpc34555:
	s_add_u32 s14, s14, (.LBB2_11767-.Lpost_getpc34555)&4294967295
	s_addc_u32 s15, s15, (.LBB2_11767-.Lpost_getpc34555)>>32
	s_setpc_b64 s[14:15]
.LBB2_34555:
	s_getpc_b64 s[14:15]
.Lpost_getpc20861:
	s_add_u32 s14, s14, (.LBB2_11768-.Lpost_getpc20861)&4294967295
	s_addc_u32 s15, s15, (.LBB2_11768-.Lpost_getpc20861)>>32
	s_setpc_b64 s[14:15]
.LBB2_26105:
	s_movk_i32 s4, 0x80
	v_cmp_eq_u16_sdwa s[12:13], v9, s4 src0_sel:BYTE_3 src1_sel:DWORD
	s_mov_b64 s[4:5], -1
                                        ; implicit-def: $sgpr10
	s_and_saveexec_b64 s[8:9], s[12:13]
; %bb.26106:
	s_mov_b32 s10, 0x7f800001
	s_xor_b64 s[4:5], exec, -1
; %bb.26107:
	s_or_b64 exec, exec, s[8:9]
	s_and_b64 s[4:5], s[4:5], exec
	s_or_saveexec_b64 s[6:7], s[6:7]
	v_mov_b32_e32 v2, s10
	s_xor_b64 exec, exec, s[6:7]
	s_cbranch_execnz .LBB2_26108
; %bb.61945:
	s_getpc_b64 s[14:15]
.Lpost_getpc34556:
	s_add_u32 s14, s14, (.LBB2_11770-.Lpost_getpc34556)&4294967295
	s_addc_u32 s15, s15, (.LBB2_11770-.Lpost_getpc34556)>>32
	s_setpc_b64 s[14:15]
.LBB2_26108:
	v_mov_b32_e32 v2, 0
	v_cmp_ne_u16_sdwa s[8:9], v9, v2 src0_sel:BYTE_3 src1_sel:DWORD
	s_andn2_b64 s[4:5], s[4:5], exec
	s_and_b64 s[8:9], s[8:9], exec
	s_or_b64 s[4:5], s[4:5], s[8:9]
	s_or_b64 exec, exec, s[6:7]
	s_and_saveexec_b64 s[6:7], s[4:5]
	s_cbranch_execz .LBB2_34557
; %bb.61947:
	s_getpc_b64 s[14:15]
.Lpost_getpc34557:
	s_add_u32 s14, s14, (.LBB2_11771-.Lpost_getpc34557)&4294967295
	s_addc_u32 s15, s15, (.LBB2_11771-.Lpost_getpc34557)>>32
	s_setpc_b64 s[14:15]
.LBB2_34557:
	s_getpc_b64 s[14:15]
.Lpost_getpc20862:
	s_add_u32 s14, s14, (.LBB2_11772-.Lpost_getpc20862)&4294967295
	s_addc_u32 s15, s15, (.LBB2_11772-.Lpost_getpc20862)>>32
	s_setpc_b64 s[14:15]
.LBB2_26109:
	s_movk_i32 s4, 0x80
	v_cmp_eq_u16_sdwa s[12:13], v5, s4 src0_sel:BYTE_3 src1_sel:DWORD
	s_mov_b64 s[4:5], -1
                                        ; implicit-def: $sgpr10
	s_and_saveexec_b64 s[8:9], s[12:13]
; %bb.26110:
	s_mov_b32 s10, 0x7f800001
	s_xor_b64 s[4:5], exec, -1
; %bb.26111:
	s_or_b64 exec, exec, s[8:9]
	s_and_b64 s[4:5], s[4:5], exec
	s_or_saveexec_b64 s[6:7], s[6:7]
	v_mov_b32_e32 v3, s10
	s_xor_b64 exec, exec, s[6:7]
	s_cbranch_execnz .LBB2_26112
; %bb.61949:
	s_getpc_b64 s[14:15]
.Lpost_getpc34558:
	s_add_u32 s14, s14, (.LBB2_11774-.Lpost_getpc34558)&4294967295
	s_addc_u32 s15, s15, (.LBB2_11774-.Lpost_getpc34558)>>32
	s_setpc_b64 s[14:15]
.LBB2_26112:
	v_mov_b32_e32 v3, 0
	v_cmp_ne_u16_sdwa s[8:9], v5, v3 src0_sel:BYTE_3 src1_sel:DWORD
	s_andn2_b64 s[4:5], s[4:5], exec
	s_and_b64 s[8:9], s[8:9], exec
	s_or_b64 s[4:5], s[4:5], s[8:9]
	s_or_b64 exec, exec, s[6:7]
	s_and_saveexec_b64 s[6:7], s[4:5]
	s_cbranch_execz .LBB2_34559
; %bb.61951:
	s_getpc_b64 s[14:15]
.Lpost_getpc34559:
	s_add_u32 s14, s14, (.LBB2_11775-.Lpost_getpc34559)&4294967295
	s_addc_u32 s15, s15, (.LBB2_11775-.Lpost_getpc34559)>>32
	s_setpc_b64 s[14:15]
.LBB2_34559:
	s_getpc_b64 s[14:15]
.Lpost_getpc20863:
	s_add_u32 s14, s14, (.LBB2_11776-.Lpost_getpc20863)&4294967295
	s_addc_u32 s15, s15, (.LBB2_11776-.Lpost_getpc20863)>>32
	s_setpc_b64 s[14:15]
.LBB2_26113:
	s_movk_i32 s4, 0x80
	v_cmp_eq_u16_sdwa s[12:13], v6, s4 src0_sel:BYTE_0 src1_sel:DWORD
	s_mov_b64 s[4:5], -1
                                        ; implicit-def: $sgpr10
	s_and_saveexec_b64 s[8:9], s[12:13]
; %bb.26114:
	s_mov_b32 s10, 0x7f800001
	s_xor_b64 s[4:5], exec, -1
; %bb.26115:
	s_or_b64 exec, exec, s[8:9]
	s_and_b64 s[4:5], s[4:5], exec
	s_or_saveexec_b64 s[6:7], s[6:7]
	v_mov_b32_e32 v12, s10
	s_xor_b64 exec, exec, s[6:7]
	s_cbranch_execnz .LBB2_26116
; %bb.61953:
	s_getpc_b64 s[14:15]
.Lpost_getpc34560:
	s_add_u32 s14, s14, (.LBB2_11778-.Lpost_getpc34560)&4294967295
	s_addc_u32 s15, s15, (.LBB2_11778-.Lpost_getpc34560)>>32
	s_setpc_b64 s[14:15]
.LBB2_26116:
	v_mov_b32_e32 v12, 0
	v_cmp_ne_u16_sdwa s[8:9], v6, v12 src0_sel:BYTE_0 src1_sel:DWORD
	s_andn2_b64 s[4:5], s[4:5], exec
	s_and_b64 s[8:9], s[8:9], exec
	s_or_b64 s[4:5], s[4:5], s[8:9]
	s_or_b64 exec, exec, s[6:7]
	s_and_saveexec_b64 s[6:7], s[4:5]
	s_cbranch_execz .LBB2_34561
; %bb.61955:
	s_getpc_b64 s[14:15]
.Lpost_getpc34561:
	s_add_u32 s14, s14, (.LBB2_11779-.Lpost_getpc34561)&4294967295
	s_addc_u32 s15, s15, (.LBB2_11779-.Lpost_getpc34561)>>32
	s_setpc_b64 s[14:15]
.LBB2_34561:
	s_getpc_b64 s[14:15]
.Lpost_getpc20864:
	s_add_u32 s14, s14, (.LBB2_11780-.Lpost_getpc20864)&4294967295
	s_addc_u32 s15, s15, (.LBB2_11780-.Lpost_getpc20864)>>32
	s_setpc_b64 s[14:15]
.LBB2_26117:
	s_movk_i32 s4, 0x80
	v_cmp_eq_u16_sdwa s[12:13], v2, s4 src0_sel:BYTE_0 src1_sel:DWORD
	s_mov_b64 s[4:5], -1
                                        ; implicit-def: $sgpr10
	s_and_saveexec_b64 s[8:9], s[12:13]
; %bb.26118:
	s_mov_b32 s10, 0x7f800001
	s_xor_b64 s[4:5], exec, -1
; %bb.26119:
	s_or_b64 exec, exec, s[8:9]
	s_and_b64 s[4:5], s[4:5], exec
	s_or_saveexec_b64 s[6:7], s[6:7]
	v_mov_b32_e32 v13, s10
	s_xor_b64 exec, exec, s[6:7]
	s_cbranch_execnz .LBB2_26120
; %bb.61957:
	s_getpc_b64 s[14:15]
.Lpost_getpc34562:
	s_add_u32 s14, s14, (.LBB2_11782-.Lpost_getpc34562)&4294967295
	s_addc_u32 s15, s15, (.LBB2_11782-.Lpost_getpc34562)>>32
	s_setpc_b64 s[14:15]
.LBB2_26120:
	v_mov_b32_e32 v13, 0
	v_cmp_ne_u16_sdwa s[8:9], v2, v13 src0_sel:BYTE_0 src1_sel:DWORD
	s_andn2_b64 s[4:5], s[4:5], exec
	s_and_b64 s[8:9], s[8:9], exec
	s_or_b64 s[4:5], s[4:5], s[8:9]
	s_or_b64 exec, exec, s[6:7]
	s_and_saveexec_b64 s[6:7], s[4:5]
	s_cbranch_execz .LBB2_34563
; %bb.61959:
	s_getpc_b64 s[14:15]
.Lpost_getpc34563:
	s_add_u32 s14, s14, (.LBB2_11783-.Lpost_getpc34563)&4294967295
	s_addc_u32 s15, s15, (.LBB2_11783-.Lpost_getpc34563)>>32
	s_setpc_b64 s[14:15]
.LBB2_34563:
	s_getpc_b64 s[14:15]
.Lpost_getpc20865:
	s_add_u32 s14, s14, (.LBB2_11784-.Lpost_getpc20865)&4294967295
	s_addc_u32 s15, s15, (.LBB2_11784-.Lpost_getpc20865)>>32
	s_setpc_b64 s[14:15]
.LBB2_26121:
	s_movk_i32 s4, 0x80
	v_cmp_eq_u16_sdwa s[12:13], v13, s4 src0_sel:BYTE_0 src1_sel:DWORD
	s_mov_b64 s[4:5], -1
                                        ; implicit-def: $sgpr10
	s_and_saveexec_b64 s[8:9], s[12:13]
; %bb.26122:
	s_mov_b32 s10, 0x7f800001
	s_xor_b64 s[4:5], exec, -1
; %bb.26123:
	s_or_b64 exec, exec, s[8:9]
	s_and_b64 s[4:5], s[4:5], exec
	s_or_saveexec_b64 s[6:7], s[6:7]
	v_mov_b32_e32 v12, s10
	s_xor_b64 exec, exec, s[6:7]
	s_cbranch_execnz .LBB2_26124
; %bb.61961:
	s_getpc_b64 s[14:15]
.Lpost_getpc34564:
	s_add_u32 s14, s14, (.LBB2_11786-.Lpost_getpc34564)&4294967295
	s_addc_u32 s15, s15, (.LBB2_11786-.Lpost_getpc34564)>>32
	s_setpc_b64 s[14:15]
.LBB2_26124:
	v_mov_b32_e32 v12, 0
	v_cmp_ne_u16_sdwa s[8:9], v13, v12 src0_sel:BYTE_0 src1_sel:DWORD
	s_andn2_b64 s[4:5], s[4:5], exec
	s_and_b64 s[8:9], s[8:9], exec
	s_or_b64 s[4:5], s[4:5], s[8:9]
	s_or_b64 exec, exec, s[6:7]
	s_and_saveexec_b64 s[6:7], s[4:5]
	s_cbranch_execz .LBB2_34565
; %bb.61963:
	s_getpc_b64 s[14:15]
.Lpost_getpc34565:
	s_add_u32 s14, s14, (.LBB2_11787-.Lpost_getpc34565)&4294967295
	s_addc_u32 s15, s15, (.LBB2_11787-.Lpost_getpc34565)>>32
	s_setpc_b64 s[14:15]
.LBB2_34565:
	s_getpc_b64 s[14:15]
.Lpost_getpc20866:
	s_add_u32 s14, s14, (.LBB2_11788-.Lpost_getpc20866)&4294967295
	s_addc_u32 s15, s15, (.LBB2_11788-.Lpost_getpc20866)>>32
	s_setpc_b64 s[14:15]
.LBB2_26125:
	s_movk_i32 s4, 0x80
	v_cmp_eq_u16_sdwa s[12:13], v13, s4 src0_sel:BYTE_0 src1_sel:DWORD
	s_mov_b64 s[4:5], -1
                                        ; implicit-def: $sgpr10
	s_and_saveexec_b64 s[8:9], s[12:13]
; %bb.26126:
	s_mov_b32 s10, 0x7f800001
	s_xor_b64 s[4:5], exec, -1
; %bb.26127:
	s_or_b64 exec, exec, s[8:9]
	s_and_b64 s[4:5], s[4:5], exec
	s_or_saveexec_b64 s[6:7], s[6:7]
	v_mov_b32_e32 v14, s10
	s_xor_b64 exec, exec, s[6:7]
	s_cbranch_execnz .LBB2_26128
; %bb.61965:
	s_getpc_b64 s[14:15]
.Lpost_getpc34566:
	s_add_u32 s14, s14, (.LBB2_11790-.Lpost_getpc34566)&4294967295
	s_addc_u32 s15, s15, (.LBB2_11790-.Lpost_getpc34566)>>32
	s_setpc_b64 s[14:15]
.LBB2_26128:
	v_mov_b32_e32 v14, 0
	v_cmp_ne_u16_sdwa s[8:9], v13, v14 src0_sel:BYTE_0 src1_sel:DWORD
	s_andn2_b64 s[4:5], s[4:5], exec
	s_and_b64 s[8:9], s[8:9], exec
	s_or_b64 s[4:5], s[4:5], s[8:9]
	s_or_b64 exec, exec, s[6:7]
	s_and_saveexec_b64 s[6:7], s[4:5]
	s_cbranch_execz .LBB2_34567
; %bb.61967:
	s_getpc_b64 s[14:15]
.Lpost_getpc34567:
	s_add_u32 s14, s14, (.LBB2_11791-.Lpost_getpc34567)&4294967295
	s_addc_u32 s15, s15, (.LBB2_11791-.Lpost_getpc34567)>>32
	s_setpc_b64 s[14:15]
.LBB2_34567:
	s_getpc_b64 s[14:15]
.Lpost_getpc20867:
	s_add_u32 s14, s14, (.LBB2_11792-.Lpost_getpc20867)&4294967295
	s_addc_u32 s15, s15, (.LBB2_11792-.Lpost_getpc20867)>>32
	s_setpc_b64 s[14:15]
.LBB2_26129:
	s_movk_i32 s4, 0x80
	v_cmp_eq_u16_e32 vcc, s4, v13
	s_mov_b64 s[4:5], -1
                                        ; implicit-def: $sgpr10
	s_and_saveexec_b64 s[8:9], vcc
; %bb.26130:
	s_mov_b32 s10, 0x7f800001
	s_xor_b64 s[4:5], exec, -1
; %bb.26131:
	s_or_b64 exec, exec, s[8:9]
	s_and_b64 s[4:5], s[4:5], exec
                                        ; implicit-def: $vgpr13
	s_or_saveexec_b64 s[6:7], s[6:7]
	v_mov_b32_e32 v12, s10
	s_xor_b64 exec, exec, s[6:7]
	s_cbranch_execnz .LBB2_26132
; %bb.61969:
	s_getpc_b64 s[14:15]
.Lpost_getpc34568:
	s_add_u32 s14, s14, (.LBB2_11794-.Lpost_getpc34568)&4294967295
	s_addc_u32 s15, s15, (.LBB2_11794-.Lpost_getpc34568)>>32
	s_setpc_b64 s[14:15]
.LBB2_26132:
	v_cmp_ne_u16_e32 vcc, 0, v13
	s_andn2_b64 s[4:5], s[4:5], exec
	s_and_b64 s[8:9], vcc, exec
	v_mov_b32_e32 v12, 0
	s_or_b64 s[4:5], s[4:5], s[8:9]
	s_or_b64 exec, exec, s[6:7]
	s_and_saveexec_b64 s[6:7], s[4:5]
	s_cbranch_execz .LBB2_34569
; %bb.61971:
	s_getpc_b64 s[14:15]
.Lpost_getpc34569:
	s_add_u32 s14, s14, (.LBB2_11795-.Lpost_getpc34569)&4294967295
	s_addc_u32 s15, s15, (.LBB2_11795-.Lpost_getpc34569)>>32
	s_setpc_b64 s[14:15]
.LBB2_34569:
	s_getpc_b64 s[14:15]
.Lpost_getpc20868:
	s_add_u32 s14, s14, (.LBB2_11796-.Lpost_getpc20868)&4294967295
	s_addc_u32 s15, s15, (.LBB2_11796-.Lpost_getpc20868)>>32
	s_setpc_b64 s[14:15]
.LBB2_26133:
	s_movk_i32 s4, 0x80
	v_cmp_eq_u16_e32 vcc, s4, v13
	s_mov_b64 s[4:5], -1
                                        ; implicit-def: $sgpr10
	s_and_saveexec_b64 s[8:9], vcc
; %bb.26134:
	s_mov_b32 s10, 0x7f800001
	s_xor_b64 s[4:5], exec, -1
; %bb.26135:
	s_or_b64 exec, exec, s[8:9]
	s_and_b64 s[4:5], s[4:5], exec
                                        ; implicit-def: $vgpr13
	s_or_saveexec_b64 s[6:7], s[6:7]
	v_mov_b32_e32 v14, s10
	s_xor_b64 exec, exec, s[6:7]
	s_cbranch_execnz .LBB2_26136
; %bb.61973:
	s_getpc_b64 s[14:15]
.Lpost_getpc34570:
	s_add_u32 s14, s14, (.LBB2_11798-.Lpost_getpc34570)&4294967295
	s_addc_u32 s15, s15, (.LBB2_11798-.Lpost_getpc34570)>>32
	s_setpc_b64 s[14:15]
.LBB2_26136:
	v_cmp_ne_u16_e32 vcc, 0, v13
	s_andn2_b64 s[4:5], s[4:5], exec
	s_and_b64 s[8:9], vcc, exec
	v_mov_b32_e32 v14, 0
	s_or_b64 s[4:5], s[4:5], s[8:9]
	s_or_b64 exec, exec, s[6:7]
	s_and_saveexec_b64 s[6:7], s[4:5]
	s_cbranch_execz .LBB2_34571
; %bb.61975:
	s_getpc_b64 s[14:15]
.Lpost_getpc34571:
	s_add_u32 s14, s14, (.LBB2_11799-.Lpost_getpc34571)&4294967295
	s_addc_u32 s15, s15, (.LBB2_11799-.Lpost_getpc34571)>>32
	s_setpc_b64 s[14:15]
.LBB2_34571:
	s_getpc_b64 s[14:15]
.Lpost_getpc20869:
	s_add_u32 s14, s14, (.LBB2_11800-.Lpost_getpc20869)&4294967295
	s_addc_u32 s15, s15, (.LBB2_11800-.Lpost_getpc20869)>>32
	s_setpc_b64 s[14:15]
.LBB2_26137:
	s_movk_i32 s4, 0x80
	v_cmp_eq_u16_sdwa s[12:13], v6, s4 src0_sel:BYTE_3 src1_sel:DWORD
	s_mov_b64 s[4:5], -1
                                        ; implicit-def: $sgpr10
	s_and_saveexec_b64 s[8:9], s[12:13]
; %bb.26138:
	s_mov_b32 s10, 0x7f800001
	s_xor_b64 s[4:5], exec, -1
; %bb.26139:
	s_or_b64 exec, exec, s[8:9]
	s_and_b64 s[4:5], s[4:5], exec
	s_or_saveexec_b64 s[6:7], s[6:7]
	v_mov_b32_e32 v12, s10
	s_xor_b64 exec, exec, s[6:7]
	s_cbranch_execnz .LBB2_26140
; %bb.61977:
	s_getpc_b64 s[14:15]
.Lpost_getpc34572:
	s_add_u32 s14, s14, (.LBB2_11802-.Lpost_getpc34572)&4294967295
	s_addc_u32 s15, s15, (.LBB2_11802-.Lpost_getpc34572)>>32
	s_setpc_b64 s[14:15]
.LBB2_26140:
	v_mov_b32_e32 v12, 0
	v_cmp_ne_u16_sdwa s[8:9], v6, v12 src0_sel:BYTE_3 src1_sel:DWORD
	s_andn2_b64 s[4:5], s[4:5], exec
	s_and_b64 s[8:9], s[8:9], exec
	s_or_b64 s[4:5], s[4:5], s[8:9]
	s_or_b64 exec, exec, s[6:7]
	s_and_saveexec_b64 s[6:7], s[4:5]
	s_cbranch_execz .LBB2_34573
; %bb.61979:
	s_getpc_b64 s[14:15]
.Lpost_getpc34573:
	s_add_u32 s14, s14, (.LBB2_11803-.Lpost_getpc34573)&4294967295
	s_addc_u32 s15, s15, (.LBB2_11803-.Lpost_getpc34573)>>32
	s_setpc_b64 s[14:15]
.LBB2_34573:
	s_getpc_b64 s[14:15]
.Lpost_getpc20870:
	s_add_u32 s14, s14, (.LBB2_11804-.Lpost_getpc20870)&4294967295
	s_addc_u32 s15, s15, (.LBB2_11804-.Lpost_getpc20870)>>32
	s_setpc_b64 s[14:15]
.LBB2_26141:
	s_movk_i32 s4, 0x80
	v_cmp_eq_u16_sdwa s[12:13], v2, s4 src0_sel:BYTE_3 src1_sel:DWORD
	s_mov_b64 s[4:5], -1
                                        ; implicit-def: $sgpr10
	s_and_saveexec_b64 s[8:9], s[12:13]
; %bb.26142:
	s_mov_b32 s10, 0x7f800001
	s_xor_b64 s[4:5], exec, -1
; %bb.26143:
	s_or_b64 exec, exec, s[8:9]
	s_and_b64 s[4:5], s[4:5], exec
	s_or_saveexec_b64 s[6:7], s[6:7]
	v_mov_b32_e32 v6, s10
	s_xor_b64 exec, exec, s[6:7]
	s_cbranch_execnz .LBB2_26144
; %bb.61981:
	s_getpc_b64 s[14:15]
.Lpost_getpc34574:
	s_add_u32 s14, s14, (.LBB2_11806-.Lpost_getpc34574)&4294967295
	s_addc_u32 s15, s15, (.LBB2_11806-.Lpost_getpc34574)>>32
	s_setpc_b64 s[14:15]
.LBB2_26144:
	v_mov_b32_e32 v6, 0
	v_cmp_ne_u16_sdwa s[8:9], v2, v6 src0_sel:BYTE_3 src1_sel:DWORD
	s_andn2_b64 s[4:5], s[4:5], exec
	s_and_b64 s[8:9], s[8:9], exec
	s_or_b64 s[4:5], s[4:5], s[8:9]
	s_or_b64 exec, exec, s[6:7]
	s_and_saveexec_b64 s[6:7], s[4:5]
	s_cbranch_execz .LBB2_34575
; %bb.61983:
	s_getpc_b64 s[14:15]
.Lpost_getpc34575:
	s_add_u32 s14, s14, (.LBB2_11807-.Lpost_getpc34575)&4294967295
	s_addc_u32 s15, s15, (.LBB2_11807-.Lpost_getpc34575)>>32
	s_setpc_b64 s[14:15]
.LBB2_34575:
	s_getpc_b64 s[14:15]
.Lpost_getpc20871:
	s_add_u32 s14, s14, (.LBB2_11808-.Lpost_getpc20871)&4294967295
	s_addc_u32 s15, s15, (.LBB2_11808-.Lpost_getpc20871)>>32
	s_setpc_b64 s[14:15]
.LBB2_26145:
	s_movk_i32 s4, 0x80
	v_cmp_eq_u16_sdwa s[12:13], v7, s4 src0_sel:BYTE_0 src1_sel:DWORD
	s_mov_b64 s[4:5], -1
                                        ; implicit-def: $sgpr10
	s_and_saveexec_b64 s[8:9], s[12:13]
; %bb.26146:
	s_mov_b32 s10, 0x7f800001
	s_xor_b64 s[4:5], exec, -1
; %bb.26147:
	s_or_b64 exec, exec, s[8:9]
	s_and_b64 s[4:5], s[4:5], exec
	s_or_saveexec_b64 s[6:7], s[6:7]
	v_mov_b32_e32 v2, s10
	s_xor_b64 exec, exec, s[6:7]
	s_cbranch_execnz .LBB2_26148
; %bb.61985:
	s_getpc_b64 s[14:15]
.Lpost_getpc34576:
	s_add_u32 s14, s14, (.LBB2_11810-.Lpost_getpc34576)&4294967295
	s_addc_u32 s15, s15, (.LBB2_11810-.Lpost_getpc34576)>>32
	s_setpc_b64 s[14:15]
.LBB2_26148:
	v_mov_b32_e32 v2, 0
	v_cmp_ne_u16_sdwa s[8:9], v7, v2 src0_sel:BYTE_0 src1_sel:DWORD
	s_andn2_b64 s[4:5], s[4:5], exec
	s_and_b64 s[8:9], s[8:9], exec
	s_or_b64 s[4:5], s[4:5], s[8:9]
	s_or_b64 exec, exec, s[6:7]
	s_and_saveexec_b64 s[6:7], s[4:5]
	s_cbranch_execz .LBB2_34577
; %bb.61987:
	s_getpc_b64 s[14:15]
.Lpost_getpc34577:
	s_add_u32 s14, s14, (.LBB2_11811-.Lpost_getpc34577)&4294967295
	s_addc_u32 s15, s15, (.LBB2_11811-.Lpost_getpc34577)>>32
	s_setpc_b64 s[14:15]
.LBB2_34577:
	s_getpc_b64 s[14:15]
.Lpost_getpc20872:
	s_add_u32 s14, s14, (.LBB2_11812-.Lpost_getpc20872)&4294967295
	s_addc_u32 s15, s15, (.LBB2_11812-.Lpost_getpc20872)>>32
	s_setpc_b64 s[14:15]
.LBB2_26149:
	s_movk_i32 s4, 0x80
	v_cmp_eq_u16_sdwa s[12:13], v3, s4 src0_sel:BYTE_0 src1_sel:DWORD
	s_mov_b64 s[4:5], -1
                                        ; implicit-def: $sgpr10
	s_and_saveexec_b64 s[8:9], s[12:13]
; %bb.26150:
	s_mov_b32 s10, 0x7f800001
	s_xor_b64 s[4:5], exec, -1
; %bb.26151:
	s_or_b64 exec, exec, s[8:9]
	s_and_b64 s[4:5], s[4:5], exec
	s_or_saveexec_b64 s[6:7], s[6:7]
	v_mov_b32_e32 v6, s10
	s_xor_b64 exec, exec, s[6:7]
	s_cbranch_execnz .LBB2_26152
; %bb.61989:
	s_getpc_b64 s[14:15]
.Lpost_getpc34578:
	s_add_u32 s14, s14, (.LBB2_11814-.Lpost_getpc34578)&4294967295
	s_addc_u32 s15, s15, (.LBB2_11814-.Lpost_getpc34578)>>32
	s_setpc_b64 s[14:15]
.LBB2_26152:
	v_mov_b32_e32 v6, 0
	v_cmp_ne_u16_sdwa s[8:9], v3, v6 src0_sel:BYTE_0 src1_sel:DWORD
	s_andn2_b64 s[4:5], s[4:5], exec
	s_and_b64 s[8:9], s[8:9], exec
	s_or_b64 s[4:5], s[4:5], s[8:9]
	s_or_b64 exec, exec, s[6:7]
	s_and_saveexec_b64 s[6:7], s[4:5]
	s_cbranch_execz .LBB2_34579
; %bb.61991:
	s_getpc_b64 s[14:15]
.Lpost_getpc34579:
	s_add_u32 s14, s14, (.LBB2_11815-.Lpost_getpc34579)&4294967295
	s_addc_u32 s15, s15, (.LBB2_11815-.Lpost_getpc34579)>>32
	s_setpc_b64 s[14:15]
.LBB2_34579:
	s_getpc_b64 s[14:15]
.Lpost_getpc20873:
	s_add_u32 s14, s14, (.LBB2_11816-.Lpost_getpc20873)&4294967295
	s_addc_u32 s15, s15, (.LBB2_11816-.Lpost_getpc20873)>>32
	s_setpc_b64 s[14:15]
.LBB2_26153:
	s_movk_i32 s4, 0x80
	v_cmp_eq_u16_sdwa s[12:13], v6, s4 src0_sel:BYTE_0 src1_sel:DWORD
	s_mov_b64 s[4:5], -1
                                        ; implicit-def: $sgpr10
	s_and_saveexec_b64 s[8:9], s[12:13]
; %bb.26154:
	s_mov_b32 s10, 0x7f800001
	s_xor_b64 s[4:5], exec, -1
; %bb.26155:
	s_or_b64 exec, exec, s[8:9]
	s_and_b64 s[4:5], s[4:5], exec
	s_or_saveexec_b64 s[6:7], s[6:7]
	v_mov_b32_e32 v2, s10
	s_xor_b64 exec, exec, s[6:7]
	s_cbranch_execnz .LBB2_26156
; %bb.61993:
	s_getpc_b64 s[14:15]
.Lpost_getpc34580:
	s_add_u32 s14, s14, (.LBB2_11818-.Lpost_getpc34580)&4294967295
	s_addc_u32 s15, s15, (.LBB2_11818-.Lpost_getpc34580)>>32
	s_setpc_b64 s[14:15]
.LBB2_26156:
	v_mov_b32_e32 v2, 0
	v_cmp_ne_u16_sdwa s[8:9], v6, v2 src0_sel:BYTE_0 src1_sel:DWORD
	s_andn2_b64 s[4:5], s[4:5], exec
	s_and_b64 s[8:9], s[8:9], exec
	s_or_b64 s[4:5], s[4:5], s[8:9]
	s_or_b64 exec, exec, s[6:7]
	s_and_saveexec_b64 s[6:7], s[4:5]
	s_cbranch_execz .LBB2_34581
; %bb.61995:
	s_getpc_b64 s[14:15]
.Lpost_getpc34581:
	s_add_u32 s14, s14, (.LBB2_11819-.Lpost_getpc34581)&4294967295
	s_addc_u32 s15, s15, (.LBB2_11819-.Lpost_getpc34581)>>32
	s_setpc_b64 s[14:15]
.LBB2_34581:
	s_getpc_b64 s[14:15]
.Lpost_getpc20874:
	s_add_u32 s14, s14, (.LBB2_11820-.Lpost_getpc20874)&4294967295
	s_addc_u32 s15, s15, (.LBB2_11820-.Lpost_getpc20874)>>32
	s_setpc_b64 s[14:15]
.LBB2_26157:
	s_movk_i32 s4, 0x80
	v_cmp_eq_u16_sdwa s[12:13], v6, s4 src0_sel:BYTE_0 src1_sel:DWORD
	s_mov_b64 s[4:5], -1
                                        ; implicit-def: $sgpr10
	s_and_saveexec_b64 s[8:9], s[12:13]
; %bb.26158:
	s_mov_b32 s10, 0x7f800001
	s_xor_b64 s[4:5], exec, -1
; %bb.26159:
	s_or_b64 exec, exec, s[8:9]
	s_and_b64 s[4:5], s[4:5], exec
	s_or_saveexec_b64 s[6:7], s[6:7]
	v_mov_b32_e32 v12, s10
	s_xor_b64 exec, exec, s[6:7]
	s_cbranch_execnz .LBB2_26160
; %bb.61997:
	s_getpc_b64 s[14:15]
.Lpost_getpc34582:
	s_add_u32 s14, s14, (.LBB2_11822-.Lpost_getpc34582)&4294967295
	s_addc_u32 s15, s15, (.LBB2_11822-.Lpost_getpc34582)>>32
	s_setpc_b64 s[14:15]
.LBB2_26160:
	v_mov_b32_e32 v12, 0
	v_cmp_ne_u16_sdwa s[8:9], v6, v12 src0_sel:BYTE_0 src1_sel:DWORD
	s_andn2_b64 s[4:5], s[4:5], exec
	s_and_b64 s[8:9], s[8:9], exec
	s_or_b64 s[4:5], s[4:5], s[8:9]
	s_or_b64 exec, exec, s[6:7]
	s_and_saveexec_b64 s[6:7], s[4:5]
	s_cbranch_execz .LBB2_34583
; %bb.61999:
	s_getpc_b64 s[14:15]
.Lpost_getpc34583:
	s_add_u32 s14, s14, (.LBB2_11823-.Lpost_getpc34583)&4294967295
	s_addc_u32 s15, s15, (.LBB2_11823-.Lpost_getpc34583)>>32
	s_setpc_b64 s[14:15]
.LBB2_34583:
	s_getpc_b64 s[14:15]
.Lpost_getpc20875:
	s_add_u32 s14, s14, (.LBB2_11824-.Lpost_getpc20875)&4294967295
	s_addc_u32 s15, s15, (.LBB2_11824-.Lpost_getpc20875)>>32
	s_setpc_b64 s[14:15]
.LBB2_26161:
	s_movk_i32 s4, 0x80
	v_cmp_eq_u16_e32 vcc, s4, v6
	s_mov_b64 s[4:5], -1
                                        ; implicit-def: $sgpr10
	s_and_saveexec_b64 s[8:9], vcc
; %bb.26162:
	s_mov_b32 s10, 0x7f800001
	s_xor_b64 s[4:5], exec, -1
; %bb.26163:
	s_or_b64 exec, exec, s[8:9]
	s_and_b64 s[4:5], s[4:5], exec
                                        ; implicit-def: $vgpr6
	s_or_saveexec_b64 s[6:7], s[6:7]
	v_mov_b32_e32 v2, s10
	s_xor_b64 exec, exec, s[6:7]
	s_cbranch_execnz .LBB2_26164
; %bb.62001:
	s_getpc_b64 s[14:15]
.Lpost_getpc34584:
	s_add_u32 s14, s14, (.LBB2_11826-.Lpost_getpc34584)&4294967295
	s_addc_u32 s15, s15, (.LBB2_11826-.Lpost_getpc34584)>>32
	s_setpc_b64 s[14:15]
.LBB2_26164:
	v_cmp_ne_u16_e32 vcc, 0, v6
	s_andn2_b64 s[4:5], s[4:5], exec
	s_and_b64 s[8:9], vcc, exec
	v_mov_b32_e32 v2, 0
	s_or_b64 s[4:5], s[4:5], s[8:9]
	s_or_b64 exec, exec, s[6:7]
	s_and_saveexec_b64 s[6:7], s[4:5]
	s_cbranch_execz .LBB2_34585
; %bb.62003:
	s_getpc_b64 s[14:15]
.Lpost_getpc34585:
	s_add_u32 s14, s14, (.LBB2_11827-.Lpost_getpc34585)&4294967295
	s_addc_u32 s15, s15, (.LBB2_11827-.Lpost_getpc34585)>>32
	s_setpc_b64 s[14:15]
.LBB2_34585:
	s_getpc_b64 s[14:15]
.Lpost_getpc20876:
	s_add_u32 s14, s14, (.LBB2_11828-.Lpost_getpc20876)&4294967295
	s_addc_u32 s15, s15, (.LBB2_11828-.Lpost_getpc20876)>>32
	s_setpc_b64 s[14:15]
.LBB2_26165:
	s_movk_i32 s4, 0x80
	v_cmp_eq_u16_e32 vcc, s4, v6
	s_mov_b64 s[4:5], -1
                                        ; implicit-def: $sgpr10
	s_and_saveexec_b64 s[8:9], vcc
; %bb.26166:
	s_mov_b32 s10, 0x7f800001
	s_xor_b64 s[4:5], exec, -1
; %bb.26167:
	s_or_b64 exec, exec, s[8:9]
	s_and_b64 s[4:5], s[4:5], exec
                                        ; implicit-def: $vgpr6
	s_or_saveexec_b64 s[6:7], s[6:7]
	v_mov_b32_e32 v12, s10
	s_xor_b64 exec, exec, s[6:7]
	s_cbranch_execnz .LBB2_26168
; %bb.62005:
	s_getpc_b64 s[14:15]
.Lpost_getpc34586:
	s_add_u32 s14, s14, (.LBB2_11830-.Lpost_getpc34586)&4294967295
	s_addc_u32 s15, s15, (.LBB2_11830-.Lpost_getpc34586)>>32
	s_setpc_b64 s[14:15]
.LBB2_26168:
	v_cmp_ne_u16_e32 vcc, 0, v6
	s_andn2_b64 s[4:5], s[4:5], exec
	s_and_b64 s[8:9], vcc, exec
	v_mov_b32_e32 v12, 0
	s_or_b64 s[4:5], s[4:5], s[8:9]
	s_or_b64 exec, exec, s[6:7]
	s_and_saveexec_b64 s[6:7], s[4:5]
	s_cbranch_execz .LBB2_34587
; %bb.62007:
	s_getpc_b64 s[14:15]
.Lpost_getpc34587:
	s_add_u32 s14, s14, (.LBB2_11831-.Lpost_getpc34587)&4294967295
	s_addc_u32 s15, s15, (.LBB2_11831-.Lpost_getpc34587)>>32
	s_setpc_b64 s[14:15]
.LBB2_34587:
	s_getpc_b64 s[14:15]
.Lpost_getpc20877:
	s_add_u32 s14, s14, (.LBB2_11832-.Lpost_getpc20877)&4294967295
	s_addc_u32 s15, s15, (.LBB2_11832-.Lpost_getpc20877)>>32
	s_setpc_b64 s[14:15]
.LBB2_26169:
	s_movk_i32 s4, 0x80
	v_cmp_eq_u16_sdwa s[12:13], v7, s4 src0_sel:BYTE_3 src1_sel:DWORD
	s_mov_b64 s[4:5], -1
                                        ; implicit-def: $sgpr10
	s_and_saveexec_b64 s[8:9], s[12:13]
; %bb.26170:
	s_mov_b32 s10, 0x7f800001
	s_xor_b64 s[4:5], exec, -1
; %bb.26171:
	s_or_b64 exec, exec, s[8:9]
	s_and_b64 s[4:5], s[4:5], exec
	s_or_saveexec_b64 s[6:7], s[6:7]
	v_mov_b32_e32 v2, s10
	s_xor_b64 exec, exec, s[6:7]
	s_cbranch_execnz .LBB2_26172
; %bb.62009:
	s_getpc_b64 s[14:15]
.Lpost_getpc34588:
	s_add_u32 s14, s14, (.LBB2_11834-.Lpost_getpc34588)&4294967295
	s_addc_u32 s15, s15, (.LBB2_11834-.Lpost_getpc34588)>>32
	s_setpc_b64 s[14:15]
.LBB2_26172:
	v_mov_b32_e32 v2, 0
	v_cmp_ne_u16_sdwa s[8:9], v7, v2 src0_sel:BYTE_3 src1_sel:DWORD
	s_andn2_b64 s[4:5], s[4:5], exec
	s_and_b64 s[8:9], s[8:9], exec
	s_or_b64 s[4:5], s[4:5], s[8:9]
	s_or_b64 exec, exec, s[6:7]
	s_and_saveexec_b64 s[6:7], s[4:5]
	s_cbranch_execz .LBB2_34589
; %bb.62011:
	s_getpc_b64 s[14:15]
.Lpost_getpc34589:
	s_add_u32 s14, s14, (.LBB2_11835-.Lpost_getpc34589)&4294967295
	s_addc_u32 s15, s15, (.LBB2_11835-.Lpost_getpc34589)>>32
	s_setpc_b64 s[14:15]
.LBB2_34589:
	s_getpc_b64 s[14:15]
.Lpost_getpc20878:
	s_add_u32 s14, s14, (.LBB2_11836-.Lpost_getpc20878)&4294967295
	s_addc_u32 s15, s15, (.LBB2_11836-.Lpost_getpc20878)>>32
	s_setpc_b64 s[14:15]
.LBB2_26173:
	s_movk_i32 s4, 0x80
	v_cmp_eq_u16_sdwa s[12:13], v3, s4 src0_sel:BYTE_3 src1_sel:DWORD
	s_mov_b64 s[4:5], -1
                                        ; implicit-def: $sgpr10
	s_and_saveexec_b64 s[8:9], s[12:13]
; %bb.26174:
	s_mov_b32 s10, 0x7f800001
	s_xor_b64 s[4:5], exec, -1
; %bb.26175:
	s_or_b64 exec, exec, s[8:9]
	s_and_b64 s[4:5], s[4:5], exec
	s_or_saveexec_b64 s[6:7], s[6:7]
	v_mov_b32_e32 v6, s10
	s_xor_b64 exec, exec, s[6:7]
	s_cbranch_execnz .LBB2_26176
; %bb.62013:
	s_getpc_b64 s[14:15]
.Lpost_getpc34590:
	s_add_u32 s14, s14, (.LBB2_11838-.Lpost_getpc34590)&4294967295
	s_addc_u32 s15, s15, (.LBB2_11838-.Lpost_getpc34590)>>32
	s_setpc_b64 s[14:15]
.LBB2_26176:
	v_mov_b32_e32 v6, 0
	v_cmp_ne_u16_sdwa s[8:9], v3, v6 src0_sel:BYTE_3 src1_sel:DWORD
	s_andn2_b64 s[4:5], s[4:5], exec
	s_and_b64 s[8:9], s[8:9], exec
	s_or_b64 s[4:5], s[4:5], s[8:9]
	s_or_b64 exec, exec, s[6:7]
	s_and_saveexec_b64 s[6:7], s[4:5]
	s_cbranch_execz .LBB2_34591
; %bb.62015:
	s_getpc_b64 s[14:15]
.Lpost_getpc34591:
	s_add_u32 s14, s14, (.LBB2_11839-.Lpost_getpc34591)&4294967295
	s_addc_u32 s15, s15, (.LBB2_11839-.Lpost_getpc34591)>>32
	s_setpc_b64 s[14:15]
.LBB2_34591:
	s_getpc_b64 s[14:15]
.Lpost_getpc20879:
	s_add_u32 s14, s14, (.LBB2_11840-.Lpost_getpc20879)&4294967295
	s_addc_u32 s15, s15, (.LBB2_11840-.Lpost_getpc20879)>>32
	s_setpc_b64 s[14:15]
.LBB2_26177:
	s_movk_i32 s4, 0x80
	v_cmp_eq_u16_sdwa s[12:13], v8, s4 src0_sel:BYTE_0 src1_sel:DWORD
	s_mov_b64 s[4:5], -1
                                        ; implicit-def: $sgpr10
	s_and_saveexec_b64 s[8:9], s[12:13]
; %bb.26178:
	s_mov_b32 s10, 0x7f800001
	s_xor_b64 s[4:5], exec, -1
; %bb.26179:
	s_or_b64 exec, exec, s[8:9]
	s_and_b64 s[4:5], s[4:5], exec
	s_or_saveexec_b64 s[6:7], s[6:7]
	v_mov_b32_e32 v2, s10
	s_xor_b64 exec, exec, s[6:7]
	s_cbranch_execnz .LBB2_26180
; %bb.62017:
	s_getpc_b64 s[14:15]
.Lpost_getpc34592:
	s_add_u32 s14, s14, (.LBB2_11842-.Lpost_getpc34592)&4294967295
	s_addc_u32 s15, s15, (.LBB2_11842-.Lpost_getpc34592)>>32
	s_setpc_b64 s[14:15]
.LBB2_26180:
	v_mov_b32_e32 v2, 0
	v_cmp_ne_u16_sdwa s[8:9], v8, v2 src0_sel:BYTE_0 src1_sel:DWORD
	s_andn2_b64 s[4:5], s[4:5], exec
	s_and_b64 s[8:9], s[8:9], exec
	s_or_b64 s[4:5], s[4:5], s[8:9]
	s_or_b64 exec, exec, s[6:7]
	s_and_saveexec_b64 s[6:7], s[4:5]
	s_cbranch_execz .LBB2_34593
; %bb.62019:
	s_getpc_b64 s[14:15]
.Lpost_getpc34593:
	s_add_u32 s14, s14, (.LBB2_11843-.Lpost_getpc34593)&4294967295
	s_addc_u32 s15, s15, (.LBB2_11843-.Lpost_getpc34593)>>32
	s_setpc_b64 s[14:15]
.LBB2_34593:
	s_getpc_b64 s[14:15]
.Lpost_getpc20880:
	s_add_u32 s14, s14, (.LBB2_11844-.Lpost_getpc20880)&4294967295
	s_addc_u32 s15, s15, (.LBB2_11844-.Lpost_getpc20880)>>32
	s_setpc_b64 s[14:15]
.LBB2_26181:
	s_movk_i32 s4, 0x80
	v_cmp_eq_u16_sdwa s[12:13], v4, s4 src0_sel:BYTE_0 src1_sel:DWORD
	s_mov_b64 s[4:5], -1
                                        ; implicit-def: $sgpr10
	s_and_saveexec_b64 s[8:9], s[12:13]
; %bb.26182:
	s_mov_b32 s10, 0x7f800001
	s_xor_b64 s[4:5], exec, -1
; %bb.26183:
	s_or_b64 exec, exec, s[8:9]
	s_and_b64 s[4:5], s[4:5], exec
	s_or_saveexec_b64 s[6:7], s[6:7]
	v_mov_b32_e32 v3, s10
	s_xor_b64 exec, exec, s[6:7]
	s_cbranch_execnz .LBB2_26184
; %bb.62021:
	s_getpc_b64 s[14:15]
.Lpost_getpc34594:
	s_add_u32 s14, s14, (.LBB2_11846-.Lpost_getpc34594)&4294967295
	s_addc_u32 s15, s15, (.LBB2_11846-.Lpost_getpc34594)>>32
	s_setpc_b64 s[14:15]
.LBB2_26184:
	v_mov_b32_e32 v3, 0
	v_cmp_ne_u16_sdwa s[8:9], v4, v3 src0_sel:BYTE_0 src1_sel:DWORD
	s_andn2_b64 s[4:5], s[4:5], exec
	s_and_b64 s[8:9], s[8:9], exec
	s_or_b64 s[4:5], s[4:5], s[8:9]
	s_or_b64 exec, exec, s[6:7]
	s_and_saveexec_b64 s[6:7], s[4:5]
	s_cbranch_execz .LBB2_34595
; %bb.62023:
	s_getpc_b64 s[14:15]
.Lpost_getpc34595:
	s_add_u32 s14, s14, (.LBB2_11847-.Lpost_getpc34595)&4294967295
	s_addc_u32 s15, s15, (.LBB2_11847-.Lpost_getpc34595)>>32
	s_setpc_b64 s[14:15]
.LBB2_34595:
	s_getpc_b64 s[14:15]
.Lpost_getpc20881:
	s_add_u32 s14, s14, (.LBB2_11848-.Lpost_getpc20881)&4294967295
	s_addc_u32 s15, s15, (.LBB2_11848-.Lpost_getpc20881)>>32
	s_setpc_b64 s[14:15]
.LBB2_26185:
	s_movk_i32 s4, 0x80
	v_cmp_eq_u16_sdwa s[12:13], v3, s4 src0_sel:BYTE_0 src1_sel:DWORD
	s_mov_b64 s[4:5], -1
                                        ; implicit-def: $sgpr10
	s_and_saveexec_b64 s[8:9], s[12:13]
; %bb.26186:
	s_mov_b32 s10, 0x7f800001
	s_xor_b64 s[4:5], exec, -1
; %bb.26187:
	s_or_b64 exec, exec, s[8:9]
	s_and_b64 s[4:5], s[4:5], exec
	s_or_saveexec_b64 s[6:7], s[6:7]
	v_mov_b32_e32 v2, s10
	s_xor_b64 exec, exec, s[6:7]
	s_cbranch_execnz .LBB2_26188
; %bb.62025:
	s_getpc_b64 s[14:15]
.Lpost_getpc34596:
	s_add_u32 s14, s14, (.LBB2_11850-.Lpost_getpc34596)&4294967295
	s_addc_u32 s15, s15, (.LBB2_11850-.Lpost_getpc34596)>>32
	s_setpc_b64 s[14:15]
.LBB2_26188:
	v_mov_b32_e32 v2, 0
	v_cmp_ne_u16_sdwa s[8:9], v3, v2 src0_sel:BYTE_0 src1_sel:DWORD
	s_andn2_b64 s[4:5], s[4:5], exec
	s_and_b64 s[8:9], s[8:9], exec
	s_or_b64 s[4:5], s[4:5], s[8:9]
	s_or_b64 exec, exec, s[6:7]
	s_and_saveexec_b64 s[6:7], s[4:5]
	s_cbranch_execz .LBB2_34597
; %bb.62027:
	s_getpc_b64 s[14:15]
.Lpost_getpc34597:
	s_add_u32 s14, s14, (.LBB2_11851-.Lpost_getpc34597)&4294967295
	s_addc_u32 s15, s15, (.LBB2_11851-.Lpost_getpc34597)>>32
	s_setpc_b64 s[14:15]
.LBB2_34597:
	s_getpc_b64 s[14:15]
.Lpost_getpc20882:
	s_add_u32 s14, s14, (.LBB2_11852-.Lpost_getpc20882)&4294967295
	s_addc_u32 s15, s15, (.LBB2_11852-.Lpost_getpc20882)>>32
	s_setpc_b64 s[14:15]
.LBB2_26189:
	s_movk_i32 s4, 0x80
	v_cmp_eq_u16_sdwa s[12:13], v3, s4 src0_sel:BYTE_0 src1_sel:DWORD
	s_mov_b64 s[4:5], -1
                                        ; implicit-def: $sgpr10
	s_and_saveexec_b64 s[8:9], s[12:13]
; %bb.26190:
	s_mov_b32 s10, 0x7f800001
	s_xor_b64 s[4:5], exec, -1
; %bb.26191:
	s_or_b64 exec, exec, s[8:9]
	s_and_b64 s[4:5], s[4:5], exec
	s_or_saveexec_b64 s[6:7], s[6:7]
	v_mov_b32_e32 v6, s10
	s_xor_b64 exec, exec, s[6:7]
	s_cbranch_execnz .LBB2_26192
; %bb.62029:
	s_getpc_b64 s[14:15]
.Lpost_getpc34598:
	s_add_u32 s14, s14, (.LBB2_11854-.Lpost_getpc34598)&4294967295
	s_addc_u32 s15, s15, (.LBB2_11854-.Lpost_getpc34598)>>32
	s_setpc_b64 s[14:15]
.LBB2_26192:
	v_mov_b32_e32 v6, 0
	v_cmp_ne_u16_sdwa s[8:9], v3, v6 src0_sel:BYTE_0 src1_sel:DWORD
	s_andn2_b64 s[4:5], s[4:5], exec
	s_and_b64 s[8:9], s[8:9], exec
	s_or_b64 s[4:5], s[4:5], s[8:9]
	s_or_b64 exec, exec, s[6:7]
	s_and_saveexec_b64 s[6:7], s[4:5]
	s_cbranch_execz .LBB2_34599
; %bb.62031:
	s_getpc_b64 s[14:15]
.Lpost_getpc34599:
	s_add_u32 s14, s14, (.LBB2_11855-.Lpost_getpc34599)&4294967295
	s_addc_u32 s15, s15, (.LBB2_11855-.Lpost_getpc34599)>>32
	s_setpc_b64 s[14:15]
.LBB2_34599:
	s_getpc_b64 s[14:15]
.Lpost_getpc20883:
	s_add_u32 s14, s14, (.LBB2_11856-.Lpost_getpc20883)&4294967295
	s_addc_u32 s15, s15, (.LBB2_11856-.Lpost_getpc20883)>>32
	s_setpc_b64 s[14:15]
.LBB2_26193:
	s_movk_i32 s4, 0x80
	v_cmp_eq_u16_e32 vcc, s4, v3
	s_mov_b64 s[4:5], -1
                                        ; implicit-def: $sgpr10
	s_and_saveexec_b64 s[8:9], vcc
; %bb.26194:
	s_mov_b32 s10, 0x7f800001
	s_xor_b64 s[4:5], exec, -1
; %bb.26195:
	s_or_b64 exec, exec, s[8:9]
	s_and_b64 s[4:5], s[4:5], exec
                                        ; implicit-def: $vgpr3
	s_or_saveexec_b64 s[6:7], s[6:7]
	v_mov_b32_e32 v2, s10
	s_xor_b64 exec, exec, s[6:7]
	s_cbranch_execnz .LBB2_26196
; %bb.62033:
	s_getpc_b64 s[14:15]
.Lpost_getpc34600:
	s_add_u32 s14, s14, (.LBB2_11858-.Lpost_getpc34600)&4294967295
	s_addc_u32 s15, s15, (.LBB2_11858-.Lpost_getpc34600)>>32
	s_setpc_b64 s[14:15]
.LBB2_26196:
	v_cmp_ne_u16_e32 vcc, 0, v3
	s_andn2_b64 s[4:5], s[4:5], exec
	s_and_b64 s[8:9], vcc, exec
	v_mov_b32_e32 v2, 0
	s_or_b64 s[4:5], s[4:5], s[8:9]
	s_or_b64 exec, exec, s[6:7]
	s_and_saveexec_b64 s[6:7], s[4:5]
	s_cbranch_execz .LBB2_34601
; %bb.62035:
	s_getpc_b64 s[14:15]
.Lpost_getpc34601:
	s_add_u32 s14, s14, (.LBB2_11859-.Lpost_getpc34601)&4294967295
	s_addc_u32 s15, s15, (.LBB2_11859-.Lpost_getpc34601)>>32
	s_setpc_b64 s[14:15]
.LBB2_34601:
	s_getpc_b64 s[14:15]
.Lpost_getpc20884:
	s_add_u32 s14, s14, (.LBB2_11860-.Lpost_getpc20884)&4294967295
	s_addc_u32 s15, s15, (.LBB2_11860-.Lpost_getpc20884)>>32
	s_setpc_b64 s[14:15]
.LBB2_26197:
	s_movk_i32 s4, 0x80
	v_cmp_eq_u16_e32 vcc, s4, v3
	s_mov_b64 s[4:5], -1
                                        ; implicit-def: $sgpr10
	s_and_saveexec_b64 s[8:9], vcc
; %bb.26198:
	s_mov_b32 s10, 0x7f800001
	s_xor_b64 s[4:5], exec, -1
; %bb.26199:
	s_or_b64 exec, exec, s[8:9]
	s_and_b64 s[4:5], s[4:5], exec
                                        ; implicit-def: $vgpr3
	s_or_saveexec_b64 s[6:7], s[6:7]
	v_mov_b32_e32 v6, s10
	s_xor_b64 exec, exec, s[6:7]
	s_cbranch_execnz .LBB2_26200
; %bb.62037:
	s_getpc_b64 s[14:15]
.Lpost_getpc34602:
	s_add_u32 s14, s14, (.LBB2_11862-.Lpost_getpc34602)&4294967295
	s_addc_u32 s15, s15, (.LBB2_11862-.Lpost_getpc34602)>>32
	s_setpc_b64 s[14:15]
.LBB2_26200:
	v_cmp_ne_u16_e32 vcc, 0, v3
	s_andn2_b64 s[4:5], s[4:5], exec
	s_and_b64 s[8:9], vcc, exec
	v_mov_b32_e32 v6, 0
	s_or_b64 s[4:5], s[4:5], s[8:9]
	s_or_b64 exec, exec, s[6:7]
	s_and_saveexec_b64 s[6:7], s[4:5]
	s_cbranch_execz .LBB2_34603
; %bb.62039:
	s_getpc_b64 s[14:15]
.Lpost_getpc34603:
	s_add_u32 s14, s14, (.LBB2_11863-.Lpost_getpc34603)&4294967295
	s_addc_u32 s15, s15, (.LBB2_11863-.Lpost_getpc34603)>>32
	s_setpc_b64 s[14:15]
.LBB2_34603:
	s_getpc_b64 s[14:15]
.Lpost_getpc20885:
	s_add_u32 s14, s14, (.LBB2_11864-.Lpost_getpc20885)&4294967295
	s_addc_u32 s15, s15, (.LBB2_11864-.Lpost_getpc20885)>>32
	s_setpc_b64 s[14:15]
.LBB2_26201:
	s_movk_i32 s4, 0x80
	v_cmp_eq_u16_sdwa s[12:13], v8, s4 src0_sel:BYTE_3 src1_sel:DWORD
	s_mov_b64 s[4:5], -1
                                        ; implicit-def: $sgpr10
	s_and_saveexec_b64 s[8:9], s[12:13]
; %bb.26202:
	s_mov_b32 s10, 0x7f800001
	s_xor_b64 s[4:5], exec, -1
; %bb.26203:
	s_or_b64 exec, exec, s[8:9]
	s_and_b64 s[4:5], s[4:5], exec
	s_or_saveexec_b64 s[6:7], s[6:7]
	v_mov_b32_e32 v2, s10
	s_xor_b64 exec, exec, s[6:7]
	s_cbranch_execnz .LBB2_26204
; %bb.62041:
	s_getpc_b64 s[14:15]
.Lpost_getpc34604:
	s_add_u32 s14, s14, (.LBB2_11866-.Lpost_getpc34604)&4294967295
	s_addc_u32 s15, s15, (.LBB2_11866-.Lpost_getpc34604)>>32
	s_setpc_b64 s[14:15]
.LBB2_26204:
	v_mov_b32_e32 v2, 0
	v_cmp_ne_u16_sdwa s[8:9], v8, v2 src0_sel:BYTE_3 src1_sel:DWORD
	s_andn2_b64 s[4:5], s[4:5], exec
	s_and_b64 s[8:9], s[8:9], exec
	s_or_b64 s[4:5], s[4:5], s[8:9]
	s_or_b64 exec, exec, s[6:7]
	s_and_saveexec_b64 s[6:7], s[4:5]
	s_cbranch_execz .LBB2_34605
; %bb.62043:
	s_getpc_b64 s[14:15]
.Lpost_getpc34605:
	s_add_u32 s14, s14, (.LBB2_11867-.Lpost_getpc34605)&4294967295
	s_addc_u32 s15, s15, (.LBB2_11867-.Lpost_getpc34605)>>32
	s_setpc_b64 s[14:15]
.LBB2_34605:
	s_getpc_b64 s[14:15]
.Lpost_getpc20886:
	s_add_u32 s14, s14, (.LBB2_11868-.Lpost_getpc20886)&4294967295
	s_addc_u32 s15, s15, (.LBB2_11868-.Lpost_getpc20886)>>32
	s_setpc_b64 s[14:15]
.LBB2_26205:
	s_movk_i32 s4, 0x80
	v_cmp_eq_u16_sdwa s[12:13], v4, s4 src0_sel:BYTE_3 src1_sel:DWORD
	s_mov_b64 s[4:5], -1
                                        ; implicit-def: $sgpr10
	s_and_saveexec_b64 s[8:9], s[12:13]
; %bb.26206:
	s_mov_b32 s10, 0x7f800001
	s_xor_b64 s[4:5], exec, -1
; %bb.26207:
	s_or_b64 exec, exec, s[8:9]
	s_and_b64 s[4:5], s[4:5], exec
	s_or_saveexec_b64 s[6:7], s[6:7]
	v_mov_b32_e32 v3, s10
	s_xor_b64 exec, exec, s[6:7]
	s_cbranch_execnz .LBB2_26208
; %bb.62045:
	s_getpc_b64 s[14:15]
.Lpost_getpc34606:
	s_add_u32 s14, s14, (.LBB2_11870-.Lpost_getpc34606)&4294967295
	s_addc_u32 s15, s15, (.LBB2_11870-.Lpost_getpc34606)>>32
	s_setpc_b64 s[14:15]
.LBB2_26208:
	v_mov_b32_e32 v3, 0
	v_cmp_ne_u16_sdwa s[8:9], v4, v3 src0_sel:BYTE_3 src1_sel:DWORD
	s_andn2_b64 s[4:5], s[4:5], exec
	s_and_b64 s[8:9], s[8:9], exec
	s_or_b64 s[4:5], s[4:5], s[8:9]
	s_or_b64 exec, exec, s[6:7]
	s_and_saveexec_b64 s[6:7], s[4:5]
	s_cbranch_execz .LBB2_34607
; %bb.62047:
	s_getpc_b64 s[14:15]
.Lpost_getpc34607:
	s_add_u32 s14, s14, (.LBB2_11871-.Lpost_getpc34607)&4294967295
	s_addc_u32 s15, s15, (.LBB2_11871-.Lpost_getpc34607)>>32
	s_setpc_b64 s[14:15]
.LBB2_34607:
	s_getpc_b64 s[14:15]
.Lpost_getpc20887:
	s_add_u32 s14, s14, (.LBB2_11872-.Lpost_getpc20887)&4294967295
	s_addc_u32 s15, s15, (.LBB2_11872-.Lpost_getpc20887)>>32
	s_setpc_b64 s[14:15]
.LBB2_26209:
	s_movk_i32 s4, 0x80
	v_cmp_eq_u16_sdwa s[12:13], v9, s4 src0_sel:BYTE_0 src1_sel:DWORD
	s_mov_b64 s[4:5], -1
                                        ; implicit-def: $sgpr10
	s_and_saveexec_b64 s[8:9], s[12:13]
; %bb.26210:
	s_mov_b32 s10, 0x7f800001
	s_xor_b64 s[4:5], exec, -1
; %bb.26211:
	s_or_b64 exec, exec, s[8:9]
	s_and_b64 s[4:5], s[4:5], exec
	s_or_saveexec_b64 s[6:7], s[6:7]
	v_mov_b32_e32 v2, s10
	s_xor_b64 exec, exec, s[6:7]
	s_cbranch_execnz .LBB2_26212
; %bb.62049:
	s_getpc_b64 s[14:15]
.Lpost_getpc34608:
	s_add_u32 s14, s14, (.LBB2_11874-.Lpost_getpc34608)&4294967295
	s_addc_u32 s15, s15, (.LBB2_11874-.Lpost_getpc34608)>>32
	s_setpc_b64 s[14:15]
.LBB2_26212:
	v_mov_b32_e32 v2, 0
	v_cmp_ne_u16_sdwa s[8:9], v9, v2 src0_sel:BYTE_0 src1_sel:DWORD
	s_andn2_b64 s[4:5], s[4:5], exec
	s_and_b64 s[8:9], s[8:9], exec
	s_or_b64 s[4:5], s[4:5], s[8:9]
	s_or_b64 exec, exec, s[6:7]
	s_and_saveexec_b64 s[6:7], s[4:5]
	s_cbranch_execz .LBB2_34609
; %bb.62051:
	s_getpc_b64 s[14:15]
.Lpost_getpc34609:
	s_add_u32 s14, s14, (.LBB2_11875-.Lpost_getpc34609)&4294967295
	s_addc_u32 s15, s15, (.LBB2_11875-.Lpost_getpc34609)>>32
	s_setpc_b64 s[14:15]
.LBB2_34609:
	s_getpc_b64 s[14:15]
.Lpost_getpc20888:
	s_add_u32 s14, s14, (.LBB2_11876-.Lpost_getpc20888)&4294967295
	s_addc_u32 s15, s15, (.LBB2_11876-.Lpost_getpc20888)>>32
	s_setpc_b64 s[14:15]
.LBB2_26213:
	s_movk_i32 s4, 0x80
	v_cmp_eq_u16_sdwa s[12:13], v5, s4 src0_sel:BYTE_0 src1_sel:DWORD
	s_mov_b64 s[4:5], -1
                                        ; implicit-def: $sgpr10
	s_and_saveexec_b64 s[8:9], s[12:13]
; %bb.26214:
	s_mov_b32 s10, 0x7f800001
	s_xor_b64 s[4:5], exec, -1
; %bb.26215:
	s_or_b64 exec, exec, s[8:9]
	s_and_b64 s[4:5], s[4:5], exec
	s_or_saveexec_b64 s[6:7], s[6:7]
	v_mov_b32_e32 v3, s10
	s_xor_b64 exec, exec, s[6:7]
	s_cbranch_execnz .LBB2_26216
; %bb.62053:
	s_getpc_b64 s[14:15]
.Lpost_getpc34610:
	s_add_u32 s14, s14, (.LBB2_11878-.Lpost_getpc34610)&4294967295
	s_addc_u32 s15, s15, (.LBB2_11878-.Lpost_getpc34610)>>32
	s_setpc_b64 s[14:15]
.LBB2_26216:
	v_mov_b32_e32 v3, 0
	v_cmp_ne_u16_sdwa s[8:9], v5, v3 src0_sel:BYTE_0 src1_sel:DWORD
	s_andn2_b64 s[4:5], s[4:5], exec
	s_and_b64 s[8:9], s[8:9], exec
	s_or_b64 s[4:5], s[4:5], s[8:9]
	s_or_b64 exec, exec, s[6:7]
	s_and_saveexec_b64 s[6:7], s[4:5]
	s_cbranch_execz .LBB2_34611
; %bb.62055:
	s_getpc_b64 s[14:15]
.Lpost_getpc34611:
	s_add_u32 s14, s14, (.LBB2_11879-.Lpost_getpc34611)&4294967295
	s_addc_u32 s15, s15, (.LBB2_11879-.Lpost_getpc34611)>>32
	s_setpc_b64 s[14:15]
.LBB2_34611:
	s_getpc_b64 s[14:15]
.Lpost_getpc20889:
	s_add_u32 s14, s14, (.LBB2_11880-.Lpost_getpc20889)&4294967295
	s_addc_u32 s15, s15, (.LBB2_11880-.Lpost_getpc20889)>>32
	s_setpc_b64 s[14:15]
.LBB2_26217:
	s_movk_i32 s4, 0x80
	v_cmp_eq_u16_sdwa s[12:13], v3, s4 src0_sel:BYTE_0 src1_sel:DWORD
	s_mov_b64 s[4:5], -1
                                        ; implicit-def: $sgpr10
	s_and_saveexec_b64 s[8:9], s[12:13]
; %bb.26218:
	s_mov_b32 s10, 0x7f800001
	s_xor_b64 s[4:5], exec, -1
; %bb.26219:
	s_or_b64 exec, exec, s[8:9]
	s_and_b64 s[4:5], s[4:5], exec
	s_or_saveexec_b64 s[6:7], s[6:7]
	v_mov_b32_e32 v2, s10
	s_xor_b64 exec, exec, s[6:7]
	s_cbranch_execnz .LBB2_26220
; %bb.62057:
	s_getpc_b64 s[14:15]
.Lpost_getpc34612:
	s_add_u32 s14, s14, (.LBB2_11882-.Lpost_getpc34612)&4294967295
	s_addc_u32 s15, s15, (.LBB2_11882-.Lpost_getpc34612)>>32
	s_setpc_b64 s[14:15]
.LBB2_26220:
	v_mov_b32_e32 v2, 0
	v_cmp_ne_u16_sdwa s[8:9], v3, v2 src0_sel:BYTE_0 src1_sel:DWORD
	s_andn2_b64 s[4:5], s[4:5], exec
	s_and_b64 s[8:9], s[8:9], exec
	s_or_b64 s[4:5], s[4:5], s[8:9]
	s_or_b64 exec, exec, s[6:7]
	s_and_saveexec_b64 s[6:7], s[4:5]
	s_cbranch_execz .LBB2_34613
; %bb.62059:
	s_getpc_b64 s[14:15]
.Lpost_getpc34613:
	s_add_u32 s14, s14, (.LBB2_11883-.Lpost_getpc34613)&4294967295
	s_addc_u32 s15, s15, (.LBB2_11883-.Lpost_getpc34613)>>32
	s_setpc_b64 s[14:15]
.LBB2_34613:
	s_getpc_b64 s[14:15]
.Lpost_getpc20890:
	s_add_u32 s14, s14, (.LBB2_11884-.Lpost_getpc20890)&4294967295
	s_addc_u32 s15, s15, (.LBB2_11884-.Lpost_getpc20890)>>32
	s_setpc_b64 s[14:15]
.LBB2_26221:
	s_movk_i32 s4, 0x80
	v_cmp_eq_u16_sdwa s[12:13], v3, s4 src0_sel:BYTE_0 src1_sel:DWORD
	s_mov_b64 s[4:5], -1
                                        ; implicit-def: $sgpr10
	s_and_saveexec_b64 s[8:9], s[12:13]
; %bb.26222:
	s_mov_b32 s10, 0x7f800001
	s_xor_b64 s[4:5], exec, -1
; %bb.26223:
	s_or_b64 exec, exec, s[8:9]
	s_and_b64 s[4:5], s[4:5], exec
	s_or_saveexec_b64 s[6:7], s[6:7]
	v_mov_b32_e32 v4, s10
	s_xor_b64 exec, exec, s[6:7]
	s_cbranch_execnz .LBB2_26224
; %bb.62061:
	s_getpc_b64 s[14:15]
.Lpost_getpc34614:
	s_add_u32 s14, s14, (.LBB2_11886-.Lpost_getpc34614)&4294967295
	s_addc_u32 s15, s15, (.LBB2_11886-.Lpost_getpc34614)>>32
	s_setpc_b64 s[14:15]
.LBB2_26224:
	v_mov_b32_e32 v4, 0
	v_cmp_ne_u16_sdwa s[8:9], v3, v4 src0_sel:BYTE_0 src1_sel:DWORD
	s_andn2_b64 s[4:5], s[4:5], exec
	s_and_b64 s[8:9], s[8:9], exec
	s_or_b64 s[4:5], s[4:5], s[8:9]
	s_or_b64 exec, exec, s[6:7]
	s_and_saveexec_b64 s[6:7], s[4:5]
	s_cbranch_execz .LBB2_34615
; %bb.62063:
	s_getpc_b64 s[14:15]
.Lpost_getpc34615:
	s_add_u32 s14, s14, (.LBB2_11887-.Lpost_getpc34615)&4294967295
	s_addc_u32 s15, s15, (.LBB2_11887-.Lpost_getpc34615)>>32
	s_setpc_b64 s[14:15]
.LBB2_34615:
	s_getpc_b64 s[14:15]
.Lpost_getpc20891:
	s_add_u32 s14, s14, (.LBB2_11888-.Lpost_getpc20891)&4294967295
	s_addc_u32 s15, s15, (.LBB2_11888-.Lpost_getpc20891)>>32
	s_setpc_b64 s[14:15]
.LBB2_26225:
	s_movk_i32 s4, 0x80
	v_cmp_eq_u16_e32 vcc, s4, v3
	s_mov_b64 s[4:5], -1
                                        ; implicit-def: $sgpr10
	s_and_saveexec_b64 s[8:9], vcc
; %bb.26226:
	s_mov_b32 s10, 0x7f800001
	s_xor_b64 s[4:5], exec, -1
; %bb.26227:
	s_or_b64 exec, exec, s[8:9]
	s_and_b64 s[4:5], s[4:5], exec
                                        ; implicit-def: $vgpr3
	s_or_saveexec_b64 s[6:7], s[6:7]
	v_mov_b32_e32 v2, s10
	s_xor_b64 exec, exec, s[6:7]
	s_cbranch_execnz .LBB2_26228
; %bb.62065:
	s_getpc_b64 s[14:15]
.Lpost_getpc34616:
	s_add_u32 s14, s14, (.LBB2_11890-.Lpost_getpc34616)&4294967295
	s_addc_u32 s15, s15, (.LBB2_11890-.Lpost_getpc34616)>>32
	s_setpc_b64 s[14:15]
.LBB2_26228:
	v_cmp_ne_u16_e32 vcc, 0, v3
	s_andn2_b64 s[4:5], s[4:5], exec
	s_and_b64 s[8:9], vcc, exec
	v_mov_b32_e32 v2, 0
	s_or_b64 s[4:5], s[4:5], s[8:9]
	s_or_b64 exec, exec, s[6:7]
	s_and_saveexec_b64 s[6:7], s[4:5]
	s_cbranch_execz .LBB2_34617
; %bb.62067:
	s_getpc_b64 s[14:15]
.Lpost_getpc34617:
	s_add_u32 s14, s14, (.LBB2_11891-.Lpost_getpc34617)&4294967295
	s_addc_u32 s15, s15, (.LBB2_11891-.Lpost_getpc34617)>>32
	s_setpc_b64 s[14:15]
.LBB2_34617:
	s_getpc_b64 s[14:15]
.Lpost_getpc20892:
	s_add_u32 s14, s14, (.LBB2_11892-.Lpost_getpc20892)&4294967295
	s_addc_u32 s15, s15, (.LBB2_11892-.Lpost_getpc20892)>>32
	s_setpc_b64 s[14:15]
.LBB2_26229:
	s_movk_i32 s4, 0x80
	v_cmp_eq_u16_e32 vcc, s4, v3
	s_mov_b64 s[4:5], -1
                                        ; implicit-def: $sgpr10
	s_and_saveexec_b64 s[8:9], vcc
; %bb.26230:
	s_mov_b32 s10, 0x7f800001
	s_xor_b64 s[4:5], exec, -1
; %bb.26231:
	s_or_b64 exec, exec, s[8:9]
	s_and_b64 s[4:5], s[4:5], exec
                                        ; implicit-def: $vgpr3
	s_or_saveexec_b64 s[6:7], s[6:7]
	v_mov_b32_e32 v4, s10
	s_xor_b64 exec, exec, s[6:7]
	s_cbranch_execnz .LBB2_26232
; %bb.62069:
	s_getpc_b64 s[14:15]
.Lpost_getpc34618:
	s_add_u32 s14, s14, (.LBB2_11894-.Lpost_getpc34618)&4294967295
	s_addc_u32 s15, s15, (.LBB2_11894-.Lpost_getpc34618)>>32
	s_setpc_b64 s[14:15]
.LBB2_26232:
	v_cmp_ne_u16_e32 vcc, 0, v3
	s_andn2_b64 s[4:5], s[4:5], exec
	s_and_b64 s[8:9], vcc, exec
	v_mov_b32_e32 v4, 0
	s_or_b64 s[4:5], s[4:5], s[8:9]
	s_or_b64 exec, exec, s[6:7]
	s_and_saveexec_b64 s[6:7], s[4:5]
	s_cbranch_execz .LBB2_34619
; %bb.62071:
	s_getpc_b64 s[14:15]
.Lpost_getpc34619:
	s_add_u32 s14, s14, (.LBB2_11895-.Lpost_getpc34619)&4294967295
	s_addc_u32 s15, s15, (.LBB2_11895-.Lpost_getpc34619)>>32
	s_setpc_b64 s[14:15]
.LBB2_34619:
	s_getpc_b64 s[14:15]
.Lpost_getpc20893:
	s_add_u32 s14, s14, (.LBB2_11896-.Lpost_getpc20893)&4294967295
	s_addc_u32 s15, s15, (.LBB2_11896-.Lpost_getpc20893)>>32
	s_setpc_b64 s[14:15]
.LBB2_26233:
	s_movk_i32 s4, 0x80
	v_cmp_eq_u16_sdwa s[12:13], v9, s4 src0_sel:BYTE_3 src1_sel:DWORD
	s_mov_b64 s[4:5], -1
                                        ; implicit-def: $sgpr10
	s_and_saveexec_b64 s[8:9], s[12:13]
; %bb.26234:
	s_mov_b32 s10, 0x7f800001
	s_xor_b64 s[4:5], exec, -1
; %bb.26235:
	s_or_b64 exec, exec, s[8:9]
	s_and_b64 s[4:5], s[4:5], exec
	s_or_saveexec_b64 s[6:7], s[6:7]
	v_mov_b32_e32 v2, s10
	s_xor_b64 exec, exec, s[6:7]
	s_cbranch_execnz .LBB2_26236
; %bb.62073:
	s_getpc_b64 s[14:15]
.Lpost_getpc34620:
	s_add_u32 s14, s14, (.LBB2_11898-.Lpost_getpc34620)&4294967295
	s_addc_u32 s15, s15, (.LBB2_11898-.Lpost_getpc34620)>>32
	s_setpc_b64 s[14:15]
.LBB2_26236:
	v_mov_b32_e32 v2, 0
	v_cmp_ne_u16_sdwa s[8:9], v9, v2 src0_sel:BYTE_3 src1_sel:DWORD
	s_andn2_b64 s[4:5], s[4:5], exec
	s_and_b64 s[8:9], s[8:9], exec
	s_or_b64 s[4:5], s[4:5], s[8:9]
	s_or_b64 exec, exec, s[6:7]
	s_and_saveexec_b64 s[6:7], s[4:5]
	s_cbranch_execz .LBB2_34621
; %bb.62075:
	s_getpc_b64 s[14:15]
.Lpost_getpc34621:
	s_add_u32 s14, s14, (.LBB2_11899-.Lpost_getpc34621)&4294967295
	s_addc_u32 s15, s15, (.LBB2_11899-.Lpost_getpc34621)>>32
	s_setpc_b64 s[14:15]
.LBB2_34621:
	s_getpc_b64 s[14:15]
.Lpost_getpc20894:
	s_add_u32 s14, s14, (.LBB2_11900-.Lpost_getpc20894)&4294967295
	s_addc_u32 s15, s15, (.LBB2_11900-.Lpost_getpc20894)>>32
	s_setpc_b64 s[14:15]
.LBB2_26237:
	s_movk_i32 s4, 0x80
	v_cmp_eq_u16_sdwa s[12:13], v5, s4 src0_sel:BYTE_3 src1_sel:DWORD
	s_mov_b64 s[4:5], -1
                                        ; implicit-def: $sgpr10
	s_and_saveexec_b64 s[8:9], s[12:13]
; %bb.26238:
	s_mov_b32 s10, 0x7f800001
	s_xor_b64 s[4:5], exec, -1
; %bb.26239:
	s_or_b64 exec, exec, s[8:9]
	s_and_b64 s[4:5], s[4:5], exec
	s_or_saveexec_b64 s[6:7], s[6:7]
	v_mov_b32_e32 v3, s10
	s_xor_b64 exec, exec, s[6:7]
	s_cbranch_execnz .LBB2_26240
; %bb.62077:
	s_getpc_b64 s[14:15]
.Lpost_getpc34622:
	s_add_u32 s14, s14, (.LBB2_11902-.Lpost_getpc34622)&4294967295
	s_addc_u32 s15, s15, (.LBB2_11902-.Lpost_getpc34622)>>32
	s_setpc_b64 s[14:15]
.LBB2_26240:
	v_mov_b32_e32 v3, 0
	v_cmp_ne_u16_sdwa s[8:9], v5, v3 src0_sel:BYTE_3 src1_sel:DWORD
	s_andn2_b64 s[4:5], s[4:5], exec
	s_and_b64 s[8:9], s[8:9], exec
	s_or_b64 s[4:5], s[4:5], s[8:9]
	s_or_b64 exec, exec, s[6:7]
	s_and_saveexec_b64 s[6:7], s[4:5]
	s_cbranch_execz .LBB2_34623
; %bb.62079:
	s_getpc_b64 s[14:15]
.Lpost_getpc34623:
	s_add_u32 s14, s14, (.LBB2_11903-.Lpost_getpc34623)&4294967295
	s_addc_u32 s15, s15, (.LBB2_11903-.Lpost_getpc34623)>>32
	s_setpc_b64 s[14:15]
.LBB2_34623:
	s_getpc_b64 s[14:15]
.Lpost_getpc20895:
	s_add_u32 s14, s14, (.LBB2_11904-.Lpost_getpc20895)&4294967295
	s_addc_u32 s15, s15, (.LBB2_11904-.Lpost_getpc20895)>>32
	s_setpc_b64 s[14:15]
.LBB2_26241:
	s_movk_i32 s4, 0x80
	v_cmp_eq_u16_sdwa s[12:13], v6, s4 src0_sel:BYTE_0 src1_sel:DWORD
	s_mov_b64 s[4:5], -1
                                        ; implicit-def: $sgpr10
	s_and_saveexec_b64 s[8:9], s[12:13]
; %bb.26242:
	s_mov_b32 s10, 0x7f800001
	s_xor_b64 s[4:5], exec, -1
; %bb.26243:
	s_or_b64 exec, exec, s[8:9]
	s_and_b64 s[4:5], s[4:5], exec
	s_or_saveexec_b64 s[6:7], s[6:7]
	v_mov_b32_e32 v12, s10
	s_xor_b64 exec, exec, s[6:7]
	s_cbranch_execnz .LBB2_26244
; %bb.62081:
	s_getpc_b64 s[14:15]
.Lpost_getpc34624:
	s_add_u32 s14, s14, (.LBB2_11906-.Lpost_getpc34624)&4294967295
	s_addc_u32 s15, s15, (.LBB2_11906-.Lpost_getpc34624)>>32
	s_setpc_b64 s[14:15]
.LBB2_26244:
	v_mov_b32_e32 v12, 0
	v_cmp_ne_u16_sdwa s[8:9], v6, v12 src0_sel:BYTE_0 src1_sel:DWORD
	s_andn2_b64 s[4:5], s[4:5], exec
	s_and_b64 s[8:9], s[8:9], exec
	s_or_b64 s[4:5], s[4:5], s[8:9]
	s_or_b64 exec, exec, s[6:7]
	s_and_saveexec_b64 s[6:7], s[4:5]
	s_cbranch_execz .LBB2_34625
; %bb.62083:
	s_getpc_b64 s[14:15]
.Lpost_getpc34625:
	s_add_u32 s14, s14, (.LBB2_11907-.Lpost_getpc34625)&4294967295
	s_addc_u32 s15, s15, (.LBB2_11907-.Lpost_getpc34625)>>32
	s_setpc_b64 s[14:15]
.LBB2_34625:
	s_getpc_b64 s[14:15]
.Lpost_getpc20896:
	s_add_u32 s14, s14, (.LBB2_11908-.Lpost_getpc20896)&4294967295
	s_addc_u32 s15, s15, (.LBB2_11908-.Lpost_getpc20896)>>32
	s_setpc_b64 s[14:15]
.LBB2_26245:
	s_movk_i32 s4, 0x80
	v_cmp_eq_u16_sdwa s[12:13], v2, s4 src0_sel:BYTE_0 src1_sel:DWORD
	s_mov_b64 s[4:5], -1
                                        ; implicit-def: $sgpr10
	s_and_saveexec_b64 s[8:9], s[12:13]
; %bb.26246:
	s_mov_b32 s10, 0x7f800001
	s_xor_b64 s[4:5], exec, -1
; %bb.26247:
	s_or_b64 exec, exec, s[8:9]
	s_and_b64 s[4:5], s[4:5], exec
	s_or_saveexec_b64 s[6:7], s[6:7]
	v_mov_b32_e32 v13, s10
	s_xor_b64 exec, exec, s[6:7]
	s_cbranch_execnz .LBB2_26248
; %bb.62085:
	s_getpc_b64 s[14:15]
.Lpost_getpc34626:
	s_add_u32 s14, s14, (.LBB2_11910-.Lpost_getpc34626)&4294967295
	s_addc_u32 s15, s15, (.LBB2_11910-.Lpost_getpc34626)>>32
	s_setpc_b64 s[14:15]
.LBB2_26248:
	v_mov_b32_e32 v13, 0
	v_cmp_ne_u16_sdwa s[8:9], v2, v13 src0_sel:BYTE_0 src1_sel:DWORD
	s_andn2_b64 s[4:5], s[4:5], exec
	s_and_b64 s[8:9], s[8:9], exec
	s_or_b64 s[4:5], s[4:5], s[8:9]
	s_or_b64 exec, exec, s[6:7]
	s_and_saveexec_b64 s[6:7], s[4:5]
	s_cbranch_execz .LBB2_34627
; %bb.62087:
	s_getpc_b64 s[14:15]
.Lpost_getpc34627:
	s_add_u32 s14, s14, (.LBB2_11911-.Lpost_getpc34627)&4294967295
	s_addc_u32 s15, s15, (.LBB2_11911-.Lpost_getpc34627)>>32
	s_setpc_b64 s[14:15]
.LBB2_34627:
	s_getpc_b64 s[14:15]
.Lpost_getpc20897:
	s_add_u32 s14, s14, (.LBB2_11912-.Lpost_getpc20897)&4294967295
	s_addc_u32 s15, s15, (.LBB2_11912-.Lpost_getpc20897)>>32
	s_setpc_b64 s[14:15]
.LBB2_26249:
	s_movk_i32 s4, 0x80
	v_cmp_eq_u16_sdwa s[12:13], v13, s4 src0_sel:BYTE_0 src1_sel:DWORD
	s_mov_b64 s[4:5], -1
                                        ; implicit-def: $sgpr10
	s_and_saveexec_b64 s[8:9], s[12:13]
; %bb.26250:
	s_mov_b32 s10, 0x7f800001
	s_xor_b64 s[4:5], exec, -1
; %bb.26251:
	s_or_b64 exec, exec, s[8:9]
	s_and_b64 s[4:5], s[4:5], exec
	s_or_saveexec_b64 s[6:7], s[6:7]
	v_mov_b32_e32 v12, s10
	s_xor_b64 exec, exec, s[6:7]
	s_cbranch_execnz .LBB2_26252
; %bb.62089:
	s_getpc_b64 s[14:15]
.Lpost_getpc34628:
	s_add_u32 s14, s14, (.LBB2_11914-.Lpost_getpc34628)&4294967295
	s_addc_u32 s15, s15, (.LBB2_11914-.Lpost_getpc34628)>>32
	s_setpc_b64 s[14:15]
.LBB2_26252:
	v_mov_b32_e32 v12, 0
	v_cmp_ne_u16_sdwa s[8:9], v13, v12 src0_sel:BYTE_0 src1_sel:DWORD
	s_andn2_b64 s[4:5], s[4:5], exec
	s_and_b64 s[8:9], s[8:9], exec
	s_or_b64 s[4:5], s[4:5], s[8:9]
	s_or_b64 exec, exec, s[6:7]
	s_and_saveexec_b64 s[6:7], s[4:5]
	s_cbranch_execz .LBB2_34629
; %bb.62091:
	s_getpc_b64 s[14:15]
.Lpost_getpc34629:
	s_add_u32 s14, s14, (.LBB2_11915-.Lpost_getpc34629)&4294967295
	s_addc_u32 s15, s15, (.LBB2_11915-.Lpost_getpc34629)>>32
	s_setpc_b64 s[14:15]
.LBB2_34629:
	s_getpc_b64 s[14:15]
.Lpost_getpc20898:
	s_add_u32 s14, s14, (.LBB2_11916-.Lpost_getpc20898)&4294967295
	s_addc_u32 s15, s15, (.LBB2_11916-.Lpost_getpc20898)>>32
	s_setpc_b64 s[14:15]
.LBB2_26253:
	s_movk_i32 s4, 0x80
	v_cmp_eq_u16_sdwa s[12:13], v13, s4 src0_sel:BYTE_0 src1_sel:DWORD
	s_mov_b64 s[4:5], -1
                                        ; implicit-def: $sgpr10
	s_and_saveexec_b64 s[8:9], s[12:13]
; %bb.26254:
	s_mov_b32 s10, 0x7f800001
	s_xor_b64 s[4:5], exec, -1
; %bb.26255:
	s_or_b64 exec, exec, s[8:9]
	s_and_b64 s[4:5], s[4:5], exec
	s_or_saveexec_b64 s[6:7], s[6:7]
	v_mov_b32_e32 v14, s10
	s_xor_b64 exec, exec, s[6:7]
	s_cbranch_execnz .LBB2_26256
; %bb.62093:
	s_getpc_b64 s[14:15]
.Lpost_getpc34630:
	s_add_u32 s14, s14, (.LBB2_11918-.Lpost_getpc34630)&4294967295
	s_addc_u32 s15, s15, (.LBB2_11918-.Lpost_getpc34630)>>32
	s_setpc_b64 s[14:15]
.LBB2_26256:
	v_mov_b32_e32 v14, 0
	v_cmp_ne_u16_sdwa s[8:9], v13, v14 src0_sel:BYTE_0 src1_sel:DWORD
	s_andn2_b64 s[4:5], s[4:5], exec
	s_and_b64 s[8:9], s[8:9], exec
	s_or_b64 s[4:5], s[4:5], s[8:9]
	s_or_b64 exec, exec, s[6:7]
	s_and_saveexec_b64 s[6:7], s[4:5]
	s_cbranch_execz .LBB2_34631
; %bb.62095:
	s_getpc_b64 s[14:15]
.Lpost_getpc34631:
	s_add_u32 s14, s14, (.LBB2_11919-.Lpost_getpc34631)&4294967295
	s_addc_u32 s15, s15, (.LBB2_11919-.Lpost_getpc34631)>>32
	s_setpc_b64 s[14:15]
.LBB2_34631:
	s_getpc_b64 s[14:15]
.Lpost_getpc20899:
	s_add_u32 s14, s14, (.LBB2_11920-.Lpost_getpc20899)&4294967295
	s_addc_u32 s15, s15, (.LBB2_11920-.Lpost_getpc20899)>>32
	s_setpc_b64 s[14:15]
.LBB2_26257:
	s_movk_i32 s4, 0x80
	v_cmp_eq_u16_e32 vcc, s4, v13
	s_mov_b64 s[4:5], -1
                                        ; implicit-def: $sgpr10
	s_and_saveexec_b64 s[8:9], vcc
; %bb.26258:
	s_mov_b32 s10, 0x7f800001
	s_xor_b64 s[4:5], exec, -1
; %bb.26259:
	s_or_b64 exec, exec, s[8:9]
	s_and_b64 s[4:5], s[4:5], exec
                                        ; implicit-def: $vgpr13
	s_or_saveexec_b64 s[6:7], s[6:7]
	v_mov_b32_e32 v12, s10
	s_xor_b64 exec, exec, s[6:7]
	s_cbranch_execnz .LBB2_26260
; %bb.62097:
	s_getpc_b64 s[14:15]
.Lpost_getpc34632:
	s_add_u32 s14, s14, (.LBB2_11922-.Lpost_getpc34632)&4294967295
	s_addc_u32 s15, s15, (.LBB2_11922-.Lpost_getpc34632)>>32
	s_setpc_b64 s[14:15]
.LBB2_26260:
	v_cmp_ne_u16_e32 vcc, 0, v13
	s_andn2_b64 s[4:5], s[4:5], exec
	s_and_b64 s[8:9], vcc, exec
	v_mov_b32_e32 v12, 0
	s_or_b64 s[4:5], s[4:5], s[8:9]
	s_or_b64 exec, exec, s[6:7]
	s_and_saveexec_b64 s[6:7], s[4:5]
	s_cbranch_execz .LBB2_34633
; %bb.62099:
	s_getpc_b64 s[14:15]
.Lpost_getpc34633:
	s_add_u32 s14, s14, (.LBB2_11923-.Lpost_getpc34633)&4294967295
	s_addc_u32 s15, s15, (.LBB2_11923-.Lpost_getpc34633)>>32
	s_setpc_b64 s[14:15]
.LBB2_34633:
	s_getpc_b64 s[14:15]
.Lpost_getpc20900:
	s_add_u32 s14, s14, (.LBB2_11924-.Lpost_getpc20900)&4294967295
	s_addc_u32 s15, s15, (.LBB2_11924-.Lpost_getpc20900)>>32
	s_setpc_b64 s[14:15]
.LBB2_26261:
	s_movk_i32 s4, 0x80
	v_cmp_eq_u16_e32 vcc, s4, v13
	s_mov_b64 s[4:5], -1
                                        ; implicit-def: $sgpr10
	s_and_saveexec_b64 s[8:9], vcc
; %bb.26262:
	s_mov_b32 s10, 0x7f800001
	s_xor_b64 s[4:5], exec, -1
; %bb.26263:
	s_or_b64 exec, exec, s[8:9]
	s_and_b64 s[4:5], s[4:5], exec
                                        ; implicit-def: $vgpr13
	s_or_saveexec_b64 s[6:7], s[6:7]
	v_mov_b32_e32 v14, s10
	s_xor_b64 exec, exec, s[6:7]
	s_cbranch_execnz .LBB2_26264
; %bb.62101:
	s_getpc_b64 s[14:15]
.Lpost_getpc34634:
	s_add_u32 s14, s14, (.LBB2_11926-.Lpost_getpc34634)&4294967295
	s_addc_u32 s15, s15, (.LBB2_11926-.Lpost_getpc34634)>>32
	s_setpc_b64 s[14:15]
.LBB2_26264:
	v_cmp_ne_u16_e32 vcc, 0, v13
	s_andn2_b64 s[4:5], s[4:5], exec
	s_and_b64 s[8:9], vcc, exec
	v_mov_b32_e32 v14, 0
	s_or_b64 s[4:5], s[4:5], s[8:9]
	s_or_b64 exec, exec, s[6:7]
	s_and_saveexec_b64 s[6:7], s[4:5]
	s_cbranch_execz .LBB2_34635
; %bb.62103:
	s_getpc_b64 s[14:15]
.Lpost_getpc34635:
	s_add_u32 s14, s14, (.LBB2_11927-.Lpost_getpc34635)&4294967295
	s_addc_u32 s15, s15, (.LBB2_11927-.Lpost_getpc34635)>>32
	s_setpc_b64 s[14:15]
.LBB2_34635:
	s_getpc_b64 s[14:15]
.Lpost_getpc20901:
	s_add_u32 s14, s14, (.LBB2_11928-.Lpost_getpc20901)&4294967295
	s_addc_u32 s15, s15, (.LBB2_11928-.Lpost_getpc20901)>>32
	s_setpc_b64 s[14:15]
.LBB2_26265:
	s_movk_i32 s4, 0x80
	v_cmp_eq_u16_sdwa s[12:13], v6, s4 src0_sel:BYTE_3 src1_sel:DWORD
	s_mov_b64 s[4:5], -1
                                        ; implicit-def: $sgpr10
	s_and_saveexec_b64 s[8:9], s[12:13]
; %bb.26266:
	s_mov_b32 s10, 0x7f800001
	s_xor_b64 s[4:5], exec, -1
; %bb.26267:
	s_or_b64 exec, exec, s[8:9]
	s_and_b64 s[4:5], s[4:5], exec
	s_or_saveexec_b64 s[6:7], s[6:7]
	v_mov_b32_e32 v12, s10
	s_xor_b64 exec, exec, s[6:7]
	s_cbranch_execnz .LBB2_26268
; %bb.62105:
	s_getpc_b64 s[14:15]
.Lpost_getpc34636:
	s_add_u32 s14, s14, (.LBB2_11930-.Lpost_getpc34636)&4294967295
	s_addc_u32 s15, s15, (.LBB2_11930-.Lpost_getpc34636)>>32
	s_setpc_b64 s[14:15]
.LBB2_26268:
	v_mov_b32_e32 v12, 0
	v_cmp_ne_u16_sdwa s[8:9], v6, v12 src0_sel:BYTE_3 src1_sel:DWORD
	s_andn2_b64 s[4:5], s[4:5], exec
	s_and_b64 s[8:9], s[8:9], exec
	s_or_b64 s[4:5], s[4:5], s[8:9]
	s_or_b64 exec, exec, s[6:7]
	s_and_saveexec_b64 s[6:7], s[4:5]
	s_cbranch_execz .LBB2_34637
; %bb.62107:
	s_getpc_b64 s[14:15]
.Lpost_getpc34637:
	s_add_u32 s14, s14, (.LBB2_11931-.Lpost_getpc34637)&4294967295
	s_addc_u32 s15, s15, (.LBB2_11931-.Lpost_getpc34637)>>32
	s_setpc_b64 s[14:15]
.LBB2_34637:
	s_getpc_b64 s[14:15]
.Lpost_getpc20902:
	s_add_u32 s14, s14, (.LBB2_11932-.Lpost_getpc20902)&4294967295
	s_addc_u32 s15, s15, (.LBB2_11932-.Lpost_getpc20902)>>32
	s_setpc_b64 s[14:15]
.LBB2_26269:
	s_movk_i32 s4, 0x80
	v_cmp_eq_u16_sdwa s[12:13], v2, s4 src0_sel:BYTE_3 src1_sel:DWORD
	s_mov_b64 s[4:5], -1
                                        ; implicit-def: $sgpr10
	s_and_saveexec_b64 s[8:9], s[12:13]
; %bb.26270:
	s_mov_b32 s10, 0x7f800001
	s_xor_b64 s[4:5], exec, -1
; %bb.26271:
	s_or_b64 exec, exec, s[8:9]
	s_and_b64 s[4:5], s[4:5], exec
	s_or_saveexec_b64 s[6:7], s[6:7]
	v_mov_b32_e32 v6, s10
	s_xor_b64 exec, exec, s[6:7]
	s_cbranch_execnz .LBB2_26272
; %bb.62109:
	s_getpc_b64 s[14:15]
.Lpost_getpc34638:
	s_add_u32 s14, s14, (.LBB2_11934-.Lpost_getpc34638)&4294967295
	s_addc_u32 s15, s15, (.LBB2_11934-.Lpost_getpc34638)>>32
	s_setpc_b64 s[14:15]
.LBB2_26272:
	v_mov_b32_e32 v6, 0
	v_cmp_ne_u16_sdwa s[8:9], v2, v6 src0_sel:BYTE_3 src1_sel:DWORD
	s_andn2_b64 s[4:5], s[4:5], exec
	s_and_b64 s[8:9], s[8:9], exec
	s_or_b64 s[4:5], s[4:5], s[8:9]
	s_or_b64 exec, exec, s[6:7]
	s_and_saveexec_b64 s[6:7], s[4:5]
	s_cbranch_execz .LBB2_34639
; %bb.62111:
	s_getpc_b64 s[14:15]
.Lpost_getpc34639:
	s_add_u32 s14, s14, (.LBB2_11935-.Lpost_getpc34639)&4294967295
	s_addc_u32 s15, s15, (.LBB2_11935-.Lpost_getpc34639)>>32
	s_setpc_b64 s[14:15]
.LBB2_34639:
	s_getpc_b64 s[14:15]
.Lpost_getpc20903:
	s_add_u32 s14, s14, (.LBB2_11936-.Lpost_getpc20903)&4294967295
	s_addc_u32 s15, s15, (.LBB2_11936-.Lpost_getpc20903)>>32
	s_setpc_b64 s[14:15]
.LBB2_26273:
	s_movk_i32 s4, 0x80
	v_cmp_eq_u16_sdwa s[12:13], v7, s4 src0_sel:BYTE_0 src1_sel:DWORD
	s_mov_b64 s[4:5], -1
                                        ; implicit-def: $sgpr10
	s_and_saveexec_b64 s[8:9], s[12:13]
; %bb.26274:
	s_mov_b32 s10, 0x7f800001
	s_xor_b64 s[4:5], exec, -1
; %bb.26275:
	s_or_b64 exec, exec, s[8:9]
	s_and_b64 s[4:5], s[4:5], exec
	s_or_saveexec_b64 s[6:7], s[6:7]
	v_mov_b32_e32 v2, s10
	s_xor_b64 exec, exec, s[6:7]
	s_cbranch_execnz .LBB2_26276
; %bb.62113:
	s_getpc_b64 s[14:15]
.Lpost_getpc34640:
	s_add_u32 s14, s14, (.LBB2_11938-.Lpost_getpc34640)&4294967295
	s_addc_u32 s15, s15, (.LBB2_11938-.Lpost_getpc34640)>>32
	s_setpc_b64 s[14:15]
.LBB2_26276:
	v_mov_b32_e32 v2, 0
	v_cmp_ne_u16_sdwa s[8:9], v7, v2 src0_sel:BYTE_0 src1_sel:DWORD
	s_andn2_b64 s[4:5], s[4:5], exec
	s_and_b64 s[8:9], s[8:9], exec
	s_or_b64 s[4:5], s[4:5], s[8:9]
	s_or_b64 exec, exec, s[6:7]
	s_and_saveexec_b64 s[6:7], s[4:5]
	s_cbranch_execz .LBB2_34641
; %bb.62115:
	s_getpc_b64 s[14:15]
.Lpost_getpc34641:
	s_add_u32 s14, s14, (.LBB2_11939-.Lpost_getpc34641)&4294967295
	s_addc_u32 s15, s15, (.LBB2_11939-.Lpost_getpc34641)>>32
	s_setpc_b64 s[14:15]
.LBB2_34641:
	s_getpc_b64 s[14:15]
.Lpost_getpc20904:
	s_add_u32 s14, s14, (.LBB2_11940-.Lpost_getpc20904)&4294967295
	s_addc_u32 s15, s15, (.LBB2_11940-.Lpost_getpc20904)>>32
	s_setpc_b64 s[14:15]
.LBB2_26277:
	s_movk_i32 s4, 0x80
	v_cmp_eq_u16_sdwa s[12:13], v3, s4 src0_sel:BYTE_0 src1_sel:DWORD
	s_mov_b64 s[4:5], -1
                                        ; implicit-def: $sgpr10
	s_and_saveexec_b64 s[8:9], s[12:13]
; %bb.26278:
	s_mov_b32 s10, 0x7f800001
	s_xor_b64 s[4:5], exec, -1
; %bb.26279:
	s_or_b64 exec, exec, s[8:9]
	s_and_b64 s[4:5], s[4:5], exec
	s_or_saveexec_b64 s[6:7], s[6:7]
	v_mov_b32_e32 v6, s10
	s_xor_b64 exec, exec, s[6:7]
	s_cbranch_execnz .LBB2_26280
; %bb.62117:
	s_getpc_b64 s[14:15]
.Lpost_getpc34642:
	s_add_u32 s14, s14, (.LBB2_11942-.Lpost_getpc34642)&4294967295
	s_addc_u32 s15, s15, (.LBB2_11942-.Lpost_getpc34642)>>32
	s_setpc_b64 s[14:15]
.LBB2_26280:
	v_mov_b32_e32 v6, 0
	v_cmp_ne_u16_sdwa s[8:9], v3, v6 src0_sel:BYTE_0 src1_sel:DWORD
	s_andn2_b64 s[4:5], s[4:5], exec
	s_and_b64 s[8:9], s[8:9], exec
	s_or_b64 s[4:5], s[4:5], s[8:9]
	s_or_b64 exec, exec, s[6:7]
	s_and_saveexec_b64 s[6:7], s[4:5]
	s_cbranch_execz .LBB2_34643
; %bb.62119:
	s_getpc_b64 s[14:15]
.Lpost_getpc34643:
	s_add_u32 s14, s14, (.LBB2_11943-.Lpost_getpc34643)&4294967295
	s_addc_u32 s15, s15, (.LBB2_11943-.Lpost_getpc34643)>>32
	s_setpc_b64 s[14:15]
.LBB2_34643:
	s_getpc_b64 s[14:15]
.Lpost_getpc20905:
	s_add_u32 s14, s14, (.LBB2_11944-.Lpost_getpc20905)&4294967295
	s_addc_u32 s15, s15, (.LBB2_11944-.Lpost_getpc20905)>>32
	s_setpc_b64 s[14:15]
.LBB2_26281:
	s_movk_i32 s4, 0x80
	v_cmp_eq_u16_sdwa s[12:13], v6, s4 src0_sel:BYTE_0 src1_sel:DWORD
	s_mov_b64 s[4:5], -1
                                        ; implicit-def: $sgpr10
	s_and_saveexec_b64 s[8:9], s[12:13]
; %bb.26282:
	s_mov_b32 s10, 0x7f800001
	s_xor_b64 s[4:5], exec, -1
; %bb.26283:
	s_or_b64 exec, exec, s[8:9]
	s_and_b64 s[4:5], s[4:5], exec
	s_or_saveexec_b64 s[6:7], s[6:7]
	v_mov_b32_e32 v2, s10
	s_xor_b64 exec, exec, s[6:7]
	s_cbranch_execnz .LBB2_26284
; %bb.62121:
	s_getpc_b64 s[14:15]
.Lpost_getpc34644:
	s_add_u32 s14, s14, (.LBB2_11946-.Lpost_getpc34644)&4294967295
	s_addc_u32 s15, s15, (.LBB2_11946-.Lpost_getpc34644)>>32
	s_setpc_b64 s[14:15]
.LBB2_26284:
	v_mov_b32_e32 v2, 0
	v_cmp_ne_u16_sdwa s[8:9], v6, v2 src0_sel:BYTE_0 src1_sel:DWORD
	s_andn2_b64 s[4:5], s[4:5], exec
	s_and_b64 s[8:9], s[8:9], exec
	s_or_b64 s[4:5], s[4:5], s[8:9]
	s_or_b64 exec, exec, s[6:7]
	s_and_saveexec_b64 s[6:7], s[4:5]
	s_cbranch_execz .LBB2_34645
; %bb.62123:
	s_getpc_b64 s[14:15]
.Lpost_getpc34645:
	s_add_u32 s14, s14, (.LBB2_11947-.Lpost_getpc34645)&4294967295
	s_addc_u32 s15, s15, (.LBB2_11947-.Lpost_getpc34645)>>32
	s_setpc_b64 s[14:15]
.LBB2_34645:
	s_getpc_b64 s[14:15]
.Lpost_getpc20906:
	s_add_u32 s14, s14, (.LBB2_11948-.Lpost_getpc20906)&4294967295
	s_addc_u32 s15, s15, (.LBB2_11948-.Lpost_getpc20906)>>32
	s_setpc_b64 s[14:15]
.LBB2_26285:
	s_movk_i32 s4, 0x80
	v_cmp_eq_u16_sdwa s[12:13], v6, s4 src0_sel:BYTE_0 src1_sel:DWORD
	s_mov_b64 s[4:5], -1
                                        ; implicit-def: $sgpr10
	s_and_saveexec_b64 s[8:9], s[12:13]
; %bb.26286:
	s_mov_b32 s10, 0x7f800001
	s_xor_b64 s[4:5], exec, -1
; %bb.26287:
	s_or_b64 exec, exec, s[8:9]
	s_and_b64 s[4:5], s[4:5], exec
	s_or_saveexec_b64 s[6:7], s[6:7]
	v_mov_b32_e32 v12, s10
	s_xor_b64 exec, exec, s[6:7]
	s_cbranch_execnz .LBB2_26288
; %bb.62125:
	s_getpc_b64 s[14:15]
.Lpost_getpc34646:
	s_add_u32 s14, s14, (.LBB2_11950-.Lpost_getpc34646)&4294967295
	s_addc_u32 s15, s15, (.LBB2_11950-.Lpost_getpc34646)>>32
	s_setpc_b64 s[14:15]
.LBB2_26288:
	v_mov_b32_e32 v12, 0
	v_cmp_ne_u16_sdwa s[8:9], v6, v12 src0_sel:BYTE_0 src1_sel:DWORD
	s_andn2_b64 s[4:5], s[4:5], exec
	s_and_b64 s[8:9], s[8:9], exec
	s_or_b64 s[4:5], s[4:5], s[8:9]
	s_or_b64 exec, exec, s[6:7]
	s_and_saveexec_b64 s[6:7], s[4:5]
	s_cbranch_execz .LBB2_34647
; %bb.62127:
	s_getpc_b64 s[14:15]
.Lpost_getpc34647:
	s_add_u32 s14, s14, (.LBB2_11951-.Lpost_getpc34647)&4294967295
	s_addc_u32 s15, s15, (.LBB2_11951-.Lpost_getpc34647)>>32
	s_setpc_b64 s[14:15]
.LBB2_34647:
	s_getpc_b64 s[14:15]
.Lpost_getpc20907:
	s_add_u32 s14, s14, (.LBB2_11952-.Lpost_getpc20907)&4294967295
	s_addc_u32 s15, s15, (.LBB2_11952-.Lpost_getpc20907)>>32
	s_setpc_b64 s[14:15]
.LBB2_26289:
	s_movk_i32 s4, 0x80
	v_cmp_eq_u16_e32 vcc, s4, v6
	s_mov_b64 s[4:5], -1
                                        ; implicit-def: $sgpr10
	s_and_saveexec_b64 s[8:9], vcc
; %bb.26290:
	s_mov_b32 s10, 0x7f800001
	s_xor_b64 s[4:5], exec, -1
; %bb.26291:
	s_or_b64 exec, exec, s[8:9]
	s_and_b64 s[4:5], s[4:5], exec
                                        ; implicit-def: $vgpr6
	s_or_saveexec_b64 s[6:7], s[6:7]
	v_mov_b32_e32 v2, s10
	s_xor_b64 exec, exec, s[6:7]
	s_cbranch_execnz .LBB2_26292
; %bb.62129:
	s_getpc_b64 s[14:15]
.Lpost_getpc34648:
	s_add_u32 s14, s14, (.LBB2_11954-.Lpost_getpc34648)&4294967295
	s_addc_u32 s15, s15, (.LBB2_11954-.Lpost_getpc34648)>>32
	s_setpc_b64 s[14:15]
.LBB2_26292:
	v_cmp_ne_u16_e32 vcc, 0, v6
	s_andn2_b64 s[4:5], s[4:5], exec
	s_and_b64 s[8:9], vcc, exec
	v_mov_b32_e32 v2, 0
	s_or_b64 s[4:5], s[4:5], s[8:9]
	s_or_b64 exec, exec, s[6:7]
	s_and_saveexec_b64 s[6:7], s[4:5]
	s_cbranch_execz .LBB2_34649
; %bb.62131:
	s_getpc_b64 s[14:15]
.Lpost_getpc34649:
	s_add_u32 s14, s14, (.LBB2_11955-.Lpost_getpc34649)&4294967295
	s_addc_u32 s15, s15, (.LBB2_11955-.Lpost_getpc34649)>>32
	s_setpc_b64 s[14:15]
.LBB2_34649:
	s_getpc_b64 s[14:15]
.Lpost_getpc20908:
	s_add_u32 s14, s14, (.LBB2_11956-.Lpost_getpc20908)&4294967295
	s_addc_u32 s15, s15, (.LBB2_11956-.Lpost_getpc20908)>>32
	s_setpc_b64 s[14:15]
.LBB2_26293:
	s_movk_i32 s4, 0x80
	v_cmp_eq_u16_e32 vcc, s4, v6
	s_mov_b64 s[4:5], -1
                                        ; implicit-def: $sgpr10
	s_and_saveexec_b64 s[8:9], vcc
; %bb.26294:
	s_mov_b32 s10, 0x7f800001
	s_xor_b64 s[4:5], exec, -1
; %bb.26295:
	s_or_b64 exec, exec, s[8:9]
	s_and_b64 s[4:5], s[4:5], exec
                                        ; implicit-def: $vgpr6
	s_or_saveexec_b64 s[6:7], s[6:7]
	v_mov_b32_e32 v12, s10
	s_xor_b64 exec, exec, s[6:7]
	s_cbranch_execnz .LBB2_26296
; %bb.62133:
	s_getpc_b64 s[14:15]
.Lpost_getpc34650:
	s_add_u32 s14, s14, (.LBB2_11958-.Lpost_getpc34650)&4294967295
	s_addc_u32 s15, s15, (.LBB2_11958-.Lpost_getpc34650)>>32
	s_setpc_b64 s[14:15]
.LBB2_26296:
	v_cmp_ne_u16_e32 vcc, 0, v6
	s_andn2_b64 s[4:5], s[4:5], exec
	s_and_b64 s[8:9], vcc, exec
	v_mov_b32_e32 v12, 0
	s_or_b64 s[4:5], s[4:5], s[8:9]
	s_or_b64 exec, exec, s[6:7]
	s_and_saveexec_b64 s[6:7], s[4:5]
	s_cbranch_execz .LBB2_34651
; %bb.62135:
	s_getpc_b64 s[14:15]
.Lpost_getpc34651:
	s_add_u32 s14, s14, (.LBB2_11959-.Lpost_getpc34651)&4294967295
	s_addc_u32 s15, s15, (.LBB2_11959-.Lpost_getpc34651)>>32
	s_setpc_b64 s[14:15]
.LBB2_34651:
	s_getpc_b64 s[14:15]
.Lpost_getpc20909:
	s_add_u32 s14, s14, (.LBB2_11960-.Lpost_getpc20909)&4294967295
	s_addc_u32 s15, s15, (.LBB2_11960-.Lpost_getpc20909)>>32
	s_setpc_b64 s[14:15]
.LBB2_26297:
	s_movk_i32 s4, 0x80
	v_cmp_eq_u16_sdwa s[12:13], v7, s4 src0_sel:BYTE_3 src1_sel:DWORD
	s_mov_b64 s[4:5], -1
                                        ; implicit-def: $sgpr10
	s_and_saveexec_b64 s[8:9], s[12:13]
; %bb.26298:
	s_mov_b32 s10, 0x7f800001
	s_xor_b64 s[4:5], exec, -1
; %bb.26299:
	s_or_b64 exec, exec, s[8:9]
	s_and_b64 s[4:5], s[4:5], exec
	s_or_saveexec_b64 s[6:7], s[6:7]
	v_mov_b32_e32 v2, s10
	s_xor_b64 exec, exec, s[6:7]
	s_cbranch_execnz .LBB2_26300
; %bb.62137:
	s_getpc_b64 s[14:15]
.Lpost_getpc34652:
	s_add_u32 s14, s14, (.LBB2_11962-.Lpost_getpc34652)&4294967295
	s_addc_u32 s15, s15, (.LBB2_11962-.Lpost_getpc34652)>>32
	s_setpc_b64 s[14:15]
.LBB2_26300:
	v_mov_b32_e32 v2, 0
	v_cmp_ne_u16_sdwa s[8:9], v7, v2 src0_sel:BYTE_3 src1_sel:DWORD
	s_andn2_b64 s[4:5], s[4:5], exec
	s_and_b64 s[8:9], s[8:9], exec
	s_or_b64 s[4:5], s[4:5], s[8:9]
	s_or_b64 exec, exec, s[6:7]
	s_and_saveexec_b64 s[6:7], s[4:5]
	s_cbranch_execz .LBB2_34653
; %bb.62139:
	s_getpc_b64 s[14:15]
.Lpost_getpc34653:
	s_add_u32 s14, s14, (.LBB2_11963-.Lpost_getpc34653)&4294967295
	s_addc_u32 s15, s15, (.LBB2_11963-.Lpost_getpc34653)>>32
	s_setpc_b64 s[14:15]
.LBB2_34653:
	s_getpc_b64 s[14:15]
.Lpost_getpc20910:
	s_add_u32 s14, s14, (.LBB2_11964-.Lpost_getpc20910)&4294967295
	s_addc_u32 s15, s15, (.LBB2_11964-.Lpost_getpc20910)>>32
	s_setpc_b64 s[14:15]
.LBB2_26301:
	s_movk_i32 s4, 0x80
	v_cmp_eq_u16_sdwa s[12:13], v3, s4 src0_sel:BYTE_3 src1_sel:DWORD
	s_mov_b64 s[4:5], -1
                                        ; implicit-def: $sgpr10
	s_and_saveexec_b64 s[8:9], s[12:13]
; %bb.26302:
	s_mov_b32 s10, 0x7f800001
	s_xor_b64 s[4:5], exec, -1
; %bb.26303:
	s_or_b64 exec, exec, s[8:9]
	s_and_b64 s[4:5], s[4:5], exec
	s_or_saveexec_b64 s[6:7], s[6:7]
	v_mov_b32_e32 v6, s10
	s_xor_b64 exec, exec, s[6:7]
	s_cbranch_execnz .LBB2_26304
; %bb.62141:
	s_getpc_b64 s[14:15]
.Lpost_getpc34654:
	s_add_u32 s14, s14, (.LBB2_11966-.Lpost_getpc34654)&4294967295
	s_addc_u32 s15, s15, (.LBB2_11966-.Lpost_getpc34654)>>32
	s_setpc_b64 s[14:15]
.LBB2_26304:
	v_mov_b32_e32 v6, 0
	v_cmp_ne_u16_sdwa s[8:9], v3, v6 src0_sel:BYTE_3 src1_sel:DWORD
	s_andn2_b64 s[4:5], s[4:5], exec
	s_and_b64 s[8:9], s[8:9], exec
	s_or_b64 s[4:5], s[4:5], s[8:9]
	s_or_b64 exec, exec, s[6:7]
	s_and_saveexec_b64 s[6:7], s[4:5]
	s_cbranch_execz .LBB2_34655
; %bb.62143:
	s_getpc_b64 s[14:15]
.Lpost_getpc34655:
	s_add_u32 s14, s14, (.LBB2_11967-.Lpost_getpc34655)&4294967295
	s_addc_u32 s15, s15, (.LBB2_11967-.Lpost_getpc34655)>>32
	s_setpc_b64 s[14:15]
.LBB2_34655:
	s_getpc_b64 s[14:15]
.Lpost_getpc20911:
	s_add_u32 s14, s14, (.LBB2_11968-.Lpost_getpc20911)&4294967295
	s_addc_u32 s15, s15, (.LBB2_11968-.Lpost_getpc20911)>>32
	s_setpc_b64 s[14:15]
.LBB2_26305:
	s_movk_i32 s4, 0x80
	v_cmp_eq_u16_sdwa s[12:13], v8, s4 src0_sel:BYTE_0 src1_sel:DWORD
	s_mov_b64 s[4:5], -1
                                        ; implicit-def: $sgpr10
	s_and_saveexec_b64 s[8:9], s[12:13]
; %bb.26306:
	s_mov_b32 s10, 0x7f800001
	s_xor_b64 s[4:5], exec, -1
; %bb.26307:
	s_or_b64 exec, exec, s[8:9]
	s_and_b64 s[4:5], s[4:5], exec
	s_or_saveexec_b64 s[6:7], s[6:7]
	v_mov_b32_e32 v2, s10
	s_xor_b64 exec, exec, s[6:7]
	s_cbranch_execnz .LBB2_26308
; %bb.62145:
	s_getpc_b64 s[14:15]
.Lpost_getpc34656:
	s_add_u32 s14, s14, (.LBB2_11970-.Lpost_getpc34656)&4294967295
	s_addc_u32 s15, s15, (.LBB2_11970-.Lpost_getpc34656)>>32
	s_setpc_b64 s[14:15]
.LBB2_26308:
	v_mov_b32_e32 v2, 0
	v_cmp_ne_u16_sdwa s[8:9], v8, v2 src0_sel:BYTE_0 src1_sel:DWORD
	s_andn2_b64 s[4:5], s[4:5], exec
	s_and_b64 s[8:9], s[8:9], exec
	s_or_b64 s[4:5], s[4:5], s[8:9]
	s_or_b64 exec, exec, s[6:7]
	s_and_saveexec_b64 s[6:7], s[4:5]
	s_cbranch_execz .LBB2_34657
; %bb.62147:
	s_getpc_b64 s[14:15]
.Lpost_getpc34657:
	s_add_u32 s14, s14, (.LBB2_11971-.Lpost_getpc34657)&4294967295
	s_addc_u32 s15, s15, (.LBB2_11971-.Lpost_getpc34657)>>32
	s_setpc_b64 s[14:15]
.LBB2_34657:
	s_getpc_b64 s[14:15]
.Lpost_getpc20912:
	s_add_u32 s14, s14, (.LBB2_11972-.Lpost_getpc20912)&4294967295
	s_addc_u32 s15, s15, (.LBB2_11972-.Lpost_getpc20912)>>32
	s_setpc_b64 s[14:15]
.LBB2_26309:
	s_movk_i32 s4, 0x80
	v_cmp_eq_u16_sdwa s[12:13], v4, s4 src0_sel:BYTE_0 src1_sel:DWORD
	s_mov_b64 s[4:5], -1
                                        ; implicit-def: $sgpr10
	s_and_saveexec_b64 s[8:9], s[12:13]
; %bb.26310:
	s_mov_b32 s10, 0x7f800001
	s_xor_b64 s[4:5], exec, -1
; %bb.26311:
	s_or_b64 exec, exec, s[8:9]
	s_and_b64 s[4:5], s[4:5], exec
	s_or_saveexec_b64 s[6:7], s[6:7]
	v_mov_b32_e32 v3, s10
	s_xor_b64 exec, exec, s[6:7]
	s_cbranch_execnz .LBB2_26312
; %bb.62149:
	s_getpc_b64 s[14:15]
.Lpost_getpc34658:
	s_add_u32 s14, s14, (.LBB2_11974-.Lpost_getpc34658)&4294967295
	s_addc_u32 s15, s15, (.LBB2_11974-.Lpost_getpc34658)>>32
	s_setpc_b64 s[14:15]
.LBB2_26312:
	v_mov_b32_e32 v3, 0
	v_cmp_ne_u16_sdwa s[8:9], v4, v3 src0_sel:BYTE_0 src1_sel:DWORD
	s_andn2_b64 s[4:5], s[4:5], exec
	s_and_b64 s[8:9], s[8:9], exec
	s_or_b64 s[4:5], s[4:5], s[8:9]
	s_or_b64 exec, exec, s[6:7]
	s_and_saveexec_b64 s[6:7], s[4:5]
	s_cbranch_execz .LBB2_34659
; %bb.62151:
	s_getpc_b64 s[14:15]
.Lpost_getpc34659:
	s_add_u32 s14, s14, (.LBB2_11975-.Lpost_getpc34659)&4294967295
	s_addc_u32 s15, s15, (.LBB2_11975-.Lpost_getpc34659)>>32
	s_setpc_b64 s[14:15]
.LBB2_34659:
	s_getpc_b64 s[14:15]
.Lpost_getpc20913:
	s_add_u32 s14, s14, (.LBB2_11976-.Lpost_getpc20913)&4294967295
	s_addc_u32 s15, s15, (.LBB2_11976-.Lpost_getpc20913)>>32
	s_setpc_b64 s[14:15]
.LBB2_26313:
	s_movk_i32 s4, 0x80
	v_cmp_eq_u16_sdwa s[12:13], v3, s4 src0_sel:BYTE_0 src1_sel:DWORD
	s_mov_b64 s[4:5], -1
                                        ; implicit-def: $sgpr10
	s_and_saveexec_b64 s[8:9], s[12:13]
; %bb.26314:
	s_mov_b32 s10, 0x7f800001
	s_xor_b64 s[4:5], exec, -1
; %bb.26315:
	s_or_b64 exec, exec, s[8:9]
	s_and_b64 s[4:5], s[4:5], exec
	s_or_saveexec_b64 s[6:7], s[6:7]
	v_mov_b32_e32 v2, s10
	s_xor_b64 exec, exec, s[6:7]
	s_cbranch_execnz .LBB2_26316
; %bb.62153:
	s_getpc_b64 s[14:15]
.Lpost_getpc34660:
	s_add_u32 s14, s14, (.LBB2_11978-.Lpost_getpc34660)&4294967295
	s_addc_u32 s15, s15, (.LBB2_11978-.Lpost_getpc34660)>>32
	s_setpc_b64 s[14:15]
.LBB2_26316:
	v_mov_b32_e32 v2, 0
	v_cmp_ne_u16_sdwa s[8:9], v3, v2 src0_sel:BYTE_0 src1_sel:DWORD
	s_andn2_b64 s[4:5], s[4:5], exec
	s_and_b64 s[8:9], s[8:9], exec
	s_or_b64 s[4:5], s[4:5], s[8:9]
	s_or_b64 exec, exec, s[6:7]
	s_and_saveexec_b64 s[6:7], s[4:5]
	s_cbranch_execz .LBB2_34661
; %bb.62155:
	s_getpc_b64 s[14:15]
.Lpost_getpc34661:
	s_add_u32 s14, s14, (.LBB2_11979-.Lpost_getpc34661)&4294967295
	s_addc_u32 s15, s15, (.LBB2_11979-.Lpost_getpc34661)>>32
	s_setpc_b64 s[14:15]
.LBB2_34661:
	s_getpc_b64 s[14:15]
.Lpost_getpc20914:
	s_add_u32 s14, s14, (.LBB2_11980-.Lpost_getpc20914)&4294967295
	s_addc_u32 s15, s15, (.LBB2_11980-.Lpost_getpc20914)>>32
	s_setpc_b64 s[14:15]
.LBB2_26317:
	s_movk_i32 s4, 0x80
	v_cmp_eq_u16_sdwa s[12:13], v3, s4 src0_sel:BYTE_0 src1_sel:DWORD
	s_mov_b64 s[4:5], -1
                                        ; implicit-def: $sgpr10
	s_and_saveexec_b64 s[8:9], s[12:13]
; %bb.26318:
	s_mov_b32 s10, 0x7f800001
	s_xor_b64 s[4:5], exec, -1
; %bb.26319:
	s_or_b64 exec, exec, s[8:9]
	s_and_b64 s[4:5], s[4:5], exec
	s_or_saveexec_b64 s[6:7], s[6:7]
	v_mov_b32_e32 v6, s10
	s_xor_b64 exec, exec, s[6:7]
	s_cbranch_execnz .LBB2_26320
; %bb.62157:
	s_getpc_b64 s[14:15]
.Lpost_getpc34662:
	s_add_u32 s14, s14, (.LBB2_11982-.Lpost_getpc34662)&4294967295
	s_addc_u32 s15, s15, (.LBB2_11982-.Lpost_getpc34662)>>32
	s_setpc_b64 s[14:15]
.LBB2_26320:
	v_mov_b32_e32 v6, 0
	v_cmp_ne_u16_sdwa s[8:9], v3, v6 src0_sel:BYTE_0 src1_sel:DWORD
	s_andn2_b64 s[4:5], s[4:5], exec
	s_and_b64 s[8:9], s[8:9], exec
	s_or_b64 s[4:5], s[4:5], s[8:9]
	s_or_b64 exec, exec, s[6:7]
	s_and_saveexec_b64 s[6:7], s[4:5]
	s_cbranch_execz .LBB2_34663
; %bb.62159:
	s_getpc_b64 s[14:15]
.Lpost_getpc34663:
	s_add_u32 s14, s14, (.LBB2_11983-.Lpost_getpc34663)&4294967295
	s_addc_u32 s15, s15, (.LBB2_11983-.Lpost_getpc34663)>>32
	s_setpc_b64 s[14:15]
.LBB2_34663:
	s_getpc_b64 s[14:15]
.Lpost_getpc20915:
	s_add_u32 s14, s14, (.LBB2_11984-.Lpost_getpc20915)&4294967295
	s_addc_u32 s15, s15, (.LBB2_11984-.Lpost_getpc20915)>>32
	s_setpc_b64 s[14:15]
.LBB2_26321:
	s_movk_i32 s4, 0x80
	v_cmp_eq_u16_e32 vcc, s4, v3
	s_mov_b64 s[4:5], -1
                                        ; implicit-def: $sgpr10
	s_and_saveexec_b64 s[8:9], vcc
; %bb.26322:
	s_mov_b32 s10, 0x7f800001
	s_xor_b64 s[4:5], exec, -1
; %bb.26323:
	s_or_b64 exec, exec, s[8:9]
	s_and_b64 s[4:5], s[4:5], exec
                                        ; implicit-def: $vgpr3
	s_or_saveexec_b64 s[6:7], s[6:7]
	v_mov_b32_e32 v2, s10
	s_xor_b64 exec, exec, s[6:7]
	s_cbranch_execnz .LBB2_26324
; %bb.62161:
	s_getpc_b64 s[14:15]
.Lpost_getpc34664:
	s_add_u32 s14, s14, (.LBB2_11986-.Lpost_getpc34664)&4294967295
	s_addc_u32 s15, s15, (.LBB2_11986-.Lpost_getpc34664)>>32
	s_setpc_b64 s[14:15]
.LBB2_26324:
	v_cmp_ne_u16_e32 vcc, 0, v3
	s_andn2_b64 s[4:5], s[4:5], exec
	s_and_b64 s[8:9], vcc, exec
	v_mov_b32_e32 v2, 0
	s_or_b64 s[4:5], s[4:5], s[8:9]
	s_or_b64 exec, exec, s[6:7]
	s_and_saveexec_b64 s[6:7], s[4:5]
	s_cbranch_execz .LBB2_34665
; %bb.62163:
	s_getpc_b64 s[14:15]
.Lpost_getpc34665:
	s_add_u32 s14, s14, (.LBB2_11987-.Lpost_getpc34665)&4294967295
	s_addc_u32 s15, s15, (.LBB2_11987-.Lpost_getpc34665)>>32
	s_setpc_b64 s[14:15]
.LBB2_34665:
	s_getpc_b64 s[14:15]
.Lpost_getpc20916:
	s_add_u32 s14, s14, (.LBB2_11988-.Lpost_getpc20916)&4294967295
	s_addc_u32 s15, s15, (.LBB2_11988-.Lpost_getpc20916)>>32
	s_setpc_b64 s[14:15]
.LBB2_26325:
	s_movk_i32 s4, 0x80
	v_cmp_eq_u16_e32 vcc, s4, v3
	s_mov_b64 s[4:5], -1
                                        ; implicit-def: $sgpr10
	s_and_saveexec_b64 s[8:9], vcc
; %bb.26326:
	s_mov_b32 s10, 0x7f800001
	s_xor_b64 s[4:5], exec, -1
; %bb.26327:
	s_or_b64 exec, exec, s[8:9]
	s_and_b64 s[4:5], s[4:5], exec
                                        ; implicit-def: $vgpr3
	s_or_saveexec_b64 s[6:7], s[6:7]
	v_mov_b32_e32 v6, s10
	s_xor_b64 exec, exec, s[6:7]
	s_cbranch_execnz .LBB2_26328
; %bb.62165:
	s_getpc_b64 s[14:15]
.Lpost_getpc34666:
	s_add_u32 s14, s14, (.LBB2_11990-.Lpost_getpc34666)&4294967295
	s_addc_u32 s15, s15, (.LBB2_11990-.Lpost_getpc34666)>>32
	s_setpc_b64 s[14:15]
.LBB2_26328:
	v_cmp_ne_u16_e32 vcc, 0, v3
	s_andn2_b64 s[4:5], s[4:5], exec
	s_and_b64 s[8:9], vcc, exec
	v_mov_b32_e32 v6, 0
	s_or_b64 s[4:5], s[4:5], s[8:9]
	s_or_b64 exec, exec, s[6:7]
	s_and_saveexec_b64 s[6:7], s[4:5]
	s_cbranch_execz .LBB2_34667
; %bb.62167:
	s_getpc_b64 s[14:15]
.Lpost_getpc34667:
	s_add_u32 s14, s14, (.LBB2_11991-.Lpost_getpc34667)&4294967295
	s_addc_u32 s15, s15, (.LBB2_11991-.Lpost_getpc34667)>>32
	s_setpc_b64 s[14:15]
.LBB2_34667:
	s_getpc_b64 s[14:15]
.Lpost_getpc20917:
	s_add_u32 s14, s14, (.LBB2_11992-.Lpost_getpc20917)&4294967295
	s_addc_u32 s15, s15, (.LBB2_11992-.Lpost_getpc20917)>>32
	s_setpc_b64 s[14:15]
.LBB2_26329:
	s_movk_i32 s4, 0x80
	v_cmp_eq_u16_sdwa s[12:13], v8, s4 src0_sel:BYTE_3 src1_sel:DWORD
	s_mov_b64 s[4:5], -1
                                        ; implicit-def: $sgpr10
	s_and_saveexec_b64 s[8:9], s[12:13]
; %bb.26330:
	s_mov_b32 s10, 0x7f800001
	s_xor_b64 s[4:5], exec, -1
; %bb.26331:
	s_or_b64 exec, exec, s[8:9]
	s_and_b64 s[4:5], s[4:5], exec
	s_or_saveexec_b64 s[6:7], s[6:7]
	v_mov_b32_e32 v2, s10
	s_xor_b64 exec, exec, s[6:7]
	s_cbranch_execnz .LBB2_26332
; %bb.62169:
	s_getpc_b64 s[14:15]
.Lpost_getpc34668:
	s_add_u32 s14, s14, (.LBB2_11994-.Lpost_getpc34668)&4294967295
	s_addc_u32 s15, s15, (.LBB2_11994-.Lpost_getpc34668)>>32
	s_setpc_b64 s[14:15]
.LBB2_26332:
	v_mov_b32_e32 v2, 0
	v_cmp_ne_u16_sdwa s[8:9], v8, v2 src0_sel:BYTE_3 src1_sel:DWORD
	s_andn2_b64 s[4:5], s[4:5], exec
	s_and_b64 s[8:9], s[8:9], exec
	s_or_b64 s[4:5], s[4:5], s[8:9]
	s_or_b64 exec, exec, s[6:7]
	s_and_saveexec_b64 s[6:7], s[4:5]
	s_cbranch_execz .LBB2_34669
; %bb.62171:
	s_getpc_b64 s[14:15]
.Lpost_getpc34669:
	s_add_u32 s14, s14, (.LBB2_11995-.Lpost_getpc34669)&4294967295
	s_addc_u32 s15, s15, (.LBB2_11995-.Lpost_getpc34669)>>32
	s_setpc_b64 s[14:15]
.LBB2_34669:
	s_getpc_b64 s[14:15]
.Lpost_getpc20918:
	s_add_u32 s14, s14, (.LBB2_11996-.Lpost_getpc20918)&4294967295
	s_addc_u32 s15, s15, (.LBB2_11996-.Lpost_getpc20918)>>32
	s_setpc_b64 s[14:15]
.LBB2_26333:
	s_movk_i32 s4, 0x80
	v_cmp_eq_u16_sdwa s[12:13], v4, s4 src0_sel:BYTE_3 src1_sel:DWORD
	s_mov_b64 s[4:5], -1
                                        ; implicit-def: $sgpr10
	s_and_saveexec_b64 s[8:9], s[12:13]
; %bb.26334:
	s_mov_b32 s10, 0x7f800001
	s_xor_b64 s[4:5], exec, -1
; %bb.26335:
	s_or_b64 exec, exec, s[8:9]
	s_and_b64 s[4:5], s[4:5], exec
	s_or_saveexec_b64 s[6:7], s[6:7]
	v_mov_b32_e32 v3, s10
	s_xor_b64 exec, exec, s[6:7]
	s_cbranch_execnz .LBB2_26336
; %bb.62173:
	s_getpc_b64 s[14:15]
.Lpost_getpc34670:
	s_add_u32 s14, s14, (.LBB2_11998-.Lpost_getpc34670)&4294967295
	s_addc_u32 s15, s15, (.LBB2_11998-.Lpost_getpc34670)>>32
	s_setpc_b64 s[14:15]
.LBB2_26336:
	v_mov_b32_e32 v3, 0
	v_cmp_ne_u16_sdwa s[8:9], v4, v3 src0_sel:BYTE_3 src1_sel:DWORD
	s_andn2_b64 s[4:5], s[4:5], exec
	s_and_b64 s[8:9], s[8:9], exec
	s_or_b64 s[4:5], s[4:5], s[8:9]
	s_or_b64 exec, exec, s[6:7]
	s_and_saveexec_b64 s[6:7], s[4:5]
	s_cbranch_execz .LBB2_34671
; %bb.62175:
	s_getpc_b64 s[14:15]
.Lpost_getpc34671:
	s_add_u32 s14, s14, (.LBB2_11999-.Lpost_getpc34671)&4294967295
	s_addc_u32 s15, s15, (.LBB2_11999-.Lpost_getpc34671)>>32
	s_setpc_b64 s[14:15]
.LBB2_34671:
	s_getpc_b64 s[14:15]
.Lpost_getpc20919:
	s_add_u32 s14, s14, (.LBB2_12000-.Lpost_getpc20919)&4294967295
	s_addc_u32 s15, s15, (.LBB2_12000-.Lpost_getpc20919)>>32
	s_setpc_b64 s[14:15]
.LBB2_26337:
	s_movk_i32 s4, 0x80
	v_cmp_eq_u16_sdwa s[12:13], v9, s4 src0_sel:BYTE_0 src1_sel:DWORD
	s_mov_b64 s[4:5], -1
                                        ; implicit-def: $sgpr10
	s_and_saveexec_b64 s[8:9], s[12:13]
; %bb.26338:
	s_mov_b32 s10, 0x7f800001
	s_xor_b64 s[4:5], exec, -1
; %bb.26339:
	s_or_b64 exec, exec, s[8:9]
	s_and_b64 s[4:5], s[4:5], exec
	s_or_saveexec_b64 s[6:7], s[6:7]
	v_mov_b32_e32 v2, s10
	s_xor_b64 exec, exec, s[6:7]
	s_cbranch_execnz .LBB2_26340
; %bb.62177:
	s_getpc_b64 s[14:15]
.Lpost_getpc34672:
	s_add_u32 s14, s14, (.LBB2_12002-.Lpost_getpc34672)&4294967295
	s_addc_u32 s15, s15, (.LBB2_12002-.Lpost_getpc34672)>>32
	s_setpc_b64 s[14:15]
.LBB2_26340:
	v_mov_b32_e32 v2, 0
	v_cmp_ne_u16_sdwa s[8:9], v9, v2 src0_sel:BYTE_0 src1_sel:DWORD
	s_andn2_b64 s[4:5], s[4:5], exec
	s_and_b64 s[8:9], s[8:9], exec
	s_or_b64 s[4:5], s[4:5], s[8:9]
	s_or_b64 exec, exec, s[6:7]
	s_and_saveexec_b64 s[6:7], s[4:5]
	s_cbranch_execz .LBB2_34673
; %bb.62179:
	s_getpc_b64 s[14:15]
.Lpost_getpc34673:
	s_add_u32 s14, s14, (.LBB2_12003-.Lpost_getpc34673)&4294967295
	s_addc_u32 s15, s15, (.LBB2_12003-.Lpost_getpc34673)>>32
	s_setpc_b64 s[14:15]
.LBB2_34673:
	s_getpc_b64 s[14:15]
.Lpost_getpc20920:
	s_add_u32 s14, s14, (.LBB2_12004-.Lpost_getpc20920)&4294967295
	s_addc_u32 s15, s15, (.LBB2_12004-.Lpost_getpc20920)>>32
	s_setpc_b64 s[14:15]
.LBB2_26341:
	s_movk_i32 s4, 0x80
	v_cmp_eq_u16_sdwa s[12:13], v5, s4 src0_sel:BYTE_0 src1_sel:DWORD
	s_mov_b64 s[4:5], -1
                                        ; implicit-def: $sgpr10
	s_and_saveexec_b64 s[8:9], s[12:13]
; %bb.26342:
	s_mov_b32 s10, 0x7f800001
	s_xor_b64 s[4:5], exec, -1
; %bb.26343:
	s_or_b64 exec, exec, s[8:9]
	s_and_b64 s[4:5], s[4:5], exec
	s_or_saveexec_b64 s[6:7], s[6:7]
	v_mov_b32_e32 v3, s10
	s_xor_b64 exec, exec, s[6:7]
	s_cbranch_execnz .LBB2_26344
; %bb.62181:
	s_getpc_b64 s[14:15]
.Lpost_getpc34674:
	s_add_u32 s14, s14, (.LBB2_12006-.Lpost_getpc34674)&4294967295
	s_addc_u32 s15, s15, (.LBB2_12006-.Lpost_getpc34674)>>32
	s_setpc_b64 s[14:15]
.LBB2_26344:
	v_mov_b32_e32 v3, 0
	v_cmp_ne_u16_sdwa s[8:9], v5, v3 src0_sel:BYTE_0 src1_sel:DWORD
	s_andn2_b64 s[4:5], s[4:5], exec
	s_and_b64 s[8:9], s[8:9], exec
	s_or_b64 s[4:5], s[4:5], s[8:9]
	s_or_b64 exec, exec, s[6:7]
	s_and_saveexec_b64 s[6:7], s[4:5]
	s_cbranch_execz .LBB2_34675
; %bb.62183:
	s_getpc_b64 s[14:15]
.Lpost_getpc34675:
	s_add_u32 s14, s14, (.LBB2_12007-.Lpost_getpc34675)&4294967295
	s_addc_u32 s15, s15, (.LBB2_12007-.Lpost_getpc34675)>>32
	s_setpc_b64 s[14:15]
.LBB2_34675:
	s_getpc_b64 s[14:15]
.Lpost_getpc20921:
	s_add_u32 s14, s14, (.LBB2_12008-.Lpost_getpc20921)&4294967295
	s_addc_u32 s15, s15, (.LBB2_12008-.Lpost_getpc20921)>>32
	s_setpc_b64 s[14:15]
.LBB2_26345:
	s_movk_i32 s4, 0x80
	v_cmp_eq_u16_sdwa s[12:13], v3, s4 src0_sel:BYTE_0 src1_sel:DWORD
	s_mov_b64 s[4:5], -1
                                        ; implicit-def: $sgpr10
	s_and_saveexec_b64 s[8:9], s[12:13]
; %bb.26346:
	s_mov_b32 s10, 0x7f800001
	s_xor_b64 s[4:5], exec, -1
; %bb.26347:
	s_or_b64 exec, exec, s[8:9]
	s_and_b64 s[4:5], s[4:5], exec
	s_or_saveexec_b64 s[6:7], s[6:7]
	v_mov_b32_e32 v2, s10
	s_xor_b64 exec, exec, s[6:7]
	s_cbranch_execnz .LBB2_26348
; %bb.62185:
	s_getpc_b64 s[14:15]
.Lpost_getpc34676:
	s_add_u32 s14, s14, (.LBB2_12010-.Lpost_getpc34676)&4294967295
	s_addc_u32 s15, s15, (.LBB2_12010-.Lpost_getpc34676)>>32
	s_setpc_b64 s[14:15]
.LBB2_26348:
	v_mov_b32_e32 v2, 0
	v_cmp_ne_u16_sdwa s[8:9], v3, v2 src0_sel:BYTE_0 src1_sel:DWORD
	s_andn2_b64 s[4:5], s[4:5], exec
	s_and_b64 s[8:9], s[8:9], exec
	s_or_b64 s[4:5], s[4:5], s[8:9]
	s_or_b64 exec, exec, s[6:7]
	s_and_saveexec_b64 s[6:7], s[4:5]
	s_cbranch_execz .LBB2_34677
; %bb.62187:
	s_getpc_b64 s[14:15]
.Lpost_getpc34677:
	s_add_u32 s14, s14, (.LBB2_12011-.Lpost_getpc34677)&4294967295
	s_addc_u32 s15, s15, (.LBB2_12011-.Lpost_getpc34677)>>32
	s_setpc_b64 s[14:15]
.LBB2_34677:
	s_getpc_b64 s[14:15]
.Lpost_getpc20922:
	s_add_u32 s14, s14, (.LBB2_12012-.Lpost_getpc20922)&4294967295
	s_addc_u32 s15, s15, (.LBB2_12012-.Lpost_getpc20922)>>32
	s_setpc_b64 s[14:15]
.LBB2_26349:
	s_movk_i32 s4, 0x80
	v_cmp_eq_u16_sdwa s[12:13], v3, s4 src0_sel:BYTE_0 src1_sel:DWORD
	s_mov_b64 s[4:5], -1
                                        ; implicit-def: $sgpr10
	s_and_saveexec_b64 s[8:9], s[12:13]
; %bb.26350:
	s_mov_b32 s10, 0x7f800001
	s_xor_b64 s[4:5], exec, -1
; %bb.26351:
	s_or_b64 exec, exec, s[8:9]
	s_and_b64 s[4:5], s[4:5], exec
	s_or_saveexec_b64 s[6:7], s[6:7]
	v_mov_b32_e32 v4, s10
	s_xor_b64 exec, exec, s[6:7]
	s_cbranch_execnz .LBB2_26352
; %bb.62189:
	s_getpc_b64 s[14:15]
.Lpost_getpc34678:
	s_add_u32 s14, s14, (.LBB2_12014-.Lpost_getpc34678)&4294967295
	s_addc_u32 s15, s15, (.LBB2_12014-.Lpost_getpc34678)>>32
	s_setpc_b64 s[14:15]
.LBB2_26352:
	v_mov_b32_e32 v4, 0
	v_cmp_ne_u16_sdwa s[8:9], v3, v4 src0_sel:BYTE_0 src1_sel:DWORD
	s_andn2_b64 s[4:5], s[4:5], exec
	s_and_b64 s[8:9], s[8:9], exec
	s_or_b64 s[4:5], s[4:5], s[8:9]
	s_or_b64 exec, exec, s[6:7]
	s_and_saveexec_b64 s[6:7], s[4:5]
	s_cbranch_execz .LBB2_34679
; %bb.62191:
	s_getpc_b64 s[14:15]
.Lpost_getpc34679:
	s_add_u32 s14, s14, (.LBB2_12015-.Lpost_getpc34679)&4294967295
	s_addc_u32 s15, s15, (.LBB2_12015-.Lpost_getpc34679)>>32
	s_setpc_b64 s[14:15]
.LBB2_34679:
	s_getpc_b64 s[14:15]
.Lpost_getpc20923:
	s_add_u32 s14, s14, (.LBB2_12016-.Lpost_getpc20923)&4294967295
	s_addc_u32 s15, s15, (.LBB2_12016-.Lpost_getpc20923)>>32
	s_setpc_b64 s[14:15]
.LBB2_26353:
	s_movk_i32 s4, 0x80
	v_cmp_eq_u16_e32 vcc, s4, v3
	s_mov_b64 s[4:5], -1
                                        ; implicit-def: $sgpr10
	s_and_saveexec_b64 s[8:9], vcc
; %bb.26354:
	s_mov_b32 s10, 0x7f800001
	s_xor_b64 s[4:5], exec, -1
; %bb.26355:
	s_or_b64 exec, exec, s[8:9]
	s_and_b64 s[4:5], s[4:5], exec
                                        ; implicit-def: $vgpr3
	s_or_saveexec_b64 s[6:7], s[6:7]
	v_mov_b32_e32 v2, s10
	s_xor_b64 exec, exec, s[6:7]
	s_cbranch_execnz .LBB2_26356
; %bb.62193:
	s_getpc_b64 s[14:15]
.Lpost_getpc34680:
	s_add_u32 s14, s14, (.LBB2_12018-.Lpost_getpc34680)&4294967295
	s_addc_u32 s15, s15, (.LBB2_12018-.Lpost_getpc34680)>>32
	s_setpc_b64 s[14:15]
.LBB2_26356:
	v_cmp_ne_u16_e32 vcc, 0, v3
	s_andn2_b64 s[4:5], s[4:5], exec
	s_and_b64 s[8:9], vcc, exec
	v_mov_b32_e32 v2, 0
	s_or_b64 s[4:5], s[4:5], s[8:9]
	s_or_b64 exec, exec, s[6:7]
	s_and_saveexec_b64 s[6:7], s[4:5]
	s_cbranch_execz .LBB2_34681
; %bb.62195:
	s_getpc_b64 s[14:15]
.Lpost_getpc34681:
	s_add_u32 s14, s14, (.LBB2_12019-.Lpost_getpc34681)&4294967295
	s_addc_u32 s15, s15, (.LBB2_12019-.Lpost_getpc34681)>>32
	s_setpc_b64 s[14:15]
.LBB2_34681:
	s_getpc_b64 s[14:15]
.Lpost_getpc20924:
	s_add_u32 s14, s14, (.LBB2_12020-.Lpost_getpc20924)&4294967295
	s_addc_u32 s15, s15, (.LBB2_12020-.Lpost_getpc20924)>>32
	s_setpc_b64 s[14:15]
.LBB2_26357:
	s_movk_i32 s4, 0x80
	v_cmp_eq_u16_e32 vcc, s4, v3
	s_mov_b64 s[4:5], -1
                                        ; implicit-def: $sgpr10
	s_and_saveexec_b64 s[8:9], vcc
; %bb.26358:
	s_mov_b32 s10, 0x7f800001
	s_xor_b64 s[4:5], exec, -1
; %bb.26359:
	s_or_b64 exec, exec, s[8:9]
	s_and_b64 s[4:5], s[4:5], exec
                                        ; implicit-def: $vgpr3
	s_or_saveexec_b64 s[6:7], s[6:7]
	v_mov_b32_e32 v4, s10
	s_xor_b64 exec, exec, s[6:7]
	s_cbranch_execnz .LBB2_26360
; %bb.62197:
	s_getpc_b64 s[14:15]
.Lpost_getpc34682:
	s_add_u32 s14, s14, (.LBB2_12022-.Lpost_getpc34682)&4294967295
	s_addc_u32 s15, s15, (.LBB2_12022-.Lpost_getpc34682)>>32
	s_setpc_b64 s[14:15]
.LBB2_26360:
	v_cmp_ne_u16_e32 vcc, 0, v3
	s_andn2_b64 s[4:5], s[4:5], exec
	s_and_b64 s[8:9], vcc, exec
	v_mov_b32_e32 v4, 0
	s_or_b64 s[4:5], s[4:5], s[8:9]
	s_or_b64 exec, exec, s[6:7]
	s_and_saveexec_b64 s[6:7], s[4:5]
	s_cbranch_execz .LBB2_34683
; %bb.62199:
	s_getpc_b64 s[14:15]
.Lpost_getpc34683:
	s_add_u32 s14, s14, (.LBB2_12023-.Lpost_getpc34683)&4294967295
	s_addc_u32 s15, s15, (.LBB2_12023-.Lpost_getpc34683)>>32
	s_setpc_b64 s[14:15]
.LBB2_34683:
	s_getpc_b64 s[14:15]
.Lpost_getpc20925:
	s_add_u32 s14, s14, (.LBB2_12024-.Lpost_getpc20925)&4294967295
	s_addc_u32 s15, s15, (.LBB2_12024-.Lpost_getpc20925)>>32
	s_setpc_b64 s[14:15]
.LBB2_26361:
	s_movk_i32 s4, 0x80
	v_cmp_eq_u16_sdwa s[12:13], v9, s4 src0_sel:BYTE_3 src1_sel:DWORD
	s_mov_b64 s[4:5], -1
                                        ; implicit-def: $sgpr10
	s_and_saveexec_b64 s[8:9], s[12:13]
; %bb.26362:
	s_mov_b32 s10, 0x7f800001
	s_xor_b64 s[4:5], exec, -1
; %bb.26363:
	s_or_b64 exec, exec, s[8:9]
	s_and_b64 s[4:5], s[4:5], exec
	s_or_saveexec_b64 s[6:7], s[6:7]
	v_mov_b32_e32 v2, s10
	s_xor_b64 exec, exec, s[6:7]
	s_cbranch_execnz .LBB2_26364
; %bb.62201:
	s_getpc_b64 s[14:15]
.Lpost_getpc34684:
	s_add_u32 s14, s14, (.LBB2_12026-.Lpost_getpc34684)&4294967295
	s_addc_u32 s15, s15, (.LBB2_12026-.Lpost_getpc34684)>>32
	s_setpc_b64 s[14:15]
.LBB2_26364:
	v_mov_b32_e32 v2, 0
	v_cmp_ne_u16_sdwa s[8:9], v9, v2 src0_sel:BYTE_3 src1_sel:DWORD
	s_andn2_b64 s[4:5], s[4:5], exec
	s_and_b64 s[8:9], s[8:9], exec
	s_or_b64 s[4:5], s[4:5], s[8:9]
	s_or_b64 exec, exec, s[6:7]
	s_and_saveexec_b64 s[6:7], s[4:5]
	s_cbranch_execz .LBB2_34685
; %bb.62203:
	s_getpc_b64 s[14:15]
.Lpost_getpc34685:
	s_add_u32 s14, s14, (.LBB2_12027-.Lpost_getpc34685)&4294967295
	s_addc_u32 s15, s15, (.LBB2_12027-.Lpost_getpc34685)>>32
	s_setpc_b64 s[14:15]
.LBB2_34685:
	s_getpc_b64 s[14:15]
.Lpost_getpc20926:
	s_add_u32 s14, s14, (.LBB2_12028-.Lpost_getpc20926)&4294967295
	s_addc_u32 s15, s15, (.LBB2_12028-.Lpost_getpc20926)>>32
	s_setpc_b64 s[14:15]
.LBB2_26365:
	s_movk_i32 s4, 0x80
	v_cmp_eq_u16_sdwa s[12:13], v5, s4 src0_sel:BYTE_3 src1_sel:DWORD
	s_mov_b64 s[4:5], -1
                                        ; implicit-def: $sgpr10
	s_and_saveexec_b64 s[8:9], s[12:13]
; %bb.26366:
	s_mov_b32 s10, 0x7f800001
	s_xor_b64 s[4:5], exec, -1
; %bb.26367:
	s_or_b64 exec, exec, s[8:9]
	s_and_b64 s[4:5], s[4:5], exec
	s_or_saveexec_b64 s[6:7], s[6:7]
	v_mov_b32_e32 v3, s10
	s_xor_b64 exec, exec, s[6:7]
	s_cbranch_execnz .LBB2_26368
; %bb.62205:
	s_getpc_b64 s[14:15]
.Lpost_getpc34686:
	s_add_u32 s14, s14, (.LBB2_12030-.Lpost_getpc34686)&4294967295
	s_addc_u32 s15, s15, (.LBB2_12030-.Lpost_getpc34686)>>32
	s_setpc_b64 s[14:15]
.LBB2_26368:
	v_mov_b32_e32 v3, 0
	v_cmp_ne_u16_sdwa s[8:9], v5, v3 src0_sel:BYTE_3 src1_sel:DWORD
	s_andn2_b64 s[4:5], s[4:5], exec
	s_and_b64 s[8:9], s[8:9], exec
	s_or_b64 s[4:5], s[4:5], s[8:9]
	s_or_b64 exec, exec, s[6:7]
	s_and_saveexec_b64 s[6:7], s[4:5]
	s_cbranch_execz .LBB2_34687
; %bb.62207:
	s_getpc_b64 s[14:15]
.Lpost_getpc34687:
	s_add_u32 s14, s14, (.LBB2_12031-.Lpost_getpc34687)&4294967295
	s_addc_u32 s15, s15, (.LBB2_12031-.Lpost_getpc34687)>>32
	s_setpc_b64 s[14:15]
.LBB2_34687:
	s_getpc_b64 s[14:15]
.Lpost_getpc20927:
	s_add_u32 s14, s14, (.LBB2_12032-.Lpost_getpc20927)&4294967295
	s_addc_u32 s15, s15, (.LBB2_12032-.Lpost_getpc20927)>>32
	s_setpc_b64 s[14:15]
.LBB2_26369:
	s_movk_i32 s4, 0x80
	v_cmp_eq_u16_sdwa s[12:13], v6, s4 src0_sel:BYTE_0 src1_sel:DWORD
	s_mov_b64 s[4:5], -1
                                        ; implicit-def: $sgpr10
	s_and_saveexec_b64 s[8:9], s[12:13]
; %bb.26370:
	s_mov_b32 s10, 0x7f800001
	s_xor_b64 s[4:5], exec, -1
; %bb.26371:
	s_or_b64 exec, exec, s[8:9]
	s_and_b64 s[4:5], s[4:5], exec
	s_or_saveexec_b64 s[6:7], s[6:7]
	v_mov_b32_e32 v12, s10
	s_xor_b64 exec, exec, s[6:7]
	s_cbranch_execnz .LBB2_26372
; %bb.62209:
	s_getpc_b64 s[14:15]
.Lpost_getpc34688:
	s_add_u32 s14, s14, (.LBB2_12034-.Lpost_getpc34688)&4294967295
	s_addc_u32 s15, s15, (.LBB2_12034-.Lpost_getpc34688)>>32
	s_setpc_b64 s[14:15]
.LBB2_26372:
	v_mov_b32_e32 v12, 0
	v_cmp_ne_u16_sdwa s[8:9], v6, v12 src0_sel:BYTE_0 src1_sel:DWORD
	s_andn2_b64 s[4:5], s[4:5], exec
	s_and_b64 s[8:9], s[8:9], exec
	s_or_b64 s[4:5], s[4:5], s[8:9]
	s_or_b64 exec, exec, s[6:7]
	s_and_saveexec_b64 s[6:7], s[4:5]
	s_cbranch_execz .LBB2_34689
; %bb.62211:
	s_getpc_b64 s[14:15]
.Lpost_getpc34689:
	s_add_u32 s14, s14, (.LBB2_12035-.Lpost_getpc34689)&4294967295
	s_addc_u32 s15, s15, (.LBB2_12035-.Lpost_getpc34689)>>32
	s_setpc_b64 s[14:15]
.LBB2_34689:
	s_getpc_b64 s[14:15]
.Lpost_getpc20928:
	s_add_u32 s14, s14, (.LBB2_12036-.Lpost_getpc20928)&4294967295
	s_addc_u32 s15, s15, (.LBB2_12036-.Lpost_getpc20928)>>32
	s_setpc_b64 s[14:15]
.LBB2_26373:
	s_movk_i32 s4, 0x80
	v_cmp_eq_u16_sdwa s[12:13], v2, s4 src0_sel:BYTE_0 src1_sel:DWORD
	s_mov_b64 s[4:5], -1
                                        ; implicit-def: $sgpr10
	s_and_saveexec_b64 s[8:9], s[12:13]
; %bb.26374:
	s_mov_b32 s10, 0x7f800001
	s_xor_b64 s[4:5], exec, -1
; %bb.26375:
	s_or_b64 exec, exec, s[8:9]
	s_and_b64 s[4:5], s[4:5], exec
	s_or_saveexec_b64 s[6:7], s[6:7]
	v_mov_b32_e32 v13, s10
	s_xor_b64 exec, exec, s[6:7]
	s_cbranch_execnz .LBB2_26376
; %bb.62213:
	s_getpc_b64 s[14:15]
.Lpost_getpc34690:
	s_add_u32 s14, s14, (.LBB2_12038-.Lpost_getpc34690)&4294967295
	s_addc_u32 s15, s15, (.LBB2_12038-.Lpost_getpc34690)>>32
	s_setpc_b64 s[14:15]
.LBB2_26376:
	v_mov_b32_e32 v13, 0
	v_cmp_ne_u16_sdwa s[8:9], v2, v13 src0_sel:BYTE_0 src1_sel:DWORD
	s_andn2_b64 s[4:5], s[4:5], exec
	s_and_b64 s[8:9], s[8:9], exec
	s_or_b64 s[4:5], s[4:5], s[8:9]
	s_or_b64 exec, exec, s[6:7]
	s_and_saveexec_b64 s[6:7], s[4:5]
	s_cbranch_execz .LBB2_34691
; %bb.62215:
	s_getpc_b64 s[14:15]
.Lpost_getpc34691:
	s_add_u32 s14, s14, (.LBB2_12039-.Lpost_getpc34691)&4294967295
	s_addc_u32 s15, s15, (.LBB2_12039-.Lpost_getpc34691)>>32
	s_setpc_b64 s[14:15]
.LBB2_34691:
	s_getpc_b64 s[14:15]
.Lpost_getpc20929:
	s_add_u32 s14, s14, (.LBB2_12040-.Lpost_getpc20929)&4294967295
	s_addc_u32 s15, s15, (.LBB2_12040-.Lpost_getpc20929)>>32
	s_setpc_b64 s[14:15]
.LBB2_26377:
	s_movk_i32 s4, 0x80
	v_cmp_eq_u16_sdwa s[12:13], v13, s4 src0_sel:BYTE_0 src1_sel:DWORD
	s_mov_b64 s[4:5], -1
                                        ; implicit-def: $sgpr10
	s_and_saveexec_b64 s[8:9], s[12:13]
; %bb.26378:
	s_mov_b32 s10, 0x7f800001
	s_xor_b64 s[4:5], exec, -1
; %bb.26379:
	s_or_b64 exec, exec, s[8:9]
	s_and_b64 s[4:5], s[4:5], exec
	s_or_saveexec_b64 s[6:7], s[6:7]
	v_mov_b32_e32 v12, s10
	s_xor_b64 exec, exec, s[6:7]
	s_cbranch_execnz .LBB2_26380
; %bb.62217:
	s_getpc_b64 s[14:15]
.Lpost_getpc34692:
	s_add_u32 s14, s14, (.LBB2_12042-.Lpost_getpc34692)&4294967295
	s_addc_u32 s15, s15, (.LBB2_12042-.Lpost_getpc34692)>>32
	s_setpc_b64 s[14:15]
.LBB2_26380:
	v_mov_b32_e32 v12, 0
	v_cmp_ne_u16_sdwa s[8:9], v13, v12 src0_sel:BYTE_0 src1_sel:DWORD
	s_andn2_b64 s[4:5], s[4:5], exec
	s_and_b64 s[8:9], s[8:9], exec
	s_or_b64 s[4:5], s[4:5], s[8:9]
	s_or_b64 exec, exec, s[6:7]
	s_and_saveexec_b64 s[6:7], s[4:5]
	s_cbranch_execz .LBB2_34693
; %bb.62219:
	s_getpc_b64 s[14:15]
.Lpost_getpc34693:
	s_add_u32 s14, s14, (.LBB2_12043-.Lpost_getpc34693)&4294967295
	s_addc_u32 s15, s15, (.LBB2_12043-.Lpost_getpc34693)>>32
	s_setpc_b64 s[14:15]
.LBB2_34693:
	s_getpc_b64 s[14:15]
.Lpost_getpc20930:
	s_add_u32 s14, s14, (.LBB2_12044-.Lpost_getpc20930)&4294967295
	s_addc_u32 s15, s15, (.LBB2_12044-.Lpost_getpc20930)>>32
	s_setpc_b64 s[14:15]
.LBB2_26381:
	s_movk_i32 s4, 0x80
	v_cmp_eq_u16_sdwa s[12:13], v13, s4 src0_sel:BYTE_0 src1_sel:DWORD
	s_mov_b64 s[4:5], -1
                                        ; implicit-def: $sgpr10
	s_and_saveexec_b64 s[8:9], s[12:13]
; %bb.26382:
	s_mov_b32 s10, 0x7f800001
	s_xor_b64 s[4:5], exec, -1
; %bb.26383:
	s_or_b64 exec, exec, s[8:9]
	s_and_b64 s[4:5], s[4:5], exec
	s_or_saveexec_b64 s[6:7], s[6:7]
	v_mov_b32_e32 v14, s10
	s_xor_b64 exec, exec, s[6:7]
	s_cbranch_execnz .LBB2_26384
; %bb.62221:
	s_getpc_b64 s[14:15]
.Lpost_getpc34694:
	s_add_u32 s14, s14, (.LBB2_12046-.Lpost_getpc34694)&4294967295
	s_addc_u32 s15, s15, (.LBB2_12046-.Lpost_getpc34694)>>32
	s_setpc_b64 s[14:15]
.LBB2_26384:
	v_mov_b32_e32 v14, 0
	v_cmp_ne_u16_sdwa s[8:9], v13, v14 src0_sel:BYTE_0 src1_sel:DWORD
	s_andn2_b64 s[4:5], s[4:5], exec
	s_and_b64 s[8:9], s[8:9], exec
	s_or_b64 s[4:5], s[4:5], s[8:9]
	s_or_b64 exec, exec, s[6:7]
	s_and_saveexec_b64 s[6:7], s[4:5]
	s_cbranch_execz .LBB2_34695
; %bb.62223:
	s_getpc_b64 s[14:15]
.Lpost_getpc34695:
	s_add_u32 s14, s14, (.LBB2_12047-.Lpost_getpc34695)&4294967295
	s_addc_u32 s15, s15, (.LBB2_12047-.Lpost_getpc34695)>>32
	s_setpc_b64 s[14:15]
.LBB2_34695:
	s_getpc_b64 s[14:15]
.Lpost_getpc20931:
	s_add_u32 s14, s14, (.LBB2_12048-.Lpost_getpc20931)&4294967295
	s_addc_u32 s15, s15, (.LBB2_12048-.Lpost_getpc20931)>>32
	s_setpc_b64 s[14:15]
.LBB2_26385:
	s_movk_i32 s4, 0x80
	v_cmp_eq_u16_e32 vcc, s4, v13
	s_mov_b64 s[4:5], -1
                                        ; implicit-def: $sgpr10
	s_and_saveexec_b64 s[8:9], vcc
; %bb.26386:
	s_mov_b32 s10, 0x7f800001
	s_xor_b64 s[4:5], exec, -1
; %bb.26387:
	s_or_b64 exec, exec, s[8:9]
	s_and_b64 s[4:5], s[4:5], exec
                                        ; implicit-def: $vgpr13
	s_or_saveexec_b64 s[6:7], s[6:7]
	v_mov_b32_e32 v12, s10
	s_xor_b64 exec, exec, s[6:7]
	s_cbranch_execnz .LBB2_26388
; %bb.62225:
	s_getpc_b64 s[14:15]
.Lpost_getpc34696:
	s_add_u32 s14, s14, (.LBB2_12050-.Lpost_getpc34696)&4294967295
	s_addc_u32 s15, s15, (.LBB2_12050-.Lpost_getpc34696)>>32
	s_setpc_b64 s[14:15]
.LBB2_26388:
	v_cmp_ne_u16_e32 vcc, 0, v13
	s_andn2_b64 s[4:5], s[4:5], exec
	s_and_b64 s[8:9], vcc, exec
	v_mov_b32_e32 v12, 0
	s_or_b64 s[4:5], s[4:5], s[8:9]
	s_or_b64 exec, exec, s[6:7]
	s_and_saveexec_b64 s[6:7], s[4:5]
	s_cbranch_execz .LBB2_34697
; %bb.62227:
	s_getpc_b64 s[14:15]
.Lpost_getpc34697:
	s_add_u32 s14, s14, (.LBB2_12051-.Lpost_getpc34697)&4294967295
	s_addc_u32 s15, s15, (.LBB2_12051-.Lpost_getpc34697)>>32
	s_setpc_b64 s[14:15]
.LBB2_34697:
	s_getpc_b64 s[14:15]
.Lpost_getpc20932:
	s_add_u32 s14, s14, (.LBB2_12052-.Lpost_getpc20932)&4294967295
	s_addc_u32 s15, s15, (.LBB2_12052-.Lpost_getpc20932)>>32
	s_setpc_b64 s[14:15]
.LBB2_26389:
	s_movk_i32 s4, 0x80
	v_cmp_eq_u16_e32 vcc, s4, v13
	s_mov_b64 s[4:5], -1
                                        ; implicit-def: $sgpr10
	s_and_saveexec_b64 s[8:9], vcc
; %bb.26390:
	s_mov_b32 s10, 0x7f800001
	s_xor_b64 s[4:5], exec, -1
; %bb.26391:
	s_or_b64 exec, exec, s[8:9]
	s_and_b64 s[4:5], s[4:5], exec
                                        ; implicit-def: $vgpr13
	s_or_saveexec_b64 s[6:7], s[6:7]
	v_mov_b32_e32 v14, s10
	s_xor_b64 exec, exec, s[6:7]
	s_cbranch_execnz .LBB2_26392
; %bb.62229:
	s_getpc_b64 s[14:15]
.Lpost_getpc34698:
	s_add_u32 s14, s14, (.LBB2_12054-.Lpost_getpc34698)&4294967295
	s_addc_u32 s15, s15, (.LBB2_12054-.Lpost_getpc34698)>>32
	s_setpc_b64 s[14:15]
.LBB2_26392:
	v_cmp_ne_u16_e32 vcc, 0, v13
	s_andn2_b64 s[4:5], s[4:5], exec
	s_and_b64 s[8:9], vcc, exec
	v_mov_b32_e32 v14, 0
	s_or_b64 s[4:5], s[4:5], s[8:9]
	s_or_b64 exec, exec, s[6:7]
	s_and_saveexec_b64 s[6:7], s[4:5]
	s_cbranch_execz .LBB2_34699
; %bb.62231:
	s_getpc_b64 s[14:15]
.Lpost_getpc34699:
	s_add_u32 s14, s14, (.LBB2_12055-.Lpost_getpc34699)&4294967295
	s_addc_u32 s15, s15, (.LBB2_12055-.Lpost_getpc34699)>>32
	s_setpc_b64 s[14:15]
.LBB2_34699:
	s_getpc_b64 s[14:15]
.Lpost_getpc20933:
	s_add_u32 s14, s14, (.LBB2_12056-.Lpost_getpc20933)&4294967295
	s_addc_u32 s15, s15, (.LBB2_12056-.Lpost_getpc20933)>>32
	s_setpc_b64 s[14:15]
.LBB2_26393:
	s_movk_i32 s4, 0x80
	v_cmp_eq_u16_sdwa s[12:13], v6, s4 src0_sel:BYTE_3 src1_sel:DWORD
	s_mov_b64 s[4:5], -1
                                        ; implicit-def: $sgpr10
	s_and_saveexec_b64 s[8:9], s[12:13]
; %bb.26394:
	s_mov_b32 s10, 0x7f800001
	s_xor_b64 s[4:5], exec, -1
; %bb.26395:
	s_or_b64 exec, exec, s[8:9]
	s_and_b64 s[4:5], s[4:5], exec
	s_or_saveexec_b64 s[6:7], s[6:7]
	v_mov_b32_e32 v12, s10
	s_xor_b64 exec, exec, s[6:7]
	s_cbranch_execnz .LBB2_26396
; %bb.62233:
	s_getpc_b64 s[14:15]
.Lpost_getpc34700:
	s_add_u32 s14, s14, (.LBB2_12058-.Lpost_getpc34700)&4294967295
	s_addc_u32 s15, s15, (.LBB2_12058-.Lpost_getpc34700)>>32
	s_setpc_b64 s[14:15]
.LBB2_26396:
	v_mov_b32_e32 v12, 0
	v_cmp_ne_u16_sdwa s[8:9], v6, v12 src0_sel:BYTE_3 src1_sel:DWORD
	s_andn2_b64 s[4:5], s[4:5], exec
	s_and_b64 s[8:9], s[8:9], exec
	s_or_b64 s[4:5], s[4:5], s[8:9]
	s_or_b64 exec, exec, s[6:7]
	s_and_saveexec_b64 s[6:7], s[4:5]
	s_cbranch_execz .LBB2_34701
; %bb.62235:
	s_getpc_b64 s[14:15]
.Lpost_getpc34701:
	s_add_u32 s14, s14, (.LBB2_12059-.Lpost_getpc34701)&4294967295
	s_addc_u32 s15, s15, (.LBB2_12059-.Lpost_getpc34701)>>32
	s_setpc_b64 s[14:15]
.LBB2_34701:
	s_getpc_b64 s[14:15]
.Lpost_getpc20934:
	s_add_u32 s14, s14, (.LBB2_12060-.Lpost_getpc20934)&4294967295
	s_addc_u32 s15, s15, (.LBB2_12060-.Lpost_getpc20934)>>32
	s_setpc_b64 s[14:15]
.LBB2_26397:
	s_movk_i32 s4, 0x80
	v_cmp_eq_u16_sdwa s[12:13], v2, s4 src0_sel:BYTE_3 src1_sel:DWORD
	s_mov_b64 s[4:5], -1
                                        ; implicit-def: $sgpr10
	s_and_saveexec_b64 s[8:9], s[12:13]
; %bb.26398:
	s_mov_b32 s10, 0x7f800001
	s_xor_b64 s[4:5], exec, -1
; %bb.26399:
	s_or_b64 exec, exec, s[8:9]
	s_and_b64 s[4:5], s[4:5], exec
	s_or_saveexec_b64 s[6:7], s[6:7]
	v_mov_b32_e32 v6, s10
	s_xor_b64 exec, exec, s[6:7]
	s_cbranch_execnz .LBB2_26400
; %bb.62237:
	s_getpc_b64 s[14:15]
.Lpost_getpc34702:
	s_add_u32 s14, s14, (.LBB2_12062-.Lpost_getpc34702)&4294967295
	s_addc_u32 s15, s15, (.LBB2_12062-.Lpost_getpc34702)>>32
	s_setpc_b64 s[14:15]
.LBB2_26400:
	v_mov_b32_e32 v6, 0
	v_cmp_ne_u16_sdwa s[8:9], v2, v6 src0_sel:BYTE_3 src1_sel:DWORD
	s_andn2_b64 s[4:5], s[4:5], exec
	s_and_b64 s[8:9], s[8:9], exec
	s_or_b64 s[4:5], s[4:5], s[8:9]
	s_or_b64 exec, exec, s[6:7]
	s_and_saveexec_b64 s[6:7], s[4:5]
	s_cbranch_execz .LBB2_34703
; %bb.62239:
	s_getpc_b64 s[14:15]
.Lpost_getpc34703:
	s_add_u32 s14, s14, (.LBB2_12063-.Lpost_getpc34703)&4294967295
	s_addc_u32 s15, s15, (.LBB2_12063-.Lpost_getpc34703)>>32
	s_setpc_b64 s[14:15]
.LBB2_34703:
	s_getpc_b64 s[14:15]
.Lpost_getpc20935:
	s_add_u32 s14, s14, (.LBB2_12064-.Lpost_getpc20935)&4294967295
	s_addc_u32 s15, s15, (.LBB2_12064-.Lpost_getpc20935)>>32
	s_setpc_b64 s[14:15]
.LBB2_26401:
	s_movk_i32 s4, 0x80
	v_cmp_eq_u16_sdwa s[12:13], v7, s4 src0_sel:BYTE_0 src1_sel:DWORD
	s_mov_b64 s[4:5], -1
                                        ; implicit-def: $sgpr10
	s_and_saveexec_b64 s[8:9], s[12:13]
; %bb.26402:
	s_mov_b32 s10, 0x7f800001
	s_xor_b64 s[4:5], exec, -1
; %bb.26403:
	s_or_b64 exec, exec, s[8:9]
	s_and_b64 s[4:5], s[4:5], exec
	s_or_saveexec_b64 s[6:7], s[6:7]
	v_mov_b32_e32 v2, s10
	s_xor_b64 exec, exec, s[6:7]
	s_cbranch_execnz .LBB2_26404
; %bb.62241:
	s_getpc_b64 s[14:15]
.Lpost_getpc34704:
	s_add_u32 s14, s14, (.LBB2_12066-.Lpost_getpc34704)&4294967295
	s_addc_u32 s15, s15, (.LBB2_12066-.Lpost_getpc34704)>>32
	s_setpc_b64 s[14:15]
.LBB2_26404:
	v_mov_b32_e32 v2, 0
	v_cmp_ne_u16_sdwa s[8:9], v7, v2 src0_sel:BYTE_0 src1_sel:DWORD
	s_andn2_b64 s[4:5], s[4:5], exec
	s_and_b64 s[8:9], s[8:9], exec
	s_or_b64 s[4:5], s[4:5], s[8:9]
	s_or_b64 exec, exec, s[6:7]
	s_and_saveexec_b64 s[6:7], s[4:5]
	s_cbranch_execz .LBB2_34705
; %bb.62243:
	s_getpc_b64 s[14:15]
.Lpost_getpc34705:
	s_add_u32 s14, s14, (.LBB2_12067-.Lpost_getpc34705)&4294967295
	s_addc_u32 s15, s15, (.LBB2_12067-.Lpost_getpc34705)>>32
	s_setpc_b64 s[14:15]
.LBB2_34705:
	s_getpc_b64 s[14:15]
.Lpost_getpc20936:
	s_add_u32 s14, s14, (.LBB2_12068-.Lpost_getpc20936)&4294967295
	s_addc_u32 s15, s15, (.LBB2_12068-.Lpost_getpc20936)>>32
	s_setpc_b64 s[14:15]
.LBB2_26405:
	s_movk_i32 s4, 0x80
	v_cmp_eq_u16_sdwa s[12:13], v3, s4 src0_sel:BYTE_0 src1_sel:DWORD
	s_mov_b64 s[4:5], -1
                                        ; implicit-def: $sgpr10
	s_and_saveexec_b64 s[8:9], s[12:13]
; %bb.26406:
	s_mov_b32 s10, 0x7f800001
	s_xor_b64 s[4:5], exec, -1
; %bb.26407:
	s_or_b64 exec, exec, s[8:9]
	s_and_b64 s[4:5], s[4:5], exec
	s_or_saveexec_b64 s[6:7], s[6:7]
	v_mov_b32_e32 v6, s10
	s_xor_b64 exec, exec, s[6:7]
	s_cbranch_execnz .LBB2_26408
; %bb.62245:
	s_getpc_b64 s[14:15]
.Lpost_getpc34706:
	s_add_u32 s14, s14, (.LBB2_12070-.Lpost_getpc34706)&4294967295
	s_addc_u32 s15, s15, (.LBB2_12070-.Lpost_getpc34706)>>32
	s_setpc_b64 s[14:15]
.LBB2_26408:
	v_mov_b32_e32 v6, 0
	v_cmp_ne_u16_sdwa s[8:9], v3, v6 src0_sel:BYTE_0 src1_sel:DWORD
	s_andn2_b64 s[4:5], s[4:5], exec
	s_and_b64 s[8:9], s[8:9], exec
	s_or_b64 s[4:5], s[4:5], s[8:9]
	s_or_b64 exec, exec, s[6:7]
	s_and_saveexec_b64 s[6:7], s[4:5]
	s_cbranch_execz .LBB2_34707
; %bb.62247:
	s_getpc_b64 s[14:15]
.Lpost_getpc34707:
	s_add_u32 s14, s14, (.LBB2_12071-.Lpost_getpc34707)&4294967295
	s_addc_u32 s15, s15, (.LBB2_12071-.Lpost_getpc34707)>>32
	s_setpc_b64 s[14:15]
.LBB2_34707:
	s_getpc_b64 s[14:15]
.Lpost_getpc20937:
	s_add_u32 s14, s14, (.LBB2_12072-.Lpost_getpc20937)&4294967295
	s_addc_u32 s15, s15, (.LBB2_12072-.Lpost_getpc20937)>>32
	s_setpc_b64 s[14:15]
.LBB2_26409:
	s_movk_i32 s4, 0x80
	v_cmp_eq_u16_sdwa s[12:13], v6, s4 src0_sel:BYTE_0 src1_sel:DWORD
	s_mov_b64 s[4:5], -1
                                        ; implicit-def: $sgpr10
	s_and_saveexec_b64 s[8:9], s[12:13]
; %bb.26410:
	s_mov_b32 s10, 0x7f800001
	s_xor_b64 s[4:5], exec, -1
; %bb.26411:
	s_or_b64 exec, exec, s[8:9]
	s_and_b64 s[4:5], s[4:5], exec
	s_or_saveexec_b64 s[6:7], s[6:7]
	v_mov_b32_e32 v2, s10
	s_xor_b64 exec, exec, s[6:7]
	s_cbranch_execnz .LBB2_26412
; %bb.62249:
	s_getpc_b64 s[14:15]
.Lpost_getpc34708:
	s_add_u32 s14, s14, (.LBB2_12074-.Lpost_getpc34708)&4294967295
	s_addc_u32 s15, s15, (.LBB2_12074-.Lpost_getpc34708)>>32
	s_setpc_b64 s[14:15]
.LBB2_26412:
	v_mov_b32_e32 v2, 0
	v_cmp_ne_u16_sdwa s[8:9], v6, v2 src0_sel:BYTE_0 src1_sel:DWORD
	s_andn2_b64 s[4:5], s[4:5], exec
	s_and_b64 s[8:9], s[8:9], exec
	s_or_b64 s[4:5], s[4:5], s[8:9]
	s_or_b64 exec, exec, s[6:7]
	s_and_saveexec_b64 s[6:7], s[4:5]
	s_cbranch_execz .LBB2_34709
; %bb.62251:
	s_getpc_b64 s[14:15]
.Lpost_getpc34709:
	s_add_u32 s14, s14, (.LBB2_12075-.Lpost_getpc34709)&4294967295
	s_addc_u32 s15, s15, (.LBB2_12075-.Lpost_getpc34709)>>32
	s_setpc_b64 s[14:15]
.LBB2_34709:
	s_getpc_b64 s[14:15]
.Lpost_getpc20938:
	s_add_u32 s14, s14, (.LBB2_12076-.Lpost_getpc20938)&4294967295
	s_addc_u32 s15, s15, (.LBB2_12076-.Lpost_getpc20938)>>32
	s_setpc_b64 s[14:15]
.LBB2_26413:
	s_movk_i32 s4, 0x80
	v_cmp_eq_u16_sdwa s[12:13], v6, s4 src0_sel:BYTE_0 src1_sel:DWORD
	s_mov_b64 s[4:5], -1
                                        ; implicit-def: $sgpr10
	s_and_saveexec_b64 s[8:9], s[12:13]
; %bb.26414:
	s_mov_b32 s10, 0x7f800001
	s_xor_b64 s[4:5], exec, -1
; %bb.26415:
	s_or_b64 exec, exec, s[8:9]
	s_and_b64 s[4:5], s[4:5], exec
	s_or_saveexec_b64 s[6:7], s[6:7]
	v_mov_b32_e32 v12, s10
	s_xor_b64 exec, exec, s[6:7]
	s_cbranch_execnz .LBB2_26416
; %bb.62253:
	s_getpc_b64 s[14:15]
.Lpost_getpc34710:
	s_add_u32 s14, s14, (.LBB2_12078-.Lpost_getpc34710)&4294967295
	s_addc_u32 s15, s15, (.LBB2_12078-.Lpost_getpc34710)>>32
	s_setpc_b64 s[14:15]
.LBB2_26416:
	v_mov_b32_e32 v12, 0
	v_cmp_ne_u16_sdwa s[8:9], v6, v12 src0_sel:BYTE_0 src1_sel:DWORD
	s_andn2_b64 s[4:5], s[4:5], exec
	s_and_b64 s[8:9], s[8:9], exec
	s_or_b64 s[4:5], s[4:5], s[8:9]
	s_or_b64 exec, exec, s[6:7]
	s_and_saveexec_b64 s[6:7], s[4:5]
	s_cbranch_execz .LBB2_34711
; %bb.62255:
	s_getpc_b64 s[14:15]
.Lpost_getpc34711:
	s_add_u32 s14, s14, (.LBB2_12079-.Lpost_getpc34711)&4294967295
	s_addc_u32 s15, s15, (.LBB2_12079-.Lpost_getpc34711)>>32
	s_setpc_b64 s[14:15]
.LBB2_34711:
	s_getpc_b64 s[14:15]
.Lpost_getpc20939:
	s_add_u32 s14, s14, (.LBB2_12080-.Lpost_getpc20939)&4294967295
	s_addc_u32 s15, s15, (.LBB2_12080-.Lpost_getpc20939)>>32
	s_setpc_b64 s[14:15]
.LBB2_26417:
	s_movk_i32 s4, 0x80
	v_cmp_eq_u16_e32 vcc, s4, v6
	s_mov_b64 s[4:5], -1
                                        ; implicit-def: $sgpr10
	s_and_saveexec_b64 s[8:9], vcc
; %bb.26418:
	s_mov_b32 s10, 0x7f800001
	s_xor_b64 s[4:5], exec, -1
; %bb.26419:
	s_or_b64 exec, exec, s[8:9]
	s_and_b64 s[4:5], s[4:5], exec
                                        ; implicit-def: $vgpr6
	s_or_saveexec_b64 s[6:7], s[6:7]
	v_mov_b32_e32 v2, s10
	s_xor_b64 exec, exec, s[6:7]
	s_cbranch_execnz .LBB2_26420
; %bb.62257:
	s_getpc_b64 s[14:15]
.Lpost_getpc34712:
	s_add_u32 s14, s14, (.LBB2_12082-.Lpost_getpc34712)&4294967295
	s_addc_u32 s15, s15, (.LBB2_12082-.Lpost_getpc34712)>>32
	s_setpc_b64 s[14:15]
.LBB2_26420:
	v_cmp_ne_u16_e32 vcc, 0, v6
	s_andn2_b64 s[4:5], s[4:5], exec
	s_and_b64 s[8:9], vcc, exec
	v_mov_b32_e32 v2, 0
	s_or_b64 s[4:5], s[4:5], s[8:9]
	s_or_b64 exec, exec, s[6:7]
	s_and_saveexec_b64 s[6:7], s[4:5]
	s_cbranch_execz .LBB2_34713
; %bb.62259:
	s_getpc_b64 s[14:15]
.Lpost_getpc34713:
	s_add_u32 s14, s14, (.LBB2_12083-.Lpost_getpc34713)&4294967295
	s_addc_u32 s15, s15, (.LBB2_12083-.Lpost_getpc34713)>>32
	s_setpc_b64 s[14:15]
.LBB2_34713:
	s_getpc_b64 s[14:15]
.Lpost_getpc20940:
	s_add_u32 s14, s14, (.LBB2_12084-.Lpost_getpc20940)&4294967295
	s_addc_u32 s15, s15, (.LBB2_12084-.Lpost_getpc20940)>>32
	s_setpc_b64 s[14:15]
.LBB2_26421:
	s_movk_i32 s4, 0x80
	v_cmp_eq_u16_e32 vcc, s4, v6
	s_mov_b64 s[4:5], -1
                                        ; implicit-def: $sgpr10
	s_and_saveexec_b64 s[8:9], vcc
; %bb.26422:
	s_mov_b32 s10, 0x7f800001
	s_xor_b64 s[4:5], exec, -1
; %bb.26423:
	s_or_b64 exec, exec, s[8:9]
	s_and_b64 s[4:5], s[4:5], exec
                                        ; implicit-def: $vgpr6
	s_or_saveexec_b64 s[6:7], s[6:7]
	v_mov_b32_e32 v12, s10
	s_xor_b64 exec, exec, s[6:7]
	s_cbranch_execnz .LBB2_26424
; %bb.62261:
	s_getpc_b64 s[14:15]
.Lpost_getpc34714:
	s_add_u32 s14, s14, (.LBB2_12086-.Lpost_getpc34714)&4294967295
	s_addc_u32 s15, s15, (.LBB2_12086-.Lpost_getpc34714)>>32
	s_setpc_b64 s[14:15]
.LBB2_26424:
	v_cmp_ne_u16_e32 vcc, 0, v6
	s_andn2_b64 s[4:5], s[4:5], exec
	s_and_b64 s[8:9], vcc, exec
	v_mov_b32_e32 v12, 0
	s_or_b64 s[4:5], s[4:5], s[8:9]
	s_or_b64 exec, exec, s[6:7]
	s_and_saveexec_b64 s[6:7], s[4:5]
	s_cbranch_execz .LBB2_34715
; %bb.62263:
	s_getpc_b64 s[14:15]
.Lpost_getpc34715:
	s_add_u32 s14, s14, (.LBB2_12087-.Lpost_getpc34715)&4294967295
	s_addc_u32 s15, s15, (.LBB2_12087-.Lpost_getpc34715)>>32
	s_setpc_b64 s[14:15]
.LBB2_34715:
	s_getpc_b64 s[14:15]
.Lpost_getpc20941:
	s_add_u32 s14, s14, (.LBB2_12088-.Lpost_getpc20941)&4294967295
	s_addc_u32 s15, s15, (.LBB2_12088-.Lpost_getpc20941)>>32
	s_setpc_b64 s[14:15]
.LBB2_26425:
	s_movk_i32 s4, 0x80
	v_cmp_eq_u16_sdwa s[12:13], v7, s4 src0_sel:BYTE_3 src1_sel:DWORD
	s_mov_b64 s[4:5], -1
                                        ; implicit-def: $sgpr10
	s_and_saveexec_b64 s[8:9], s[12:13]
; %bb.26426:
	s_mov_b32 s10, 0x7f800001
	s_xor_b64 s[4:5], exec, -1
; %bb.26427:
	s_or_b64 exec, exec, s[8:9]
	s_and_b64 s[4:5], s[4:5], exec
	s_or_saveexec_b64 s[6:7], s[6:7]
	v_mov_b32_e32 v2, s10
	s_xor_b64 exec, exec, s[6:7]
	s_cbranch_execnz .LBB2_26428
; %bb.62265:
	s_getpc_b64 s[14:15]
.Lpost_getpc34716:
	s_add_u32 s14, s14, (.LBB2_12090-.Lpost_getpc34716)&4294967295
	s_addc_u32 s15, s15, (.LBB2_12090-.Lpost_getpc34716)>>32
	s_setpc_b64 s[14:15]
.LBB2_26428:
	v_mov_b32_e32 v2, 0
	v_cmp_ne_u16_sdwa s[8:9], v7, v2 src0_sel:BYTE_3 src1_sel:DWORD
	s_andn2_b64 s[4:5], s[4:5], exec
	s_and_b64 s[8:9], s[8:9], exec
	s_or_b64 s[4:5], s[4:5], s[8:9]
	s_or_b64 exec, exec, s[6:7]
	s_and_saveexec_b64 s[6:7], s[4:5]
	s_cbranch_execz .LBB2_34717
; %bb.62267:
	s_getpc_b64 s[14:15]
.Lpost_getpc34717:
	s_add_u32 s14, s14, (.LBB2_12091-.Lpost_getpc34717)&4294967295
	s_addc_u32 s15, s15, (.LBB2_12091-.Lpost_getpc34717)>>32
	s_setpc_b64 s[14:15]
.LBB2_34717:
	s_getpc_b64 s[14:15]
.Lpost_getpc20942:
	s_add_u32 s14, s14, (.LBB2_12092-.Lpost_getpc20942)&4294967295
	s_addc_u32 s15, s15, (.LBB2_12092-.Lpost_getpc20942)>>32
	s_setpc_b64 s[14:15]
.LBB2_26429:
	s_movk_i32 s4, 0x80
	v_cmp_eq_u16_sdwa s[12:13], v3, s4 src0_sel:BYTE_3 src1_sel:DWORD
	s_mov_b64 s[4:5], -1
                                        ; implicit-def: $sgpr10
	s_and_saveexec_b64 s[8:9], s[12:13]
; %bb.26430:
	s_mov_b32 s10, 0x7f800001
	s_xor_b64 s[4:5], exec, -1
; %bb.26431:
	s_or_b64 exec, exec, s[8:9]
	s_and_b64 s[4:5], s[4:5], exec
	s_or_saveexec_b64 s[6:7], s[6:7]
	v_mov_b32_e32 v6, s10
	s_xor_b64 exec, exec, s[6:7]
	s_cbranch_execnz .LBB2_26432
; %bb.62269:
	s_getpc_b64 s[14:15]
.Lpost_getpc34718:
	s_add_u32 s14, s14, (.LBB2_12094-.Lpost_getpc34718)&4294967295
	s_addc_u32 s15, s15, (.LBB2_12094-.Lpost_getpc34718)>>32
	s_setpc_b64 s[14:15]
.LBB2_26432:
	v_mov_b32_e32 v6, 0
	v_cmp_ne_u16_sdwa s[8:9], v3, v6 src0_sel:BYTE_3 src1_sel:DWORD
	s_andn2_b64 s[4:5], s[4:5], exec
	s_and_b64 s[8:9], s[8:9], exec
	s_or_b64 s[4:5], s[4:5], s[8:9]
	s_or_b64 exec, exec, s[6:7]
	s_and_saveexec_b64 s[6:7], s[4:5]
	s_cbranch_execz .LBB2_34719
; %bb.62271:
	s_getpc_b64 s[14:15]
.Lpost_getpc34719:
	s_add_u32 s14, s14, (.LBB2_12095-.Lpost_getpc34719)&4294967295
	s_addc_u32 s15, s15, (.LBB2_12095-.Lpost_getpc34719)>>32
	s_setpc_b64 s[14:15]
.LBB2_34719:
	s_getpc_b64 s[14:15]
.Lpost_getpc20943:
	s_add_u32 s14, s14, (.LBB2_12096-.Lpost_getpc20943)&4294967295
	s_addc_u32 s15, s15, (.LBB2_12096-.Lpost_getpc20943)>>32
	s_setpc_b64 s[14:15]
.LBB2_26433:
	s_movk_i32 s4, 0x80
	v_cmp_eq_u16_sdwa s[12:13], v8, s4 src0_sel:BYTE_0 src1_sel:DWORD
	s_mov_b64 s[4:5], -1
                                        ; implicit-def: $sgpr10
	s_and_saveexec_b64 s[8:9], s[12:13]
; %bb.26434:
	s_mov_b32 s10, 0x7f800001
	s_xor_b64 s[4:5], exec, -1
; %bb.26435:
	s_or_b64 exec, exec, s[8:9]
	s_and_b64 s[4:5], s[4:5], exec
	s_or_saveexec_b64 s[6:7], s[6:7]
	v_mov_b32_e32 v2, s10
	s_xor_b64 exec, exec, s[6:7]
	s_cbranch_execnz .LBB2_26436
; %bb.62273:
	s_getpc_b64 s[14:15]
.Lpost_getpc34720:
	s_add_u32 s14, s14, (.LBB2_12098-.Lpost_getpc34720)&4294967295
	s_addc_u32 s15, s15, (.LBB2_12098-.Lpost_getpc34720)>>32
	s_setpc_b64 s[14:15]
.LBB2_26436:
	v_mov_b32_e32 v2, 0
	v_cmp_ne_u16_sdwa s[8:9], v8, v2 src0_sel:BYTE_0 src1_sel:DWORD
	s_andn2_b64 s[4:5], s[4:5], exec
	s_and_b64 s[8:9], s[8:9], exec
	s_or_b64 s[4:5], s[4:5], s[8:9]
	s_or_b64 exec, exec, s[6:7]
	s_and_saveexec_b64 s[6:7], s[4:5]
	s_cbranch_execz .LBB2_34721
; %bb.62275:
	s_getpc_b64 s[14:15]
.Lpost_getpc34721:
	s_add_u32 s14, s14, (.LBB2_12099-.Lpost_getpc34721)&4294967295
	s_addc_u32 s15, s15, (.LBB2_12099-.Lpost_getpc34721)>>32
	s_setpc_b64 s[14:15]
.LBB2_34721:
	s_getpc_b64 s[14:15]
.Lpost_getpc20944:
	s_add_u32 s14, s14, (.LBB2_12100-.Lpost_getpc20944)&4294967295
	s_addc_u32 s15, s15, (.LBB2_12100-.Lpost_getpc20944)>>32
	s_setpc_b64 s[14:15]
.LBB2_26437:
	s_movk_i32 s4, 0x80
	v_cmp_eq_u16_sdwa s[12:13], v4, s4 src0_sel:BYTE_0 src1_sel:DWORD
	s_mov_b64 s[4:5], -1
                                        ; implicit-def: $sgpr10
	s_and_saveexec_b64 s[8:9], s[12:13]
; %bb.26438:
	s_mov_b32 s10, 0x7f800001
	s_xor_b64 s[4:5], exec, -1
; %bb.26439:
	s_or_b64 exec, exec, s[8:9]
	s_and_b64 s[4:5], s[4:5], exec
	s_or_saveexec_b64 s[6:7], s[6:7]
	v_mov_b32_e32 v3, s10
	s_xor_b64 exec, exec, s[6:7]
	s_cbranch_execnz .LBB2_26440
; %bb.62277:
	s_getpc_b64 s[14:15]
.Lpost_getpc34722:
	s_add_u32 s14, s14, (.LBB2_12102-.Lpost_getpc34722)&4294967295
	s_addc_u32 s15, s15, (.LBB2_12102-.Lpost_getpc34722)>>32
	s_setpc_b64 s[14:15]
.LBB2_26440:
	v_mov_b32_e32 v3, 0
	v_cmp_ne_u16_sdwa s[8:9], v4, v3 src0_sel:BYTE_0 src1_sel:DWORD
	s_andn2_b64 s[4:5], s[4:5], exec
	s_and_b64 s[8:9], s[8:9], exec
	s_or_b64 s[4:5], s[4:5], s[8:9]
	s_or_b64 exec, exec, s[6:7]
	s_and_saveexec_b64 s[6:7], s[4:5]
	s_cbranch_execz .LBB2_34723
; %bb.62279:
	s_getpc_b64 s[14:15]
.Lpost_getpc34723:
	s_add_u32 s14, s14, (.LBB2_12103-.Lpost_getpc34723)&4294967295
	s_addc_u32 s15, s15, (.LBB2_12103-.Lpost_getpc34723)>>32
	s_setpc_b64 s[14:15]
.LBB2_34723:
	s_getpc_b64 s[14:15]
.Lpost_getpc20945:
	s_add_u32 s14, s14, (.LBB2_12104-.Lpost_getpc20945)&4294967295
	s_addc_u32 s15, s15, (.LBB2_12104-.Lpost_getpc20945)>>32
	s_setpc_b64 s[14:15]
.LBB2_26441:
	s_movk_i32 s4, 0x80
	v_cmp_eq_u16_sdwa s[12:13], v3, s4 src0_sel:BYTE_0 src1_sel:DWORD
	s_mov_b64 s[4:5], -1
                                        ; implicit-def: $sgpr10
	s_and_saveexec_b64 s[8:9], s[12:13]
; %bb.26442:
	s_mov_b32 s10, 0x7f800001
	s_xor_b64 s[4:5], exec, -1
; %bb.26443:
	s_or_b64 exec, exec, s[8:9]
	s_and_b64 s[4:5], s[4:5], exec
	s_or_saveexec_b64 s[6:7], s[6:7]
	v_mov_b32_e32 v2, s10
	s_xor_b64 exec, exec, s[6:7]
	s_cbranch_execnz .LBB2_26444
; %bb.62281:
	s_getpc_b64 s[14:15]
.Lpost_getpc34724:
	s_add_u32 s14, s14, (.LBB2_12106-.Lpost_getpc34724)&4294967295
	s_addc_u32 s15, s15, (.LBB2_12106-.Lpost_getpc34724)>>32
	s_setpc_b64 s[14:15]
.LBB2_26444:
	v_mov_b32_e32 v2, 0
	v_cmp_ne_u16_sdwa s[8:9], v3, v2 src0_sel:BYTE_0 src1_sel:DWORD
	s_andn2_b64 s[4:5], s[4:5], exec
	s_and_b64 s[8:9], s[8:9], exec
	s_or_b64 s[4:5], s[4:5], s[8:9]
	s_or_b64 exec, exec, s[6:7]
	s_and_saveexec_b64 s[6:7], s[4:5]
	s_cbranch_execz .LBB2_34725
; %bb.62283:
	s_getpc_b64 s[14:15]
.Lpost_getpc34725:
	s_add_u32 s14, s14, (.LBB2_12107-.Lpost_getpc34725)&4294967295
	s_addc_u32 s15, s15, (.LBB2_12107-.Lpost_getpc34725)>>32
	s_setpc_b64 s[14:15]
.LBB2_34725:
	s_getpc_b64 s[14:15]
.Lpost_getpc20946:
	s_add_u32 s14, s14, (.LBB2_12108-.Lpost_getpc20946)&4294967295
	s_addc_u32 s15, s15, (.LBB2_12108-.Lpost_getpc20946)>>32
	s_setpc_b64 s[14:15]
.LBB2_26445:
	s_movk_i32 s4, 0x80
	v_cmp_eq_u16_sdwa s[12:13], v3, s4 src0_sel:BYTE_0 src1_sel:DWORD
	s_mov_b64 s[4:5], -1
                                        ; implicit-def: $sgpr10
	s_and_saveexec_b64 s[8:9], s[12:13]
; %bb.26446:
	s_mov_b32 s10, 0x7f800001
	s_xor_b64 s[4:5], exec, -1
; %bb.26447:
	s_or_b64 exec, exec, s[8:9]
	s_and_b64 s[4:5], s[4:5], exec
	s_or_saveexec_b64 s[6:7], s[6:7]
	v_mov_b32_e32 v6, s10
	s_xor_b64 exec, exec, s[6:7]
	s_cbranch_execnz .LBB2_26448
; %bb.62285:
	s_getpc_b64 s[14:15]
.Lpost_getpc34726:
	s_add_u32 s14, s14, (.LBB2_12110-.Lpost_getpc34726)&4294967295
	s_addc_u32 s15, s15, (.LBB2_12110-.Lpost_getpc34726)>>32
	s_setpc_b64 s[14:15]
.LBB2_26448:
	v_mov_b32_e32 v6, 0
	v_cmp_ne_u16_sdwa s[8:9], v3, v6 src0_sel:BYTE_0 src1_sel:DWORD
	s_andn2_b64 s[4:5], s[4:5], exec
	s_and_b64 s[8:9], s[8:9], exec
	s_or_b64 s[4:5], s[4:5], s[8:9]
	s_or_b64 exec, exec, s[6:7]
	s_and_saveexec_b64 s[6:7], s[4:5]
	s_cbranch_execz .LBB2_34727
; %bb.62287:
	s_getpc_b64 s[14:15]
.Lpost_getpc34727:
	s_add_u32 s14, s14, (.LBB2_12111-.Lpost_getpc34727)&4294967295
	s_addc_u32 s15, s15, (.LBB2_12111-.Lpost_getpc34727)>>32
	s_setpc_b64 s[14:15]
.LBB2_34727:
	s_getpc_b64 s[14:15]
.Lpost_getpc20947:
	s_add_u32 s14, s14, (.LBB2_12112-.Lpost_getpc20947)&4294967295
	s_addc_u32 s15, s15, (.LBB2_12112-.Lpost_getpc20947)>>32
	s_setpc_b64 s[14:15]
.LBB2_26449:
	s_movk_i32 s4, 0x80
	v_cmp_eq_u16_e32 vcc, s4, v3
	s_mov_b64 s[4:5], -1
                                        ; implicit-def: $sgpr10
	s_and_saveexec_b64 s[8:9], vcc
; %bb.26450:
	s_mov_b32 s10, 0x7f800001
	s_xor_b64 s[4:5], exec, -1
; %bb.26451:
	s_or_b64 exec, exec, s[8:9]
	s_and_b64 s[4:5], s[4:5], exec
                                        ; implicit-def: $vgpr3
	s_or_saveexec_b64 s[6:7], s[6:7]
	v_mov_b32_e32 v2, s10
	s_xor_b64 exec, exec, s[6:7]
	s_cbranch_execnz .LBB2_26452
; %bb.62289:
	s_getpc_b64 s[14:15]
.Lpost_getpc34728:
	s_add_u32 s14, s14, (.LBB2_12114-.Lpost_getpc34728)&4294967295
	s_addc_u32 s15, s15, (.LBB2_12114-.Lpost_getpc34728)>>32
	s_setpc_b64 s[14:15]
.LBB2_26452:
	v_cmp_ne_u16_e32 vcc, 0, v3
	s_andn2_b64 s[4:5], s[4:5], exec
	s_and_b64 s[8:9], vcc, exec
	v_mov_b32_e32 v2, 0
	s_or_b64 s[4:5], s[4:5], s[8:9]
	s_or_b64 exec, exec, s[6:7]
	s_and_saveexec_b64 s[6:7], s[4:5]
	s_cbranch_execz .LBB2_34729
; %bb.62291:
	s_getpc_b64 s[14:15]
.Lpost_getpc34729:
	s_add_u32 s14, s14, (.LBB2_12115-.Lpost_getpc34729)&4294967295
	s_addc_u32 s15, s15, (.LBB2_12115-.Lpost_getpc34729)>>32
	s_setpc_b64 s[14:15]
.LBB2_34729:
	s_getpc_b64 s[14:15]
.Lpost_getpc20948:
	s_add_u32 s14, s14, (.LBB2_12116-.Lpost_getpc20948)&4294967295
	s_addc_u32 s15, s15, (.LBB2_12116-.Lpost_getpc20948)>>32
	s_setpc_b64 s[14:15]
.LBB2_26453:
	s_movk_i32 s4, 0x80
	v_cmp_eq_u16_e32 vcc, s4, v3
	s_mov_b64 s[4:5], -1
                                        ; implicit-def: $sgpr10
	s_and_saveexec_b64 s[8:9], vcc
; %bb.26454:
	s_mov_b32 s10, 0x7f800001
	s_xor_b64 s[4:5], exec, -1
; %bb.26455:
	s_or_b64 exec, exec, s[8:9]
	s_and_b64 s[4:5], s[4:5], exec
                                        ; implicit-def: $vgpr3
	s_or_saveexec_b64 s[6:7], s[6:7]
	v_mov_b32_e32 v6, s10
	s_xor_b64 exec, exec, s[6:7]
	s_cbranch_execnz .LBB2_26456
; %bb.62293:
	s_getpc_b64 s[14:15]
.Lpost_getpc34730:
	s_add_u32 s14, s14, (.LBB2_12118-.Lpost_getpc34730)&4294967295
	s_addc_u32 s15, s15, (.LBB2_12118-.Lpost_getpc34730)>>32
	s_setpc_b64 s[14:15]
.LBB2_26456:
	v_cmp_ne_u16_e32 vcc, 0, v3
	s_andn2_b64 s[4:5], s[4:5], exec
	s_and_b64 s[8:9], vcc, exec
	v_mov_b32_e32 v6, 0
	s_or_b64 s[4:5], s[4:5], s[8:9]
	s_or_b64 exec, exec, s[6:7]
	s_and_saveexec_b64 s[6:7], s[4:5]
	s_cbranch_execz .LBB2_34731
; %bb.62295:
	s_getpc_b64 s[14:15]
.Lpost_getpc34731:
	s_add_u32 s14, s14, (.LBB2_12119-.Lpost_getpc34731)&4294967295
	s_addc_u32 s15, s15, (.LBB2_12119-.Lpost_getpc34731)>>32
	s_setpc_b64 s[14:15]
.LBB2_34731:
	s_getpc_b64 s[14:15]
.Lpost_getpc20949:
	s_add_u32 s14, s14, (.LBB2_12120-.Lpost_getpc20949)&4294967295
	s_addc_u32 s15, s15, (.LBB2_12120-.Lpost_getpc20949)>>32
	s_setpc_b64 s[14:15]
.LBB2_26457:
	s_movk_i32 s4, 0x80
	v_cmp_eq_u16_sdwa s[12:13], v8, s4 src0_sel:BYTE_3 src1_sel:DWORD
	s_mov_b64 s[4:5], -1
                                        ; implicit-def: $sgpr10
	s_and_saveexec_b64 s[8:9], s[12:13]
; %bb.26458:
	s_mov_b32 s10, 0x7f800001
	s_xor_b64 s[4:5], exec, -1
; %bb.26459:
	s_or_b64 exec, exec, s[8:9]
	s_and_b64 s[4:5], s[4:5], exec
	s_or_saveexec_b64 s[6:7], s[6:7]
	v_mov_b32_e32 v2, s10
	s_xor_b64 exec, exec, s[6:7]
	s_cbranch_execnz .LBB2_26460
; %bb.62297:
	s_getpc_b64 s[14:15]
.Lpost_getpc34732:
	s_add_u32 s14, s14, (.LBB2_12122-.Lpost_getpc34732)&4294967295
	s_addc_u32 s15, s15, (.LBB2_12122-.Lpost_getpc34732)>>32
	s_setpc_b64 s[14:15]
.LBB2_26460:
	v_mov_b32_e32 v2, 0
	v_cmp_ne_u16_sdwa s[8:9], v8, v2 src0_sel:BYTE_3 src1_sel:DWORD
	s_andn2_b64 s[4:5], s[4:5], exec
	s_and_b64 s[8:9], s[8:9], exec
	s_or_b64 s[4:5], s[4:5], s[8:9]
	s_or_b64 exec, exec, s[6:7]
	s_and_saveexec_b64 s[6:7], s[4:5]
	s_cbranch_execz .LBB2_34733
; %bb.62299:
	s_getpc_b64 s[14:15]
.Lpost_getpc34733:
	s_add_u32 s14, s14, (.LBB2_12123-.Lpost_getpc34733)&4294967295
	s_addc_u32 s15, s15, (.LBB2_12123-.Lpost_getpc34733)>>32
	s_setpc_b64 s[14:15]
.LBB2_34733:
	s_getpc_b64 s[14:15]
.Lpost_getpc20950:
	s_add_u32 s14, s14, (.LBB2_12124-.Lpost_getpc20950)&4294967295
	s_addc_u32 s15, s15, (.LBB2_12124-.Lpost_getpc20950)>>32
	s_setpc_b64 s[14:15]
.LBB2_26461:
	s_movk_i32 s4, 0x80
	v_cmp_eq_u16_sdwa s[12:13], v4, s4 src0_sel:BYTE_3 src1_sel:DWORD
	s_mov_b64 s[4:5], -1
                                        ; implicit-def: $sgpr10
	s_and_saveexec_b64 s[8:9], s[12:13]
; %bb.26462:
	s_mov_b32 s10, 0x7f800001
	s_xor_b64 s[4:5], exec, -1
; %bb.26463:
	s_or_b64 exec, exec, s[8:9]
	s_and_b64 s[4:5], s[4:5], exec
	s_or_saveexec_b64 s[6:7], s[6:7]
	v_mov_b32_e32 v3, s10
	s_xor_b64 exec, exec, s[6:7]
	s_cbranch_execnz .LBB2_26464
; %bb.62301:
	s_getpc_b64 s[14:15]
.Lpost_getpc34734:
	s_add_u32 s14, s14, (.LBB2_12126-.Lpost_getpc34734)&4294967295
	s_addc_u32 s15, s15, (.LBB2_12126-.Lpost_getpc34734)>>32
	s_setpc_b64 s[14:15]
.LBB2_26464:
	v_mov_b32_e32 v3, 0
	v_cmp_ne_u16_sdwa s[8:9], v4, v3 src0_sel:BYTE_3 src1_sel:DWORD
	s_andn2_b64 s[4:5], s[4:5], exec
	s_and_b64 s[8:9], s[8:9], exec
	s_or_b64 s[4:5], s[4:5], s[8:9]
	s_or_b64 exec, exec, s[6:7]
	s_and_saveexec_b64 s[6:7], s[4:5]
	s_cbranch_execz .LBB2_34735
; %bb.62303:
	s_getpc_b64 s[14:15]
.Lpost_getpc34735:
	s_add_u32 s14, s14, (.LBB2_12127-.Lpost_getpc34735)&4294967295
	s_addc_u32 s15, s15, (.LBB2_12127-.Lpost_getpc34735)>>32
	s_setpc_b64 s[14:15]
.LBB2_34735:
	s_getpc_b64 s[14:15]
.Lpost_getpc20951:
	s_add_u32 s14, s14, (.LBB2_12128-.Lpost_getpc20951)&4294967295
	s_addc_u32 s15, s15, (.LBB2_12128-.Lpost_getpc20951)>>32
	s_setpc_b64 s[14:15]
.LBB2_26465:
	s_movk_i32 s4, 0x80
	v_cmp_eq_u16_sdwa s[12:13], v9, s4 src0_sel:BYTE_0 src1_sel:DWORD
	s_mov_b64 s[4:5], -1
                                        ; implicit-def: $sgpr10
	s_and_saveexec_b64 s[8:9], s[12:13]
; %bb.26466:
	s_mov_b32 s10, 0x7f800001
	s_xor_b64 s[4:5], exec, -1
; %bb.26467:
	s_or_b64 exec, exec, s[8:9]
	s_and_b64 s[4:5], s[4:5], exec
	s_or_saveexec_b64 s[6:7], s[6:7]
	v_mov_b32_e32 v2, s10
	s_xor_b64 exec, exec, s[6:7]
	s_cbranch_execnz .LBB2_26468
; %bb.62305:
	s_getpc_b64 s[14:15]
.Lpost_getpc34736:
	s_add_u32 s14, s14, (.LBB2_12130-.Lpost_getpc34736)&4294967295
	s_addc_u32 s15, s15, (.LBB2_12130-.Lpost_getpc34736)>>32
	s_setpc_b64 s[14:15]
.LBB2_26468:
	v_mov_b32_e32 v2, 0
	v_cmp_ne_u16_sdwa s[8:9], v9, v2 src0_sel:BYTE_0 src1_sel:DWORD
	s_andn2_b64 s[4:5], s[4:5], exec
	s_and_b64 s[8:9], s[8:9], exec
	s_or_b64 s[4:5], s[4:5], s[8:9]
	s_or_b64 exec, exec, s[6:7]
	s_and_saveexec_b64 s[6:7], s[4:5]
	s_cbranch_execz .LBB2_34737
; %bb.62307:
	s_getpc_b64 s[14:15]
.Lpost_getpc34737:
	s_add_u32 s14, s14, (.LBB2_12131-.Lpost_getpc34737)&4294967295
	s_addc_u32 s15, s15, (.LBB2_12131-.Lpost_getpc34737)>>32
	s_setpc_b64 s[14:15]
.LBB2_34737:
	s_getpc_b64 s[14:15]
.Lpost_getpc20952:
	s_add_u32 s14, s14, (.LBB2_12132-.Lpost_getpc20952)&4294967295
	s_addc_u32 s15, s15, (.LBB2_12132-.Lpost_getpc20952)>>32
	s_setpc_b64 s[14:15]
.LBB2_26469:
	s_movk_i32 s4, 0x80
	v_cmp_eq_u16_sdwa s[12:13], v5, s4 src0_sel:BYTE_0 src1_sel:DWORD
	s_mov_b64 s[4:5], -1
                                        ; implicit-def: $sgpr10
	s_and_saveexec_b64 s[8:9], s[12:13]
; %bb.26470:
	s_mov_b32 s10, 0x7f800001
	s_xor_b64 s[4:5], exec, -1
; %bb.26471:
	s_or_b64 exec, exec, s[8:9]
	s_and_b64 s[4:5], s[4:5], exec
	s_or_saveexec_b64 s[6:7], s[6:7]
	v_mov_b32_e32 v3, s10
	s_xor_b64 exec, exec, s[6:7]
	s_cbranch_execnz .LBB2_26472
; %bb.62309:
	s_getpc_b64 s[14:15]
.Lpost_getpc34738:
	s_add_u32 s14, s14, (.LBB2_12134-.Lpost_getpc34738)&4294967295
	s_addc_u32 s15, s15, (.LBB2_12134-.Lpost_getpc34738)>>32
	s_setpc_b64 s[14:15]
.LBB2_26472:
	v_mov_b32_e32 v3, 0
	v_cmp_ne_u16_sdwa s[8:9], v5, v3 src0_sel:BYTE_0 src1_sel:DWORD
	s_andn2_b64 s[4:5], s[4:5], exec
	s_and_b64 s[8:9], s[8:9], exec
	s_or_b64 s[4:5], s[4:5], s[8:9]
	s_or_b64 exec, exec, s[6:7]
	s_and_saveexec_b64 s[6:7], s[4:5]
	s_cbranch_execz .LBB2_34739
; %bb.62311:
	s_getpc_b64 s[14:15]
.Lpost_getpc34739:
	s_add_u32 s14, s14, (.LBB2_12135-.Lpost_getpc34739)&4294967295
	s_addc_u32 s15, s15, (.LBB2_12135-.Lpost_getpc34739)>>32
	s_setpc_b64 s[14:15]
.LBB2_34739:
	s_getpc_b64 s[14:15]
.Lpost_getpc20953:
	s_add_u32 s14, s14, (.LBB2_12136-.Lpost_getpc20953)&4294967295
	s_addc_u32 s15, s15, (.LBB2_12136-.Lpost_getpc20953)>>32
	s_setpc_b64 s[14:15]
.LBB2_26473:
	s_movk_i32 s4, 0x80
	v_cmp_eq_u16_sdwa s[12:13], v3, s4 src0_sel:BYTE_0 src1_sel:DWORD
	s_mov_b64 s[4:5], -1
                                        ; implicit-def: $sgpr10
	s_and_saveexec_b64 s[8:9], s[12:13]
; %bb.26474:
	s_mov_b32 s10, 0x7f800001
	s_xor_b64 s[4:5], exec, -1
; %bb.26475:
	s_or_b64 exec, exec, s[8:9]
	s_and_b64 s[4:5], s[4:5], exec
	s_or_saveexec_b64 s[6:7], s[6:7]
	v_mov_b32_e32 v2, s10
	s_xor_b64 exec, exec, s[6:7]
	s_cbranch_execnz .LBB2_26476
; %bb.62313:
	s_getpc_b64 s[14:15]
.Lpost_getpc34740:
	s_add_u32 s14, s14, (.LBB2_12138-.Lpost_getpc34740)&4294967295
	s_addc_u32 s15, s15, (.LBB2_12138-.Lpost_getpc34740)>>32
	s_setpc_b64 s[14:15]
.LBB2_26476:
	v_mov_b32_e32 v2, 0
	v_cmp_ne_u16_sdwa s[8:9], v3, v2 src0_sel:BYTE_0 src1_sel:DWORD
	s_andn2_b64 s[4:5], s[4:5], exec
	s_and_b64 s[8:9], s[8:9], exec
	s_or_b64 s[4:5], s[4:5], s[8:9]
	s_or_b64 exec, exec, s[6:7]
	s_and_saveexec_b64 s[6:7], s[4:5]
	s_cbranch_execz .LBB2_34741
; %bb.62315:
	s_getpc_b64 s[14:15]
.Lpost_getpc34741:
	s_add_u32 s14, s14, (.LBB2_12139-.Lpost_getpc34741)&4294967295
	s_addc_u32 s15, s15, (.LBB2_12139-.Lpost_getpc34741)>>32
	s_setpc_b64 s[14:15]
.LBB2_34741:
	s_getpc_b64 s[14:15]
.Lpost_getpc20954:
	s_add_u32 s14, s14, (.LBB2_12140-.Lpost_getpc20954)&4294967295
	s_addc_u32 s15, s15, (.LBB2_12140-.Lpost_getpc20954)>>32
	s_setpc_b64 s[14:15]
.LBB2_26477:
	s_movk_i32 s4, 0x80
	v_cmp_eq_u16_sdwa s[12:13], v3, s4 src0_sel:BYTE_0 src1_sel:DWORD
	s_mov_b64 s[4:5], -1
                                        ; implicit-def: $sgpr10
	s_and_saveexec_b64 s[8:9], s[12:13]
; %bb.26478:
	s_mov_b32 s10, 0x7f800001
	s_xor_b64 s[4:5], exec, -1
; %bb.26479:
	s_or_b64 exec, exec, s[8:9]
	s_and_b64 s[4:5], s[4:5], exec
	s_or_saveexec_b64 s[6:7], s[6:7]
	v_mov_b32_e32 v4, s10
	s_xor_b64 exec, exec, s[6:7]
	s_cbranch_execnz .LBB2_26480
; %bb.62317:
	s_getpc_b64 s[14:15]
.Lpost_getpc34742:
	s_add_u32 s14, s14, (.LBB2_12142-.Lpost_getpc34742)&4294967295
	s_addc_u32 s15, s15, (.LBB2_12142-.Lpost_getpc34742)>>32
	s_setpc_b64 s[14:15]
.LBB2_26480:
	v_mov_b32_e32 v4, 0
	v_cmp_ne_u16_sdwa s[8:9], v3, v4 src0_sel:BYTE_0 src1_sel:DWORD
	s_andn2_b64 s[4:5], s[4:5], exec
	s_and_b64 s[8:9], s[8:9], exec
	s_or_b64 s[4:5], s[4:5], s[8:9]
	s_or_b64 exec, exec, s[6:7]
	s_and_saveexec_b64 s[6:7], s[4:5]
	s_cbranch_execz .LBB2_34743
; %bb.62319:
	s_getpc_b64 s[14:15]
.Lpost_getpc34743:
	s_add_u32 s14, s14, (.LBB2_12143-.Lpost_getpc34743)&4294967295
	s_addc_u32 s15, s15, (.LBB2_12143-.Lpost_getpc34743)>>32
	s_setpc_b64 s[14:15]
.LBB2_34743:
	s_getpc_b64 s[14:15]
.Lpost_getpc20955:
	s_add_u32 s14, s14, (.LBB2_12144-.Lpost_getpc20955)&4294967295
	s_addc_u32 s15, s15, (.LBB2_12144-.Lpost_getpc20955)>>32
	s_setpc_b64 s[14:15]
.LBB2_26481:
	s_movk_i32 s4, 0x80
	v_cmp_eq_u16_e32 vcc, s4, v3
	s_mov_b64 s[4:5], -1
                                        ; implicit-def: $sgpr10
	s_and_saveexec_b64 s[8:9], vcc
; %bb.26482:
	s_mov_b32 s10, 0x7f800001
	s_xor_b64 s[4:5], exec, -1
; %bb.26483:
	s_or_b64 exec, exec, s[8:9]
	s_and_b64 s[4:5], s[4:5], exec
                                        ; implicit-def: $vgpr3
	s_or_saveexec_b64 s[6:7], s[6:7]
	v_mov_b32_e32 v2, s10
	s_xor_b64 exec, exec, s[6:7]
	s_cbranch_execnz .LBB2_26484
; %bb.62321:
	s_getpc_b64 s[14:15]
.Lpost_getpc34744:
	s_add_u32 s14, s14, (.LBB2_12146-.Lpost_getpc34744)&4294967295
	s_addc_u32 s15, s15, (.LBB2_12146-.Lpost_getpc34744)>>32
	s_setpc_b64 s[14:15]
.LBB2_26484:
	v_cmp_ne_u16_e32 vcc, 0, v3
	s_andn2_b64 s[4:5], s[4:5], exec
	s_and_b64 s[8:9], vcc, exec
	v_mov_b32_e32 v2, 0
	s_or_b64 s[4:5], s[4:5], s[8:9]
	s_or_b64 exec, exec, s[6:7]
	s_and_saveexec_b64 s[6:7], s[4:5]
	s_cbranch_execz .LBB2_34745
; %bb.62323:
	s_getpc_b64 s[14:15]
.Lpost_getpc34745:
	s_add_u32 s14, s14, (.LBB2_12147-.Lpost_getpc34745)&4294967295
	s_addc_u32 s15, s15, (.LBB2_12147-.Lpost_getpc34745)>>32
	s_setpc_b64 s[14:15]
.LBB2_34745:
	s_getpc_b64 s[14:15]
.Lpost_getpc20956:
	s_add_u32 s14, s14, (.LBB2_12148-.Lpost_getpc20956)&4294967295
	s_addc_u32 s15, s15, (.LBB2_12148-.Lpost_getpc20956)>>32
	s_setpc_b64 s[14:15]
.LBB2_26485:
	s_movk_i32 s4, 0x80
	v_cmp_eq_u16_e32 vcc, s4, v3
	s_mov_b64 s[4:5], -1
                                        ; implicit-def: $sgpr10
	s_and_saveexec_b64 s[8:9], vcc
; %bb.26486:
	s_mov_b32 s10, 0x7f800001
	s_xor_b64 s[4:5], exec, -1
; %bb.26487:
	s_or_b64 exec, exec, s[8:9]
	s_and_b64 s[4:5], s[4:5], exec
                                        ; implicit-def: $vgpr3
	s_or_saveexec_b64 s[6:7], s[6:7]
	v_mov_b32_e32 v4, s10
	s_xor_b64 exec, exec, s[6:7]
	s_cbranch_execnz .LBB2_26488
; %bb.62325:
	s_getpc_b64 s[14:15]
.Lpost_getpc34746:
	s_add_u32 s14, s14, (.LBB2_12150-.Lpost_getpc34746)&4294967295
	s_addc_u32 s15, s15, (.LBB2_12150-.Lpost_getpc34746)>>32
	s_setpc_b64 s[14:15]
.LBB2_26488:
	v_cmp_ne_u16_e32 vcc, 0, v3
	s_andn2_b64 s[4:5], s[4:5], exec
	s_and_b64 s[8:9], vcc, exec
	v_mov_b32_e32 v4, 0
	s_or_b64 s[4:5], s[4:5], s[8:9]
	s_or_b64 exec, exec, s[6:7]
	s_and_saveexec_b64 s[6:7], s[4:5]
	s_cbranch_execz .LBB2_34747
; %bb.62327:
	s_getpc_b64 s[14:15]
.Lpost_getpc34747:
	s_add_u32 s14, s14, (.LBB2_12151-.Lpost_getpc34747)&4294967295
	s_addc_u32 s15, s15, (.LBB2_12151-.Lpost_getpc34747)>>32
	s_setpc_b64 s[14:15]
.LBB2_34747:
	s_getpc_b64 s[14:15]
.Lpost_getpc20957:
	s_add_u32 s14, s14, (.LBB2_12152-.Lpost_getpc20957)&4294967295
	s_addc_u32 s15, s15, (.LBB2_12152-.Lpost_getpc20957)>>32
	s_setpc_b64 s[14:15]
.LBB2_26489:
	s_movk_i32 s4, 0x80
	v_cmp_eq_u16_sdwa s[12:13], v9, s4 src0_sel:BYTE_3 src1_sel:DWORD
	s_mov_b64 s[4:5], -1
                                        ; implicit-def: $sgpr10
	s_and_saveexec_b64 s[8:9], s[12:13]
; %bb.26490:
	s_mov_b32 s10, 0x7f800001
	s_xor_b64 s[4:5], exec, -1
; %bb.26491:
	s_or_b64 exec, exec, s[8:9]
	s_and_b64 s[4:5], s[4:5], exec
	s_or_saveexec_b64 s[6:7], s[6:7]
	v_mov_b32_e32 v2, s10
	s_xor_b64 exec, exec, s[6:7]
	s_cbranch_execnz .LBB2_26492
; %bb.62329:
	s_getpc_b64 s[14:15]
.Lpost_getpc34748:
	s_add_u32 s14, s14, (.LBB2_12154-.Lpost_getpc34748)&4294967295
	s_addc_u32 s15, s15, (.LBB2_12154-.Lpost_getpc34748)>>32
	s_setpc_b64 s[14:15]
.LBB2_26492:
	v_mov_b32_e32 v2, 0
	v_cmp_ne_u16_sdwa s[8:9], v9, v2 src0_sel:BYTE_3 src1_sel:DWORD
	s_andn2_b64 s[4:5], s[4:5], exec
	s_and_b64 s[8:9], s[8:9], exec
	s_or_b64 s[4:5], s[4:5], s[8:9]
	s_or_b64 exec, exec, s[6:7]
	s_and_saveexec_b64 s[6:7], s[4:5]
	s_cbranch_execz .LBB2_34749
; %bb.62331:
	s_getpc_b64 s[14:15]
.Lpost_getpc34749:
	s_add_u32 s14, s14, (.LBB2_12155-.Lpost_getpc34749)&4294967295
	s_addc_u32 s15, s15, (.LBB2_12155-.Lpost_getpc34749)>>32
	s_setpc_b64 s[14:15]
.LBB2_34749:
	s_getpc_b64 s[14:15]
.Lpost_getpc20958:
	s_add_u32 s14, s14, (.LBB2_12156-.Lpost_getpc20958)&4294967295
	s_addc_u32 s15, s15, (.LBB2_12156-.Lpost_getpc20958)>>32
	s_setpc_b64 s[14:15]
.LBB2_26493:
	s_movk_i32 s4, 0x80
	v_cmp_eq_u16_sdwa s[12:13], v5, s4 src0_sel:BYTE_3 src1_sel:DWORD
	s_mov_b64 s[4:5], -1
                                        ; implicit-def: $sgpr10
	s_and_saveexec_b64 s[8:9], s[12:13]
; %bb.26494:
	s_mov_b32 s10, 0x7f800001
	s_xor_b64 s[4:5], exec, -1
; %bb.26495:
	s_or_b64 exec, exec, s[8:9]
	s_and_b64 s[4:5], s[4:5], exec
	s_or_saveexec_b64 s[6:7], s[6:7]
	v_mov_b32_e32 v3, s10
	s_xor_b64 exec, exec, s[6:7]
	s_cbranch_execnz .LBB2_26496
; %bb.62333:
	s_getpc_b64 s[14:15]
.Lpost_getpc34750:
	s_add_u32 s14, s14, (.LBB2_12158-.Lpost_getpc34750)&4294967295
	s_addc_u32 s15, s15, (.LBB2_12158-.Lpost_getpc34750)>>32
	s_setpc_b64 s[14:15]
.LBB2_26496:
	v_mov_b32_e32 v3, 0
	v_cmp_ne_u16_sdwa s[8:9], v5, v3 src0_sel:BYTE_3 src1_sel:DWORD
	s_andn2_b64 s[4:5], s[4:5], exec
	s_and_b64 s[8:9], s[8:9], exec
	s_or_b64 s[4:5], s[4:5], s[8:9]
	s_or_b64 exec, exec, s[6:7]
	s_and_saveexec_b64 s[6:7], s[4:5]
	s_cbranch_execz .LBB2_34751
; %bb.62335:
	s_getpc_b64 s[14:15]
.Lpost_getpc34751:
	s_add_u32 s14, s14, (.LBB2_12159-.Lpost_getpc34751)&4294967295
	s_addc_u32 s15, s15, (.LBB2_12159-.Lpost_getpc34751)>>32
	s_setpc_b64 s[14:15]
.LBB2_34751:
	s_getpc_b64 s[14:15]
.Lpost_getpc20959:
	s_add_u32 s14, s14, (.LBB2_12160-.Lpost_getpc20959)&4294967295
	s_addc_u32 s15, s15, (.LBB2_12160-.Lpost_getpc20959)>>32
	s_setpc_b64 s[14:15]
.LBB2_26497:
	s_movk_i32 s4, 0x80
	v_cmp_eq_u16_sdwa s[12:13], v6, s4 src0_sel:BYTE_0 src1_sel:DWORD
	s_mov_b64 s[4:5], -1
                                        ; implicit-def: $sgpr10
	s_and_saveexec_b64 s[8:9], s[12:13]
; %bb.26498:
	s_mov_b32 s10, 0x7f800001
	s_xor_b64 s[4:5], exec, -1
; %bb.26499:
	s_or_b64 exec, exec, s[8:9]
	s_and_b64 s[4:5], s[4:5], exec
	s_or_saveexec_b64 s[6:7], s[6:7]
	v_mov_b32_e32 v12, s10
	s_xor_b64 exec, exec, s[6:7]
	s_cbranch_execnz .LBB2_26500
; %bb.62337:
	s_getpc_b64 s[14:15]
.Lpost_getpc34752:
	s_add_u32 s14, s14, (.LBB2_12162-.Lpost_getpc34752)&4294967295
	s_addc_u32 s15, s15, (.LBB2_12162-.Lpost_getpc34752)>>32
	s_setpc_b64 s[14:15]
.LBB2_26500:
	v_mov_b32_e32 v12, 0
	v_cmp_ne_u16_sdwa s[8:9], v6, v12 src0_sel:BYTE_0 src1_sel:DWORD
	s_andn2_b64 s[4:5], s[4:5], exec
	s_and_b64 s[8:9], s[8:9], exec
	s_or_b64 s[4:5], s[4:5], s[8:9]
	s_or_b64 exec, exec, s[6:7]
	s_and_saveexec_b64 s[6:7], s[4:5]
	s_cbranch_execz .LBB2_34753
; %bb.62339:
	s_getpc_b64 s[14:15]
.Lpost_getpc34753:
	s_add_u32 s14, s14, (.LBB2_12163-.Lpost_getpc34753)&4294967295
	s_addc_u32 s15, s15, (.LBB2_12163-.Lpost_getpc34753)>>32
	s_setpc_b64 s[14:15]
.LBB2_34753:
	s_getpc_b64 s[14:15]
.Lpost_getpc20960:
	s_add_u32 s14, s14, (.LBB2_12164-.Lpost_getpc20960)&4294967295
	s_addc_u32 s15, s15, (.LBB2_12164-.Lpost_getpc20960)>>32
	s_setpc_b64 s[14:15]
.LBB2_26501:
	s_movk_i32 s4, 0x80
	v_cmp_eq_u16_sdwa s[12:13], v2, s4 src0_sel:BYTE_0 src1_sel:DWORD
	s_mov_b64 s[4:5], -1
                                        ; implicit-def: $sgpr10
	s_and_saveexec_b64 s[8:9], s[12:13]
; %bb.26502:
	s_mov_b32 s10, 0x7f800001
	s_xor_b64 s[4:5], exec, -1
; %bb.26503:
	s_or_b64 exec, exec, s[8:9]
	s_and_b64 s[4:5], s[4:5], exec
	s_or_saveexec_b64 s[6:7], s[6:7]
	v_mov_b32_e32 v13, s10
	s_xor_b64 exec, exec, s[6:7]
	s_cbranch_execnz .LBB2_26504
; %bb.62341:
	s_getpc_b64 s[14:15]
.Lpost_getpc34754:
	s_add_u32 s14, s14, (.LBB2_12166-.Lpost_getpc34754)&4294967295
	s_addc_u32 s15, s15, (.LBB2_12166-.Lpost_getpc34754)>>32
	s_setpc_b64 s[14:15]
.LBB2_26504:
	v_mov_b32_e32 v13, 0
	v_cmp_ne_u16_sdwa s[8:9], v2, v13 src0_sel:BYTE_0 src1_sel:DWORD
	s_andn2_b64 s[4:5], s[4:5], exec
	s_and_b64 s[8:9], s[8:9], exec
	s_or_b64 s[4:5], s[4:5], s[8:9]
	s_or_b64 exec, exec, s[6:7]
	s_and_saveexec_b64 s[6:7], s[4:5]
	s_cbranch_execz .LBB2_34755
; %bb.62343:
	s_getpc_b64 s[14:15]
.Lpost_getpc34755:
	s_add_u32 s14, s14, (.LBB2_12167-.Lpost_getpc34755)&4294967295
	s_addc_u32 s15, s15, (.LBB2_12167-.Lpost_getpc34755)>>32
	s_setpc_b64 s[14:15]
.LBB2_34755:
	s_getpc_b64 s[14:15]
.Lpost_getpc20961:
	s_add_u32 s14, s14, (.LBB2_12168-.Lpost_getpc20961)&4294967295
	s_addc_u32 s15, s15, (.LBB2_12168-.Lpost_getpc20961)>>32
	s_setpc_b64 s[14:15]
.LBB2_26505:
	s_movk_i32 s4, 0x80
	v_cmp_eq_u16_sdwa s[12:13], v13, s4 src0_sel:BYTE_0 src1_sel:DWORD
	s_mov_b64 s[4:5], -1
                                        ; implicit-def: $sgpr10
	s_and_saveexec_b64 s[8:9], s[12:13]
; %bb.26506:
	s_mov_b32 s10, 0x7f800001
	s_xor_b64 s[4:5], exec, -1
; %bb.26507:
	s_or_b64 exec, exec, s[8:9]
	s_and_b64 s[4:5], s[4:5], exec
	s_or_saveexec_b64 s[6:7], s[6:7]
	v_mov_b32_e32 v12, s10
	s_xor_b64 exec, exec, s[6:7]
	s_cbranch_execnz .LBB2_26508
; %bb.62345:
	s_getpc_b64 s[14:15]
.Lpost_getpc34756:
	s_add_u32 s14, s14, (.LBB2_12170-.Lpost_getpc34756)&4294967295
	s_addc_u32 s15, s15, (.LBB2_12170-.Lpost_getpc34756)>>32
	s_setpc_b64 s[14:15]
.LBB2_26508:
	v_mov_b32_e32 v12, 0
	v_cmp_ne_u16_sdwa s[8:9], v13, v12 src0_sel:BYTE_0 src1_sel:DWORD
	s_andn2_b64 s[4:5], s[4:5], exec
	s_and_b64 s[8:9], s[8:9], exec
	s_or_b64 s[4:5], s[4:5], s[8:9]
	s_or_b64 exec, exec, s[6:7]
	s_and_saveexec_b64 s[6:7], s[4:5]
	s_cbranch_execz .LBB2_34757
; %bb.62347:
	s_getpc_b64 s[14:15]
.Lpost_getpc34757:
	s_add_u32 s14, s14, (.LBB2_12171-.Lpost_getpc34757)&4294967295
	s_addc_u32 s15, s15, (.LBB2_12171-.Lpost_getpc34757)>>32
	s_setpc_b64 s[14:15]
.LBB2_34757:
	s_getpc_b64 s[14:15]
.Lpost_getpc20962:
	s_add_u32 s14, s14, (.LBB2_12172-.Lpost_getpc20962)&4294967295
	s_addc_u32 s15, s15, (.LBB2_12172-.Lpost_getpc20962)>>32
	s_setpc_b64 s[14:15]
.LBB2_26509:
	s_movk_i32 s4, 0x80
	v_cmp_eq_u16_sdwa s[12:13], v13, s4 src0_sel:BYTE_0 src1_sel:DWORD
	s_mov_b64 s[4:5], -1
                                        ; implicit-def: $sgpr10
	s_and_saveexec_b64 s[8:9], s[12:13]
; %bb.26510:
	s_mov_b32 s10, 0x7f800001
	s_xor_b64 s[4:5], exec, -1
; %bb.26511:
	s_or_b64 exec, exec, s[8:9]
	s_and_b64 s[4:5], s[4:5], exec
	s_or_saveexec_b64 s[6:7], s[6:7]
	v_mov_b32_e32 v14, s10
	s_xor_b64 exec, exec, s[6:7]
	s_cbranch_execnz .LBB2_26512
; %bb.62349:
	s_getpc_b64 s[14:15]
.Lpost_getpc34758:
	s_add_u32 s14, s14, (.LBB2_12174-.Lpost_getpc34758)&4294967295
	s_addc_u32 s15, s15, (.LBB2_12174-.Lpost_getpc34758)>>32
	s_setpc_b64 s[14:15]
.LBB2_26512:
	v_mov_b32_e32 v14, 0
	v_cmp_ne_u16_sdwa s[8:9], v13, v14 src0_sel:BYTE_0 src1_sel:DWORD
	s_andn2_b64 s[4:5], s[4:5], exec
	s_and_b64 s[8:9], s[8:9], exec
	s_or_b64 s[4:5], s[4:5], s[8:9]
	s_or_b64 exec, exec, s[6:7]
	s_and_saveexec_b64 s[6:7], s[4:5]
	s_cbranch_execz .LBB2_34759
; %bb.62351:
	s_getpc_b64 s[14:15]
.Lpost_getpc34759:
	s_add_u32 s14, s14, (.LBB2_12175-.Lpost_getpc34759)&4294967295
	s_addc_u32 s15, s15, (.LBB2_12175-.Lpost_getpc34759)>>32
	s_setpc_b64 s[14:15]
.LBB2_34759:
	s_getpc_b64 s[14:15]
.Lpost_getpc20963:
	s_add_u32 s14, s14, (.LBB2_12176-.Lpost_getpc20963)&4294967295
	s_addc_u32 s15, s15, (.LBB2_12176-.Lpost_getpc20963)>>32
	s_setpc_b64 s[14:15]
.LBB2_26513:
	s_movk_i32 s4, 0x80
	v_cmp_eq_u16_e32 vcc, s4, v13
	s_mov_b64 s[4:5], -1
                                        ; implicit-def: $sgpr10
	s_and_saveexec_b64 s[8:9], vcc
; %bb.26514:
	s_mov_b32 s10, 0x7f800001
	s_xor_b64 s[4:5], exec, -1
; %bb.26515:
	s_or_b64 exec, exec, s[8:9]
	s_and_b64 s[4:5], s[4:5], exec
                                        ; implicit-def: $vgpr13
	s_or_saveexec_b64 s[6:7], s[6:7]
	v_mov_b32_e32 v12, s10
	s_xor_b64 exec, exec, s[6:7]
	s_cbranch_execnz .LBB2_26516
; %bb.62353:
	s_getpc_b64 s[14:15]
.Lpost_getpc34760:
	s_add_u32 s14, s14, (.LBB2_12178-.Lpost_getpc34760)&4294967295
	s_addc_u32 s15, s15, (.LBB2_12178-.Lpost_getpc34760)>>32
	s_setpc_b64 s[14:15]
.LBB2_26516:
	v_cmp_ne_u16_e32 vcc, 0, v13
	s_andn2_b64 s[4:5], s[4:5], exec
	s_and_b64 s[8:9], vcc, exec
	v_mov_b32_e32 v12, 0
	s_or_b64 s[4:5], s[4:5], s[8:9]
	s_or_b64 exec, exec, s[6:7]
	s_and_saveexec_b64 s[6:7], s[4:5]
	s_cbranch_execz .LBB2_34761
; %bb.62355:
	s_getpc_b64 s[14:15]
.Lpost_getpc34761:
	s_add_u32 s14, s14, (.LBB2_12179-.Lpost_getpc34761)&4294967295
	s_addc_u32 s15, s15, (.LBB2_12179-.Lpost_getpc34761)>>32
	s_setpc_b64 s[14:15]
.LBB2_34761:
	s_getpc_b64 s[14:15]
.Lpost_getpc20964:
	s_add_u32 s14, s14, (.LBB2_12180-.Lpost_getpc20964)&4294967295
	s_addc_u32 s15, s15, (.LBB2_12180-.Lpost_getpc20964)>>32
	s_setpc_b64 s[14:15]
.LBB2_26517:
	s_movk_i32 s4, 0x80
	v_cmp_eq_u16_e32 vcc, s4, v13
	s_mov_b64 s[4:5], -1
                                        ; implicit-def: $sgpr10
	s_and_saveexec_b64 s[8:9], vcc
; %bb.26518:
	s_mov_b32 s10, 0x7f800001
	s_xor_b64 s[4:5], exec, -1
; %bb.26519:
	s_or_b64 exec, exec, s[8:9]
	s_and_b64 s[4:5], s[4:5], exec
                                        ; implicit-def: $vgpr13
	s_or_saveexec_b64 s[6:7], s[6:7]
	v_mov_b32_e32 v14, s10
	s_xor_b64 exec, exec, s[6:7]
	s_cbranch_execnz .LBB2_26520
; %bb.62357:
	s_getpc_b64 s[14:15]
.Lpost_getpc34762:
	s_add_u32 s14, s14, (.LBB2_12182-.Lpost_getpc34762)&4294967295
	s_addc_u32 s15, s15, (.LBB2_12182-.Lpost_getpc34762)>>32
	s_setpc_b64 s[14:15]
.LBB2_26520:
	v_cmp_ne_u16_e32 vcc, 0, v13
	s_andn2_b64 s[4:5], s[4:5], exec
	s_and_b64 s[8:9], vcc, exec
	v_mov_b32_e32 v14, 0
	s_or_b64 s[4:5], s[4:5], s[8:9]
	s_or_b64 exec, exec, s[6:7]
	s_and_saveexec_b64 s[6:7], s[4:5]
	s_cbranch_execz .LBB2_34763
; %bb.62359:
	s_getpc_b64 s[14:15]
.Lpost_getpc34763:
	s_add_u32 s14, s14, (.LBB2_12183-.Lpost_getpc34763)&4294967295
	s_addc_u32 s15, s15, (.LBB2_12183-.Lpost_getpc34763)>>32
	s_setpc_b64 s[14:15]
.LBB2_34763:
	s_getpc_b64 s[14:15]
.Lpost_getpc20965:
	s_add_u32 s14, s14, (.LBB2_12184-.Lpost_getpc20965)&4294967295
	s_addc_u32 s15, s15, (.LBB2_12184-.Lpost_getpc20965)>>32
	s_setpc_b64 s[14:15]
.LBB2_26521:
	s_movk_i32 s4, 0x80
	v_cmp_eq_u16_sdwa s[12:13], v6, s4 src0_sel:BYTE_3 src1_sel:DWORD
	s_mov_b64 s[4:5], -1
                                        ; implicit-def: $sgpr10
	s_and_saveexec_b64 s[8:9], s[12:13]
; %bb.26522:
	s_mov_b32 s10, 0x7f800001
	s_xor_b64 s[4:5], exec, -1
; %bb.26523:
	s_or_b64 exec, exec, s[8:9]
	s_and_b64 s[4:5], s[4:5], exec
	s_or_saveexec_b64 s[6:7], s[6:7]
	v_mov_b32_e32 v12, s10
	s_xor_b64 exec, exec, s[6:7]
	s_cbranch_execnz .LBB2_26524
; %bb.62361:
	s_getpc_b64 s[14:15]
.Lpost_getpc34764:
	s_add_u32 s14, s14, (.LBB2_12186-.Lpost_getpc34764)&4294967295
	s_addc_u32 s15, s15, (.LBB2_12186-.Lpost_getpc34764)>>32
	s_setpc_b64 s[14:15]
.LBB2_26524:
	v_mov_b32_e32 v12, 0
	v_cmp_ne_u16_sdwa s[8:9], v6, v12 src0_sel:BYTE_3 src1_sel:DWORD
	s_andn2_b64 s[4:5], s[4:5], exec
	s_and_b64 s[8:9], s[8:9], exec
	s_or_b64 s[4:5], s[4:5], s[8:9]
	s_or_b64 exec, exec, s[6:7]
	s_and_saveexec_b64 s[6:7], s[4:5]
	s_cbranch_execz .LBB2_34765
; %bb.62363:
	s_getpc_b64 s[14:15]
.Lpost_getpc34765:
	s_add_u32 s14, s14, (.LBB2_12187-.Lpost_getpc34765)&4294967295
	s_addc_u32 s15, s15, (.LBB2_12187-.Lpost_getpc34765)>>32
	s_setpc_b64 s[14:15]
.LBB2_34765:
	s_getpc_b64 s[14:15]
.Lpost_getpc20966:
	s_add_u32 s14, s14, (.LBB2_12188-.Lpost_getpc20966)&4294967295
	s_addc_u32 s15, s15, (.LBB2_12188-.Lpost_getpc20966)>>32
	s_setpc_b64 s[14:15]
.LBB2_26525:
	s_movk_i32 s4, 0x80
	v_cmp_eq_u16_sdwa s[12:13], v2, s4 src0_sel:BYTE_3 src1_sel:DWORD
	s_mov_b64 s[4:5], -1
                                        ; implicit-def: $sgpr10
	s_and_saveexec_b64 s[8:9], s[12:13]
; %bb.26526:
	s_mov_b32 s10, 0x7f800001
	s_xor_b64 s[4:5], exec, -1
; %bb.26527:
	s_or_b64 exec, exec, s[8:9]
	s_and_b64 s[4:5], s[4:5], exec
	s_or_saveexec_b64 s[6:7], s[6:7]
	v_mov_b32_e32 v6, s10
	s_xor_b64 exec, exec, s[6:7]
	s_cbranch_execnz .LBB2_26528
; %bb.62365:
	s_getpc_b64 s[14:15]
.Lpost_getpc34766:
	s_add_u32 s14, s14, (.LBB2_12190-.Lpost_getpc34766)&4294967295
	s_addc_u32 s15, s15, (.LBB2_12190-.Lpost_getpc34766)>>32
	s_setpc_b64 s[14:15]
.LBB2_26528:
	v_mov_b32_e32 v6, 0
	v_cmp_ne_u16_sdwa s[8:9], v2, v6 src0_sel:BYTE_3 src1_sel:DWORD
	s_andn2_b64 s[4:5], s[4:5], exec
	s_and_b64 s[8:9], s[8:9], exec
	s_or_b64 s[4:5], s[4:5], s[8:9]
	s_or_b64 exec, exec, s[6:7]
	s_and_saveexec_b64 s[6:7], s[4:5]
	s_cbranch_execz .LBB2_34767
; %bb.62367:
	s_getpc_b64 s[14:15]
.Lpost_getpc34767:
	s_add_u32 s14, s14, (.LBB2_12191-.Lpost_getpc34767)&4294967295
	s_addc_u32 s15, s15, (.LBB2_12191-.Lpost_getpc34767)>>32
	s_setpc_b64 s[14:15]
.LBB2_34767:
	s_getpc_b64 s[14:15]
.Lpost_getpc20967:
	s_add_u32 s14, s14, (.LBB2_12192-.Lpost_getpc20967)&4294967295
	s_addc_u32 s15, s15, (.LBB2_12192-.Lpost_getpc20967)>>32
	s_setpc_b64 s[14:15]
.LBB2_26529:
	s_movk_i32 s4, 0x80
	v_cmp_eq_u16_sdwa s[12:13], v7, s4 src0_sel:BYTE_0 src1_sel:DWORD
	s_mov_b64 s[4:5], -1
                                        ; implicit-def: $sgpr10
	s_and_saveexec_b64 s[8:9], s[12:13]
; %bb.26530:
	s_mov_b32 s10, 0x7f800001
	s_xor_b64 s[4:5], exec, -1
; %bb.26531:
	s_or_b64 exec, exec, s[8:9]
	s_and_b64 s[4:5], s[4:5], exec
	s_or_saveexec_b64 s[6:7], s[6:7]
	v_mov_b32_e32 v2, s10
	s_xor_b64 exec, exec, s[6:7]
	s_cbranch_execnz .LBB2_26532
; %bb.62369:
	s_getpc_b64 s[14:15]
.Lpost_getpc34768:
	s_add_u32 s14, s14, (.LBB2_12194-.Lpost_getpc34768)&4294967295
	s_addc_u32 s15, s15, (.LBB2_12194-.Lpost_getpc34768)>>32
	s_setpc_b64 s[14:15]
.LBB2_26532:
	v_mov_b32_e32 v2, 0
	v_cmp_ne_u16_sdwa s[8:9], v7, v2 src0_sel:BYTE_0 src1_sel:DWORD
	s_andn2_b64 s[4:5], s[4:5], exec
	s_and_b64 s[8:9], s[8:9], exec
	s_or_b64 s[4:5], s[4:5], s[8:9]
	s_or_b64 exec, exec, s[6:7]
	s_and_saveexec_b64 s[6:7], s[4:5]
	s_cbranch_execz .LBB2_34769
; %bb.62371:
	s_getpc_b64 s[14:15]
.Lpost_getpc34769:
	s_add_u32 s14, s14, (.LBB2_12195-.Lpost_getpc34769)&4294967295
	s_addc_u32 s15, s15, (.LBB2_12195-.Lpost_getpc34769)>>32
	s_setpc_b64 s[14:15]
.LBB2_34769:
	s_getpc_b64 s[14:15]
.Lpost_getpc20968:
	s_add_u32 s14, s14, (.LBB2_12196-.Lpost_getpc20968)&4294967295
	s_addc_u32 s15, s15, (.LBB2_12196-.Lpost_getpc20968)>>32
	s_setpc_b64 s[14:15]
.LBB2_26533:
	s_movk_i32 s4, 0x80
	v_cmp_eq_u16_sdwa s[12:13], v3, s4 src0_sel:BYTE_0 src1_sel:DWORD
	s_mov_b64 s[4:5], -1
                                        ; implicit-def: $sgpr10
	s_and_saveexec_b64 s[8:9], s[12:13]
; %bb.26534:
	s_mov_b32 s10, 0x7f800001
	s_xor_b64 s[4:5], exec, -1
; %bb.26535:
	s_or_b64 exec, exec, s[8:9]
	s_and_b64 s[4:5], s[4:5], exec
	s_or_saveexec_b64 s[6:7], s[6:7]
	v_mov_b32_e32 v6, s10
	s_xor_b64 exec, exec, s[6:7]
	s_cbranch_execnz .LBB2_26536
; %bb.62373:
	s_getpc_b64 s[14:15]
.Lpost_getpc34770:
	s_add_u32 s14, s14, (.LBB2_12198-.Lpost_getpc34770)&4294967295
	s_addc_u32 s15, s15, (.LBB2_12198-.Lpost_getpc34770)>>32
	s_setpc_b64 s[14:15]
.LBB2_26536:
	v_mov_b32_e32 v6, 0
	v_cmp_ne_u16_sdwa s[8:9], v3, v6 src0_sel:BYTE_0 src1_sel:DWORD
	s_andn2_b64 s[4:5], s[4:5], exec
	s_and_b64 s[8:9], s[8:9], exec
	s_or_b64 s[4:5], s[4:5], s[8:9]
	s_or_b64 exec, exec, s[6:7]
	s_and_saveexec_b64 s[6:7], s[4:5]
	s_cbranch_execz .LBB2_34771
; %bb.62375:
	s_getpc_b64 s[14:15]
.Lpost_getpc34771:
	s_add_u32 s14, s14, (.LBB2_12199-.Lpost_getpc34771)&4294967295
	s_addc_u32 s15, s15, (.LBB2_12199-.Lpost_getpc34771)>>32
	s_setpc_b64 s[14:15]
.LBB2_34771:
	s_getpc_b64 s[14:15]
.Lpost_getpc20969:
	s_add_u32 s14, s14, (.LBB2_12200-.Lpost_getpc20969)&4294967295
	s_addc_u32 s15, s15, (.LBB2_12200-.Lpost_getpc20969)>>32
	s_setpc_b64 s[14:15]
.LBB2_26537:
	s_movk_i32 s4, 0x80
	v_cmp_eq_u16_sdwa s[12:13], v6, s4 src0_sel:BYTE_0 src1_sel:DWORD
	s_mov_b64 s[4:5], -1
                                        ; implicit-def: $sgpr10
	s_and_saveexec_b64 s[8:9], s[12:13]
; %bb.26538:
	s_mov_b32 s10, 0x7f800001
	s_xor_b64 s[4:5], exec, -1
; %bb.26539:
	s_or_b64 exec, exec, s[8:9]
	s_and_b64 s[4:5], s[4:5], exec
	s_or_saveexec_b64 s[6:7], s[6:7]
	v_mov_b32_e32 v2, s10
	s_xor_b64 exec, exec, s[6:7]
	s_cbranch_execnz .LBB2_26540
; %bb.62377:
	s_getpc_b64 s[14:15]
.Lpost_getpc34772:
	s_add_u32 s14, s14, (.LBB2_12202-.Lpost_getpc34772)&4294967295
	s_addc_u32 s15, s15, (.LBB2_12202-.Lpost_getpc34772)>>32
	s_setpc_b64 s[14:15]
.LBB2_26540:
	v_mov_b32_e32 v2, 0
	v_cmp_ne_u16_sdwa s[8:9], v6, v2 src0_sel:BYTE_0 src1_sel:DWORD
	s_andn2_b64 s[4:5], s[4:5], exec
	s_and_b64 s[8:9], s[8:9], exec
	s_or_b64 s[4:5], s[4:5], s[8:9]
	s_or_b64 exec, exec, s[6:7]
	s_and_saveexec_b64 s[6:7], s[4:5]
	s_cbranch_execz .LBB2_34773
; %bb.62379:
	s_getpc_b64 s[14:15]
.Lpost_getpc34773:
	s_add_u32 s14, s14, (.LBB2_12203-.Lpost_getpc34773)&4294967295
	s_addc_u32 s15, s15, (.LBB2_12203-.Lpost_getpc34773)>>32
	s_setpc_b64 s[14:15]
.LBB2_34773:
	s_getpc_b64 s[14:15]
.Lpost_getpc20970:
	s_add_u32 s14, s14, (.LBB2_12204-.Lpost_getpc20970)&4294967295
	s_addc_u32 s15, s15, (.LBB2_12204-.Lpost_getpc20970)>>32
	s_setpc_b64 s[14:15]
.LBB2_26541:
	s_movk_i32 s4, 0x80
	v_cmp_eq_u16_sdwa s[12:13], v6, s4 src0_sel:BYTE_0 src1_sel:DWORD
	s_mov_b64 s[4:5], -1
                                        ; implicit-def: $sgpr10
	s_and_saveexec_b64 s[8:9], s[12:13]
; %bb.26542:
	s_mov_b32 s10, 0x7f800001
	s_xor_b64 s[4:5], exec, -1
; %bb.26543:
	s_or_b64 exec, exec, s[8:9]
	s_and_b64 s[4:5], s[4:5], exec
	s_or_saveexec_b64 s[6:7], s[6:7]
	v_mov_b32_e32 v12, s10
	s_xor_b64 exec, exec, s[6:7]
	s_cbranch_execnz .LBB2_26544
; %bb.62381:
	s_getpc_b64 s[14:15]
.Lpost_getpc34774:
	s_add_u32 s14, s14, (.LBB2_12206-.Lpost_getpc34774)&4294967295
	s_addc_u32 s15, s15, (.LBB2_12206-.Lpost_getpc34774)>>32
	s_setpc_b64 s[14:15]
.LBB2_26544:
	v_mov_b32_e32 v12, 0
	v_cmp_ne_u16_sdwa s[8:9], v6, v12 src0_sel:BYTE_0 src1_sel:DWORD
	s_andn2_b64 s[4:5], s[4:5], exec
	s_and_b64 s[8:9], s[8:9], exec
	s_or_b64 s[4:5], s[4:5], s[8:9]
	s_or_b64 exec, exec, s[6:7]
	s_and_saveexec_b64 s[6:7], s[4:5]
	s_cbranch_execz .LBB2_34775
; %bb.62383:
	s_getpc_b64 s[14:15]
.Lpost_getpc34775:
	s_add_u32 s14, s14, (.LBB2_12207-.Lpost_getpc34775)&4294967295
	s_addc_u32 s15, s15, (.LBB2_12207-.Lpost_getpc34775)>>32
	s_setpc_b64 s[14:15]
.LBB2_34775:
	s_getpc_b64 s[14:15]
.Lpost_getpc20971:
	s_add_u32 s14, s14, (.LBB2_12208-.Lpost_getpc20971)&4294967295
	s_addc_u32 s15, s15, (.LBB2_12208-.Lpost_getpc20971)>>32
	s_setpc_b64 s[14:15]
.LBB2_26545:
	s_movk_i32 s4, 0x80
	v_cmp_eq_u16_e32 vcc, s4, v6
	s_mov_b64 s[4:5], -1
                                        ; implicit-def: $sgpr10
	s_and_saveexec_b64 s[8:9], vcc
; %bb.26546:
	s_mov_b32 s10, 0x7f800001
	s_xor_b64 s[4:5], exec, -1
; %bb.26547:
	s_or_b64 exec, exec, s[8:9]
	s_and_b64 s[4:5], s[4:5], exec
                                        ; implicit-def: $vgpr6
	s_or_saveexec_b64 s[6:7], s[6:7]
	v_mov_b32_e32 v2, s10
	s_xor_b64 exec, exec, s[6:7]
	s_cbranch_execnz .LBB2_26548
; %bb.62385:
	s_getpc_b64 s[14:15]
.Lpost_getpc34776:
	s_add_u32 s14, s14, (.LBB2_12210-.Lpost_getpc34776)&4294967295
	s_addc_u32 s15, s15, (.LBB2_12210-.Lpost_getpc34776)>>32
	s_setpc_b64 s[14:15]
.LBB2_26548:
	v_cmp_ne_u16_e32 vcc, 0, v6
	s_andn2_b64 s[4:5], s[4:5], exec
	s_and_b64 s[8:9], vcc, exec
	v_mov_b32_e32 v2, 0
	s_or_b64 s[4:5], s[4:5], s[8:9]
	s_or_b64 exec, exec, s[6:7]
	s_and_saveexec_b64 s[6:7], s[4:5]
	s_cbranch_execz .LBB2_34777
; %bb.62387:
	s_getpc_b64 s[14:15]
.Lpost_getpc34777:
	s_add_u32 s14, s14, (.LBB2_12211-.Lpost_getpc34777)&4294967295
	s_addc_u32 s15, s15, (.LBB2_12211-.Lpost_getpc34777)>>32
	s_setpc_b64 s[14:15]
.LBB2_34777:
	s_getpc_b64 s[14:15]
.Lpost_getpc20972:
	s_add_u32 s14, s14, (.LBB2_12212-.Lpost_getpc20972)&4294967295
	s_addc_u32 s15, s15, (.LBB2_12212-.Lpost_getpc20972)>>32
	s_setpc_b64 s[14:15]
.LBB2_26549:
	s_movk_i32 s4, 0x80
	v_cmp_eq_u16_e32 vcc, s4, v6
	s_mov_b64 s[4:5], -1
                                        ; implicit-def: $sgpr10
	s_and_saveexec_b64 s[8:9], vcc
; %bb.26550:
	s_mov_b32 s10, 0x7f800001
	s_xor_b64 s[4:5], exec, -1
; %bb.26551:
	s_or_b64 exec, exec, s[8:9]
	s_and_b64 s[4:5], s[4:5], exec
                                        ; implicit-def: $vgpr6
	s_or_saveexec_b64 s[6:7], s[6:7]
	v_mov_b32_e32 v12, s10
	s_xor_b64 exec, exec, s[6:7]
	s_cbranch_execnz .LBB2_26552
; %bb.62389:
	s_getpc_b64 s[14:15]
.Lpost_getpc34778:
	s_add_u32 s14, s14, (.LBB2_12214-.Lpost_getpc34778)&4294967295
	s_addc_u32 s15, s15, (.LBB2_12214-.Lpost_getpc34778)>>32
	s_setpc_b64 s[14:15]
.LBB2_26552:
	v_cmp_ne_u16_e32 vcc, 0, v6
	s_andn2_b64 s[4:5], s[4:5], exec
	s_and_b64 s[8:9], vcc, exec
	v_mov_b32_e32 v12, 0
	s_or_b64 s[4:5], s[4:5], s[8:9]
	s_or_b64 exec, exec, s[6:7]
	s_and_saveexec_b64 s[6:7], s[4:5]
	s_cbranch_execz .LBB2_34779
; %bb.62391:
	s_getpc_b64 s[14:15]
.Lpost_getpc34779:
	s_add_u32 s14, s14, (.LBB2_12215-.Lpost_getpc34779)&4294967295
	s_addc_u32 s15, s15, (.LBB2_12215-.Lpost_getpc34779)>>32
	s_setpc_b64 s[14:15]
.LBB2_34779:
	s_getpc_b64 s[14:15]
.Lpost_getpc20973:
	s_add_u32 s14, s14, (.LBB2_12216-.Lpost_getpc20973)&4294967295
	s_addc_u32 s15, s15, (.LBB2_12216-.Lpost_getpc20973)>>32
	s_setpc_b64 s[14:15]
.LBB2_26553:
	s_movk_i32 s4, 0x80
	v_cmp_eq_u16_sdwa s[12:13], v7, s4 src0_sel:BYTE_3 src1_sel:DWORD
	s_mov_b64 s[4:5], -1
                                        ; implicit-def: $sgpr10
	s_and_saveexec_b64 s[8:9], s[12:13]
; %bb.26554:
	s_mov_b32 s10, 0x7f800001
	s_xor_b64 s[4:5], exec, -1
; %bb.26555:
	s_or_b64 exec, exec, s[8:9]
	s_and_b64 s[4:5], s[4:5], exec
	s_or_saveexec_b64 s[6:7], s[6:7]
	v_mov_b32_e32 v2, s10
	s_xor_b64 exec, exec, s[6:7]
	s_cbranch_execnz .LBB2_26556
; %bb.62393:
	s_getpc_b64 s[14:15]
.Lpost_getpc34780:
	s_add_u32 s14, s14, (.LBB2_12218-.Lpost_getpc34780)&4294967295
	s_addc_u32 s15, s15, (.LBB2_12218-.Lpost_getpc34780)>>32
	s_setpc_b64 s[14:15]
.LBB2_26556:
	v_mov_b32_e32 v2, 0
	v_cmp_ne_u16_sdwa s[8:9], v7, v2 src0_sel:BYTE_3 src1_sel:DWORD
	s_andn2_b64 s[4:5], s[4:5], exec
	s_and_b64 s[8:9], s[8:9], exec
	s_or_b64 s[4:5], s[4:5], s[8:9]
	s_or_b64 exec, exec, s[6:7]
	s_and_saveexec_b64 s[6:7], s[4:5]
	s_cbranch_execz .LBB2_34781
; %bb.62395:
	s_getpc_b64 s[14:15]
.Lpost_getpc34781:
	s_add_u32 s14, s14, (.LBB2_12219-.Lpost_getpc34781)&4294967295
	s_addc_u32 s15, s15, (.LBB2_12219-.Lpost_getpc34781)>>32
	s_setpc_b64 s[14:15]
.LBB2_34781:
	s_getpc_b64 s[14:15]
.Lpost_getpc20974:
	s_add_u32 s14, s14, (.LBB2_12220-.Lpost_getpc20974)&4294967295
	s_addc_u32 s15, s15, (.LBB2_12220-.Lpost_getpc20974)>>32
	s_setpc_b64 s[14:15]
.LBB2_26557:
	s_movk_i32 s4, 0x80
	v_cmp_eq_u16_sdwa s[12:13], v3, s4 src0_sel:BYTE_3 src1_sel:DWORD
	s_mov_b64 s[4:5], -1
                                        ; implicit-def: $sgpr10
	s_and_saveexec_b64 s[8:9], s[12:13]
; %bb.26558:
	s_mov_b32 s10, 0x7f800001
	s_xor_b64 s[4:5], exec, -1
; %bb.26559:
	s_or_b64 exec, exec, s[8:9]
	s_and_b64 s[4:5], s[4:5], exec
	s_or_saveexec_b64 s[6:7], s[6:7]
	v_mov_b32_e32 v6, s10
	s_xor_b64 exec, exec, s[6:7]
	s_cbranch_execnz .LBB2_26560
; %bb.62397:
	s_getpc_b64 s[14:15]
.Lpost_getpc34782:
	s_add_u32 s14, s14, (.LBB2_12222-.Lpost_getpc34782)&4294967295
	s_addc_u32 s15, s15, (.LBB2_12222-.Lpost_getpc34782)>>32
	s_setpc_b64 s[14:15]
.LBB2_26560:
	v_mov_b32_e32 v6, 0
	v_cmp_ne_u16_sdwa s[8:9], v3, v6 src0_sel:BYTE_3 src1_sel:DWORD
	s_andn2_b64 s[4:5], s[4:5], exec
	s_and_b64 s[8:9], s[8:9], exec
	s_or_b64 s[4:5], s[4:5], s[8:9]
	s_or_b64 exec, exec, s[6:7]
	s_and_saveexec_b64 s[6:7], s[4:5]
	s_cbranch_execz .LBB2_34783
; %bb.62399:
	s_getpc_b64 s[14:15]
.Lpost_getpc34783:
	s_add_u32 s14, s14, (.LBB2_12223-.Lpost_getpc34783)&4294967295
	s_addc_u32 s15, s15, (.LBB2_12223-.Lpost_getpc34783)>>32
	s_setpc_b64 s[14:15]
.LBB2_34783:
	s_getpc_b64 s[14:15]
.Lpost_getpc20975:
	s_add_u32 s14, s14, (.LBB2_12224-.Lpost_getpc20975)&4294967295
	s_addc_u32 s15, s15, (.LBB2_12224-.Lpost_getpc20975)>>32
	s_setpc_b64 s[14:15]
.LBB2_26561:
	s_movk_i32 s4, 0x80
	v_cmp_eq_u16_sdwa s[12:13], v8, s4 src0_sel:BYTE_0 src1_sel:DWORD
	s_mov_b64 s[4:5], -1
                                        ; implicit-def: $sgpr10
	s_and_saveexec_b64 s[8:9], s[12:13]
; %bb.26562:
	s_mov_b32 s10, 0x7f800001
	s_xor_b64 s[4:5], exec, -1
; %bb.26563:
	s_or_b64 exec, exec, s[8:9]
	s_and_b64 s[4:5], s[4:5], exec
	s_or_saveexec_b64 s[6:7], s[6:7]
	v_mov_b32_e32 v2, s10
	s_xor_b64 exec, exec, s[6:7]
	s_cbranch_execnz .LBB2_26564
; %bb.62401:
	s_getpc_b64 s[14:15]
.Lpost_getpc34784:
	s_add_u32 s14, s14, (.LBB2_12226-.Lpost_getpc34784)&4294967295
	s_addc_u32 s15, s15, (.LBB2_12226-.Lpost_getpc34784)>>32
	s_setpc_b64 s[14:15]
.LBB2_26564:
	v_mov_b32_e32 v2, 0
	v_cmp_ne_u16_sdwa s[8:9], v8, v2 src0_sel:BYTE_0 src1_sel:DWORD
	s_andn2_b64 s[4:5], s[4:5], exec
	s_and_b64 s[8:9], s[8:9], exec
	s_or_b64 s[4:5], s[4:5], s[8:9]
	s_or_b64 exec, exec, s[6:7]
	s_and_saveexec_b64 s[6:7], s[4:5]
	s_cbranch_execz .LBB2_34785
; %bb.62403:
	s_getpc_b64 s[14:15]
.Lpost_getpc34785:
	s_add_u32 s14, s14, (.LBB2_12227-.Lpost_getpc34785)&4294967295
	s_addc_u32 s15, s15, (.LBB2_12227-.Lpost_getpc34785)>>32
	s_setpc_b64 s[14:15]
.LBB2_34785:
	s_getpc_b64 s[14:15]
.Lpost_getpc20976:
	s_add_u32 s14, s14, (.LBB2_12228-.Lpost_getpc20976)&4294967295
	s_addc_u32 s15, s15, (.LBB2_12228-.Lpost_getpc20976)>>32
	s_setpc_b64 s[14:15]
.LBB2_26565:
	s_movk_i32 s4, 0x80
	v_cmp_eq_u16_sdwa s[12:13], v4, s4 src0_sel:BYTE_0 src1_sel:DWORD
	s_mov_b64 s[4:5], -1
                                        ; implicit-def: $sgpr10
	s_and_saveexec_b64 s[8:9], s[12:13]
; %bb.26566:
	s_mov_b32 s10, 0x7f800001
	s_xor_b64 s[4:5], exec, -1
; %bb.26567:
	s_or_b64 exec, exec, s[8:9]
	s_and_b64 s[4:5], s[4:5], exec
	s_or_saveexec_b64 s[6:7], s[6:7]
	v_mov_b32_e32 v3, s10
	s_xor_b64 exec, exec, s[6:7]
	s_cbranch_execnz .LBB2_26568
; %bb.62405:
	s_getpc_b64 s[14:15]
.Lpost_getpc34786:
	s_add_u32 s14, s14, (.LBB2_12230-.Lpost_getpc34786)&4294967295
	s_addc_u32 s15, s15, (.LBB2_12230-.Lpost_getpc34786)>>32
	s_setpc_b64 s[14:15]
.LBB2_26568:
	v_mov_b32_e32 v3, 0
	v_cmp_ne_u16_sdwa s[8:9], v4, v3 src0_sel:BYTE_0 src1_sel:DWORD
	s_andn2_b64 s[4:5], s[4:5], exec
	s_and_b64 s[8:9], s[8:9], exec
	s_or_b64 s[4:5], s[4:5], s[8:9]
	s_or_b64 exec, exec, s[6:7]
	s_and_saveexec_b64 s[6:7], s[4:5]
	s_cbranch_execz .LBB2_34787
; %bb.62407:
	s_getpc_b64 s[14:15]
.Lpost_getpc34787:
	s_add_u32 s14, s14, (.LBB2_12231-.Lpost_getpc34787)&4294967295
	s_addc_u32 s15, s15, (.LBB2_12231-.Lpost_getpc34787)>>32
	s_setpc_b64 s[14:15]
.LBB2_34787:
	s_getpc_b64 s[14:15]
.Lpost_getpc20977:
	s_add_u32 s14, s14, (.LBB2_12232-.Lpost_getpc20977)&4294967295
	s_addc_u32 s15, s15, (.LBB2_12232-.Lpost_getpc20977)>>32
	s_setpc_b64 s[14:15]
.LBB2_26569:
	s_movk_i32 s4, 0x80
	v_cmp_eq_u16_sdwa s[12:13], v3, s4 src0_sel:BYTE_0 src1_sel:DWORD
	s_mov_b64 s[4:5], -1
                                        ; implicit-def: $sgpr10
	s_and_saveexec_b64 s[8:9], s[12:13]
; %bb.26570:
	s_mov_b32 s10, 0x7f800001
	s_xor_b64 s[4:5], exec, -1
; %bb.26571:
	s_or_b64 exec, exec, s[8:9]
	s_and_b64 s[4:5], s[4:5], exec
	s_or_saveexec_b64 s[6:7], s[6:7]
	v_mov_b32_e32 v2, s10
	s_xor_b64 exec, exec, s[6:7]
	s_cbranch_execnz .LBB2_26572
; %bb.62409:
	s_getpc_b64 s[14:15]
.Lpost_getpc34788:
	s_add_u32 s14, s14, (.LBB2_12234-.Lpost_getpc34788)&4294967295
	s_addc_u32 s15, s15, (.LBB2_12234-.Lpost_getpc34788)>>32
	s_setpc_b64 s[14:15]
.LBB2_26572:
	v_mov_b32_e32 v2, 0
	v_cmp_ne_u16_sdwa s[8:9], v3, v2 src0_sel:BYTE_0 src1_sel:DWORD
	s_andn2_b64 s[4:5], s[4:5], exec
	s_and_b64 s[8:9], s[8:9], exec
	s_or_b64 s[4:5], s[4:5], s[8:9]
	s_or_b64 exec, exec, s[6:7]
	s_and_saveexec_b64 s[6:7], s[4:5]
	s_cbranch_execz .LBB2_34789
; %bb.62411:
	s_getpc_b64 s[14:15]
.Lpost_getpc34789:
	s_add_u32 s14, s14, (.LBB2_12235-.Lpost_getpc34789)&4294967295
	s_addc_u32 s15, s15, (.LBB2_12235-.Lpost_getpc34789)>>32
	s_setpc_b64 s[14:15]
.LBB2_34789:
	s_getpc_b64 s[14:15]
.Lpost_getpc20978:
	s_add_u32 s14, s14, (.LBB2_12236-.Lpost_getpc20978)&4294967295
	s_addc_u32 s15, s15, (.LBB2_12236-.Lpost_getpc20978)>>32
	s_setpc_b64 s[14:15]
.LBB2_26573:
	s_movk_i32 s4, 0x80
	v_cmp_eq_u16_sdwa s[12:13], v3, s4 src0_sel:BYTE_0 src1_sel:DWORD
	s_mov_b64 s[4:5], -1
                                        ; implicit-def: $sgpr10
	s_and_saveexec_b64 s[8:9], s[12:13]
; %bb.26574:
	s_mov_b32 s10, 0x7f800001
	s_xor_b64 s[4:5], exec, -1
; %bb.26575:
	s_or_b64 exec, exec, s[8:9]
	s_and_b64 s[4:5], s[4:5], exec
	s_or_saveexec_b64 s[6:7], s[6:7]
	v_mov_b32_e32 v6, s10
	s_xor_b64 exec, exec, s[6:7]
	s_cbranch_execnz .LBB2_26576
; %bb.62413:
	s_getpc_b64 s[14:15]
.Lpost_getpc34790:
	s_add_u32 s14, s14, (.LBB2_12238-.Lpost_getpc34790)&4294967295
	s_addc_u32 s15, s15, (.LBB2_12238-.Lpost_getpc34790)>>32
	s_setpc_b64 s[14:15]
.LBB2_26576:
	v_mov_b32_e32 v6, 0
	v_cmp_ne_u16_sdwa s[8:9], v3, v6 src0_sel:BYTE_0 src1_sel:DWORD
	s_andn2_b64 s[4:5], s[4:5], exec
	s_and_b64 s[8:9], s[8:9], exec
	s_or_b64 s[4:5], s[4:5], s[8:9]
	s_or_b64 exec, exec, s[6:7]
	s_and_saveexec_b64 s[6:7], s[4:5]
	s_cbranch_execz .LBB2_34791
; %bb.62415:
	s_getpc_b64 s[14:15]
.Lpost_getpc34791:
	s_add_u32 s14, s14, (.LBB2_12239-.Lpost_getpc34791)&4294967295
	s_addc_u32 s15, s15, (.LBB2_12239-.Lpost_getpc34791)>>32
	s_setpc_b64 s[14:15]
.LBB2_34791:
	s_getpc_b64 s[14:15]
.Lpost_getpc20979:
	s_add_u32 s14, s14, (.LBB2_12240-.Lpost_getpc20979)&4294967295
	s_addc_u32 s15, s15, (.LBB2_12240-.Lpost_getpc20979)>>32
	s_setpc_b64 s[14:15]
.LBB2_26577:
	s_movk_i32 s4, 0x80
	v_cmp_eq_u16_e32 vcc, s4, v3
	s_mov_b64 s[4:5], -1
                                        ; implicit-def: $sgpr10
	s_and_saveexec_b64 s[8:9], vcc
; %bb.26578:
	s_mov_b32 s10, 0x7f800001
	s_xor_b64 s[4:5], exec, -1
; %bb.26579:
	s_or_b64 exec, exec, s[8:9]
	s_and_b64 s[4:5], s[4:5], exec
                                        ; implicit-def: $vgpr3
	s_or_saveexec_b64 s[6:7], s[6:7]
	v_mov_b32_e32 v2, s10
	s_xor_b64 exec, exec, s[6:7]
	s_cbranch_execnz .LBB2_26580
; %bb.62417:
	s_getpc_b64 s[14:15]
.Lpost_getpc34792:
	s_add_u32 s14, s14, (.LBB2_12242-.Lpost_getpc34792)&4294967295
	s_addc_u32 s15, s15, (.LBB2_12242-.Lpost_getpc34792)>>32
	s_setpc_b64 s[14:15]
.LBB2_26580:
	v_cmp_ne_u16_e32 vcc, 0, v3
	s_andn2_b64 s[4:5], s[4:5], exec
	s_and_b64 s[8:9], vcc, exec
	v_mov_b32_e32 v2, 0
	s_or_b64 s[4:5], s[4:5], s[8:9]
	s_or_b64 exec, exec, s[6:7]
	s_and_saveexec_b64 s[6:7], s[4:5]
	s_cbranch_execz .LBB2_34793
; %bb.62419:
	s_getpc_b64 s[14:15]
.Lpost_getpc34793:
	s_add_u32 s14, s14, (.LBB2_12243-.Lpost_getpc34793)&4294967295
	s_addc_u32 s15, s15, (.LBB2_12243-.Lpost_getpc34793)>>32
	s_setpc_b64 s[14:15]
.LBB2_34793:
	s_getpc_b64 s[14:15]
.Lpost_getpc20980:
	s_add_u32 s14, s14, (.LBB2_12244-.Lpost_getpc20980)&4294967295
	s_addc_u32 s15, s15, (.LBB2_12244-.Lpost_getpc20980)>>32
	s_setpc_b64 s[14:15]
.LBB2_26581:
	s_movk_i32 s4, 0x80
	v_cmp_eq_u16_e32 vcc, s4, v3
	s_mov_b64 s[4:5], -1
                                        ; implicit-def: $sgpr10
	s_and_saveexec_b64 s[8:9], vcc
; %bb.26582:
	s_mov_b32 s10, 0x7f800001
	s_xor_b64 s[4:5], exec, -1
; %bb.26583:
	s_or_b64 exec, exec, s[8:9]
	s_and_b64 s[4:5], s[4:5], exec
                                        ; implicit-def: $vgpr3
	s_or_saveexec_b64 s[6:7], s[6:7]
	v_mov_b32_e32 v6, s10
	s_xor_b64 exec, exec, s[6:7]
	s_cbranch_execnz .LBB2_26584
; %bb.62421:
	s_getpc_b64 s[14:15]
.Lpost_getpc34794:
	s_add_u32 s14, s14, (.LBB2_12246-.Lpost_getpc34794)&4294967295
	s_addc_u32 s15, s15, (.LBB2_12246-.Lpost_getpc34794)>>32
	s_setpc_b64 s[14:15]
.LBB2_26584:
	v_cmp_ne_u16_e32 vcc, 0, v3
	s_andn2_b64 s[4:5], s[4:5], exec
	s_and_b64 s[8:9], vcc, exec
	v_mov_b32_e32 v6, 0
	s_or_b64 s[4:5], s[4:5], s[8:9]
	s_or_b64 exec, exec, s[6:7]
	s_and_saveexec_b64 s[6:7], s[4:5]
	s_cbranch_execz .LBB2_34795
; %bb.62423:
	s_getpc_b64 s[14:15]
.Lpost_getpc34795:
	s_add_u32 s14, s14, (.LBB2_12247-.Lpost_getpc34795)&4294967295
	s_addc_u32 s15, s15, (.LBB2_12247-.Lpost_getpc34795)>>32
	s_setpc_b64 s[14:15]
.LBB2_34795:
	s_getpc_b64 s[14:15]
.Lpost_getpc20981:
	s_add_u32 s14, s14, (.LBB2_12248-.Lpost_getpc20981)&4294967295
	s_addc_u32 s15, s15, (.LBB2_12248-.Lpost_getpc20981)>>32
	s_setpc_b64 s[14:15]
.LBB2_26585:
	s_movk_i32 s4, 0x80
	v_cmp_eq_u16_sdwa s[12:13], v8, s4 src0_sel:BYTE_3 src1_sel:DWORD
	s_mov_b64 s[4:5], -1
                                        ; implicit-def: $sgpr10
	s_and_saveexec_b64 s[8:9], s[12:13]
; %bb.26586:
	s_mov_b32 s10, 0x7f800001
	s_xor_b64 s[4:5], exec, -1
; %bb.26587:
	s_or_b64 exec, exec, s[8:9]
	s_and_b64 s[4:5], s[4:5], exec
	s_or_saveexec_b64 s[6:7], s[6:7]
	v_mov_b32_e32 v2, s10
	s_xor_b64 exec, exec, s[6:7]
	s_cbranch_execnz .LBB2_26588
; %bb.62425:
	s_getpc_b64 s[14:15]
.Lpost_getpc34796:
	s_add_u32 s14, s14, (.LBB2_12250-.Lpost_getpc34796)&4294967295
	s_addc_u32 s15, s15, (.LBB2_12250-.Lpost_getpc34796)>>32
	s_setpc_b64 s[14:15]
.LBB2_26588:
	v_mov_b32_e32 v2, 0
	v_cmp_ne_u16_sdwa s[8:9], v8, v2 src0_sel:BYTE_3 src1_sel:DWORD
	s_andn2_b64 s[4:5], s[4:5], exec
	s_and_b64 s[8:9], s[8:9], exec
	s_or_b64 s[4:5], s[4:5], s[8:9]
	s_or_b64 exec, exec, s[6:7]
	s_and_saveexec_b64 s[6:7], s[4:5]
	s_cbranch_execz .LBB2_34797
; %bb.62427:
	s_getpc_b64 s[14:15]
.Lpost_getpc34797:
	s_add_u32 s14, s14, (.LBB2_12251-.Lpost_getpc34797)&4294967295
	s_addc_u32 s15, s15, (.LBB2_12251-.Lpost_getpc34797)>>32
	s_setpc_b64 s[14:15]
.LBB2_34797:
	s_getpc_b64 s[14:15]
.Lpost_getpc20982:
	s_add_u32 s14, s14, (.LBB2_12252-.Lpost_getpc20982)&4294967295
	s_addc_u32 s15, s15, (.LBB2_12252-.Lpost_getpc20982)>>32
	s_setpc_b64 s[14:15]
.LBB2_26589:
	s_movk_i32 s4, 0x80
	v_cmp_eq_u16_sdwa s[12:13], v4, s4 src0_sel:BYTE_3 src1_sel:DWORD
	s_mov_b64 s[4:5], -1
                                        ; implicit-def: $sgpr10
	s_and_saveexec_b64 s[8:9], s[12:13]
; %bb.26590:
	s_mov_b32 s10, 0x7f800001
	s_xor_b64 s[4:5], exec, -1
; %bb.26591:
	s_or_b64 exec, exec, s[8:9]
	s_and_b64 s[4:5], s[4:5], exec
	s_or_saveexec_b64 s[6:7], s[6:7]
	v_mov_b32_e32 v3, s10
	s_xor_b64 exec, exec, s[6:7]
	s_cbranch_execnz .LBB2_26592
; %bb.62429:
	s_getpc_b64 s[14:15]
.Lpost_getpc34798:
	s_add_u32 s14, s14, (.LBB2_12254-.Lpost_getpc34798)&4294967295
	s_addc_u32 s15, s15, (.LBB2_12254-.Lpost_getpc34798)>>32
	s_setpc_b64 s[14:15]
.LBB2_26592:
	v_mov_b32_e32 v3, 0
	v_cmp_ne_u16_sdwa s[8:9], v4, v3 src0_sel:BYTE_3 src1_sel:DWORD
	s_andn2_b64 s[4:5], s[4:5], exec
	s_and_b64 s[8:9], s[8:9], exec
	s_or_b64 s[4:5], s[4:5], s[8:9]
	s_or_b64 exec, exec, s[6:7]
	s_and_saveexec_b64 s[6:7], s[4:5]
	s_cbranch_execz .LBB2_34799
; %bb.62431:
	s_getpc_b64 s[14:15]
.Lpost_getpc34799:
	s_add_u32 s14, s14, (.LBB2_12255-.Lpost_getpc34799)&4294967295
	s_addc_u32 s15, s15, (.LBB2_12255-.Lpost_getpc34799)>>32
	s_setpc_b64 s[14:15]
.LBB2_34799:
	s_getpc_b64 s[14:15]
.Lpost_getpc20983:
	s_add_u32 s14, s14, (.LBB2_12256-.Lpost_getpc20983)&4294967295
	s_addc_u32 s15, s15, (.LBB2_12256-.Lpost_getpc20983)>>32
	s_setpc_b64 s[14:15]
.LBB2_26593:
	s_movk_i32 s4, 0x80
	v_cmp_eq_u16_sdwa s[12:13], v9, s4 src0_sel:BYTE_0 src1_sel:DWORD
	s_mov_b64 s[4:5], -1
                                        ; implicit-def: $sgpr10
	s_and_saveexec_b64 s[8:9], s[12:13]
; %bb.26594:
	s_mov_b32 s10, 0x7f800001
	s_xor_b64 s[4:5], exec, -1
; %bb.26595:
	s_or_b64 exec, exec, s[8:9]
	s_and_b64 s[4:5], s[4:5], exec
	s_or_saveexec_b64 s[6:7], s[6:7]
	v_mov_b32_e32 v2, s10
	s_xor_b64 exec, exec, s[6:7]
	s_cbranch_execnz .LBB2_26596
; %bb.62433:
	s_getpc_b64 s[14:15]
.Lpost_getpc34800:
	s_add_u32 s14, s14, (.LBB2_12258-.Lpost_getpc34800)&4294967295
	s_addc_u32 s15, s15, (.LBB2_12258-.Lpost_getpc34800)>>32
	s_setpc_b64 s[14:15]
.LBB2_26596:
	v_mov_b32_e32 v2, 0
	v_cmp_ne_u16_sdwa s[8:9], v9, v2 src0_sel:BYTE_0 src1_sel:DWORD
	s_andn2_b64 s[4:5], s[4:5], exec
	s_and_b64 s[8:9], s[8:9], exec
	s_or_b64 s[4:5], s[4:5], s[8:9]
	s_or_b64 exec, exec, s[6:7]
	s_and_saveexec_b64 s[6:7], s[4:5]
	s_cbranch_execz .LBB2_34801
; %bb.62435:
	s_getpc_b64 s[14:15]
.Lpost_getpc34801:
	s_add_u32 s14, s14, (.LBB2_12259-.Lpost_getpc34801)&4294967295
	s_addc_u32 s15, s15, (.LBB2_12259-.Lpost_getpc34801)>>32
	s_setpc_b64 s[14:15]
.LBB2_34801:
	s_getpc_b64 s[14:15]
.Lpost_getpc20984:
	s_add_u32 s14, s14, (.LBB2_12260-.Lpost_getpc20984)&4294967295
	s_addc_u32 s15, s15, (.LBB2_12260-.Lpost_getpc20984)>>32
	s_setpc_b64 s[14:15]
.LBB2_26597:
	s_movk_i32 s4, 0x80
	v_cmp_eq_u16_sdwa s[12:13], v5, s4 src0_sel:BYTE_0 src1_sel:DWORD
	s_mov_b64 s[4:5], -1
                                        ; implicit-def: $sgpr10
	s_and_saveexec_b64 s[8:9], s[12:13]
; %bb.26598:
	s_mov_b32 s10, 0x7f800001
	s_xor_b64 s[4:5], exec, -1
; %bb.26599:
	s_or_b64 exec, exec, s[8:9]
	s_and_b64 s[4:5], s[4:5], exec
	s_or_saveexec_b64 s[6:7], s[6:7]
	v_mov_b32_e32 v3, s10
	s_xor_b64 exec, exec, s[6:7]
	s_cbranch_execnz .LBB2_26600
; %bb.62437:
	s_getpc_b64 s[14:15]
.Lpost_getpc34802:
	s_add_u32 s14, s14, (.LBB2_12262-.Lpost_getpc34802)&4294967295
	s_addc_u32 s15, s15, (.LBB2_12262-.Lpost_getpc34802)>>32
	s_setpc_b64 s[14:15]
.LBB2_26600:
	v_mov_b32_e32 v3, 0
	v_cmp_ne_u16_sdwa s[8:9], v5, v3 src0_sel:BYTE_0 src1_sel:DWORD
	s_andn2_b64 s[4:5], s[4:5], exec
	s_and_b64 s[8:9], s[8:9], exec
	s_or_b64 s[4:5], s[4:5], s[8:9]
	s_or_b64 exec, exec, s[6:7]
	s_and_saveexec_b64 s[6:7], s[4:5]
	s_cbranch_execz .LBB2_34803
; %bb.62439:
	s_getpc_b64 s[14:15]
.Lpost_getpc34803:
	s_add_u32 s14, s14, (.LBB2_12263-.Lpost_getpc34803)&4294967295
	s_addc_u32 s15, s15, (.LBB2_12263-.Lpost_getpc34803)>>32
	s_setpc_b64 s[14:15]
.LBB2_34803:
	s_getpc_b64 s[14:15]
.Lpost_getpc20985:
	s_add_u32 s14, s14, (.LBB2_12264-.Lpost_getpc20985)&4294967295
	s_addc_u32 s15, s15, (.LBB2_12264-.Lpost_getpc20985)>>32
	s_setpc_b64 s[14:15]
.LBB2_26601:
	s_movk_i32 s4, 0x80
	v_cmp_eq_u16_sdwa s[12:13], v3, s4 src0_sel:BYTE_0 src1_sel:DWORD
	s_mov_b64 s[4:5], -1
                                        ; implicit-def: $sgpr10
	s_and_saveexec_b64 s[8:9], s[12:13]
; %bb.26602:
	s_mov_b32 s10, 0x7f800001
	s_xor_b64 s[4:5], exec, -1
; %bb.26603:
	s_or_b64 exec, exec, s[8:9]
	s_and_b64 s[4:5], s[4:5], exec
	s_or_saveexec_b64 s[6:7], s[6:7]
	v_mov_b32_e32 v2, s10
	s_xor_b64 exec, exec, s[6:7]
	s_cbranch_execnz .LBB2_26604
; %bb.62441:
	s_getpc_b64 s[14:15]
.Lpost_getpc34804:
	s_add_u32 s14, s14, (.LBB2_12266-.Lpost_getpc34804)&4294967295
	s_addc_u32 s15, s15, (.LBB2_12266-.Lpost_getpc34804)>>32
	s_setpc_b64 s[14:15]
.LBB2_26604:
	v_mov_b32_e32 v2, 0
	v_cmp_ne_u16_sdwa s[8:9], v3, v2 src0_sel:BYTE_0 src1_sel:DWORD
	s_andn2_b64 s[4:5], s[4:5], exec
	s_and_b64 s[8:9], s[8:9], exec
	s_or_b64 s[4:5], s[4:5], s[8:9]
	s_or_b64 exec, exec, s[6:7]
	s_and_saveexec_b64 s[6:7], s[4:5]
	s_cbranch_execz .LBB2_34805
; %bb.62443:
	s_getpc_b64 s[14:15]
.Lpost_getpc34805:
	s_add_u32 s14, s14, (.LBB2_12267-.Lpost_getpc34805)&4294967295
	s_addc_u32 s15, s15, (.LBB2_12267-.Lpost_getpc34805)>>32
	s_setpc_b64 s[14:15]
.LBB2_34805:
	s_getpc_b64 s[14:15]
.Lpost_getpc20986:
	s_add_u32 s14, s14, (.LBB2_12268-.Lpost_getpc20986)&4294967295
	s_addc_u32 s15, s15, (.LBB2_12268-.Lpost_getpc20986)>>32
	s_setpc_b64 s[14:15]
.LBB2_26605:
	s_movk_i32 s4, 0x80
	v_cmp_eq_u16_sdwa s[12:13], v3, s4 src0_sel:BYTE_0 src1_sel:DWORD
	s_mov_b64 s[4:5], -1
                                        ; implicit-def: $sgpr10
	s_and_saveexec_b64 s[8:9], s[12:13]
; %bb.26606:
	s_mov_b32 s10, 0x7f800001
	s_xor_b64 s[4:5], exec, -1
; %bb.26607:
	s_or_b64 exec, exec, s[8:9]
	s_and_b64 s[4:5], s[4:5], exec
	s_or_saveexec_b64 s[6:7], s[6:7]
	v_mov_b32_e32 v4, s10
	s_xor_b64 exec, exec, s[6:7]
	s_cbranch_execnz .LBB2_26608
; %bb.62445:
	s_getpc_b64 s[14:15]
.Lpost_getpc34806:
	s_add_u32 s14, s14, (.LBB2_12270-.Lpost_getpc34806)&4294967295
	s_addc_u32 s15, s15, (.LBB2_12270-.Lpost_getpc34806)>>32
	s_setpc_b64 s[14:15]
.LBB2_26608:
	v_mov_b32_e32 v4, 0
	v_cmp_ne_u16_sdwa s[8:9], v3, v4 src0_sel:BYTE_0 src1_sel:DWORD
	s_andn2_b64 s[4:5], s[4:5], exec
	s_and_b64 s[8:9], s[8:9], exec
	s_or_b64 s[4:5], s[4:5], s[8:9]
	s_or_b64 exec, exec, s[6:7]
	s_and_saveexec_b64 s[6:7], s[4:5]
	s_cbranch_execz .LBB2_34807
; %bb.62447:
	s_getpc_b64 s[14:15]
.Lpost_getpc34807:
	s_add_u32 s14, s14, (.LBB2_12271-.Lpost_getpc34807)&4294967295
	s_addc_u32 s15, s15, (.LBB2_12271-.Lpost_getpc34807)>>32
	s_setpc_b64 s[14:15]
.LBB2_34807:
	s_getpc_b64 s[14:15]
.Lpost_getpc20987:
	s_add_u32 s14, s14, (.LBB2_12272-.Lpost_getpc20987)&4294967295
	s_addc_u32 s15, s15, (.LBB2_12272-.Lpost_getpc20987)>>32
	s_setpc_b64 s[14:15]
.LBB2_26609:
	s_movk_i32 s4, 0x80
	v_cmp_eq_u16_e32 vcc, s4, v3
	s_mov_b64 s[4:5], -1
                                        ; implicit-def: $sgpr10
	s_and_saveexec_b64 s[8:9], vcc
; %bb.26610:
	s_mov_b32 s10, 0x7f800001
	s_xor_b64 s[4:5], exec, -1
; %bb.26611:
	s_or_b64 exec, exec, s[8:9]
	s_and_b64 s[4:5], s[4:5], exec
                                        ; implicit-def: $vgpr3
	s_or_saveexec_b64 s[6:7], s[6:7]
	v_mov_b32_e32 v2, s10
	s_xor_b64 exec, exec, s[6:7]
	s_cbranch_execnz .LBB2_26612
; %bb.62449:
	s_getpc_b64 s[14:15]
.Lpost_getpc34808:
	s_add_u32 s14, s14, (.LBB2_12274-.Lpost_getpc34808)&4294967295
	s_addc_u32 s15, s15, (.LBB2_12274-.Lpost_getpc34808)>>32
	s_setpc_b64 s[14:15]
.LBB2_26612:
	v_cmp_ne_u16_e32 vcc, 0, v3
	s_andn2_b64 s[4:5], s[4:5], exec
	s_and_b64 s[8:9], vcc, exec
	v_mov_b32_e32 v2, 0
	s_or_b64 s[4:5], s[4:5], s[8:9]
	s_or_b64 exec, exec, s[6:7]
	s_and_saveexec_b64 s[6:7], s[4:5]
	s_cbranch_execz .LBB2_34809
; %bb.62451:
	s_getpc_b64 s[14:15]
.Lpost_getpc34809:
	s_add_u32 s14, s14, (.LBB2_12275-.Lpost_getpc34809)&4294967295
	s_addc_u32 s15, s15, (.LBB2_12275-.Lpost_getpc34809)>>32
	s_setpc_b64 s[14:15]
.LBB2_34809:
	s_getpc_b64 s[14:15]
.Lpost_getpc20988:
	s_add_u32 s14, s14, (.LBB2_12276-.Lpost_getpc20988)&4294967295
	s_addc_u32 s15, s15, (.LBB2_12276-.Lpost_getpc20988)>>32
	s_setpc_b64 s[14:15]
.LBB2_26613:
	s_movk_i32 s4, 0x80
	v_cmp_eq_u16_e32 vcc, s4, v3
	s_mov_b64 s[4:5], -1
                                        ; implicit-def: $sgpr10
	s_and_saveexec_b64 s[8:9], vcc
; %bb.26614:
	s_mov_b32 s10, 0x7f800001
	s_xor_b64 s[4:5], exec, -1
; %bb.26615:
	s_or_b64 exec, exec, s[8:9]
	s_and_b64 s[4:5], s[4:5], exec
                                        ; implicit-def: $vgpr3
	s_or_saveexec_b64 s[6:7], s[6:7]
	v_mov_b32_e32 v4, s10
	s_xor_b64 exec, exec, s[6:7]
	s_cbranch_execnz .LBB2_26616
; %bb.62453:
	s_getpc_b64 s[14:15]
.Lpost_getpc34810:
	s_add_u32 s14, s14, (.LBB2_12278-.Lpost_getpc34810)&4294967295
	s_addc_u32 s15, s15, (.LBB2_12278-.Lpost_getpc34810)>>32
	s_setpc_b64 s[14:15]
.LBB2_26616:
	v_cmp_ne_u16_e32 vcc, 0, v3
	s_andn2_b64 s[4:5], s[4:5], exec
	s_and_b64 s[8:9], vcc, exec
	v_mov_b32_e32 v4, 0
	s_or_b64 s[4:5], s[4:5], s[8:9]
	s_or_b64 exec, exec, s[6:7]
	s_and_saveexec_b64 s[6:7], s[4:5]
	s_cbranch_execz .LBB2_34811
; %bb.62455:
	s_getpc_b64 s[14:15]
.Lpost_getpc34811:
	s_add_u32 s14, s14, (.LBB2_12279-.Lpost_getpc34811)&4294967295
	s_addc_u32 s15, s15, (.LBB2_12279-.Lpost_getpc34811)>>32
	s_setpc_b64 s[14:15]
.LBB2_34811:
	s_getpc_b64 s[14:15]
.Lpost_getpc20989:
	s_add_u32 s14, s14, (.LBB2_12280-.Lpost_getpc20989)&4294967295
	s_addc_u32 s15, s15, (.LBB2_12280-.Lpost_getpc20989)>>32
	s_setpc_b64 s[14:15]
.LBB2_26617:
	s_movk_i32 s4, 0x80
	v_cmp_eq_u16_sdwa s[12:13], v9, s4 src0_sel:BYTE_3 src1_sel:DWORD
	s_mov_b64 s[4:5], -1
                                        ; implicit-def: $sgpr10
	s_and_saveexec_b64 s[8:9], s[12:13]
; %bb.26618:
	s_mov_b32 s10, 0x7f800001
	s_xor_b64 s[4:5], exec, -1
; %bb.26619:
	s_or_b64 exec, exec, s[8:9]
	s_and_b64 s[4:5], s[4:5], exec
	s_or_saveexec_b64 s[6:7], s[6:7]
	v_mov_b32_e32 v2, s10
	s_xor_b64 exec, exec, s[6:7]
	s_cbranch_execnz .LBB2_26620
; %bb.62457:
	s_getpc_b64 s[14:15]
.Lpost_getpc34812:
	s_add_u32 s14, s14, (.LBB2_12282-.Lpost_getpc34812)&4294967295
	s_addc_u32 s15, s15, (.LBB2_12282-.Lpost_getpc34812)>>32
	s_setpc_b64 s[14:15]
.LBB2_26620:
	v_mov_b32_e32 v2, 0
	v_cmp_ne_u16_sdwa s[8:9], v9, v2 src0_sel:BYTE_3 src1_sel:DWORD
	s_andn2_b64 s[4:5], s[4:5], exec
	s_and_b64 s[8:9], s[8:9], exec
	s_or_b64 s[4:5], s[4:5], s[8:9]
	s_or_b64 exec, exec, s[6:7]
	s_and_saveexec_b64 s[6:7], s[4:5]
	s_cbranch_execz .LBB2_34813
; %bb.62459:
	s_getpc_b64 s[14:15]
.Lpost_getpc34813:
	s_add_u32 s14, s14, (.LBB2_12283-.Lpost_getpc34813)&4294967295
	s_addc_u32 s15, s15, (.LBB2_12283-.Lpost_getpc34813)>>32
	s_setpc_b64 s[14:15]
.LBB2_34813:
	s_getpc_b64 s[14:15]
.Lpost_getpc20990:
	s_add_u32 s14, s14, (.LBB2_12284-.Lpost_getpc20990)&4294967295
	s_addc_u32 s15, s15, (.LBB2_12284-.Lpost_getpc20990)>>32
	s_setpc_b64 s[14:15]
.LBB2_26621:
	s_movk_i32 s4, 0x80
	v_cmp_eq_u16_sdwa s[12:13], v5, s4 src0_sel:BYTE_3 src1_sel:DWORD
	s_mov_b64 s[4:5], -1
                                        ; implicit-def: $sgpr10
	s_and_saveexec_b64 s[8:9], s[12:13]
; %bb.26622:
	s_mov_b32 s10, 0x7f800001
	s_xor_b64 s[4:5], exec, -1
; %bb.26623:
	s_or_b64 exec, exec, s[8:9]
	s_and_b64 s[4:5], s[4:5], exec
	s_or_saveexec_b64 s[6:7], s[6:7]
	v_mov_b32_e32 v3, s10
	s_xor_b64 exec, exec, s[6:7]
	s_cbranch_execnz .LBB2_26624
; %bb.62461:
	s_getpc_b64 s[14:15]
.Lpost_getpc34814:
	s_add_u32 s14, s14, (.LBB2_12286-.Lpost_getpc34814)&4294967295
	s_addc_u32 s15, s15, (.LBB2_12286-.Lpost_getpc34814)>>32
	s_setpc_b64 s[14:15]
.LBB2_26624:
	v_mov_b32_e32 v3, 0
	v_cmp_ne_u16_sdwa s[8:9], v5, v3 src0_sel:BYTE_3 src1_sel:DWORD
	s_andn2_b64 s[4:5], s[4:5], exec
	s_and_b64 s[8:9], s[8:9], exec
	s_or_b64 s[4:5], s[4:5], s[8:9]
	s_or_b64 exec, exec, s[6:7]
	s_and_saveexec_b64 s[6:7], s[4:5]
	s_cbranch_execz .LBB2_34815
; %bb.62463:
	s_getpc_b64 s[14:15]
.Lpost_getpc34815:
	s_add_u32 s14, s14, (.LBB2_12287-.Lpost_getpc34815)&4294967295
	s_addc_u32 s15, s15, (.LBB2_12287-.Lpost_getpc34815)>>32
	s_setpc_b64 s[14:15]
.LBB2_34815:
	s_getpc_b64 s[14:15]
.Lpost_getpc20991:
	s_add_u32 s14, s14, (.LBB2_12288-.Lpost_getpc20991)&4294967295
	s_addc_u32 s15, s15, (.LBB2_12288-.Lpost_getpc20991)>>32
	s_setpc_b64 s[14:15]
.LBB2_26625:
	s_movk_i32 s4, 0x80
	v_cmp_eq_u16_sdwa s[12:13], v6, s4 src0_sel:BYTE_0 src1_sel:DWORD
	s_mov_b64 s[4:5], -1
                                        ; implicit-def: $sgpr10
	s_and_saveexec_b64 s[8:9], s[12:13]
; %bb.26626:
	s_mov_b32 s10, 0x7f800001
	s_xor_b64 s[4:5], exec, -1
; %bb.26627:
	s_or_b64 exec, exec, s[8:9]
	s_and_b64 s[4:5], s[4:5], exec
	s_or_saveexec_b64 s[6:7], s[6:7]
	v_mov_b32_e32 v12, s10
	s_xor_b64 exec, exec, s[6:7]
	s_cbranch_execnz .LBB2_26628
; %bb.62465:
	s_getpc_b64 s[14:15]
.Lpost_getpc34816:
	s_add_u32 s14, s14, (.LBB2_12290-.Lpost_getpc34816)&4294967295
	s_addc_u32 s15, s15, (.LBB2_12290-.Lpost_getpc34816)>>32
	s_setpc_b64 s[14:15]
.LBB2_26628:
	v_mov_b32_e32 v12, 0
	v_cmp_ne_u16_sdwa s[8:9], v6, v12 src0_sel:BYTE_0 src1_sel:DWORD
	s_andn2_b64 s[4:5], s[4:5], exec
	s_and_b64 s[8:9], s[8:9], exec
	s_or_b64 s[4:5], s[4:5], s[8:9]
	s_or_b64 exec, exec, s[6:7]
	s_and_saveexec_b64 s[6:7], s[4:5]
	s_cbranch_execz .LBB2_34817
; %bb.62467:
	s_getpc_b64 s[14:15]
.Lpost_getpc34817:
	s_add_u32 s14, s14, (.LBB2_12291-.Lpost_getpc34817)&4294967295
	s_addc_u32 s15, s15, (.LBB2_12291-.Lpost_getpc34817)>>32
	s_setpc_b64 s[14:15]
.LBB2_34817:
	s_getpc_b64 s[14:15]
.Lpost_getpc20992:
	s_add_u32 s14, s14, (.LBB2_12292-.Lpost_getpc20992)&4294967295
	s_addc_u32 s15, s15, (.LBB2_12292-.Lpost_getpc20992)>>32
	s_setpc_b64 s[14:15]
.LBB2_26629:
	s_movk_i32 s4, 0x80
	v_cmp_eq_u16_sdwa s[12:13], v2, s4 src0_sel:BYTE_0 src1_sel:DWORD
	s_mov_b64 s[4:5], -1
                                        ; implicit-def: $sgpr10
	s_and_saveexec_b64 s[8:9], s[12:13]
; %bb.26630:
	s_mov_b32 s10, 0x7f800001
	s_xor_b64 s[4:5], exec, -1
; %bb.26631:
	s_or_b64 exec, exec, s[8:9]
	s_and_b64 s[4:5], s[4:5], exec
	s_or_saveexec_b64 s[6:7], s[6:7]
	v_mov_b32_e32 v13, s10
	s_xor_b64 exec, exec, s[6:7]
	s_cbranch_execnz .LBB2_26632
; %bb.62469:
	s_getpc_b64 s[14:15]
.Lpost_getpc34818:
	s_add_u32 s14, s14, (.LBB2_12294-.Lpost_getpc34818)&4294967295
	s_addc_u32 s15, s15, (.LBB2_12294-.Lpost_getpc34818)>>32
	s_setpc_b64 s[14:15]
.LBB2_26632:
	v_mov_b32_e32 v13, 0
	v_cmp_ne_u16_sdwa s[8:9], v2, v13 src0_sel:BYTE_0 src1_sel:DWORD
	s_andn2_b64 s[4:5], s[4:5], exec
	s_and_b64 s[8:9], s[8:9], exec
	s_or_b64 s[4:5], s[4:5], s[8:9]
	s_or_b64 exec, exec, s[6:7]
	s_and_saveexec_b64 s[6:7], s[4:5]
	s_cbranch_execz .LBB2_34819
; %bb.62471:
	s_getpc_b64 s[14:15]
.Lpost_getpc34819:
	s_add_u32 s14, s14, (.LBB2_12295-.Lpost_getpc34819)&4294967295
	s_addc_u32 s15, s15, (.LBB2_12295-.Lpost_getpc34819)>>32
	s_setpc_b64 s[14:15]
.LBB2_34819:
	s_getpc_b64 s[14:15]
.Lpost_getpc20993:
	s_add_u32 s14, s14, (.LBB2_12296-.Lpost_getpc20993)&4294967295
	s_addc_u32 s15, s15, (.LBB2_12296-.Lpost_getpc20993)>>32
	s_setpc_b64 s[14:15]
.LBB2_26633:
	s_movk_i32 s4, 0x80
	v_cmp_eq_u16_sdwa s[12:13], v13, s4 src0_sel:BYTE_0 src1_sel:DWORD
	s_mov_b64 s[4:5], -1
                                        ; implicit-def: $sgpr10
	s_and_saveexec_b64 s[8:9], s[12:13]
; %bb.26634:
	s_mov_b32 s10, 0x7f800001
	s_xor_b64 s[4:5], exec, -1
; %bb.26635:
	s_or_b64 exec, exec, s[8:9]
	s_and_b64 s[4:5], s[4:5], exec
	s_or_saveexec_b64 s[6:7], s[6:7]
	v_mov_b32_e32 v12, s10
	s_xor_b64 exec, exec, s[6:7]
	s_cbranch_execnz .LBB2_26636
; %bb.62473:
	s_getpc_b64 s[14:15]
.Lpost_getpc34820:
	s_add_u32 s14, s14, (.LBB2_12298-.Lpost_getpc34820)&4294967295
	s_addc_u32 s15, s15, (.LBB2_12298-.Lpost_getpc34820)>>32
	s_setpc_b64 s[14:15]
.LBB2_26636:
	v_mov_b32_e32 v12, 0
	v_cmp_ne_u16_sdwa s[8:9], v13, v12 src0_sel:BYTE_0 src1_sel:DWORD
	s_andn2_b64 s[4:5], s[4:5], exec
	s_and_b64 s[8:9], s[8:9], exec
	s_or_b64 s[4:5], s[4:5], s[8:9]
	s_or_b64 exec, exec, s[6:7]
	s_and_saveexec_b64 s[6:7], s[4:5]
	s_cbranch_execz .LBB2_34821
; %bb.62475:
	s_getpc_b64 s[14:15]
.Lpost_getpc34821:
	s_add_u32 s14, s14, (.LBB2_12299-.Lpost_getpc34821)&4294967295
	s_addc_u32 s15, s15, (.LBB2_12299-.Lpost_getpc34821)>>32
	s_setpc_b64 s[14:15]
.LBB2_34821:
	s_getpc_b64 s[14:15]
.Lpost_getpc20994:
	s_add_u32 s14, s14, (.LBB2_12300-.Lpost_getpc20994)&4294967295
	s_addc_u32 s15, s15, (.LBB2_12300-.Lpost_getpc20994)>>32
	s_setpc_b64 s[14:15]
.LBB2_26637:
	s_movk_i32 s4, 0x80
	v_cmp_eq_u16_sdwa s[12:13], v13, s4 src0_sel:BYTE_0 src1_sel:DWORD
	s_mov_b64 s[4:5], -1
                                        ; implicit-def: $sgpr10
	s_and_saveexec_b64 s[8:9], s[12:13]
; %bb.26638:
	s_mov_b32 s10, 0x7f800001
	s_xor_b64 s[4:5], exec, -1
; %bb.26639:
	s_or_b64 exec, exec, s[8:9]
	s_and_b64 s[4:5], s[4:5], exec
	s_or_saveexec_b64 s[6:7], s[6:7]
	v_mov_b32_e32 v14, s10
	s_xor_b64 exec, exec, s[6:7]
	s_cbranch_execnz .LBB2_26640
; %bb.62477:
	s_getpc_b64 s[14:15]
.Lpost_getpc34822:
	s_add_u32 s14, s14, (.LBB2_12302-.Lpost_getpc34822)&4294967295
	s_addc_u32 s15, s15, (.LBB2_12302-.Lpost_getpc34822)>>32
	s_setpc_b64 s[14:15]
.LBB2_26640:
	v_mov_b32_e32 v14, 0
	v_cmp_ne_u16_sdwa s[8:9], v13, v14 src0_sel:BYTE_0 src1_sel:DWORD
	s_andn2_b64 s[4:5], s[4:5], exec
	s_and_b64 s[8:9], s[8:9], exec
	s_or_b64 s[4:5], s[4:5], s[8:9]
	s_or_b64 exec, exec, s[6:7]
	s_and_saveexec_b64 s[6:7], s[4:5]
	s_cbranch_execz .LBB2_34823
; %bb.62479:
	s_getpc_b64 s[14:15]
.Lpost_getpc34823:
	s_add_u32 s14, s14, (.LBB2_12303-.Lpost_getpc34823)&4294967295
	s_addc_u32 s15, s15, (.LBB2_12303-.Lpost_getpc34823)>>32
	s_setpc_b64 s[14:15]
.LBB2_34823:
	s_getpc_b64 s[14:15]
.Lpost_getpc20995:
	s_add_u32 s14, s14, (.LBB2_12304-.Lpost_getpc20995)&4294967295
	s_addc_u32 s15, s15, (.LBB2_12304-.Lpost_getpc20995)>>32
	s_setpc_b64 s[14:15]
.LBB2_26641:
	s_movk_i32 s4, 0x80
	v_cmp_eq_u16_e32 vcc, s4, v13
	s_mov_b64 s[4:5], -1
                                        ; implicit-def: $sgpr10
	s_and_saveexec_b64 s[8:9], vcc
; %bb.26642:
	s_mov_b32 s10, 0x7f800001
	s_xor_b64 s[4:5], exec, -1
; %bb.26643:
	s_or_b64 exec, exec, s[8:9]
	s_and_b64 s[4:5], s[4:5], exec
                                        ; implicit-def: $vgpr13
	s_or_saveexec_b64 s[6:7], s[6:7]
	v_mov_b32_e32 v12, s10
	s_xor_b64 exec, exec, s[6:7]
	s_cbranch_execnz .LBB2_26644
; %bb.62481:
	s_getpc_b64 s[14:15]
.Lpost_getpc34824:
	s_add_u32 s14, s14, (.LBB2_12306-.Lpost_getpc34824)&4294967295
	s_addc_u32 s15, s15, (.LBB2_12306-.Lpost_getpc34824)>>32
	s_setpc_b64 s[14:15]
.LBB2_26644:
	v_cmp_ne_u16_e32 vcc, 0, v13
	s_andn2_b64 s[4:5], s[4:5], exec
	s_and_b64 s[8:9], vcc, exec
	v_mov_b32_e32 v12, 0
	s_or_b64 s[4:5], s[4:5], s[8:9]
	s_or_b64 exec, exec, s[6:7]
	s_and_saveexec_b64 s[6:7], s[4:5]
	s_cbranch_execz .LBB2_34825
; %bb.62483:
	s_getpc_b64 s[14:15]
.Lpost_getpc34825:
	s_add_u32 s14, s14, (.LBB2_12307-.Lpost_getpc34825)&4294967295
	s_addc_u32 s15, s15, (.LBB2_12307-.Lpost_getpc34825)>>32
	s_setpc_b64 s[14:15]
.LBB2_34825:
	s_getpc_b64 s[14:15]
.Lpost_getpc20996:
	s_add_u32 s14, s14, (.LBB2_12308-.Lpost_getpc20996)&4294967295
	s_addc_u32 s15, s15, (.LBB2_12308-.Lpost_getpc20996)>>32
	s_setpc_b64 s[14:15]
.LBB2_26645:
	s_movk_i32 s4, 0x80
	v_cmp_eq_u16_e32 vcc, s4, v13
	s_mov_b64 s[4:5], -1
                                        ; implicit-def: $sgpr10
	s_and_saveexec_b64 s[8:9], vcc
; %bb.26646:
	s_mov_b32 s10, 0x7f800001
	s_xor_b64 s[4:5], exec, -1
; %bb.26647:
	s_or_b64 exec, exec, s[8:9]
	s_and_b64 s[4:5], s[4:5], exec
                                        ; implicit-def: $vgpr13
	s_or_saveexec_b64 s[6:7], s[6:7]
	v_mov_b32_e32 v14, s10
	s_xor_b64 exec, exec, s[6:7]
	s_cbranch_execnz .LBB2_26648
; %bb.62485:
	s_getpc_b64 s[14:15]
.Lpost_getpc34826:
	s_add_u32 s14, s14, (.LBB2_12310-.Lpost_getpc34826)&4294967295
	s_addc_u32 s15, s15, (.LBB2_12310-.Lpost_getpc34826)>>32
	s_setpc_b64 s[14:15]
.LBB2_26648:
	v_cmp_ne_u16_e32 vcc, 0, v13
	s_andn2_b64 s[4:5], s[4:5], exec
	s_and_b64 s[8:9], vcc, exec
	v_mov_b32_e32 v14, 0
	s_or_b64 s[4:5], s[4:5], s[8:9]
	s_or_b64 exec, exec, s[6:7]
	s_and_saveexec_b64 s[6:7], s[4:5]
	s_cbranch_execz .LBB2_34827
; %bb.62487:
	s_getpc_b64 s[14:15]
.Lpost_getpc34827:
	s_add_u32 s14, s14, (.LBB2_12311-.Lpost_getpc34827)&4294967295
	s_addc_u32 s15, s15, (.LBB2_12311-.Lpost_getpc34827)>>32
	s_setpc_b64 s[14:15]
.LBB2_34827:
	s_getpc_b64 s[14:15]
.Lpost_getpc20997:
	s_add_u32 s14, s14, (.LBB2_12312-.Lpost_getpc20997)&4294967295
	s_addc_u32 s15, s15, (.LBB2_12312-.Lpost_getpc20997)>>32
	s_setpc_b64 s[14:15]
.LBB2_26649:
	s_movk_i32 s4, 0x80
	v_cmp_eq_u16_sdwa s[12:13], v6, s4 src0_sel:BYTE_3 src1_sel:DWORD
	s_mov_b64 s[4:5], -1
                                        ; implicit-def: $sgpr10
	s_and_saveexec_b64 s[8:9], s[12:13]
; %bb.26650:
	s_mov_b32 s10, 0x7f800001
	s_xor_b64 s[4:5], exec, -1
; %bb.26651:
	s_or_b64 exec, exec, s[8:9]
	s_and_b64 s[4:5], s[4:5], exec
	s_or_saveexec_b64 s[6:7], s[6:7]
	v_mov_b32_e32 v12, s10
	s_xor_b64 exec, exec, s[6:7]
	s_cbranch_execnz .LBB2_26652
; %bb.62489:
	s_getpc_b64 s[14:15]
.Lpost_getpc34828:
	s_add_u32 s14, s14, (.LBB2_12314-.Lpost_getpc34828)&4294967295
	s_addc_u32 s15, s15, (.LBB2_12314-.Lpost_getpc34828)>>32
	s_setpc_b64 s[14:15]
.LBB2_26652:
	v_mov_b32_e32 v12, 0
	v_cmp_ne_u16_sdwa s[8:9], v6, v12 src0_sel:BYTE_3 src1_sel:DWORD
	s_andn2_b64 s[4:5], s[4:5], exec
	s_and_b64 s[8:9], s[8:9], exec
	s_or_b64 s[4:5], s[4:5], s[8:9]
	s_or_b64 exec, exec, s[6:7]
	s_and_saveexec_b64 s[6:7], s[4:5]
	s_cbranch_execz .LBB2_34829
; %bb.62491:
	s_getpc_b64 s[14:15]
.Lpost_getpc34829:
	s_add_u32 s14, s14, (.LBB2_12315-.Lpost_getpc34829)&4294967295
	s_addc_u32 s15, s15, (.LBB2_12315-.Lpost_getpc34829)>>32
	s_setpc_b64 s[14:15]
.LBB2_34829:
	s_getpc_b64 s[14:15]
.Lpost_getpc20998:
	s_add_u32 s14, s14, (.LBB2_12316-.Lpost_getpc20998)&4294967295
	s_addc_u32 s15, s15, (.LBB2_12316-.Lpost_getpc20998)>>32
	s_setpc_b64 s[14:15]
.LBB2_26653:
	s_movk_i32 s4, 0x80
	v_cmp_eq_u16_sdwa s[12:13], v2, s4 src0_sel:BYTE_3 src1_sel:DWORD
	s_mov_b64 s[4:5], -1
                                        ; implicit-def: $sgpr10
	s_and_saveexec_b64 s[8:9], s[12:13]
; %bb.26654:
	s_mov_b32 s10, 0x7f800001
	s_xor_b64 s[4:5], exec, -1
; %bb.26655:
	s_or_b64 exec, exec, s[8:9]
	s_and_b64 s[4:5], s[4:5], exec
	s_or_saveexec_b64 s[6:7], s[6:7]
	v_mov_b32_e32 v6, s10
	s_xor_b64 exec, exec, s[6:7]
	s_cbranch_execnz .LBB2_26656
; %bb.62493:
	s_getpc_b64 s[14:15]
.Lpost_getpc34830:
	s_add_u32 s14, s14, (.LBB2_12318-.Lpost_getpc34830)&4294967295
	s_addc_u32 s15, s15, (.LBB2_12318-.Lpost_getpc34830)>>32
	s_setpc_b64 s[14:15]
.LBB2_26656:
	v_mov_b32_e32 v6, 0
	v_cmp_ne_u16_sdwa s[8:9], v2, v6 src0_sel:BYTE_3 src1_sel:DWORD
	s_andn2_b64 s[4:5], s[4:5], exec
	s_and_b64 s[8:9], s[8:9], exec
	s_or_b64 s[4:5], s[4:5], s[8:9]
	s_or_b64 exec, exec, s[6:7]
	s_and_saveexec_b64 s[6:7], s[4:5]
	s_cbranch_execz .LBB2_34831
; %bb.62495:
	s_getpc_b64 s[14:15]
.Lpost_getpc34831:
	s_add_u32 s14, s14, (.LBB2_12319-.Lpost_getpc34831)&4294967295
	s_addc_u32 s15, s15, (.LBB2_12319-.Lpost_getpc34831)>>32
	s_setpc_b64 s[14:15]
.LBB2_34831:
	s_getpc_b64 s[14:15]
.Lpost_getpc20999:
	s_add_u32 s14, s14, (.LBB2_12320-.Lpost_getpc20999)&4294967295
	s_addc_u32 s15, s15, (.LBB2_12320-.Lpost_getpc20999)>>32
	s_setpc_b64 s[14:15]
.LBB2_26657:
	s_movk_i32 s4, 0x80
	v_cmp_eq_u16_sdwa s[12:13], v7, s4 src0_sel:BYTE_0 src1_sel:DWORD
	s_mov_b64 s[4:5], -1
                                        ; implicit-def: $sgpr10
	s_and_saveexec_b64 s[8:9], s[12:13]
; %bb.26658:
	s_mov_b32 s10, 0x7f800001
	s_xor_b64 s[4:5], exec, -1
; %bb.26659:
	s_or_b64 exec, exec, s[8:9]
	s_and_b64 s[4:5], s[4:5], exec
	s_or_saveexec_b64 s[6:7], s[6:7]
	v_mov_b32_e32 v2, s10
	s_xor_b64 exec, exec, s[6:7]
	s_cbranch_execnz .LBB2_26660
; %bb.62497:
	s_getpc_b64 s[14:15]
.Lpost_getpc34832:
	s_add_u32 s14, s14, (.LBB2_12322-.Lpost_getpc34832)&4294967295
	s_addc_u32 s15, s15, (.LBB2_12322-.Lpost_getpc34832)>>32
	s_setpc_b64 s[14:15]
.LBB2_26660:
	v_mov_b32_e32 v2, 0
	v_cmp_ne_u16_sdwa s[8:9], v7, v2 src0_sel:BYTE_0 src1_sel:DWORD
	s_andn2_b64 s[4:5], s[4:5], exec
	s_and_b64 s[8:9], s[8:9], exec
	s_or_b64 s[4:5], s[4:5], s[8:9]
	s_or_b64 exec, exec, s[6:7]
	s_and_saveexec_b64 s[6:7], s[4:5]
	s_cbranch_execz .LBB2_34833
; %bb.62499:
	s_getpc_b64 s[14:15]
.Lpost_getpc34833:
	s_add_u32 s14, s14, (.LBB2_12323-.Lpost_getpc34833)&4294967295
	s_addc_u32 s15, s15, (.LBB2_12323-.Lpost_getpc34833)>>32
	s_setpc_b64 s[14:15]
.LBB2_34833:
	s_getpc_b64 s[14:15]
.Lpost_getpc21000:
	s_add_u32 s14, s14, (.LBB2_12324-.Lpost_getpc21000)&4294967295
	s_addc_u32 s15, s15, (.LBB2_12324-.Lpost_getpc21000)>>32
	s_setpc_b64 s[14:15]
.LBB2_26661:
	s_movk_i32 s4, 0x80
	v_cmp_eq_u16_sdwa s[12:13], v3, s4 src0_sel:BYTE_0 src1_sel:DWORD
	s_mov_b64 s[4:5], -1
                                        ; implicit-def: $sgpr10
	s_and_saveexec_b64 s[8:9], s[12:13]
; %bb.26662:
	s_mov_b32 s10, 0x7f800001
	s_xor_b64 s[4:5], exec, -1
; %bb.26663:
	s_or_b64 exec, exec, s[8:9]
	s_and_b64 s[4:5], s[4:5], exec
	s_or_saveexec_b64 s[6:7], s[6:7]
	v_mov_b32_e32 v6, s10
	s_xor_b64 exec, exec, s[6:7]
	s_cbranch_execnz .LBB2_26664
; %bb.62501:
	s_getpc_b64 s[14:15]
.Lpost_getpc34834:
	s_add_u32 s14, s14, (.LBB2_12326-.Lpost_getpc34834)&4294967295
	s_addc_u32 s15, s15, (.LBB2_12326-.Lpost_getpc34834)>>32
	s_setpc_b64 s[14:15]
.LBB2_26664:
	v_mov_b32_e32 v6, 0
	v_cmp_ne_u16_sdwa s[8:9], v3, v6 src0_sel:BYTE_0 src1_sel:DWORD
	s_andn2_b64 s[4:5], s[4:5], exec
	s_and_b64 s[8:9], s[8:9], exec
	s_or_b64 s[4:5], s[4:5], s[8:9]
	s_or_b64 exec, exec, s[6:7]
	s_and_saveexec_b64 s[6:7], s[4:5]
	s_cbranch_execz .LBB2_34835
; %bb.62503:
	s_getpc_b64 s[14:15]
.Lpost_getpc34835:
	s_add_u32 s14, s14, (.LBB2_12327-.Lpost_getpc34835)&4294967295
	s_addc_u32 s15, s15, (.LBB2_12327-.Lpost_getpc34835)>>32
	s_setpc_b64 s[14:15]
.LBB2_34835:
	s_getpc_b64 s[14:15]
.Lpost_getpc21001:
	s_add_u32 s14, s14, (.LBB2_12328-.Lpost_getpc21001)&4294967295
	s_addc_u32 s15, s15, (.LBB2_12328-.Lpost_getpc21001)>>32
	s_setpc_b64 s[14:15]
.LBB2_26665:
	s_movk_i32 s4, 0x80
	v_cmp_eq_u16_sdwa s[12:13], v6, s4 src0_sel:BYTE_0 src1_sel:DWORD
	s_mov_b64 s[4:5], -1
                                        ; implicit-def: $sgpr10
	s_and_saveexec_b64 s[8:9], s[12:13]
; %bb.26666:
	s_mov_b32 s10, 0x7f800001
	s_xor_b64 s[4:5], exec, -1
; %bb.26667:
	s_or_b64 exec, exec, s[8:9]
	s_and_b64 s[4:5], s[4:5], exec
	s_or_saveexec_b64 s[6:7], s[6:7]
	v_mov_b32_e32 v2, s10
	s_xor_b64 exec, exec, s[6:7]
	s_cbranch_execnz .LBB2_26668
; %bb.62505:
	s_getpc_b64 s[14:15]
.Lpost_getpc34836:
	s_add_u32 s14, s14, (.LBB2_12330-.Lpost_getpc34836)&4294967295
	s_addc_u32 s15, s15, (.LBB2_12330-.Lpost_getpc34836)>>32
	s_setpc_b64 s[14:15]
.LBB2_26668:
	v_mov_b32_e32 v2, 0
	v_cmp_ne_u16_sdwa s[8:9], v6, v2 src0_sel:BYTE_0 src1_sel:DWORD
	s_andn2_b64 s[4:5], s[4:5], exec
	s_and_b64 s[8:9], s[8:9], exec
	s_or_b64 s[4:5], s[4:5], s[8:9]
	s_or_b64 exec, exec, s[6:7]
	s_and_saveexec_b64 s[6:7], s[4:5]
	s_cbranch_execz .LBB2_34837
; %bb.62507:
	s_getpc_b64 s[14:15]
.Lpost_getpc34837:
	s_add_u32 s14, s14, (.LBB2_12331-.Lpost_getpc34837)&4294967295
	s_addc_u32 s15, s15, (.LBB2_12331-.Lpost_getpc34837)>>32
	s_setpc_b64 s[14:15]
.LBB2_34837:
	s_getpc_b64 s[14:15]
.Lpost_getpc21002:
	s_add_u32 s14, s14, (.LBB2_12332-.Lpost_getpc21002)&4294967295
	s_addc_u32 s15, s15, (.LBB2_12332-.Lpost_getpc21002)>>32
	s_setpc_b64 s[14:15]
.LBB2_26669:
	s_movk_i32 s4, 0x80
	v_cmp_eq_u16_sdwa s[12:13], v6, s4 src0_sel:BYTE_0 src1_sel:DWORD
	s_mov_b64 s[4:5], -1
                                        ; implicit-def: $sgpr10
	s_and_saveexec_b64 s[8:9], s[12:13]
; %bb.26670:
	s_mov_b32 s10, 0x7f800001
	s_xor_b64 s[4:5], exec, -1
; %bb.26671:
	s_or_b64 exec, exec, s[8:9]
	s_and_b64 s[4:5], s[4:5], exec
	s_or_saveexec_b64 s[6:7], s[6:7]
	v_mov_b32_e32 v12, s10
	s_xor_b64 exec, exec, s[6:7]
	s_cbranch_execnz .LBB2_26672
; %bb.62509:
	s_getpc_b64 s[14:15]
.Lpost_getpc34838:
	s_add_u32 s14, s14, (.LBB2_12334-.Lpost_getpc34838)&4294967295
	s_addc_u32 s15, s15, (.LBB2_12334-.Lpost_getpc34838)>>32
	s_setpc_b64 s[14:15]
.LBB2_26672:
	v_mov_b32_e32 v12, 0
	v_cmp_ne_u16_sdwa s[8:9], v6, v12 src0_sel:BYTE_0 src1_sel:DWORD
	s_andn2_b64 s[4:5], s[4:5], exec
	s_and_b64 s[8:9], s[8:9], exec
	s_or_b64 s[4:5], s[4:5], s[8:9]
	s_or_b64 exec, exec, s[6:7]
	s_and_saveexec_b64 s[6:7], s[4:5]
	s_cbranch_execz .LBB2_34839
; %bb.62511:
	s_getpc_b64 s[14:15]
.Lpost_getpc34839:
	s_add_u32 s14, s14, (.LBB2_12335-.Lpost_getpc34839)&4294967295
	s_addc_u32 s15, s15, (.LBB2_12335-.Lpost_getpc34839)>>32
	s_setpc_b64 s[14:15]
.LBB2_34839:
	s_getpc_b64 s[14:15]
.Lpost_getpc21003:
	s_add_u32 s14, s14, (.LBB2_12336-.Lpost_getpc21003)&4294967295
	s_addc_u32 s15, s15, (.LBB2_12336-.Lpost_getpc21003)>>32
	s_setpc_b64 s[14:15]
.LBB2_26673:
	s_movk_i32 s4, 0x80
	v_cmp_eq_u16_e32 vcc, s4, v6
	s_mov_b64 s[4:5], -1
                                        ; implicit-def: $sgpr10
	s_and_saveexec_b64 s[8:9], vcc
; %bb.26674:
	s_mov_b32 s10, 0x7f800001
	s_xor_b64 s[4:5], exec, -1
; %bb.26675:
	s_or_b64 exec, exec, s[8:9]
	s_and_b64 s[4:5], s[4:5], exec
                                        ; implicit-def: $vgpr6
	s_or_saveexec_b64 s[6:7], s[6:7]
	v_mov_b32_e32 v2, s10
	s_xor_b64 exec, exec, s[6:7]
	s_cbranch_execnz .LBB2_26676
; %bb.62513:
	s_getpc_b64 s[14:15]
.Lpost_getpc34840:
	s_add_u32 s14, s14, (.LBB2_12338-.Lpost_getpc34840)&4294967295
	s_addc_u32 s15, s15, (.LBB2_12338-.Lpost_getpc34840)>>32
	s_setpc_b64 s[14:15]
.LBB2_26676:
	v_cmp_ne_u16_e32 vcc, 0, v6
	s_andn2_b64 s[4:5], s[4:5], exec
	s_and_b64 s[8:9], vcc, exec
	v_mov_b32_e32 v2, 0
	s_or_b64 s[4:5], s[4:5], s[8:9]
	s_or_b64 exec, exec, s[6:7]
	s_and_saveexec_b64 s[6:7], s[4:5]
	s_cbranch_execz .LBB2_34841
; %bb.62515:
	s_getpc_b64 s[14:15]
.Lpost_getpc34841:
	s_add_u32 s14, s14, (.LBB2_12339-.Lpost_getpc34841)&4294967295
	s_addc_u32 s15, s15, (.LBB2_12339-.Lpost_getpc34841)>>32
	s_setpc_b64 s[14:15]
.LBB2_34841:
	s_getpc_b64 s[14:15]
.Lpost_getpc21004:
	s_add_u32 s14, s14, (.LBB2_12340-.Lpost_getpc21004)&4294967295
	s_addc_u32 s15, s15, (.LBB2_12340-.Lpost_getpc21004)>>32
	s_setpc_b64 s[14:15]
.LBB2_26677:
	s_movk_i32 s4, 0x80
	v_cmp_eq_u16_e32 vcc, s4, v6
	s_mov_b64 s[4:5], -1
                                        ; implicit-def: $sgpr10
	s_and_saveexec_b64 s[8:9], vcc
; %bb.26678:
	s_mov_b32 s10, 0x7f800001
	s_xor_b64 s[4:5], exec, -1
; %bb.26679:
	s_or_b64 exec, exec, s[8:9]
	s_and_b64 s[4:5], s[4:5], exec
                                        ; implicit-def: $vgpr6
	s_or_saveexec_b64 s[6:7], s[6:7]
	v_mov_b32_e32 v12, s10
	s_xor_b64 exec, exec, s[6:7]
	s_cbranch_execnz .LBB2_26680
; %bb.62517:
	s_getpc_b64 s[14:15]
.Lpost_getpc34842:
	s_add_u32 s14, s14, (.LBB2_12342-.Lpost_getpc34842)&4294967295
	s_addc_u32 s15, s15, (.LBB2_12342-.Lpost_getpc34842)>>32
	s_setpc_b64 s[14:15]
.LBB2_26680:
	v_cmp_ne_u16_e32 vcc, 0, v6
	s_andn2_b64 s[4:5], s[4:5], exec
	s_and_b64 s[8:9], vcc, exec
	v_mov_b32_e32 v12, 0
	s_or_b64 s[4:5], s[4:5], s[8:9]
	s_or_b64 exec, exec, s[6:7]
	s_and_saveexec_b64 s[6:7], s[4:5]
	s_cbranch_execz .LBB2_34843
; %bb.62519:
	s_getpc_b64 s[14:15]
.Lpost_getpc34843:
	s_add_u32 s14, s14, (.LBB2_12343-.Lpost_getpc34843)&4294967295
	s_addc_u32 s15, s15, (.LBB2_12343-.Lpost_getpc34843)>>32
	s_setpc_b64 s[14:15]
.LBB2_34843:
	s_getpc_b64 s[14:15]
.Lpost_getpc21005:
	s_add_u32 s14, s14, (.LBB2_12344-.Lpost_getpc21005)&4294967295
	s_addc_u32 s15, s15, (.LBB2_12344-.Lpost_getpc21005)>>32
	s_setpc_b64 s[14:15]
.LBB2_26681:
	s_movk_i32 s4, 0x80
	v_cmp_eq_u16_sdwa s[12:13], v7, s4 src0_sel:BYTE_3 src1_sel:DWORD
	s_mov_b64 s[4:5], -1
                                        ; implicit-def: $sgpr10
	s_and_saveexec_b64 s[8:9], s[12:13]
; %bb.26682:
	s_mov_b32 s10, 0x7f800001
	s_xor_b64 s[4:5], exec, -1
; %bb.26683:
	s_or_b64 exec, exec, s[8:9]
	s_and_b64 s[4:5], s[4:5], exec
	s_or_saveexec_b64 s[6:7], s[6:7]
	v_mov_b32_e32 v2, s10
	s_xor_b64 exec, exec, s[6:7]
	s_cbranch_execnz .LBB2_26684
; %bb.62521:
	s_getpc_b64 s[14:15]
.Lpost_getpc34844:
	s_add_u32 s14, s14, (.LBB2_12346-.Lpost_getpc34844)&4294967295
	s_addc_u32 s15, s15, (.LBB2_12346-.Lpost_getpc34844)>>32
	s_setpc_b64 s[14:15]
.LBB2_26684:
	v_mov_b32_e32 v2, 0
	v_cmp_ne_u16_sdwa s[8:9], v7, v2 src0_sel:BYTE_3 src1_sel:DWORD
	s_andn2_b64 s[4:5], s[4:5], exec
	s_and_b64 s[8:9], s[8:9], exec
	s_or_b64 s[4:5], s[4:5], s[8:9]
	s_or_b64 exec, exec, s[6:7]
	s_and_saveexec_b64 s[6:7], s[4:5]
	s_cbranch_execz .LBB2_34845
; %bb.62523:
	s_getpc_b64 s[14:15]
.Lpost_getpc34845:
	s_add_u32 s14, s14, (.LBB2_12347-.Lpost_getpc34845)&4294967295
	s_addc_u32 s15, s15, (.LBB2_12347-.Lpost_getpc34845)>>32
	s_setpc_b64 s[14:15]
.LBB2_34845:
	s_getpc_b64 s[14:15]
.Lpost_getpc21006:
	s_add_u32 s14, s14, (.LBB2_12348-.Lpost_getpc21006)&4294967295
	s_addc_u32 s15, s15, (.LBB2_12348-.Lpost_getpc21006)>>32
	s_setpc_b64 s[14:15]
.LBB2_26685:
	s_movk_i32 s4, 0x80
	v_cmp_eq_u16_sdwa s[12:13], v3, s4 src0_sel:BYTE_3 src1_sel:DWORD
	s_mov_b64 s[4:5], -1
                                        ; implicit-def: $sgpr10
	s_and_saveexec_b64 s[8:9], s[12:13]
; %bb.26686:
	s_mov_b32 s10, 0x7f800001
	s_xor_b64 s[4:5], exec, -1
; %bb.26687:
	s_or_b64 exec, exec, s[8:9]
	s_and_b64 s[4:5], s[4:5], exec
	s_or_saveexec_b64 s[6:7], s[6:7]
	v_mov_b32_e32 v6, s10
	s_xor_b64 exec, exec, s[6:7]
	s_cbranch_execnz .LBB2_26688
; %bb.62525:
	s_getpc_b64 s[14:15]
.Lpost_getpc34846:
	s_add_u32 s14, s14, (.LBB2_12350-.Lpost_getpc34846)&4294967295
	s_addc_u32 s15, s15, (.LBB2_12350-.Lpost_getpc34846)>>32
	s_setpc_b64 s[14:15]
.LBB2_26688:
	v_mov_b32_e32 v6, 0
	v_cmp_ne_u16_sdwa s[8:9], v3, v6 src0_sel:BYTE_3 src1_sel:DWORD
	s_andn2_b64 s[4:5], s[4:5], exec
	s_and_b64 s[8:9], s[8:9], exec
	s_or_b64 s[4:5], s[4:5], s[8:9]
	s_or_b64 exec, exec, s[6:7]
	s_and_saveexec_b64 s[6:7], s[4:5]
	s_cbranch_execz .LBB2_34847
; %bb.62527:
	s_getpc_b64 s[14:15]
.Lpost_getpc34847:
	s_add_u32 s14, s14, (.LBB2_12351-.Lpost_getpc34847)&4294967295
	s_addc_u32 s15, s15, (.LBB2_12351-.Lpost_getpc34847)>>32
	s_setpc_b64 s[14:15]
.LBB2_34847:
	s_getpc_b64 s[14:15]
.Lpost_getpc21007:
	s_add_u32 s14, s14, (.LBB2_12352-.Lpost_getpc21007)&4294967295
	s_addc_u32 s15, s15, (.LBB2_12352-.Lpost_getpc21007)>>32
	s_setpc_b64 s[14:15]
.LBB2_26689:
	s_movk_i32 s4, 0x80
	v_cmp_eq_u16_sdwa s[12:13], v8, s4 src0_sel:BYTE_0 src1_sel:DWORD
	s_mov_b64 s[4:5], -1
                                        ; implicit-def: $sgpr10
	s_and_saveexec_b64 s[8:9], s[12:13]
; %bb.26690:
	s_mov_b32 s10, 0x7f800001
	s_xor_b64 s[4:5], exec, -1
; %bb.26691:
	s_or_b64 exec, exec, s[8:9]
	s_and_b64 s[4:5], s[4:5], exec
	s_or_saveexec_b64 s[6:7], s[6:7]
	v_mov_b32_e32 v2, s10
	s_xor_b64 exec, exec, s[6:7]
	s_cbranch_execnz .LBB2_26692
; %bb.62529:
	s_getpc_b64 s[14:15]
.Lpost_getpc34848:
	s_add_u32 s14, s14, (.LBB2_12354-.Lpost_getpc34848)&4294967295
	s_addc_u32 s15, s15, (.LBB2_12354-.Lpost_getpc34848)>>32
	s_setpc_b64 s[14:15]
.LBB2_26692:
	v_mov_b32_e32 v2, 0
	v_cmp_ne_u16_sdwa s[8:9], v8, v2 src0_sel:BYTE_0 src1_sel:DWORD
	s_andn2_b64 s[4:5], s[4:5], exec
	s_and_b64 s[8:9], s[8:9], exec
	s_or_b64 s[4:5], s[4:5], s[8:9]
	s_or_b64 exec, exec, s[6:7]
	s_and_saveexec_b64 s[6:7], s[4:5]
	s_cbranch_execz .LBB2_34849
; %bb.62531:
	s_getpc_b64 s[14:15]
.Lpost_getpc34849:
	s_add_u32 s14, s14, (.LBB2_12355-.Lpost_getpc34849)&4294967295
	s_addc_u32 s15, s15, (.LBB2_12355-.Lpost_getpc34849)>>32
	s_setpc_b64 s[14:15]
.LBB2_34849:
	s_getpc_b64 s[14:15]
.Lpost_getpc21008:
	s_add_u32 s14, s14, (.LBB2_12356-.Lpost_getpc21008)&4294967295
	s_addc_u32 s15, s15, (.LBB2_12356-.Lpost_getpc21008)>>32
	s_setpc_b64 s[14:15]
.LBB2_26693:
	s_movk_i32 s4, 0x80
	v_cmp_eq_u16_sdwa s[12:13], v4, s4 src0_sel:BYTE_0 src1_sel:DWORD
	s_mov_b64 s[4:5], -1
                                        ; implicit-def: $sgpr10
	s_and_saveexec_b64 s[8:9], s[12:13]
; %bb.26694:
	s_mov_b32 s10, 0x7f800001
	s_xor_b64 s[4:5], exec, -1
; %bb.26695:
	s_or_b64 exec, exec, s[8:9]
	s_and_b64 s[4:5], s[4:5], exec
	s_or_saveexec_b64 s[6:7], s[6:7]
	v_mov_b32_e32 v3, s10
	s_xor_b64 exec, exec, s[6:7]
	s_cbranch_execnz .LBB2_26696
; %bb.62533:
	s_getpc_b64 s[14:15]
.Lpost_getpc34850:
	s_add_u32 s14, s14, (.LBB2_12358-.Lpost_getpc34850)&4294967295
	s_addc_u32 s15, s15, (.LBB2_12358-.Lpost_getpc34850)>>32
	s_setpc_b64 s[14:15]
.LBB2_26696:
	v_mov_b32_e32 v3, 0
	v_cmp_ne_u16_sdwa s[8:9], v4, v3 src0_sel:BYTE_0 src1_sel:DWORD
	s_andn2_b64 s[4:5], s[4:5], exec
	s_and_b64 s[8:9], s[8:9], exec
	s_or_b64 s[4:5], s[4:5], s[8:9]
	s_or_b64 exec, exec, s[6:7]
	s_and_saveexec_b64 s[6:7], s[4:5]
	s_cbranch_execz .LBB2_34851
; %bb.62535:
	s_getpc_b64 s[14:15]
.Lpost_getpc34851:
	s_add_u32 s14, s14, (.LBB2_12359-.Lpost_getpc34851)&4294967295
	s_addc_u32 s15, s15, (.LBB2_12359-.Lpost_getpc34851)>>32
	s_setpc_b64 s[14:15]
.LBB2_34851:
	s_getpc_b64 s[14:15]
.Lpost_getpc21009:
	s_add_u32 s14, s14, (.LBB2_12360-.Lpost_getpc21009)&4294967295
	s_addc_u32 s15, s15, (.LBB2_12360-.Lpost_getpc21009)>>32
	s_setpc_b64 s[14:15]
.LBB2_26697:
	s_movk_i32 s4, 0x80
	v_cmp_eq_u16_sdwa s[12:13], v3, s4 src0_sel:BYTE_0 src1_sel:DWORD
	s_mov_b64 s[4:5], -1
                                        ; implicit-def: $sgpr10
	s_and_saveexec_b64 s[8:9], s[12:13]
; %bb.26698:
	s_mov_b32 s10, 0x7f800001
	s_xor_b64 s[4:5], exec, -1
; %bb.26699:
	s_or_b64 exec, exec, s[8:9]
	s_and_b64 s[4:5], s[4:5], exec
	s_or_saveexec_b64 s[6:7], s[6:7]
	v_mov_b32_e32 v2, s10
	s_xor_b64 exec, exec, s[6:7]
	s_cbranch_execnz .LBB2_26700
; %bb.62537:
	s_getpc_b64 s[14:15]
.Lpost_getpc34852:
	s_add_u32 s14, s14, (.LBB2_12362-.Lpost_getpc34852)&4294967295
	s_addc_u32 s15, s15, (.LBB2_12362-.Lpost_getpc34852)>>32
	s_setpc_b64 s[14:15]
.LBB2_26700:
	v_mov_b32_e32 v2, 0
	v_cmp_ne_u16_sdwa s[8:9], v3, v2 src0_sel:BYTE_0 src1_sel:DWORD
	s_andn2_b64 s[4:5], s[4:5], exec
	s_and_b64 s[8:9], s[8:9], exec
	s_or_b64 s[4:5], s[4:5], s[8:9]
	s_or_b64 exec, exec, s[6:7]
	s_and_saveexec_b64 s[6:7], s[4:5]
	s_cbranch_execz .LBB2_34853
; %bb.62539:
	s_getpc_b64 s[14:15]
.Lpost_getpc34853:
	s_add_u32 s14, s14, (.LBB2_12363-.Lpost_getpc34853)&4294967295
	s_addc_u32 s15, s15, (.LBB2_12363-.Lpost_getpc34853)>>32
	s_setpc_b64 s[14:15]
.LBB2_34853:
	s_getpc_b64 s[14:15]
.Lpost_getpc21010:
	s_add_u32 s14, s14, (.LBB2_12364-.Lpost_getpc21010)&4294967295
	s_addc_u32 s15, s15, (.LBB2_12364-.Lpost_getpc21010)>>32
	s_setpc_b64 s[14:15]
.LBB2_26701:
	s_movk_i32 s4, 0x80
	v_cmp_eq_u16_sdwa s[12:13], v3, s4 src0_sel:BYTE_0 src1_sel:DWORD
	s_mov_b64 s[4:5], -1
                                        ; implicit-def: $sgpr10
	s_and_saveexec_b64 s[8:9], s[12:13]
; %bb.26702:
	s_mov_b32 s10, 0x7f800001
	s_xor_b64 s[4:5], exec, -1
; %bb.26703:
	s_or_b64 exec, exec, s[8:9]
	s_and_b64 s[4:5], s[4:5], exec
	s_or_saveexec_b64 s[6:7], s[6:7]
	v_mov_b32_e32 v6, s10
	s_xor_b64 exec, exec, s[6:7]
	s_cbranch_execnz .LBB2_26704
; %bb.62541:
	s_getpc_b64 s[14:15]
.Lpost_getpc34854:
	s_add_u32 s14, s14, (.LBB2_12366-.Lpost_getpc34854)&4294967295
	s_addc_u32 s15, s15, (.LBB2_12366-.Lpost_getpc34854)>>32
	s_setpc_b64 s[14:15]
.LBB2_26704:
	v_mov_b32_e32 v6, 0
	v_cmp_ne_u16_sdwa s[8:9], v3, v6 src0_sel:BYTE_0 src1_sel:DWORD
	s_andn2_b64 s[4:5], s[4:5], exec
	s_and_b64 s[8:9], s[8:9], exec
	s_or_b64 s[4:5], s[4:5], s[8:9]
	s_or_b64 exec, exec, s[6:7]
	s_and_saveexec_b64 s[6:7], s[4:5]
	s_cbranch_execz .LBB2_34855
; %bb.62543:
	s_getpc_b64 s[14:15]
.Lpost_getpc34855:
	s_add_u32 s14, s14, (.LBB2_12367-.Lpost_getpc34855)&4294967295
	s_addc_u32 s15, s15, (.LBB2_12367-.Lpost_getpc34855)>>32
	s_setpc_b64 s[14:15]
.LBB2_34855:
	s_getpc_b64 s[14:15]
.Lpost_getpc21011:
	s_add_u32 s14, s14, (.LBB2_12368-.Lpost_getpc21011)&4294967295
	s_addc_u32 s15, s15, (.LBB2_12368-.Lpost_getpc21011)>>32
	s_setpc_b64 s[14:15]
.LBB2_26705:
	s_movk_i32 s4, 0x80
	v_cmp_eq_u16_e32 vcc, s4, v3
	s_mov_b64 s[4:5], -1
                                        ; implicit-def: $sgpr10
	s_and_saveexec_b64 s[8:9], vcc
; %bb.26706:
	s_mov_b32 s10, 0x7f800001
	s_xor_b64 s[4:5], exec, -1
; %bb.26707:
	s_or_b64 exec, exec, s[8:9]
	s_and_b64 s[4:5], s[4:5], exec
                                        ; implicit-def: $vgpr3
	s_or_saveexec_b64 s[6:7], s[6:7]
	v_mov_b32_e32 v2, s10
	s_xor_b64 exec, exec, s[6:7]
	s_cbranch_execnz .LBB2_26708
; %bb.62545:
	s_getpc_b64 s[14:15]
.Lpost_getpc34856:
	s_add_u32 s14, s14, (.LBB2_12370-.Lpost_getpc34856)&4294967295
	s_addc_u32 s15, s15, (.LBB2_12370-.Lpost_getpc34856)>>32
	s_setpc_b64 s[14:15]
.LBB2_26708:
	v_cmp_ne_u16_e32 vcc, 0, v3
	s_andn2_b64 s[4:5], s[4:5], exec
	s_and_b64 s[8:9], vcc, exec
	v_mov_b32_e32 v2, 0
	s_or_b64 s[4:5], s[4:5], s[8:9]
	s_or_b64 exec, exec, s[6:7]
	s_and_saveexec_b64 s[6:7], s[4:5]
	s_cbranch_execz .LBB2_34857
; %bb.62547:
	s_getpc_b64 s[14:15]
.Lpost_getpc34857:
	s_add_u32 s14, s14, (.LBB2_12371-.Lpost_getpc34857)&4294967295
	s_addc_u32 s15, s15, (.LBB2_12371-.Lpost_getpc34857)>>32
	s_setpc_b64 s[14:15]
.LBB2_34857:
	s_getpc_b64 s[14:15]
.Lpost_getpc21012:
	s_add_u32 s14, s14, (.LBB2_12372-.Lpost_getpc21012)&4294967295
	s_addc_u32 s15, s15, (.LBB2_12372-.Lpost_getpc21012)>>32
	s_setpc_b64 s[14:15]
.LBB2_26709:
	s_movk_i32 s4, 0x80
	v_cmp_eq_u16_e32 vcc, s4, v3
	s_mov_b64 s[4:5], -1
                                        ; implicit-def: $sgpr10
	s_and_saveexec_b64 s[8:9], vcc
; %bb.26710:
	s_mov_b32 s10, 0x7f800001
	s_xor_b64 s[4:5], exec, -1
; %bb.26711:
	s_or_b64 exec, exec, s[8:9]
	s_and_b64 s[4:5], s[4:5], exec
                                        ; implicit-def: $vgpr3
	s_or_saveexec_b64 s[6:7], s[6:7]
	v_mov_b32_e32 v6, s10
	s_xor_b64 exec, exec, s[6:7]
	s_cbranch_execnz .LBB2_26712
; %bb.62549:
	s_getpc_b64 s[14:15]
.Lpost_getpc34858:
	s_add_u32 s14, s14, (.LBB2_12374-.Lpost_getpc34858)&4294967295
	s_addc_u32 s15, s15, (.LBB2_12374-.Lpost_getpc34858)>>32
	s_setpc_b64 s[14:15]
.LBB2_26712:
	v_cmp_ne_u16_e32 vcc, 0, v3
	s_andn2_b64 s[4:5], s[4:5], exec
	s_and_b64 s[8:9], vcc, exec
	v_mov_b32_e32 v6, 0
	s_or_b64 s[4:5], s[4:5], s[8:9]
	s_or_b64 exec, exec, s[6:7]
	s_and_saveexec_b64 s[6:7], s[4:5]
	s_cbranch_execz .LBB2_34859
; %bb.62551:
	s_getpc_b64 s[14:15]
.Lpost_getpc34859:
	s_add_u32 s14, s14, (.LBB2_12375-.Lpost_getpc34859)&4294967295
	s_addc_u32 s15, s15, (.LBB2_12375-.Lpost_getpc34859)>>32
	s_setpc_b64 s[14:15]
.LBB2_34859:
	s_getpc_b64 s[14:15]
.Lpost_getpc21013:
	s_add_u32 s14, s14, (.LBB2_12376-.Lpost_getpc21013)&4294967295
	s_addc_u32 s15, s15, (.LBB2_12376-.Lpost_getpc21013)>>32
	s_setpc_b64 s[14:15]
.LBB2_26713:
	s_movk_i32 s4, 0x80
	v_cmp_eq_u16_sdwa s[12:13], v8, s4 src0_sel:BYTE_3 src1_sel:DWORD
	s_mov_b64 s[4:5], -1
                                        ; implicit-def: $sgpr10
	s_and_saveexec_b64 s[8:9], s[12:13]
; %bb.26714:
	s_mov_b32 s10, 0x7f800001
	s_xor_b64 s[4:5], exec, -1
; %bb.26715:
	s_or_b64 exec, exec, s[8:9]
	s_and_b64 s[4:5], s[4:5], exec
	s_or_saveexec_b64 s[6:7], s[6:7]
	v_mov_b32_e32 v2, s10
	s_xor_b64 exec, exec, s[6:7]
	s_cbranch_execnz .LBB2_26716
; %bb.62553:
	s_getpc_b64 s[14:15]
.Lpost_getpc34860:
	s_add_u32 s14, s14, (.LBB2_12378-.Lpost_getpc34860)&4294967295
	s_addc_u32 s15, s15, (.LBB2_12378-.Lpost_getpc34860)>>32
	s_setpc_b64 s[14:15]
.LBB2_26716:
	v_mov_b32_e32 v2, 0
	v_cmp_ne_u16_sdwa s[8:9], v8, v2 src0_sel:BYTE_3 src1_sel:DWORD
	s_andn2_b64 s[4:5], s[4:5], exec
	s_and_b64 s[8:9], s[8:9], exec
	s_or_b64 s[4:5], s[4:5], s[8:9]
	s_or_b64 exec, exec, s[6:7]
	s_and_saveexec_b64 s[6:7], s[4:5]
	s_cbranch_execz .LBB2_34861
; %bb.62555:
	s_getpc_b64 s[14:15]
.Lpost_getpc34861:
	s_add_u32 s14, s14, (.LBB2_12379-.Lpost_getpc34861)&4294967295
	s_addc_u32 s15, s15, (.LBB2_12379-.Lpost_getpc34861)>>32
	s_setpc_b64 s[14:15]
.LBB2_34861:
	s_getpc_b64 s[14:15]
.Lpost_getpc21014:
	s_add_u32 s14, s14, (.LBB2_12380-.Lpost_getpc21014)&4294967295
	s_addc_u32 s15, s15, (.LBB2_12380-.Lpost_getpc21014)>>32
	s_setpc_b64 s[14:15]
.LBB2_26717:
	s_movk_i32 s4, 0x80
	v_cmp_eq_u16_sdwa s[12:13], v4, s4 src0_sel:BYTE_3 src1_sel:DWORD
	s_mov_b64 s[4:5], -1
                                        ; implicit-def: $sgpr10
	s_and_saveexec_b64 s[8:9], s[12:13]
; %bb.26718:
	s_mov_b32 s10, 0x7f800001
	s_xor_b64 s[4:5], exec, -1
; %bb.26719:
	s_or_b64 exec, exec, s[8:9]
	s_and_b64 s[4:5], s[4:5], exec
	s_or_saveexec_b64 s[6:7], s[6:7]
	v_mov_b32_e32 v3, s10
	s_xor_b64 exec, exec, s[6:7]
	s_cbranch_execnz .LBB2_26720
; %bb.62557:
	s_getpc_b64 s[14:15]
.Lpost_getpc34862:
	s_add_u32 s14, s14, (.LBB2_12382-.Lpost_getpc34862)&4294967295
	s_addc_u32 s15, s15, (.LBB2_12382-.Lpost_getpc34862)>>32
	s_setpc_b64 s[14:15]
.LBB2_26720:
	v_mov_b32_e32 v3, 0
	v_cmp_ne_u16_sdwa s[8:9], v4, v3 src0_sel:BYTE_3 src1_sel:DWORD
	s_andn2_b64 s[4:5], s[4:5], exec
	s_and_b64 s[8:9], s[8:9], exec
	s_or_b64 s[4:5], s[4:5], s[8:9]
	s_or_b64 exec, exec, s[6:7]
	s_and_saveexec_b64 s[6:7], s[4:5]
	s_cbranch_execz .LBB2_34863
; %bb.62559:
	s_getpc_b64 s[14:15]
.Lpost_getpc34863:
	s_add_u32 s14, s14, (.LBB2_12383-.Lpost_getpc34863)&4294967295
	s_addc_u32 s15, s15, (.LBB2_12383-.Lpost_getpc34863)>>32
	s_setpc_b64 s[14:15]
.LBB2_34863:
	s_getpc_b64 s[14:15]
.Lpost_getpc21015:
	s_add_u32 s14, s14, (.LBB2_12384-.Lpost_getpc21015)&4294967295
	s_addc_u32 s15, s15, (.LBB2_12384-.Lpost_getpc21015)>>32
	s_setpc_b64 s[14:15]
.LBB2_26721:
	s_movk_i32 s4, 0x80
	v_cmp_eq_u16_sdwa s[12:13], v9, s4 src0_sel:BYTE_0 src1_sel:DWORD
	s_mov_b64 s[4:5], -1
                                        ; implicit-def: $sgpr10
	s_and_saveexec_b64 s[8:9], s[12:13]
; %bb.26722:
	s_mov_b32 s10, 0x7f800001
	s_xor_b64 s[4:5], exec, -1
; %bb.26723:
	s_or_b64 exec, exec, s[8:9]
	s_and_b64 s[4:5], s[4:5], exec
	s_or_saveexec_b64 s[6:7], s[6:7]
	v_mov_b32_e32 v2, s10
	s_xor_b64 exec, exec, s[6:7]
	s_cbranch_execnz .LBB2_26724
; %bb.62561:
	s_getpc_b64 s[14:15]
.Lpost_getpc34864:
	s_add_u32 s14, s14, (.LBB2_12386-.Lpost_getpc34864)&4294967295
	s_addc_u32 s15, s15, (.LBB2_12386-.Lpost_getpc34864)>>32
	s_setpc_b64 s[14:15]
.LBB2_26724:
	v_mov_b32_e32 v2, 0
	v_cmp_ne_u16_sdwa s[8:9], v9, v2 src0_sel:BYTE_0 src1_sel:DWORD
	s_andn2_b64 s[4:5], s[4:5], exec
	s_and_b64 s[8:9], s[8:9], exec
	s_or_b64 s[4:5], s[4:5], s[8:9]
	s_or_b64 exec, exec, s[6:7]
	s_and_saveexec_b64 s[6:7], s[4:5]
	s_cbranch_execz .LBB2_34865
; %bb.62563:
	s_getpc_b64 s[14:15]
.Lpost_getpc34865:
	s_add_u32 s14, s14, (.LBB2_12387-.Lpost_getpc34865)&4294967295
	s_addc_u32 s15, s15, (.LBB2_12387-.Lpost_getpc34865)>>32
	s_setpc_b64 s[14:15]
.LBB2_34865:
	s_getpc_b64 s[14:15]
.Lpost_getpc21016:
	s_add_u32 s14, s14, (.LBB2_12388-.Lpost_getpc21016)&4294967295
	s_addc_u32 s15, s15, (.LBB2_12388-.Lpost_getpc21016)>>32
	s_setpc_b64 s[14:15]
.LBB2_26725:
	s_movk_i32 s4, 0x80
	v_cmp_eq_u16_sdwa s[12:13], v5, s4 src0_sel:BYTE_0 src1_sel:DWORD
	s_mov_b64 s[4:5], -1
                                        ; implicit-def: $sgpr10
	s_and_saveexec_b64 s[8:9], s[12:13]
; %bb.26726:
	s_mov_b32 s10, 0x7f800001
	s_xor_b64 s[4:5], exec, -1
; %bb.26727:
	s_or_b64 exec, exec, s[8:9]
	s_and_b64 s[4:5], s[4:5], exec
	s_or_saveexec_b64 s[6:7], s[6:7]
	v_mov_b32_e32 v3, s10
	s_xor_b64 exec, exec, s[6:7]
	s_cbranch_execnz .LBB2_26728
; %bb.62565:
	s_getpc_b64 s[14:15]
.Lpost_getpc34866:
	s_add_u32 s14, s14, (.LBB2_12390-.Lpost_getpc34866)&4294967295
	s_addc_u32 s15, s15, (.LBB2_12390-.Lpost_getpc34866)>>32
	s_setpc_b64 s[14:15]
.LBB2_26728:
	v_mov_b32_e32 v3, 0
	v_cmp_ne_u16_sdwa s[8:9], v5, v3 src0_sel:BYTE_0 src1_sel:DWORD
	s_andn2_b64 s[4:5], s[4:5], exec
	s_and_b64 s[8:9], s[8:9], exec
	s_or_b64 s[4:5], s[4:5], s[8:9]
	s_or_b64 exec, exec, s[6:7]
	s_and_saveexec_b64 s[6:7], s[4:5]
	s_cbranch_execz .LBB2_34867
; %bb.62567:
	s_getpc_b64 s[14:15]
.Lpost_getpc34867:
	s_add_u32 s14, s14, (.LBB2_12391-.Lpost_getpc34867)&4294967295
	s_addc_u32 s15, s15, (.LBB2_12391-.Lpost_getpc34867)>>32
	s_setpc_b64 s[14:15]
.LBB2_34867:
	s_getpc_b64 s[14:15]
.Lpost_getpc21017:
	s_add_u32 s14, s14, (.LBB2_12392-.Lpost_getpc21017)&4294967295
	s_addc_u32 s15, s15, (.LBB2_12392-.Lpost_getpc21017)>>32
	s_setpc_b64 s[14:15]
.LBB2_26729:
	s_movk_i32 s4, 0x80
	v_cmp_eq_u16_sdwa s[12:13], v3, s4 src0_sel:BYTE_0 src1_sel:DWORD
	s_mov_b64 s[4:5], -1
                                        ; implicit-def: $sgpr10
	s_and_saveexec_b64 s[8:9], s[12:13]
; %bb.26730:
	s_mov_b32 s10, 0x7f800001
	s_xor_b64 s[4:5], exec, -1
; %bb.26731:
	s_or_b64 exec, exec, s[8:9]
	s_and_b64 s[4:5], s[4:5], exec
	s_or_saveexec_b64 s[6:7], s[6:7]
	v_mov_b32_e32 v2, s10
	s_xor_b64 exec, exec, s[6:7]
	s_cbranch_execnz .LBB2_26732
; %bb.62569:
	s_getpc_b64 s[14:15]
.Lpost_getpc34868:
	s_add_u32 s14, s14, (.LBB2_12394-.Lpost_getpc34868)&4294967295
	s_addc_u32 s15, s15, (.LBB2_12394-.Lpost_getpc34868)>>32
	s_setpc_b64 s[14:15]
.LBB2_26732:
	v_mov_b32_e32 v2, 0
	v_cmp_ne_u16_sdwa s[8:9], v3, v2 src0_sel:BYTE_0 src1_sel:DWORD
	s_andn2_b64 s[4:5], s[4:5], exec
	s_and_b64 s[8:9], s[8:9], exec
	s_or_b64 s[4:5], s[4:5], s[8:9]
	s_or_b64 exec, exec, s[6:7]
	s_and_saveexec_b64 s[6:7], s[4:5]
	s_cbranch_execz .LBB2_34869
; %bb.62571:
	s_getpc_b64 s[14:15]
.Lpost_getpc34869:
	s_add_u32 s14, s14, (.LBB2_12395-.Lpost_getpc34869)&4294967295
	s_addc_u32 s15, s15, (.LBB2_12395-.Lpost_getpc34869)>>32
	s_setpc_b64 s[14:15]
.LBB2_34869:
	s_getpc_b64 s[14:15]
.Lpost_getpc21018:
	s_add_u32 s14, s14, (.LBB2_12396-.Lpost_getpc21018)&4294967295
	s_addc_u32 s15, s15, (.LBB2_12396-.Lpost_getpc21018)>>32
	s_setpc_b64 s[14:15]
.LBB2_26733:
	s_movk_i32 s4, 0x80
	v_cmp_eq_u16_sdwa s[12:13], v3, s4 src0_sel:BYTE_0 src1_sel:DWORD
	s_mov_b64 s[4:5], -1
                                        ; implicit-def: $sgpr10
	s_and_saveexec_b64 s[8:9], s[12:13]
; %bb.26734:
	s_mov_b32 s10, 0x7f800001
	s_xor_b64 s[4:5], exec, -1
; %bb.26735:
	s_or_b64 exec, exec, s[8:9]
	s_and_b64 s[4:5], s[4:5], exec
	s_or_saveexec_b64 s[6:7], s[6:7]
	v_mov_b32_e32 v4, s10
	s_xor_b64 exec, exec, s[6:7]
	s_cbranch_execnz .LBB2_26736
; %bb.62573:
	s_getpc_b64 s[14:15]
.Lpost_getpc34870:
	s_add_u32 s14, s14, (.LBB2_12398-.Lpost_getpc34870)&4294967295
	s_addc_u32 s15, s15, (.LBB2_12398-.Lpost_getpc34870)>>32
	s_setpc_b64 s[14:15]
.LBB2_26736:
	v_mov_b32_e32 v4, 0
	v_cmp_ne_u16_sdwa s[8:9], v3, v4 src0_sel:BYTE_0 src1_sel:DWORD
	s_andn2_b64 s[4:5], s[4:5], exec
	s_and_b64 s[8:9], s[8:9], exec
	s_or_b64 s[4:5], s[4:5], s[8:9]
	s_or_b64 exec, exec, s[6:7]
	s_and_saveexec_b64 s[6:7], s[4:5]
	s_cbranch_execz .LBB2_34871
; %bb.62575:
	s_getpc_b64 s[14:15]
.Lpost_getpc34871:
	s_add_u32 s14, s14, (.LBB2_12399-.Lpost_getpc34871)&4294967295
	s_addc_u32 s15, s15, (.LBB2_12399-.Lpost_getpc34871)>>32
	s_setpc_b64 s[14:15]
.LBB2_34871:
	s_getpc_b64 s[14:15]
.Lpost_getpc21019:
	s_add_u32 s14, s14, (.LBB2_12400-.Lpost_getpc21019)&4294967295
	s_addc_u32 s15, s15, (.LBB2_12400-.Lpost_getpc21019)>>32
	s_setpc_b64 s[14:15]
.LBB2_26737:
	s_movk_i32 s4, 0x80
	v_cmp_eq_u16_e32 vcc, s4, v3
	s_mov_b64 s[4:5], -1
                                        ; implicit-def: $sgpr10
	s_and_saveexec_b64 s[8:9], vcc
; %bb.26738:
	s_mov_b32 s10, 0x7f800001
	s_xor_b64 s[4:5], exec, -1
; %bb.26739:
	s_or_b64 exec, exec, s[8:9]
	s_and_b64 s[4:5], s[4:5], exec
                                        ; implicit-def: $vgpr3
	s_or_saveexec_b64 s[6:7], s[6:7]
	v_mov_b32_e32 v2, s10
	s_xor_b64 exec, exec, s[6:7]
	s_cbranch_execnz .LBB2_26740
; %bb.62577:
	s_getpc_b64 s[14:15]
.Lpost_getpc34872:
	s_add_u32 s14, s14, (.LBB2_12402-.Lpost_getpc34872)&4294967295
	s_addc_u32 s15, s15, (.LBB2_12402-.Lpost_getpc34872)>>32
	s_setpc_b64 s[14:15]
.LBB2_26740:
	v_cmp_ne_u16_e32 vcc, 0, v3
	s_andn2_b64 s[4:5], s[4:5], exec
	s_and_b64 s[8:9], vcc, exec
	v_mov_b32_e32 v2, 0
	s_or_b64 s[4:5], s[4:5], s[8:9]
	s_or_b64 exec, exec, s[6:7]
	s_and_saveexec_b64 s[6:7], s[4:5]
	s_cbranch_execz .LBB2_34873
; %bb.62579:
	s_getpc_b64 s[14:15]
.Lpost_getpc34873:
	s_add_u32 s14, s14, (.LBB2_12403-.Lpost_getpc34873)&4294967295
	s_addc_u32 s15, s15, (.LBB2_12403-.Lpost_getpc34873)>>32
	s_setpc_b64 s[14:15]
.LBB2_34873:
	s_getpc_b64 s[14:15]
.Lpost_getpc21020:
	s_add_u32 s14, s14, (.LBB2_12404-.Lpost_getpc21020)&4294967295
	s_addc_u32 s15, s15, (.LBB2_12404-.Lpost_getpc21020)>>32
	s_setpc_b64 s[14:15]
.LBB2_26741:
	s_movk_i32 s4, 0x80
	v_cmp_eq_u16_e32 vcc, s4, v3
	s_mov_b64 s[4:5], -1
                                        ; implicit-def: $sgpr10
	s_and_saveexec_b64 s[8:9], vcc
; %bb.26742:
	s_mov_b32 s10, 0x7f800001
	s_xor_b64 s[4:5], exec, -1
; %bb.26743:
	s_or_b64 exec, exec, s[8:9]
	s_and_b64 s[4:5], s[4:5], exec
                                        ; implicit-def: $vgpr3
	s_or_saveexec_b64 s[6:7], s[6:7]
	v_mov_b32_e32 v4, s10
	s_xor_b64 exec, exec, s[6:7]
	s_cbranch_execnz .LBB2_26744
; %bb.62581:
	s_getpc_b64 s[14:15]
.Lpost_getpc34874:
	s_add_u32 s14, s14, (.LBB2_12406-.Lpost_getpc34874)&4294967295
	s_addc_u32 s15, s15, (.LBB2_12406-.Lpost_getpc34874)>>32
	s_setpc_b64 s[14:15]
.LBB2_26744:
	v_cmp_ne_u16_e32 vcc, 0, v3
	s_andn2_b64 s[4:5], s[4:5], exec
	s_and_b64 s[8:9], vcc, exec
	v_mov_b32_e32 v4, 0
	s_or_b64 s[4:5], s[4:5], s[8:9]
	s_or_b64 exec, exec, s[6:7]
	s_and_saveexec_b64 s[6:7], s[4:5]
	s_cbranch_execz .LBB2_34875
; %bb.62583:
	s_getpc_b64 s[14:15]
.Lpost_getpc34875:
	s_add_u32 s14, s14, (.LBB2_12407-.Lpost_getpc34875)&4294967295
	s_addc_u32 s15, s15, (.LBB2_12407-.Lpost_getpc34875)>>32
	s_setpc_b64 s[14:15]
.LBB2_34875:
	s_getpc_b64 s[14:15]
.Lpost_getpc21021:
	s_add_u32 s14, s14, (.LBB2_12408-.Lpost_getpc21021)&4294967295
	s_addc_u32 s15, s15, (.LBB2_12408-.Lpost_getpc21021)>>32
	s_setpc_b64 s[14:15]
.LBB2_26745:
	s_movk_i32 s4, 0x80
	v_cmp_eq_u16_sdwa s[12:13], v9, s4 src0_sel:BYTE_3 src1_sel:DWORD
	s_mov_b64 s[4:5], -1
                                        ; implicit-def: $sgpr10
	s_and_saveexec_b64 s[8:9], s[12:13]
; %bb.26746:
	s_mov_b32 s10, 0x7f800001
	s_xor_b64 s[4:5], exec, -1
; %bb.26747:
	s_or_b64 exec, exec, s[8:9]
	s_and_b64 s[4:5], s[4:5], exec
	s_or_saveexec_b64 s[6:7], s[6:7]
	v_mov_b32_e32 v2, s10
	s_xor_b64 exec, exec, s[6:7]
	s_cbranch_execnz .LBB2_26748
; %bb.62585:
	s_getpc_b64 s[14:15]
.Lpost_getpc34876:
	s_add_u32 s14, s14, (.LBB2_12410-.Lpost_getpc34876)&4294967295
	s_addc_u32 s15, s15, (.LBB2_12410-.Lpost_getpc34876)>>32
	s_setpc_b64 s[14:15]
.LBB2_26748:
	v_mov_b32_e32 v2, 0
	v_cmp_ne_u16_sdwa s[8:9], v9, v2 src0_sel:BYTE_3 src1_sel:DWORD
	s_andn2_b64 s[4:5], s[4:5], exec
	s_and_b64 s[8:9], s[8:9], exec
	s_or_b64 s[4:5], s[4:5], s[8:9]
	s_or_b64 exec, exec, s[6:7]
	s_and_saveexec_b64 s[6:7], s[4:5]
	s_cbranch_execz .LBB2_34877
; %bb.62587:
	s_getpc_b64 s[14:15]
.Lpost_getpc34877:
	s_add_u32 s14, s14, (.LBB2_12411-.Lpost_getpc34877)&4294967295
	s_addc_u32 s15, s15, (.LBB2_12411-.Lpost_getpc34877)>>32
	s_setpc_b64 s[14:15]
.LBB2_34877:
	s_getpc_b64 s[14:15]
.Lpost_getpc21022:
	s_add_u32 s14, s14, (.LBB2_12412-.Lpost_getpc21022)&4294967295
	s_addc_u32 s15, s15, (.LBB2_12412-.Lpost_getpc21022)>>32
	s_setpc_b64 s[14:15]
.LBB2_26749:
	s_movk_i32 s4, 0x80
	v_cmp_eq_u16_sdwa s[12:13], v5, s4 src0_sel:BYTE_3 src1_sel:DWORD
	s_mov_b64 s[4:5], -1
                                        ; implicit-def: $sgpr10
	s_and_saveexec_b64 s[8:9], s[12:13]
; %bb.26750:
	s_mov_b32 s10, 0x7f800001
	s_xor_b64 s[4:5], exec, -1
; %bb.26751:
	s_or_b64 exec, exec, s[8:9]
	s_and_b64 s[4:5], s[4:5], exec
	s_or_saveexec_b64 s[6:7], s[6:7]
	v_mov_b32_e32 v3, s10
	s_xor_b64 exec, exec, s[6:7]
	s_cbranch_execnz .LBB2_26752
; %bb.62589:
	s_getpc_b64 s[14:15]
.Lpost_getpc34878:
	s_add_u32 s14, s14, (.LBB2_12414-.Lpost_getpc34878)&4294967295
	s_addc_u32 s15, s15, (.LBB2_12414-.Lpost_getpc34878)>>32
	s_setpc_b64 s[14:15]
.LBB2_26752:
	v_mov_b32_e32 v3, 0
	v_cmp_ne_u16_sdwa s[8:9], v5, v3 src0_sel:BYTE_3 src1_sel:DWORD
	s_andn2_b64 s[4:5], s[4:5], exec
	s_and_b64 s[8:9], s[8:9], exec
	s_or_b64 s[4:5], s[4:5], s[8:9]
	s_or_b64 exec, exec, s[6:7]
	s_and_saveexec_b64 s[6:7], s[4:5]
	s_cbranch_execz .LBB2_34879
; %bb.62591:
	s_getpc_b64 s[14:15]
.Lpost_getpc34879:
	s_add_u32 s14, s14, (.LBB2_12415-.Lpost_getpc34879)&4294967295
	s_addc_u32 s15, s15, (.LBB2_12415-.Lpost_getpc34879)>>32
	s_setpc_b64 s[14:15]
.LBB2_34879:
	s_getpc_b64 s[14:15]
.Lpost_getpc21023:
	s_add_u32 s14, s14, (.LBB2_12416-.Lpost_getpc21023)&4294967295
	s_addc_u32 s15, s15, (.LBB2_12416-.Lpost_getpc21023)>>32
	s_setpc_b64 s[14:15]
.LBB2_26753:
	s_movk_i32 s4, 0x80
	v_cmp_eq_u16_sdwa s[12:13], v6, s4 src0_sel:BYTE_0 src1_sel:DWORD
	s_mov_b64 s[4:5], -1
                                        ; implicit-def: $sgpr10
	s_and_saveexec_b64 s[8:9], s[12:13]
; %bb.26754:
	s_mov_b32 s10, 0x7f800001
	s_xor_b64 s[4:5], exec, -1
; %bb.26755:
	s_or_b64 exec, exec, s[8:9]
	s_and_b64 s[4:5], s[4:5], exec
	s_or_saveexec_b64 s[6:7], s[6:7]
	v_mov_b32_e32 v12, s10
	s_xor_b64 exec, exec, s[6:7]
	s_cbranch_execnz .LBB2_26756
; %bb.62593:
	s_getpc_b64 s[14:15]
.Lpost_getpc34880:
	s_add_u32 s14, s14, (.LBB2_12418-.Lpost_getpc34880)&4294967295
	s_addc_u32 s15, s15, (.LBB2_12418-.Lpost_getpc34880)>>32
	s_setpc_b64 s[14:15]
.LBB2_26756:
	v_mov_b32_e32 v12, 0
	v_cmp_ne_u16_sdwa s[8:9], v6, v12 src0_sel:BYTE_0 src1_sel:DWORD
	s_andn2_b64 s[4:5], s[4:5], exec
	s_and_b64 s[8:9], s[8:9], exec
	s_or_b64 s[4:5], s[4:5], s[8:9]
	s_or_b64 exec, exec, s[6:7]
	s_and_saveexec_b64 s[6:7], s[4:5]
	s_cbranch_execz .LBB2_34881
; %bb.62595:
	s_getpc_b64 s[14:15]
.Lpost_getpc34881:
	s_add_u32 s14, s14, (.LBB2_12419-.Lpost_getpc34881)&4294967295
	s_addc_u32 s15, s15, (.LBB2_12419-.Lpost_getpc34881)>>32
	s_setpc_b64 s[14:15]
.LBB2_34881:
	s_getpc_b64 s[14:15]
.Lpost_getpc21024:
	s_add_u32 s14, s14, (.LBB2_12420-.Lpost_getpc21024)&4294967295
	s_addc_u32 s15, s15, (.LBB2_12420-.Lpost_getpc21024)>>32
	s_setpc_b64 s[14:15]
.LBB2_26757:
	s_movk_i32 s4, 0x80
	v_cmp_eq_u16_sdwa s[12:13], v2, s4 src0_sel:BYTE_0 src1_sel:DWORD
	s_mov_b64 s[4:5], -1
                                        ; implicit-def: $sgpr10
	s_and_saveexec_b64 s[8:9], s[12:13]
; %bb.26758:
	s_mov_b32 s10, 0x7f800001
	s_xor_b64 s[4:5], exec, -1
; %bb.26759:
	s_or_b64 exec, exec, s[8:9]
	s_and_b64 s[4:5], s[4:5], exec
	s_or_saveexec_b64 s[6:7], s[6:7]
	v_mov_b32_e32 v13, s10
	s_xor_b64 exec, exec, s[6:7]
	s_cbranch_execnz .LBB2_26760
; %bb.62597:
	s_getpc_b64 s[14:15]
.Lpost_getpc34882:
	s_add_u32 s14, s14, (.LBB2_12422-.Lpost_getpc34882)&4294967295
	s_addc_u32 s15, s15, (.LBB2_12422-.Lpost_getpc34882)>>32
	s_setpc_b64 s[14:15]
.LBB2_26760:
	v_mov_b32_e32 v13, 0
	v_cmp_ne_u16_sdwa s[8:9], v2, v13 src0_sel:BYTE_0 src1_sel:DWORD
	s_andn2_b64 s[4:5], s[4:5], exec
	s_and_b64 s[8:9], s[8:9], exec
	s_or_b64 s[4:5], s[4:5], s[8:9]
	s_or_b64 exec, exec, s[6:7]
	s_and_saveexec_b64 s[6:7], s[4:5]
	s_cbranch_execz .LBB2_34883
; %bb.62599:
	s_getpc_b64 s[14:15]
.Lpost_getpc34883:
	s_add_u32 s14, s14, (.LBB2_12423-.Lpost_getpc34883)&4294967295
	s_addc_u32 s15, s15, (.LBB2_12423-.Lpost_getpc34883)>>32
	s_setpc_b64 s[14:15]
.LBB2_34883:
	s_getpc_b64 s[14:15]
.Lpost_getpc21025:
	s_add_u32 s14, s14, (.LBB2_12424-.Lpost_getpc21025)&4294967295
	s_addc_u32 s15, s15, (.LBB2_12424-.Lpost_getpc21025)>>32
	s_setpc_b64 s[14:15]
.LBB2_26761:
	s_movk_i32 s4, 0x80
	v_cmp_eq_u16_sdwa s[12:13], v13, s4 src0_sel:BYTE_0 src1_sel:DWORD
	s_mov_b64 s[4:5], -1
                                        ; implicit-def: $sgpr10
	s_and_saveexec_b64 s[8:9], s[12:13]
; %bb.26762:
	s_mov_b32 s10, 0x7f800001
	s_xor_b64 s[4:5], exec, -1
; %bb.26763:
	s_or_b64 exec, exec, s[8:9]
	s_and_b64 s[4:5], s[4:5], exec
	s_or_saveexec_b64 s[6:7], s[6:7]
	v_mov_b32_e32 v12, s10
	s_xor_b64 exec, exec, s[6:7]
	s_cbranch_execnz .LBB2_26764
; %bb.62601:
	s_getpc_b64 s[14:15]
.Lpost_getpc34884:
	s_add_u32 s14, s14, (.LBB2_12426-.Lpost_getpc34884)&4294967295
	s_addc_u32 s15, s15, (.LBB2_12426-.Lpost_getpc34884)>>32
	s_setpc_b64 s[14:15]
.LBB2_26764:
	v_mov_b32_e32 v12, 0
	v_cmp_ne_u16_sdwa s[8:9], v13, v12 src0_sel:BYTE_0 src1_sel:DWORD
	s_andn2_b64 s[4:5], s[4:5], exec
	s_and_b64 s[8:9], s[8:9], exec
	s_or_b64 s[4:5], s[4:5], s[8:9]
	s_or_b64 exec, exec, s[6:7]
	s_and_saveexec_b64 s[6:7], s[4:5]
	s_cbranch_execz .LBB2_34885
; %bb.62603:
	s_getpc_b64 s[14:15]
.Lpost_getpc34885:
	s_add_u32 s14, s14, (.LBB2_12427-.Lpost_getpc34885)&4294967295
	s_addc_u32 s15, s15, (.LBB2_12427-.Lpost_getpc34885)>>32
	s_setpc_b64 s[14:15]
.LBB2_34885:
	s_getpc_b64 s[14:15]
.Lpost_getpc21026:
	s_add_u32 s14, s14, (.LBB2_12428-.Lpost_getpc21026)&4294967295
	s_addc_u32 s15, s15, (.LBB2_12428-.Lpost_getpc21026)>>32
	s_setpc_b64 s[14:15]
.LBB2_26765:
	s_movk_i32 s4, 0x80
	v_cmp_eq_u16_sdwa s[12:13], v13, s4 src0_sel:BYTE_0 src1_sel:DWORD
	s_mov_b64 s[4:5], -1
                                        ; implicit-def: $sgpr10
	s_and_saveexec_b64 s[8:9], s[12:13]
; %bb.26766:
	s_mov_b32 s10, 0x7f800001
	s_xor_b64 s[4:5], exec, -1
; %bb.26767:
	s_or_b64 exec, exec, s[8:9]
	s_and_b64 s[4:5], s[4:5], exec
	s_or_saveexec_b64 s[6:7], s[6:7]
	v_mov_b32_e32 v14, s10
	s_xor_b64 exec, exec, s[6:7]
	s_cbranch_execnz .LBB2_26768
; %bb.62605:
	s_getpc_b64 s[14:15]
.Lpost_getpc34886:
	s_add_u32 s14, s14, (.LBB2_12430-.Lpost_getpc34886)&4294967295
	s_addc_u32 s15, s15, (.LBB2_12430-.Lpost_getpc34886)>>32
	s_setpc_b64 s[14:15]
.LBB2_26768:
	v_mov_b32_e32 v14, 0
	v_cmp_ne_u16_sdwa s[8:9], v13, v14 src0_sel:BYTE_0 src1_sel:DWORD
	s_andn2_b64 s[4:5], s[4:5], exec
	s_and_b64 s[8:9], s[8:9], exec
	s_or_b64 s[4:5], s[4:5], s[8:9]
	s_or_b64 exec, exec, s[6:7]
	s_and_saveexec_b64 s[6:7], s[4:5]
	s_cbranch_execz .LBB2_34887
; %bb.62607:
	s_getpc_b64 s[14:15]
.Lpost_getpc34887:
	s_add_u32 s14, s14, (.LBB2_12431-.Lpost_getpc34887)&4294967295
	s_addc_u32 s15, s15, (.LBB2_12431-.Lpost_getpc34887)>>32
	s_setpc_b64 s[14:15]
.LBB2_34887:
	s_getpc_b64 s[14:15]
.Lpost_getpc21027:
	s_add_u32 s14, s14, (.LBB2_12432-.Lpost_getpc21027)&4294967295
	s_addc_u32 s15, s15, (.LBB2_12432-.Lpost_getpc21027)>>32
	s_setpc_b64 s[14:15]
.LBB2_26769:
	s_movk_i32 s4, 0x80
	v_cmp_eq_u16_e32 vcc, s4, v13
	s_mov_b64 s[4:5], -1
                                        ; implicit-def: $sgpr10
	s_and_saveexec_b64 s[8:9], vcc
; %bb.26770:
	s_mov_b32 s10, 0x7f800001
	s_xor_b64 s[4:5], exec, -1
; %bb.26771:
	s_or_b64 exec, exec, s[8:9]
	s_and_b64 s[4:5], s[4:5], exec
                                        ; implicit-def: $vgpr13
	s_or_saveexec_b64 s[6:7], s[6:7]
	v_mov_b32_e32 v12, s10
	s_xor_b64 exec, exec, s[6:7]
	s_cbranch_execnz .LBB2_26772
; %bb.62609:
	s_getpc_b64 s[14:15]
.Lpost_getpc34888:
	s_add_u32 s14, s14, (.LBB2_12434-.Lpost_getpc34888)&4294967295
	s_addc_u32 s15, s15, (.LBB2_12434-.Lpost_getpc34888)>>32
	s_setpc_b64 s[14:15]
.LBB2_26772:
	v_cmp_ne_u16_e32 vcc, 0, v13
	s_andn2_b64 s[4:5], s[4:5], exec
	s_and_b64 s[8:9], vcc, exec
	v_mov_b32_e32 v12, 0
	s_or_b64 s[4:5], s[4:5], s[8:9]
	s_or_b64 exec, exec, s[6:7]
	s_and_saveexec_b64 s[6:7], s[4:5]
	s_cbranch_execz .LBB2_34889
; %bb.62611:
	s_getpc_b64 s[14:15]
.Lpost_getpc34889:
	s_add_u32 s14, s14, (.LBB2_12435-.Lpost_getpc34889)&4294967295
	s_addc_u32 s15, s15, (.LBB2_12435-.Lpost_getpc34889)>>32
	s_setpc_b64 s[14:15]
.LBB2_34889:
	s_getpc_b64 s[14:15]
.Lpost_getpc21028:
	s_add_u32 s14, s14, (.LBB2_12436-.Lpost_getpc21028)&4294967295
	s_addc_u32 s15, s15, (.LBB2_12436-.Lpost_getpc21028)>>32
	s_setpc_b64 s[14:15]
.LBB2_26773:
	s_movk_i32 s4, 0x80
	v_cmp_eq_u16_e32 vcc, s4, v13
	s_mov_b64 s[4:5], -1
                                        ; implicit-def: $sgpr10
	s_and_saveexec_b64 s[8:9], vcc
; %bb.26774:
	s_mov_b32 s10, 0x7f800001
	s_xor_b64 s[4:5], exec, -1
; %bb.26775:
	s_or_b64 exec, exec, s[8:9]
	s_and_b64 s[4:5], s[4:5], exec
                                        ; implicit-def: $vgpr13
	s_or_saveexec_b64 s[6:7], s[6:7]
	v_mov_b32_e32 v14, s10
	s_xor_b64 exec, exec, s[6:7]
	s_cbranch_execnz .LBB2_26776
; %bb.62613:
	s_getpc_b64 s[14:15]
.Lpost_getpc34890:
	s_add_u32 s14, s14, (.LBB2_12438-.Lpost_getpc34890)&4294967295
	s_addc_u32 s15, s15, (.LBB2_12438-.Lpost_getpc34890)>>32
	s_setpc_b64 s[14:15]
.LBB2_26776:
	v_cmp_ne_u16_e32 vcc, 0, v13
	s_andn2_b64 s[4:5], s[4:5], exec
	s_and_b64 s[8:9], vcc, exec
	v_mov_b32_e32 v14, 0
	s_or_b64 s[4:5], s[4:5], s[8:9]
	s_or_b64 exec, exec, s[6:7]
	s_and_saveexec_b64 s[6:7], s[4:5]
	s_cbranch_execz .LBB2_34891
; %bb.62615:
	s_getpc_b64 s[14:15]
.Lpost_getpc34891:
	s_add_u32 s14, s14, (.LBB2_12439-.Lpost_getpc34891)&4294967295
	s_addc_u32 s15, s15, (.LBB2_12439-.Lpost_getpc34891)>>32
	s_setpc_b64 s[14:15]
.LBB2_34891:
	s_getpc_b64 s[14:15]
.Lpost_getpc21029:
	s_add_u32 s14, s14, (.LBB2_12440-.Lpost_getpc21029)&4294967295
	s_addc_u32 s15, s15, (.LBB2_12440-.Lpost_getpc21029)>>32
	s_setpc_b64 s[14:15]
.LBB2_26777:
	s_movk_i32 s4, 0x80
	v_cmp_eq_u16_sdwa s[12:13], v6, s4 src0_sel:BYTE_3 src1_sel:DWORD
	s_mov_b64 s[4:5], -1
                                        ; implicit-def: $sgpr10
	s_and_saveexec_b64 s[8:9], s[12:13]
; %bb.26778:
	s_mov_b32 s10, 0x7f800001
	s_xor_b64 s[4:5], exec, -1
; %bb.26779:
	s_or_b64 exec, exec, s[8:9]
	s_and_b64 s[4:5], s[4:5], exec
	s_or_saveexec_b64 s[6:7], s[6:7]
	v_mov_b32_e32 v12, s10
	s_xor_b64 exec, exec, s[6:7]
	s_cbranch_execnz .LBB2_26780
; %bb.62617:
	s_getpc_b64 s[14:15]
.Lpost_getpc34892:
	s_add_u32 s14, s14, (.LBB2_12442-.Lpost_getpc34892)&4294967295
	s_addc_u32 s15, s15, (.LBB2_12442-.Lpost_getpc34892)>>32
	s_setpc_b64 s[14:15]
.LBB2_26780:
	v_mov_b32_e32 v12, 0
	v_cmp_ne_u16_sdwa s[8:9], v6, v12 src0_sel:BYTE_3 src1_sel:DWORD
	s_andn2_b64 s[4:5], s[4:5], exec
	s_and_b64 s[8:9], s[8:9], exec
	s_or_b64 s[4:5], s[4:5], s[8:9]
	s_or_b64 exec, exec, s[6:7]
	s_and_saveexec_b64 s[6:7], s[4:5]
	s_cbranch_execz .LBB2_34893
; %bb.62619:
	s_getpc_b64 s[14:15]
.Lpost_getpc34893:
	s_add_u32 s14, s14, (.LBB2_12443-.Lpost_getpc34893)&4294967295
	s_addc_u32 s15, s15, (.LBB2_12443-.Lpost_getpc34893)>>32
	s_setpc_b64 s[14:15]
.LBB2_34893:
	s_getpc_b64 s[14:15]
.Lpost_getpc21030:
	s_add_u32 s14, s14, (.LBB2_12444-.Lpost_getpc21030)&4294967295
	s_addc_u32 s15, s15, (.LBB2_12444-.Lpost_getpc21030)>>32
	s_setpc_b64 s[14:15]
.LBB2_26781:
	s_movk_i32 s4, 0x80
	v_cmp_eq_u16_sdwa s[12:13], v2, s4 src0_sel:BYTE_3 src1_sel:DWORD
	s_mov_b64 s[4:5], -1
                                        ; implicit-def: $sgpr10
	s_and_saveexec_b64 s[8:9], s[12:13]
; %bb.26782:
	s_mov_b32 s10, 0x7f800001
	s_xor_b64 s[4:5], exec, -1
; %bb.26783:
	s_or_b64 exec, exec, s[8:9]
	s_and_b64 s[4:5], s[4:5], exec
	s_or_saveexec_b64 s[6:7], s[6:7]
	v_mov_b32_e32 v6, s10
	s_xor_b64 exec, exec, s[6:7]
	s_cbranch_execnz .LBB2_26784
; %bb.62621:
	s_getpc_b64 s[14:15]
.Lpost_getpc34894:
	s_add_u32 s14, s14, (.LBB2_12446-.Lpost_getpc34894)&4294967295
	s_addc_u32 s15, s15, (.LBB2_12446-.Lpost_getpc34894)>>32
	s_setpc_b64 s[14:15]
.LBB2_26784:
	v_mov_b32_e32 v6, 0
	v_cmp_ne_u16_sdwa s[8:9], v2, v6 src0_sel:BYTE_3 src1_sel:DWORD
	s_andn2_b64 s[4:5], s[4:5], exec
	s_and_b64 s[8:9], s[8:9], exec
	s_or_b64 s[4:5], s[4:5], s[8:9]
	s_or_b64 exec, exec, s[6:7]
	s_and_saveexec_b64 s[6:7], s[4:5]
	s_cbranch_execz .LBB2_34895
; %bb.62623:
	s_getpc_b64 s[14:15]
.Lpost_getpc34895:
	s_add_u32 s14, s14, (.LBB2_12447-.Lpost_getpc34895)&4294967295
	s_addc_u32 s15, s15, (.LBB2_12447-.Lpost_getpc34895)>>32
	s_setpc_b64 s[14:15]
.LBB2_34895:
	s_getpc_b64 s[14:15]
.Lpost_getpc21031:
	s_add_u32 s14, s14, (.LBB2_12448-.Lpost_getpc21031)&4294967295
	s_addc_u32 s15, s15, (.LBB2_12448-.Lpost_getpc21031)>>32
	s_setpc_b64 s[14:15]
.LBB2_26785:
	s_movk_i32 s4, 0x80
	v_cmp_eq_u16_sdwa s[12:13], v7, s4 src0_sel:BYTE_0 src1_sel:DWORD
	s_mov_b64 s[4:5], -1
                                        ; implicit-def: $sgpr10
	s_and_saveexec_b64 s[8:9], s[12:13]
; %bb.26786:
	s_mov_b32 s10, 0x7f800001
	s_xor_b64 s[4:5], exec, -1
; %bb.26787:
	s_or_b64 exec, exec, s[8:9]
	s_and_b64 s[4:5], s[4:5], exec
	s_or_saveexec_b64 s[6:7], s[6:7]
	v_mov_b32_e32 v2, s10
	s_xor_b64 exec, exec, s[6:7]
	s_cbranch_execnz .LBB2_26788
; %bb.62625:
	s_getpc_b64 s[14:15]
.Lpost_getpc34896:
	s_add_u32 s14, s14, (.LBB2_12450-.Lpost_getpc34896)&4294967295
	s_addc_u32 s15, s15, (.LBB2_12450-.Lpost_getpc34896)>>32
	s_setpc_b64 s[14:15]
.LBB2_26788:
	v_mov_b32_e32 v2, 0
	v_cmp_ne_u16_sdwa s[8:9], v7, v2 src0_sel:BYTE_0 src1_sel:DWORD
	s_andn2_b64 s[4:5], s[4:5], exec
	s_and_b64 s[8:9], s[8:9], exec
	s_or_b64 s[4:5], s[4:5], s[8:9]
	s_or_b64 exec, exec, s[6:7]
	s_and_saveexec_b64 s[6:7], s[4:5]
	s_cbranch_execz .LBB2_34897
; %bb.62627:
	s_getpc_b64 s[14:15]
.Lpost_getpc34897:
	s_add_u32 s14, s14, (.LBB2_12451-.Lpost_getpc34897)&4294967295
	s_addc_u32 s15, s15, (.LBB2_12451-.Lpost_getpc34897)>>32
	s_setpc_b64 s[14:15]
.LBB2_34897:
	s_getpc_b64 s[14:15]
.Lpost_getpc21032:
	s_add_u32 s14, s14, (.LBB2_12452-.Lpost_getpc21032)&4294967295
	s_addc_u32 s15, s15, (.LBB2_12452-.Lpost_getpc21032)>>32
	s_setpc_b64 s[14:15]
.LBB2_26789:
	s_movk_i32 s4, 0x80
	v_cmp_eq_u16_sdwa s[12:13], v3, s4 src0_sel:BYTE_0 src1_sel:DWORD
	s_mov_b64 s[4:5], -1
                                        ; implicit-def: $sgpr10
	s_and_saveexec_b64 s[8:9], s[12:13]
; %bb.26790:
	s_mov_b32 s10, 0x7f800001
	s_xor_b64 s[4:5], exec, -1
; %bb.26791:
	s_or_b64 exec, exec, s[8:9]
	s_and_b64 s[4:5], s[4:5], exec
	s_or_saveexec_b64 s[6:7], s[6:7]
	v_mov_b32_e32 v6, s10
	s_xor_b64 exec, exec, s[6:7]
	s_cbranch_execnz .LBB2_26792
; %bb.62629:
	s_getpc_b64 s[14:15]
.Lpost_getpc34898:
	s_add_u32 s14, s14, (.LBB2_12454-.Lpost_getpc34898)&4294967295
	s_addc_u32 s15, s15, (.LBB2_12454-.Lpost_getpc34898)>>32
	s_setpc_b64 s[14:15]
.LBB2_26792:
	v_mov_b32_e32 v6, 0
	v_cmp_ne_u16_sdwa s[8:9], v3, v6 src0_sel:BYTE_0 src1_sel:DWORD
	s_andn2_b64 s[4:5], s[4:5], exec
	s_and_b64 s[8:9], s[8:9], exec
	s_or_b64 s[4:5], s[4:5], s[8:9]
	s_or_b64 exec, exec, s[6:7]
	s_and_saveexec_b64 s[6:7], s[4:5]
	s_cbranch_execz .LBB2_34899
; %bb.62631:
	s_getpc_b64 s[14:15]
.Lpost_getpc34899:
	s_add_u32 s14, s14, (.LBB2_12455-.Lpost_getpc34899)&4294967295
	s_addc_u32 s15, s15, (.LBB2_12455-.Lpost_getpc34899)>>32
	s_setpc_b64 s[14:15]
.LBB2_34899:
	s_getpc_b64 s[14:15]
.Lpost_getpc21033:
	s_add_u32 s14, s14, (.LBB2_12456-.Lpost_getpc21033)&4294967295
	s_addc_u32 s15, s15, (.LBB2_12456-.Lpost_getpc21033)>>32
	s_setpc_b64 s[14:15]
.LBB2_26793:
	s_movk_i32 s4, 0x80
	v_cmp_eq_u16_sdwa s[12:13], v6, s4 src0_sel:BYTE_0 src1_sel:DWORD
	s_mov_b64 s[4:5], -1
                                        ; implicit-def: $sgpr10
	s_and_saveexec_b64 s[8:9], s[12:13]
; %bb.26794:
	s_mov_b32 s10, 0x7f800001
	s_xor_b64 s[4:5], exec, -1
; %bb.26795:
	s_or_b64 exec, exec, s[8:9]
	s_and_b64 s[4:5], s[4:5], exec
	s_or_saveexec_b64 s[6:7], s[6:7]
	v_mov_b32_e32 v2, s10
	s_xor_b64 exec, exec, s[6:7]
	s_cbranch_execnz .LBB2_26796
; %bb.62633:
	s_getpc_b64 s[14:15]
.Lpost_getpc34900:
	s_add_u32 s14, s14, (.LBB2_12458-.Lpost_getpc34900)&4294967295
	s_addc_u32 s15, s15, (.LBB2_12458-.Lpost_getpc34900)>>32
	s_setpc_b64 s[14:15]
.LBB2_26796:
	v_mov_b32_e32 v2, 0
	v_cmp_ne_u16_sdwa s[8:9], v6, v2 src0_sel:BYTE_0 src1_sel:DWORD
	s_andn2_b64 s[4:5], s[4:5], exec
	s_and_b64 s[8:9], s[8:9], exec
	s_or_b64 s[4:5], s[4:5], s[8:9]
	s_or_b64 exec, exec, s[6:7]
	s_and_saveexec_b64 s[6:7], s[4:5]
	s_cbranch_execz .LBB2_34901
; %bb.62635:
	s_getpc_b64 s[14:15]
.Lpost_getpc34901:
	s_add_u32 s14, s14, (.LBB2_12459-.Lpost_getpc34901)&4294967295
	s_addc_u32 s15, s15, (.LBB2_12459-.Lpost_getpc34901)>>32
	s_setpc_b64 s[14:15]
.LBB2_34901:
	s_getpc_b64 s[14:15]
.Lpost_getpc21034:
	s_add_u32 s14, s14, (.LBB2_12460-.Lpost_getpc21034)&4294967295
	s_addc_u32 s15, s15, (.LBB2_12460-.Lpost_getpc21034)>>32
	s_setpc_b64 s[14:15]
.LBB2_26797:
	s_movk_i32 s4, 0x80
	v_cmp_eq_u16_sdwa s[12:13], v6, s4 src0_sel:BYTE_0 src1_sel:DWORD
	s_mov_b64 s[4:5], -1
                                        ; implicit-def: $sgpr10
	s_and_saveexec_b64 s[8:9], s[12:13]
; %bb.26798:
	s_mov_b32 s10, 0x7f800001
	s_xor_b64 s[4:5], exec, -1
; %bb.26799:
	s_or_b64 exec, exec, s[8:9]
	s_and_b64 s[4:5], s[4:5], exec
	s_or_saveexec_b64 s[6:7], s[6:7]
	v_mov_b32_e32 v12, s10
	s_xor_b64 exec, exec, s[6:7]
	s_cbranch_execnz .LBB2_26800
; %bb.62637:
	s_getpc_b64 s[14:15]
.Lpost_getpc34902:
	s_add_u32 s14, s14, (.LBB2_12462-.Lpost_getpc34902)&4294967295
	s_addc_u32 s15, s15, (.LBB2_12462-.Lpost_getpc34902)>>32
	s_setpc_b64 s[14:15]
.LBB2_26800:
	v_mov_b32_e32 v12, 0
	v_cmp_ne_u16_sdwa s[8:9], v6, v12 src0_sel:BYTE_0 src1_sel:DWORD
	s_andn2_b64 s[4:5], s[4:5], exec
	s_and_b64 s[8:9], s[8:9], exec
	s_or_b64 s[4:5], s[4:5], s[8:9]
	s_or_b64 exec, exec, s[6:7]
	s_and_saveexec_b64 s[6:7], s[4:5]
	s_cbranch_execz .LBB2_34903
; %bb.62639:
	s_getpc_b64 s[14:15]
.Lpost_getpc34903:
	s_add_u32 s14, s14, (.LBB2_12463-.Lpost_getpc34903)&4294967295
	s_addc_u32 s15, s15, (.LBB2_12463-.Lpost_getpc34903)>>32
	s_setpc_b64 s[14:15]
.LBB2_34903:
	s_getpc_b64 s[14:15]
.Lpost_getpc21035:
	s_add_u32 s14, s14, (.LBB2_12464-.Lpost_getpc21035)&4294967295
	s_addc_u32 s15, s15, (.LBB2_12464-.Lpost_getpc21035)>>32
	s_setpc_b64 s[14:15]
.LBB2_26801:
	s_movk_i32 s4, 0x80
	v_cmp_eq_u16_e32 vcc, s4, v6
	s_mov_b64 s[4:5], -1
                                        ; implicit-def: $sgpr10
	s_and_saveexec_b64 s[8:9], vcc
; %bb.26802:
	s_mov_b32 s10, 0x7f800001
	s_xor_b64 s[4:5], exec, -1
; %bb.26803:
	s_or_b64 exec, exec, s[8:9]
	s_and_b64 s[4:5], s[4:5], exec
                                        ; implicit-def: $vgpr6
	s_or_saveexec_b64 s[6:7], s[6:7]
	v_mov_b32_e32 v2, s10
	s_xor_b64 exec, exec, s[6:7]
	s_cbranch_execnz .LBB2_26804
; %bb.62641:
	s_getpc_b64 s[14:15]
.Lpost_getpc34904:
	s_add_u32 s14, s14, (.LBB2_12466-.Lpost_getpc34904)&4294967295
	s_addc_u32 s15, s15, (.LBB2_12466-.Lpost_getpc34904)>>32
	s_setpc_b64 s[14:15]
.LBB2_26804:
	v_cmp_ne_u16_e32 vcc, 0, v6
	s_andn2_b64 s[4:5], s[4:5], exec
	s_and_b64 s[8:9], vcc, exec
	v_mov_b32_e32 v2, 0
	s_or_b64 s[4:5], s[4:5], s[8:9]
	s_or_b64 exec, exec, s[6:7]
	s_and_saveexec_b64 s[6:7], s[4:5]
	s_cbranch_execz .LBB2_34905
; %bb.62643:
	s_getpc_b64 s[14:15]
.Lpost_getpc34905:
	s_add_u32 s14, s14, (.LBB2_12467-.Lpost_getpc34905)&4294967295
	s_addc_u32 s15, s15, (.LBB2_12467-.Lpost_getpc34905)>>32
	s_setpc_b64 s[14:15]
.LBB2_34905:
	s_getpc_b64 s[14:15]
.Lpost_getpc21036:
	s_add_u32 s14, s14, (.LBB2_12468-.Lpost_getpc21036)&4294967295
	s_addc_u32 s15, s15, (.LBB2_12468-.Lpost_getpc21036)>>32
	s_setpc_b64 s[14:15]
.LBB2_26805:
	s_movk_i32 s4, 0x80
	v_cmp_eq_u16_e32 vcc, s4, v6
	s_mov_b64 s[4:5], -1
                                        ; implicit-def: $sgpr10
	s_and_saveexec_b64 s[8:9], vcc
; %bb.26806:
	s_mov_b32 s10, 0x7f800001
	s_xor_b64 s[4:5], exec, -1
; %bb.26807:
	s_or_b64 exec, exec, s[8:9]
	s_and_b64 s[4:5], s[4:5], exec
                                        ; implicit-def: $vgpr6
	s_or_saveexec_b64 s[6:7], s[6:7]
	v_mov_b32_e32 v12, s10
	s_xor_b64 exec, exec, s[6:7]
	s_cbranch_execnz .LBB2_26808
; %bb.62645:
	s_getpc_b64 s[14:15]
.Lpost_getpc34906:
	s_add_u32 s14, s14, (.LBB2_12470-.Lpost_getpc34906)&4294967295
	s_addc_u32 s15, s15, (.LBB2_12470-.Lpost_getpc34906)>>32
	s_setpc_b64 s[14:15]
.LBB2_26808:
	v_cmp_ne_u16_e32 vcc, 0, v6
	s_andn2_b64 s[4:5], s[4:5], exec
	s_and_b64 s[8:9], vcc, exec
	v_mov_b32_e32 v12, 0
	s_or_b64 s[4:5], s[4:5], s[8:9]
	s_or_b64 exec, exec, s[6:7]
	s_and_saveexec_b64 s[6:7], s[4:5]
	s_cbranch_execz .LBB2_34907
; %bb.62647:
	s_getpc_b64 s[14:15]
.Lpost_getpc34907:
	s_add_u32 s14, s14, (.LBB2_12471-.Lpost_getpc34907)&4294967295
	s_addc_u32 s15, s15, (.LBB2_12471-.Lpost_getpc34907)>>32
	s_setpc_b64 s[14:15]
.LBB2_34907:
	s_getpc_b64 s[14:15]
.Lpost_getpc21037:
	s_add_u32 s14, s14, (.LBB2_12472-.Lpost_getpc21037)&4294967295
	s_addc_u32 s15, s15, (.LBB2_12472-.Lpost_getpc21037)>>32
	s_setpc_b64 s[14:15]
.LBB2_26809:
	s_movk_i32 s4, 0x80
	v_cmp_eq_u16_sdwa s[12:13], v7, s4 src0_sel:BYTE_3 src1_sel:DWORD
	s_mov_b64 s[4:5], -1
                                        ; implicit-def: $sgpr10
	s_and_saveexec_b64 s[8:9], s[12:13]
; %bb.26810:
	s_mov_b32 s10, 0x7f800001
	s_xor_b64 s[4:5], exec, -1
; %bb.26811:
	s_or_b64 exec, exec, s[8:9]
	s_and_b64 s[4:5], s[4:5], exec
	s_or_saveexec_b64 s[6:7], s[6:7]
	v_mov_b32_e32 v2, s10
	s_xor_b64 exec, exec, s[6:7]
	s_cbranch_execnz .LBB2_26812
; %bb.62649:
	s_getpc_b64 s[14:15]
.Lpost_getpc34908:
	s_add_u32 s14, s14, (.LBB2_12474-.Lpost_getpc34908)&4294967295
	s_addc_u32 s15, s15, (.LBB2_12474-.Lpost_getpc34908)>>32
	s_setpc_b64 s[14:15]
.LBB2_26812:
	v_mov_b32_e32 v2, 0
	v_cmp_ne_u16_sdwa s[8:9], v7, v2 src0_sel:BYTE_3 src1_sel:DWORD
	s_andn2_b64 s[4:5], s[4:5], exec
	s_and_b64 s[8:9], s[8:9], exec
	s_or_b64 s[4:5], s[4:5], s[8:9]
	s_or_b64 exec, exec, s[6:7]
	s_and_saveexec_b64 s[6:7], s[4:5]
	s_cbranch_execz .LBB2_34909
; %bb.62651:
	s_getpc_b64 s[14:15]
.Lpost_getpc34909:
	s_add_u32 s14, s14, (.LBB2_12475-.Lpost_getpc34909)&4294967295
	s_addc_u32 s15, s15, (.LBB2_12475-.Lpost_getpc34909)>>32
	s_setpc_b64 s[14:15]
.LBB2_34909:
	s_getpc_b64 s[14:15]
.Lpost_getpc21038:
	s_add_u32 s14, s14, (.LBB2_12476-.Lpost_getpc21038)&4294967295
	s_addc_u32 s15, s15, (.LBB2_12476-.Lpost_getpc21038)>>32
	s_setpc_b64 s[14:15]
.LBB2_26813:
	s_movk_i32 s4, 0x80
	v_cmp_eq_u16_sdwa s[12:13], v3, s4 src0_sel:BYTE_3 src1_sel:DWORD
	s_mov_b64 s[4:5], -1
                                        ; implicit-def: $sgpr10
	s_and_saveexec_b64 s[8:9], s[12:13]
; %bb.26814:
	s_mov_b32 s10, 0x7f800001
	s_xor_b64 s[4:5], exec, -1
; %bb.26815:
	s_or_b64 exec, exec, s[8:9]
	s_and_b64 s[4:5], s[4:5], exec
	s_or_saveexec_b64 s[6:7], s[6:7]
	v_mov_b32_e32 v6, s10
	s_xor_b64 exec, exec, s[6:7]
	s_cbranch_execnz .LBB2_26816
; %bb.62653:
	s_getpc_b64 s[14:15]
.Lpost_getpc34910:
	s_add_u32 s14, s14, (.LBB2_12478-.Lpost_getpc34910)&4294967295
	s_addc_u32 s15, s15, (.LBB2_12478-.Lpost_getpc34910)>>32
	s_setpc_b64 s[14:15]
.LBB2_26816:
	v_mov_b32_e32 v6, 0
	v_cmp_ne_u16_sdwa s[8:9], v3, v6 src0_sel:BYTE_3 src1_sel:DWORD
	s_andn2_b64 s[4:5], s[4:5], exec
	s_and_b64 s[8:9], s[8:9], exec
	s_or_b64 s[4:5], s[4:5], s[8:9]
	s_or_b64 exec, exec, s[6:7]
	s_and_saveexec_b64 s[6:7], s[4:5]
	s_cbranch_execz .LBB2_34911
; %bb.62655:
	s_getpc_b64 s[14:15]
.Lpost_getpc34911:
	s_add_u32 s14, s14, (.LBB2_12479-.Lpost_getpc34911)&4294967295
	s_addc_u32 s15, s15, (.LBB2_12479-.Lpost_getpc34911)>>32
	s_setpc_b64 s[14:15]
.LBB2_34911:
	s_getpc_b64 s[14:15]
.Lpost_getpc21039:
	s_add_u32 s14, s14, (.LBB2_12480-.Lpost_getpc21039)&4294967295
	s_addc_u32 s15, s15, (.LBB2_12480-.Lpost_getpc21039)>>32
	s_setpc_b64 s[14:15]
.LBB2_26817:
	s_movk_i32 s4, 0x80
	v_cmp_eq_u16_sdwa s[12:13], v8, s4 src0_sel:BYTE_0 src1_sel:DWORD
	s_mov_b64 s[4:5], -1
                                        ; implicit-def: $sgpr10
	s_and_saveexec_b64 s[8:9], s[12:13]
; %bb.26818:
	s_mov_b32 s10, 0x7f800001
	s_xor_b64 s[4:5], exec, -1
; %bb.26819:
	s_or_b64 exec, exec, s[8:9]
	s_and_b64 s[4:5], s[4:5], exec
	s_or_saveexec_b64 s[6:7], s[6:7]
	v_mov_b32_e32 v2, s10
	s_xor_b64 exec, exec, s[6:7]
	s_cbranch_execnz .LBB2_26820
; %bb.62657:
	s_getpc_b64 s[14:15]
.Lpost_getpc34912:
	s_add_u32 s14, s14, (.LBB2_12482-.Lpost_getpc34912)&4294967295
	s_addc_u32 s15, s15, (.LBB2_12482-.Lpost_getpc34912)>>32
	s_setpc_b64 s[14:15]
.LBB2_26820:
	v_mov_b32_e32 v2, 0
	v_cmp_ne_u16_sdwa s[8:9], v8, v2 src0_sel:BYTE_0 src1_sel:DWORD
	s_andn2_b64 s[4:5], s[4:5], exec
	s_and_b64 s[8:9], s[8:9], exec
	s_or_b64 s[4:5], s[4:5], s[8:9]
	s_or_b64 exec, exec, s[6:7]
	s_and_saveexec_b64 s[6:7], s[4:5]
	s_cbranch_execz .LBB2_34913
; %bb.62659:
	s_getpc_b64 s[14:15]
.Lpost_getpc34913:
	s_add_u32 s14, s14, (.LBB2_12483-.Lpost_getpc34913)&4294967295
	s_addc_u32 s15, s15, (.LBB2_12483-.Lpost_getpc34913)>>32
	s_setpc_b64 s[14:15]
.LBB2_34913:
	s_getpc_b64 s[14:15]
.Lpost_getpc21040:
	s_add_u32 s14, s14, (.LBB2_12484-.Lpost_getpc21040)&4294967295
	s_addc_u32 s15, s15, (.LBB2_12484-.Lpost_getpc21040)>>32
	s_setpc_b64 s[14:15]
.LBB2_26821:
	s_movk_i32 s4, 0x80
	v_cmp_eq_u16_sdwa s[12:13], v4, s4 src0_sel:BYTE_0 src1_sel:DWORD
	s_mov_b64 s[4:5], -1
                                        ; implicit-def: $sgpr10
	s_and_saveexec_b64 s[8:9], s[12:13]
; %bb.26822:
	s_mov_b32 s10, 0x7f800001
	s_xor_b64 s[4:5], exec, -1
; %bb.26823:
	s_or_b64 exec, exec, s[8:9]
	s_and_b64 s[4:5], s[4:5], exec
	s_or_saveexec_b64 s[6:7], s[6:7]
	v_mov_b32_e32 v3, s10
	s_xor_b64 exec, exec, s[6:7]
	s_cbranch_execnz .LBB2_26824
; %bb.62661:
	s_getpc_b64 s[14:15]
.Lpost_getpc34914:
	s_add_u32 s14, s14, (.LBB2_12486-.Lpost_getpc34914)&4294967295
	s_addc_u32 s15, s15, (.LBB2_12486-.Lpost_getpc34914)>>32
	s_setpc_b64 s[14:15]
.LBB2_26824:
	v_mov_b32_e32 v3, 0
	v_cmp_ne_u16_sdwa s[8:9], v4, v3 src0_sel:BYTE_0 src1_sel:DWORD
	s_andn2_b64 s[4:5], s[4:5], exec
	s_and_b64 s[8:9], s[8:9], exec
	s_or_b64 s[4:5], s[4:5], s[8:9]
	s_or_b64 exec, exec, s[6:7]
	s_and_saveexec_b64 s[6:7], s[4:5]
	s_cbranch_execz .LBB2_34915
; %bb.62663:
	s_getpc_b64 s[14:15]
.Lpost_getpc34915:
	s_add_u32 s14, s14, (.LBB2_12487-.Lpost_getpc34915)&4294967295
	s_addc_u32 s15, s15, (.LBB2_12487-.Lpost_getpc34915)>>32
	s_setpc_b64 s[14:15]
.LBB2_34915:
	s_getpc_b64 s[14:15]
.Lpost_getpc21041:
	s_add_u32 s14, s14, (.LBB2_12488-.Lpost_getpc21041)&4294967295
	s_addc_u32 s15, s15, (.LBB2_12488-.Lpost_getpc21041)>>32
	s_setpc_b64 s[14:15]
.LBB2_26825:
	s_movk_i32 s4, 0x80
	v_cmp_eq_u16_sdwa s[12:13], v3, s4 src0_sel:BYTE_0 src1_sel:DWORD
	s_mov_b64 s[4:5], -1
                                        ; implicit-def: $sgpr10
	s_and_saveexec_b64 s[8:9], s[12:13]
; %bb.26826:
	s_mov_b32 s10, 0x7f800001
	s_xor_b64 s[4:5], exec, -1
; %bb.26827:
	s_or_b64 exec, exec, s[8:9]
	s_and_b64 s[4:5], s[4:5], exec
	s_or_saveexec_b64 s[6:7], s[6:7]
	v_mov_b32_e32 v2, s10
	s_xor_b64 exec, exec, s[6:7]
	s_cbranch_execnz .LBB2_26828
; %bb.62665:
	s_getpc_b64 s[14:15]
.Lpost_getpc34916:
	s_add_u32 s14, s14, (.LBB2_12490-.Lpost_getpc34916)&4294967295
	s_addc_u32 s15, s15, (.LBB2_12490-.Lpost_getpc34916)>>32
	s_setpc_b64 s[14:15]
.LBB2_26828:
	v_mov_b32_e32 v2, 0
	v_cmp_ne_u16_sdwa s[8:9], v3, v2 src0_sel:BYTE_0 src1_sel:DWORD
	s_andn2_b64 s[4:5], s[4:5], exec
	s_and_b64 s[8:9], s[8:9], exec
	s_or_b64 s[4:5], s[4:5], s[8:9]
	s_or_b64 exec, exec, s[6:7]
	s_and_saveexec_b64 s[6:7], s[4:5]
	s_cbranch_execz .LBB2_34917
; %bb.62667:
	s_getpc_b64 s[14:15]
.Lpost_getpc34917:
	s_add_u32 s14, s14, (.LBB2_12491-.Lpost_getpc34917)&4294967295
	s_addc_u32 s15, s15, (.LBB2_12491-.Lpost_getpc34917)>>32
	s_setpc_b64 s[14:15]
.LBB2_34917:
	s_getpc_b64 s[14:15]
.Lpost_getpc21042:
	s_add_u32 s14, s14, (.LBB2_12492-.Lpost_getpc21042)&4294967295
	s_addc_u32 s15, s15, (.LBB2_12492-.Lpost_getpc21042)>>32
	s_setpc_b64 s[14:15]
.LBB2_26829:
	s_movk_i32 s4, 0x80
	v_cmp_eq_u16_sdwa s[12:13], v3, s4 src0_sel:BYTE_0 src1_sel:DWORD
	s_mov_b64 s[4:5], -1
                                        ; implicit-def: $sgpr10
	s_and_saveexec_b64 s[8:9], s[12:13]
; %bb.26830:
	s_mov_b32 s10, 0x7f800001
	s_xor_b64 s[4:5], exec, -1
; %bb.26831:
	s_or_b64 exec, exec, s[8:9]
	s_and_b64 s[4:5], s[4:5], exec
	s_or_saveexec_b64 s[6:7], s[6:7]
	v_mov_b32_e32 v6, s10
	s_xor_b64 exec, exec, s[6:7]
	s_cbranch_execnz .LBB2_26832
; %bb.62669:
	s_getpc_b64 s[14:15]
.Lpost_getpc34918:
	s_add_u32 s14, s14, (.LBB2_12494-.Lpost_getpc34918)&4294967295
	s_addc_u32 s15, s15, (.LBB2_12494-.Lpost_getpc34918)>>32
	s_setpc_b64 s[14:15]
.LBB2_26832:
	v_mov_b32_e32 v6, 0
	v_cmp_ne_u16_sdwa s[8:9], v3, v6 src0_sel:BYTE_0 src1_sel:DWORD
	s_andn2_b64 s[4:5], s[4:5], exec
	s_and_b64 s[8:9], s[8:9], exec
	s_or_b64 s[4:5], s[4:5], s[8:9]
	s_or_b64 exec, exec, s[6:7]
	s_and_saveexec_b64 s[6:7], s[4:5]
	s_cbranch_execz .LBB2_34919
; %bb.62671:
	s_getpc_b64 s[14:15]
.Lpost_getpc34919:
	s_add_u32 s14, s14, (.LBB2_12495-.Lpost_getpc34919)&4294967295
	s_addc_u32 s15, s15, (.LBB2_12495-.Lpost_getpc34919)>>32
	s_setpc_b64 s[14:15]
.LBB2_34919:
	s_getpc_b64 s[14:15]
.Lpost_getpc21043:
	s_add_u32 s14, s14, (.LBB2_12496-.Lpost_getpc21043)&4294967295
	s_addc_u32 s15, s15, (.LBB2_12496-.Lpost_getpc21043)>>32
	s_setpc_b64 s[14:15]
.LBB2_26833:
	s_movk_i32 s4, 0x80
	v_cmp_eq_u16_e32 vcc, s4, v3
	s_mov_b64 s[4:5], -1
                                        ; implicit-def: $sgpr10
	s_and_saveexec_b64 s[8:9], vcc
; %bb.26834:
	s_mov_b32 s10, 0x7f800001
	s_xor_b64 s[4:5], exec, -1
; %bb.26835:
	s_or_b64 exec, exec, s[8:9]
	s_and_b64 s[4:5], s[4:5], exec
                                        ; implicit-def: $vgpr3
	s_or_saveexec_b64 s[6:7], s[6:7]
	v_mov_b32_e32 v2, s10
	s_xor_b64 exec, exec, s[6:7]
	s_cbranch_execnz .LBB2_26836
; %bb.62673:
	s_getpc_b64 s[14:15]
.Lpost_getpc34920:
	s_add_u32 s14, s14, (.LBB2_12498-.Lpost_getpc34920)&4294967295
	s_addc_u32 s15, s15, (.LBB2_12498-.Lpost_getpc34920)>>32
	s_setpc_b64 s[14:15]
.LBB2_26836:
	v_cmp_ne_u16_e32 vcc, 0, v3
	s_andn2_b64 s[4:5], s[4:5], exec
	s_and_b64 s[8:9], vcc, exec
	v_mov_b32_e32 v2, 0
	s_or_b64 s[4:5], s[4:5], s[8:9]
	s_or_b64 exec, exec, s[6:7]
	s_and_saveexec_b64 s[6:7], s[4:5]
	s_cbranch_execz .LBB2_34921
; %bb.62675:
	s_getpc_b64 s[14:15]
.Lpost_getpc34921:
	s_add_u32 s14, s14, (.LBB2_12499-.Lpost_getpc34921)&4294967295
	s_addc_u32 s15, s15, (.LBB2_12499-.Lpost_getpc34921)>>32
	s_setpc_b64 s[14:15]
.LBB2_34921:
	s_getpc_b64 s[14:15]
.Lpost_getpc21044:
	s_add_u32 s14, s14, (.LBB2_12500-.Lpost_getpc21044)&4294967295
	s_addc_u32 s15, s15, (.LBB2_12500-.Lpost_getpc21044)>>32
	s_setpc_b64 s[14:15]
.LBB2_26837:
	s_movk_i32 s4, 0x80
	v_cmp_eq_u16_e32 vcc, s4, v3
	s_mov_b64 s[4:5], -1
                                        ; implicit-def: $sgpr10
	s_and_saveexec_b64 s[8:9], vcc
; %bb.26838:
	s_mov_b32 s10, 0x7f800001
	s_xor_b64 s[4:5], exec, -1
; %bb.26839:
	s_or_b64 exec, exec, s[8:9]
	s_and_b64 s[4:5], s[4:5], exec
                                        ; implicit-def: $vgpr3
	s_or_saveexec_b64 s[6:7], s[6:7]
	v_mov_b32_e32 v6, s10
	s_xor_b64 exec, exec, s[6:7]
	s_cbranch_execnz .LBB2_26840
; %bb.62677:
	s_getpc_b64 s[14:15]
.Lpost_getpc34922:
	s_add_u32 s14, s14, (.LBB2_12502-.Lpost_getpc34922)&4294967295
	s_addc_u32 s15, s15, (.LBB2_12502-.Lpost_getpc34922)>>32
	s_setpc_b64 s[14:15]
.LBB2_26840:
	v_cmp_ne_u16_e32 vcc, 0, v3
	s_andn2_b64 s[4:5], s[4:5], exec
	s_and_b64 s[8:9], vcc, exec
	v_mov_b32_e32 v6, 0
	s_or_b64 s[4:5], s[4:5], s[8:9]
	s_or_b64 exec, exec, s[6:7]
	s_and_saveexec_b64 s[6:7], s[4:5]
	s_cbranch_execz .LBB2_34923
; %bb.62679:
	s_getpc_b64 s[14:15]
.Lpost_getpc34923:
	s_add_u32 s14, s14, (.LBB2_12503-.Lpost_getpc34923)&4294967295
	s_addc_u32 s15, s15, (.LBB2_12503-.Lpost_getpc34923)>>32
	s_setpc_b64 s[14:15]
.LBB2_34923:
	s_getpc_b64 s[14:15]
.Lpost_getpc21045:
	s_add_u32 s14, s14, (.LBB2_12504-.Lpost_getpc21045)&4294967295
	s_addc_u32 s15, s15, (.LBB2_12504-.Lpost_getpc21045)>>32
	s_setpc_b64 s[14:15]
.LBB2_26841:
	s_movk_i32 s4, 0x80
	v_cmp_eq_u16_sdwa s[12:13], v8, s4 src0_sel:BYTE_3 src1_sel:DWORD
	s_mov_b64 s[4:5], -1
                                        ; implicit-def: $sgpr10
	s_and_saveexec_b64 s[8:9], s[12:13]
; %bb.26842:
	s_mov_b32 s10, 0x7f800001
	s_xor_b64 s[4:5], exec, -1
; %bb.26843:
	s_or_b64 exec, exec, s[8:9]
	s_and_b64 s[4:5], s[4:5], exec
	s_or_saveexec_b64 s[6:7], s[6:7]
	v_mov_b32_e32 v2, s10
	s_xor_b64 exec, exec, s[6:7]
	s_cbranch_execnz .LBB2_26844
; %bb.62681:
	s_getpc_b64 s[14:15]
.Lpost_getpc34924:
	s_add_u32 s14, s14, (.LBB2_12506-.Lpost_getpc34924)&4294967295
	s_addc_u32 s15, s15, (.LBB2_12506-.Lpost_getpc34924)>>32
	s_setpc_b64 s[14:15]
.LBB2_26844:
	v_mov_b32_e32 v2, 0
	v_cmp_ne_u16_sdwa s[8:9], v8, v2 src0_sel:BYTE_3 src1_sel:DWORD
	s_andn2_b64 s[4:5], s[4:5], exec
	s_and_b64 s[8:9], s[8:9], exec
	s_or_b64 s[4:5], s[4:5], s[8:9]
	s_or_b64 exec, exec, s[6:7]
	s_and_saveexec_b64 s[6:7], s[4:5]
	s_cbranch_execz .LBB2_34925
; %bb.62683:
	s_getpc_b64 s[14:15]
.Lpost_getpc34925:
	s_add_u32 s14, s14, (.LBB2_12507-.Lpost_getpc34925)&4294967295
	s_addc_u32 s15, s15, (.LBB2_12507-.Lpost_getpc34925)>>32
	s_setpc_b64 s[14:15]
.LBB2_34925:
	s_getpc_b64 s[14:15]
.Lpost_getpc21046:
	s_add_u32 s14, s14, (.LBB2_12508-.Lpost_getpc21046)&4294967295
	s_addc_u32 s15, s15, (.LBB2_12508-.Lpost_getpc21046)>>32
	s_setpc_b64 s[14:15]
.LBB2_26845:
	s_movk_i32 s4, 0x80
	v_cmp_eq_u16_sdwa s[12:13], v4, s4 src0_sel:BYTE_3 src1_sel:DWORD
	s_mov_b64 s[4:5], -1
                                        ; implicit-def: $sgpr10
	s_and_saveexec_b64 s[8:9], s[12:13]
; %bb.26846:
	s_mov_b32 s10, 0x7f800001
	s_xor_b64 s[4:5], exec, -1
; %bb.26847:
	s_or_b64 exec, exec, s[8:9]
	s_and_b64 s[4:5], s[4:5], exec
	s_or_saveexec_b64 s[6:7], s[6:7]
	v_mov_b32_e32 v3, s10
	s_xor_b64 exec, exec, s[6:7]
	s_cbranch_execnz .LBB2_26848
; %bb.62685:
	s_getpc_b64 s[14:15]
.Lpost_getpc34926:
	s_add_u32 s14, s14, (.LBB2_12510-.Lpost_getpc34926)&4294967295
	s_addc_u32 s15, s15, (.LBB2_12510-.Lpost_getpc34926)>>32
	s_setpc_b64 s[14:15]
.LBB2_26848:
	v_mov_b32_e32 v3, 0
	v_cmp_ne_u16_sdwa s[8:9], v4, v3 src0_sel:BYTE_3 src1_sel:DWORD
	s_andn2_b64 s[4:5], s[4:5], exec
	s_and_b64 s[8:9], s[8:9], exec
	s_or_b64 s[4:5], s[4:5], s[8:9]
	s_or_b64 exec, exec, s[6:7]
	s_and_saveexec_b64 s[6:7], s[4:5]
	s_cbranch_execz .LBB2_34927
; %bb.62687:
	s_getpc_b64 s[14:15]
.Lpost_getpc34927:
	s_add_u32 s14, s14, (.LBB2_12511-.Lpost_getpc34927)&4294967295
	s_addc_u32 s15, s15, (.LBB2_12511-.Lpost_getpc34927)>>32
	s_setpc_b64 s[14:15]
.LBB2_34927:
	s_getpc_b64 s[14:15]
.Lpost_getpc21047:
	s_add_u32 s14, s14, (.LBB2_12512-.Lpost_getpc21047)&4294967295
	s_addc_u32 s15, s15, (.LBB2_12512-.Lpost_getpc21047)>>32
	s_setpc_b64 s[14:15]
.LBB2_26849:
	s_movk_i32 s4, 0x80
	v_cmp_eq_u16_sdwa s[12:13], v9, s4 src0_sel:BYTE_0 src1_sel:DWORD
	s_mov_b64 s[4:5], -1
                                        ; implicit-def: $sgpr10
	s_and_saveexec_b64 s[8:9], s[12:13]
; %bb.26850:
	s_mov_b32 s10, 0x7f800001
	s_xor_b64 s[4:5], exec, -1
; %bb.26851:
	s_or_b64 exec, exec, s[8:9]
	s_and_b64 s[4:5], s[4:5], exec
	s_or_saveexec_b64 s[6:7], s[6:7]
	v_mov_b32_e32 v2, s10
	s_xor_b64 exec, exec, s[6:7]
	s_cbranch_execnz .LBB2_26852
; %bb.62689:
	s_getpc_b64 s[14:15]
.Lpost_getpc34928:
	s_add_u32 s14, s14, (.LBB2_12514-.Lpost_getpc34928)&4294967295
	s_addc_u32 s15, s15, (.LBB2_12514-.Lpost_getpc34928)>>32
	s_setpc_b64 s[14:15]
.LBB2_26852:
	v_mov_b32_e32 v2, 0
	v_cmp_ne_u16_sdwa s[8:9], v9, v2 src0_sel:BYTE_0 src1_sel:DWORD
	s_andn2_b64 s[4:5], s[4:5], exec
	s_and_b64 s[8:9], s[8:9], exec
	s_or_b64 s[4:5], s[4:5], s[8:9]
	s_or_b64 exec, exec, s[6:7]
	s_and_saveexec_b64 s[6:7], s[4:5]
	s_cbranch_execz .LBB2_34929
; %bb.62691:
	s_getpc_b64 s[14:15]
.Lpost_getpc34929:
	s_add_u32 s14, s14, (.LBB2_12515-.Lpost_getpc34929)&4294967295
	s_addc_u32 s15, s15, (.LBB2_12515-.Lpost_getpc34929)>>32
	s_setpc_b64 s[14:15]
.LBB2_34929:
	s_getpc_b64 s[14:15]
.Lpost_getpc21048:
	s_add_u32 s14, s14, (.LBB2_12516-.Lpost_getpc21048)&4294967295
	s_addc_u32 s15, s15, (.LBB2_12516-.Lpost_getpc21048)>>32
	s_setpc_b64 s[14:15]
.LBB2_26853:
	s_movk_i32 s4, 0x80
	v_cmp_eq_u16_sdwa s[12:13], v5, s4 src0_sel:BYTE_0 src1_sel:DWORD
	s_mov_b64 s[4:5], -1
                                        ; implicit-def: $sgpr10
	s_and_saveexec_b64 s[8:9], s[12:13]
; %bb.26854:
	s_mov_b32 s10, 0x7f800001
	s_xor_b64 s[4:5], exec, -1
; %bb.26855:
	s_or_b64 exec, exec, s[8:9]
	s_and_b64 s[4:5], s[4:5], exec
	s_or_saveexec_b64 s[6:7], s[6:7]
	v_mov_b32_e32 v3, s10
	s_xor_b64 exec, exec, s[6:7]
	s_cbranch_execnz .LBB2_26856
; %bb.62693:
	s_getpc_b64 s[14:15]
.Lpost_getpc34930:
	s_add_u32 s14, s14, (.LBB2_12518-.Lpost_getpc34930)&4294967295
	s_addc_u32 s15, s15, (.LBB2_12518-.Lpost_getpc34930)>>32
	s_setpc_b64 s[14:15]
.LBB2_26856:
	v_mov_b32_e32 v3, 0
	v_cmp_ne_u16_sdwa s[8:9], v5, v3 src0_sel:BYTE_0 src1_sel:DWORD
	s_andn2_b64 s[4:5], s[4:5], exec
	s_and_b64 s[8:9], s[8:9], exec
	s_or_b64 s[4:5], s[4:5], s[8:9]
	s_or_b64 exec, exec, s[6:7]
	s_and_saveexec_b64 s[6:7], s[4:5]
	s_cbranch_execz .LBB2_34931
; %bb.62695:
	s_getpc_b64 s[14:15]
.Lpost_getpc34931:
	s_add_u32 s14, s14, (.LBB2_12519-.Lpost_getpc34931)&4294967295
	s_addc_u32 s15, s15, (.LBB2_12519-.Lpost_getpc34931)>>32
	s_setpc_b64 s[14:15]
.LBB2_34931:
	s_getpc_b64 s[14:15]
.Lpost_getpc21049:
	s_add_u32 s14, s14, (.LBB2_12520-.Lpost_getpc21049)&4294967295
	s_addc_u32 s15, s15, (.LBB2_12520-.Lpost_getpc21049)>>32
	s_setpc_b64 s[14:15]
.LBB2_26857:
	s_movk_i32 s4, 0x80
	v_cmp_eq_u16_sdwa s[12:13], v3, s4 src0_sel:BYTE_0 src1_sel:DWORD
	s_mov_b64 s[4:5], -1
                                        ; implicit-def: $sgpr10
	s_and_saveexec_b64 s[8:9], s[12:13]
; %bb.26858:
	s_mov_b32 s10, 0x7f800001
	s_xor_b64 s[4:5], exec, -1
; %bb.26859:
	s_or_b64 exec, exec, s[8:9]
	s_and_b64 s[4:5], s[4:5], exec
	s_or_saveexec_b64 s[6:7], s[6:7]
	v_mov_b32_e32 v2, s10
	s_xor_b64 exec, exec, s[6:7]
	s_cbranch_execnz .LBB2_26860
; %bb.62697:
	s_getpc_b64 s[14:15]
.Lpost_getpc34932:
	s_add_u32 s14, s14, (.LBB2_12522-.Lpost_getpc34932)&4294967295
	s_addc_u32 s15, s15, (.LBB2_12522-.Lpost_getpc34932)>>32
	s_setpc_b64 s[14:15]
.LBB2_26860:
	v_mov_b32_e32 v2, 0
	v_cmp_ne_u16_sdwa s[8:9], v3, v2 src0_sel:BYTE_0 src1_sel:DWORD
	s_andn2_b64 s[4:5], s[4:5], exec
	s_and_b64 s[8:9], s[8:9], exec
	s_or_b64 s[4:5], s[4:5], s[8:9]
	s_or_b64 exec, exec, s[6:7]
	s_and_saveexec_b64 s[6:7], s[4:5]
	s_cbranch_execz .LBB2_34933
; %bb.62699:
	s_getpc_b64 s[14:15]
.Lpost_getpc34933:
	s_add_u32 s14, s14, (.LBB2_12523-.Lpost_getpc34933)&4294967295
	s_addc_u32 s15, s15, (.LBB2_12523-.Lpost_getpc34933)>>32
	s_setpc_b64 s[14:15]
.LBB2_34933:
	s_getpc_b64 s[14:15]
.Lpost_getpc21050:
	s_add_u32 s14, s14, (.LBB2_12524-.Lpost_getpc21050)&4294967295
	s_addc_u32 s15, s15, (.LBB2_12524-.Lpost_getpc21050)>>32
	s_setpc_b64 s[14:15]
.LBB2_26861:
	s_movk_i32 s4, 0x80
	v_cmp_eq_u16_sdwa s[12:13], v3, s4 src0_sel:BYTE_0 src1_sel:DWORD
	s_mov_b64 s[4:5], -1
                                        ; implicit-def: $sgpr10
	s_and_saveexec_b64 s[8:9], s[12:13]
; %bb.26862:
	s_mov_b32 s10, 0x7f800001
	s_xor_b64 s[4:5], exec, -1
; %bb.26863:
	s_or_b64 exec, exec, s[8:9]
	s_and_b64 s[4:5], s[4:5], exec
	s_or_saveexec_b64 s[6:7], s[6:7]
	v_mov_b32_e32 v4, s10
	s_xor_b64 exec, exec, s[6:7]
	s_cbranch_execnz .LBB2_26864
; %bb.62701:
	s_getpc_b64 s[14:15]
.Lpost_getpc34934:
	s_add_u32 s14, s14, (.LBB2_12526-.Lpost_getpc34934)&4294967295
	s_addc_u32 s15, s15, (.LBB2_12526-.Lpost_getpc34934)>>32
	s_setpc_b64 s[14:15]
.LBB2_26864:
	v_mov_b32_e32 v4, 0
	v_cmp_ne_u16_sdwa s[8:9], v3, v4 src0_sel:BYTE_0 src1_sel:DWORD
	s_andn2_b64 s[4:5], s[4:5], exec
	s_and_b64 s[8:9], s[8:9], exec
	s_or_b64 s[4:5], s[4:5], s[8:9]
	s_or_b64 exec, exec, s[6:7]
	s_and_saveexec_b64 s[6:7], s[4:5]
	s_cbranch_execz .LBB2_34935
; %bb.62703:
	s_getpc_b64 s[14:15]
.Lpost_getpc34935:
	s_add_u32 s14, s14, (.LBB2_12527-.Lpost_getpc34935)&4294967295
	s_addc_u32 s15, s15, (.LBB2_12527-.Lpost_getpc34935)>>32
	s_setpc_b64 s[14:15]
.LBB2_34935:
	s_getpc_b64 s[14:15]
.Lpost_getpc21051:
	s_add_u32 s14, s14, (.LBB2_12528-.Lpost_getpc21051)&4294967295
	s_addc_u32 s15, s15, (.LBB2_12528-.Lpost_getpc21051)>>32
	s_setpc_b64 s[14:15]
.LBB2_26865:
	s_movk_i32 s4, 0x80
	v_cmp_eq_u16_e32 vcc, s4, v3
	s_mov_b64 s[4:5], -1
                                        ; implicit-def: $sgpr10
	s_and_saveexec_b64 s[8:9], vcc
; %bb.26866:
	s_mov_b32 s10, 0x7f800001
	s_xor_b64 s[4:5], exec, -1
; %bb.26867:
	s_or_b64 exec, exec, s[8:9]
	s_and_b64 s[4:5], s[4:5], exec
                                        ; implicit-def: $vgpr3
	s_or_saveexec_b64 s[6:7], s[6:7]
	v_mov_b32_e32 v2, s10
	s_xor_b64 exec, exec, s[6:7]
	s_cbranch_execnz .LBB2_26868
; %bb.62705:
	s_getpc_b64 s[14:15]
.Lpost_getpc34936:
	s_add_u32 s14, s14, (.LBB2_12530-.Lpost_getpc34936)&4294967295
	s_addc_u32 s15, s15, (.LBB2_12530-.Lpost_getpc34936)>>32
	s_setpc_b64 s[14:15]
.LBB2_26868:
	v_cmp_ne_u16_e32 vcc, 0, v3
	s_andn2_b64 s[4:5], s[4:5], exec
	s_and_b64 s[8:9], vcc, exec
	v_mov_b32_e32 v2, 0
	s_or_b64 s[4:5], s[4:5], s[8:9]
	s_or_b64 exec, exec, s[6:7]
	s_and_saveexec_b64 s[6:7], s[4:5]
	s_cbranch_execz .LBB2_34937
; %bb.62707:
	s_getpc_b64 s[14:15]
.Lpost_getpc34937:
	s_add_u32 s14, s14, (.LBB2_12531-.Lpost_getpc34937)&4294967295
	s_addc_u32 s15, s15, (.LBB2_12531-.Lpost_getpc34937)>>32
	s_setpc_b64 s[14:15]
.LBB2_34937:
	s_getpc_b64 s[14:15]
.Lpost_getpc21052:
	s_add_u32 s14, s14, (.LBB2_12532-.Lpost_getpc21052)&4294967295
	s_addc_u32 s15, s15, (.LBB2_12532-.Lpost_getpc21052)>>32
	s_setpc_b64 s[14:15]
.LBB2_26869:
	s_movk_i32 s4, 0x80
	v_cmp_eq_u16_e32 vcc, s4, v3
	s_mov_b64 s[4:5], -1
                                        ; implicit-def: $sgpr10
	s_and_saveexec_b64 s[8:9], vcc
; %bb.26870:
	s_mov_b32 s10, 0x7f800001
	s_xor_b64 s[4:5], exec, -1
; %bb.26871:
	s_or_b64 exec, exec, s[8:9]
	s_and_b64 s[4:5], s[4:5], exec
                                        ; implicit-def: $vgpr3
	s_or_saveexec_b64 s[6:7], s[6:7]
	v_mov_b32_e32 v4, s10
	s_xor_b64 exec, exec, s[6:7]
	s_cbranch_execnz .LBB2_26872
; %bb.62709:
	s_getpc_b64 s[14:15]
.Lpost_getpc34938:
	s_add_u32 s14, s14, (.LBB2_12534-.Lpost_getpc34938)&4294967295
	s_addc_u32 s15, s15, (.LBB2_12534-.Lpost_getpc34938)>>32
	s_setpc_b64 s[14:15]
.LBB2_26872:
	v_cmp_ne_u16_e32 vcc, 0, v3
	s_andn2_b64 s[4:5], s[4:5], exec
	s_and_b64 s[8:9], vcc, exec
	v_mov_b32_e32 v4, 0
	s_or_b64 s[4:5], s[4:5], s[8:9]
	s_or_b64 exec, exec, s[6:7]
	s_and_saveexec_b64 s[6:7], s[4:5]
	s_cbranch_execz .LBB2_34939
; %bb.62711:
	s_getpc_b64 s[14:15]
.Lpost_getpc34939:
	s_add_u32 s14, s14, (.LBB2_12535-.Lpost_getpc34939)&4294967295
	s_addc_u32 s15, s15, (.LBB2_12535-.Lpost_getpc34939)>>32
	s_setpc_b64 s[14:15]
.LBB2_34939:
	s_getpc_b64 s[14:15]
.Lpost_getpc21053:
	s_add_u32 s14, s14, (.LBB2_12536-.Lpost_getpc21053)&4294967295
	s_addc_u32 s15, s15, (.LBB2_12536-.Lpost_getpc21053)>>32
	s_setpc_b64 s[14:15]
.LBB2_26873:
	s_movk_i32 s4, 0x80
	v_cmp_eq_u16_sdwa s[12:13], v9, s4 src0_sel:BYTE_3 src1_sel:DWORD
	s_mov_b64 s[4:5], -1
                                        ; implicit-def: $sgpr10
	s_and_saveexec_b64 s[8:9], s[12:13]
; %bb.26874:
	s_mov_b32 s10, 0x7f800001
	s_xor_b64 s[4:5], exec, -1
; %bb.26875:
	s_or_b64 exec, exec, s[8:9]
	s_and_b64 s[4:5], s[4:5], exec
	s_or_saveexec_b64 s[6:7], s[6:7]
	v_mov_b32_e32 v2, s10
	s_xor_b64 exec, exec, s[6:7]
	s_cbranch_execnz .LBB2_26876
; %bb.62713:
	s_getpc_b64 s[14:15]
.Lpost_getpc34940:
	s_add_u32 s14, s14, (.LBB2_12538-.Lpost_getpc34940)&4294967295
	s_addc_u32 s15, s15, (.LBB2_12538-.Lpost_getpc34940)>>32
	s_setpc_b64 s[14:15]
.LBB2_26876:
	v_mov_b32_e32 v2, 0
	v_cmp_ne_u16_sdwa s[8:9], v9, v2 src0_sel:BYTE_3 src1_sel:DWORD
	s_andn2_b64 s[4:5], s[4:5], exec
	s_and_b64 s[8:9], s[8:9], exec
	s_or_b64 s[4:5], s[4:5], s[8:9]
	s_or_b64 exec, exec, s[6:7]
	s_and_saveexec_b64 s[6:7], s[4:5]
	s_cbranch_execz .LBB2_34941
; %bb.62715:
	s_getpc_b64 s[14:15]
.Lpost_getpc34941:
	s_add_u32 s14, s14, (.LBB2_12539-.Lpost_getpc34941)&4294967295
	s_addc_u32 s15, s15, (.LBB2_12539-.Lpost_getpc34941)>>32
	s_setpc_b64 s[14:15]
.LBB2_34941:
	s_getpc_b64 s[14:15]
.Lpost_getpc21054:
	s_add_u32 s14, s14, (.LBB2_12540-.Lpost_getpc21054)&4294967295
	s_addc_u32 s15, s15, (.LBB2_12540-.Lpost_getpc21054)>>32
	s_setpc_b64 s[14:15]
.LBB2_26877:
	s_movk_i32 s4, 0x80
	v_cmp_eq_u16_sdwa s[12:13], v5, s4 src0_sel:BYTE_3 src1_sel:DWORD
	s_mov_b64 s[4:5], -1
                                        ; implicit-def: $sgpr10
	s_and_saveexec_b64 s[8:9], s[12:13]
; %bb.26878:
	s_mov_b32 s10, 0x7f800001
	s_xor_b64 s[4:5], exec, -1
; %bb.26879:
	s_or_b64 exec, exec, s[8:9]
	s_and_b64 s[4:5], s[4:5], exec
	s_or_saveexec_b64 s[6:7], s[6:7]
	v_mov_b32_e32 v3, s10
	s_xor_b64 exec, exec, s[6:7]
	s_cbranch_execnz .LBB2_26880
; %bb.62717:
	s_getpc_b64 s[14:15]
.Lpost_getpc34942:
	s_add_u32 s14, s14, (.LBB2_12542-.Lpost_getpc34942)&4294967295
	s_addc_u32 s15, s15, (.LBB2_12542-.Lpost_getpc34942)>>32
	s_setpc_b64 s[14:15]
.LBB2_26880:
	v_mov_b32_e32 v3, 0
	v_cmp_ne_u16_sdwa s[8:9], v5, v3 src0_sel:BYTE_3 src1_sel:DWORD
	s_andn2_b64 s[4:5], s[4:5], exec
	s_and_b64 s[8:9], s[8:9], exec
	s_or_b64 s[4:5], s[4:5], s[8:9]
	s_or_b64 exec, exec, s[6:7]
	s_and_saveexec_b64 s[6:7], s[4:5]
	s_cbranch_execz .LBB2_34943
; %bb.62719:
	s_getpc_b64 s[14:15]
.Lpost_getpc34943:
	s_add_u32 s14, s14, (.LBB2_12543-.Lpost_getpc34943)&4294967295
	s_addc_u32 s15, s15, (.LBB2_12543-.Lpost_getpc34943)>>32
	s_setpc_b64 s[14:15]
.LBB2_34943:
	s_getpc_b64 s[14:15]
.Lpost_getpc21055:
	s_add_u32 s14, s14, (.LBB2_12544-.Lpost_getpc21055)&4294967295
	s_addc_u32 s15, s15, (.LBB2_12544-.Lpost_getpc21055)>>32
	s_setpc_b64 s[14:15]
.LBB2_26881:
	s_movk_i32 s4, 0x80
	v_cmp_eq_u16_sdwa s[12:13], v6, s4 src0_sel:BYTE_0 src1_sel:DWORD
	s_mov_b64 s[4:5], -1
                                        ; implicit-def: $sgpr10
	s_and_saveexec_b64 s[8:9], s[12:13]
; %bb.26882:
	s_mov_b32 s10, 0x7f800001
	s_xor_b64 s[4:5], exec, -1
; %bb.26883:
	s_or_b64 exec, exec, s[8:9]
	s_and_b64 s[4:5], s[4:5], exec
	s_or_saveexec_b64 s[6:7], s[6:7]
	v_mov_b32_e32 v12, s10
	s_xor_b64 exec, exec, s[6:7]
	s_cbranch_execnz .LBB2_26884
; %bb.62721:
	s_getpc_b64 s[14:15]
.Lpost_getpc34944:
	s_add_u32 s14, s14, (.LBB2_12546-.Lpost_getpc34944)&4294967295
	s_addc_u32 s15, s15, (.LBB2_12546-.Lpost_getpc34944)>>32
	s_setpc_b64 s[14:15]
.LBB2_26884:
	v_mov_b32_e32 v12, 0
	v_cmp_ne_u16_sdwa s[8:9], v6, v12 src0_sel:BYTE_0 src1_sel:DWORD
	s_andn2_b64 s[4:5], s[4:5], exec
	s_and_b64 s[8:9], s[8:9], exec
	s_or_b64 s[4:5], s[4:5], s[8:9]
	s_or_b64 exec, exec, s[6:7]
	s_and_saveexec_b64 s[6:7], s[4:5]
	s_cbranch_execz .LBB2_34945
; %bb.62723:
	s_getpc_b64 s[14:15]
.Lpost_getpc34945:
	s_add_u32 s14, s14, (.LBB2_12547-.Lpost_getpc34945)&4294967295
	s_addc_u32 s15, s15, (.LBB2_12547-.Lpost_getpc34945)>>32
	s_setpc_b64 s[14:15]
.LBB2_34945:
	s_getpc_b64 s[14:15]
.Lpost_getpc21056:
	s_add_u32 s14, s14, (.LBB2_12548-.Lpost_getpc21056)&4294967295
	s_addc_u32 s15, s15, (.LBB2_12548-.Lpost_getpc21056)>>32
	s_setpc_b64 s[14:15]
.LBB2_26885:
	s_movk_i32 s4, 0x80
	v_cmp_eq_u16_sdwa s[12:13], v2, s4 src0_sel:BYTE_0 src1_sel:DWORD
	s_mov_b64 s[4:5], -1
                                        ; implicit-def: $sgpr10
	s_and_saveexec_b64 s[8:9], s[12:13]
; %bb.26886:
	s_mov_b32 s10, 0x7f800001
	s_xor_b64 s[4:5], exec, -1
; %bb.26887:
	s_or_b64 exec, exec, s[8:9]
	s_and_b64 s[4:5], s[4:5], exec
	s_or_saveexec_b64 s[6:7], s[6:7]
	v_mov_b32_e32 v13, s10
	s_xor_b64 exec, exec, s[6:7]
	s_cbranch_execnz .LBB2_26888
; %bb.62725:
	s_getpc_b64 s[14:15]
.Lpost_getpc34946:
	s_add_u32 s14, s14, (.LBB2_12550-.Lpost_getpc34946)&4294967295
	s_addc_u32 s15, s15, (.LBB2_12550-.Lpost_getpc34946)>>32
	s_setpc_b64 s[14:15]
.LBB2_26888:
	v_mov_b32_e32 v13, 0
	v_cmp_ne_u16_sdwa s[8:9], v2, v13 src0_sel:BYTE_0 src1_sel:DWORD
	s_andn2_b64 s[4:5], s[4:5], exec
	s_and_b64 s[8:9], s[8:9], exec
	s_or_b64 s[4:5], s[4:5], s[8:9]
	s_or_b64 exec, exec, s[6:7]
	s_and_saveexec_b64 s[6:7], s[4:5]
	s_cbranch_execz .LBB2_34947
; %bb.62727:
	s_getpc_b64 s[14:15]
.Lpost_getpc34947:
	s_add_u32 s14, s14, (.LBB2_12551-.Lpost_getpc34947)&4294967295
	s_addc_u32 s15, s15, (.LBB2_12551-.Lpost_getpc34947)>>32
	s_setpc_b64 s[14:15]
.LBB2_34947:
	s_getpc_b64 s[14:15]
.Lpost_getpc21057:
	s_add_u32 s14, s14, (.LBB2_12552-.Lpost_getpc21057)&4294967295
	s_addc_u32 s15, s15, (.LBB2_12552-.Lpost_getpc21057)>>32
	s_setpc_b64 s[14:15]
.LBB2_26889:
	s_movk_i32 s4, 0x80
	v_cmp_eq_u16_sdwa s[12:13], v13, s4 src0_sel:BYTE_0 src1_sel:DWORD
	s_mov_b64 s[4:5], -1
                                        ; implicit-def: $sgpr10
	s_and_saveexec_b64 s[8:9], s[12:13]
; %bb.26890:
	s_mov_b32 s10, 0x7f800001
	s_xor_b64 s[4:5], exec, -1
; %bb.26891:
	s_or_b64 exec, exec, s[8:9]
	s_and_b64 s[4:5], s[4:5], exec
	s_or_saveexec_b64 s[6:7], s[6:7]
	v_mov_b32_e32 v12, s10
	s_xor_b64 exec, exec, s[6:7]
	s_cbranch_execnz .LBB2_26892
; %bb.62729:
	s_getpc_b64 s[14:15]
.Lpost_getpc34948:
	s_add_u32 s14, s14, (.LBB2_12554-.Lpost_getpc34948)&4294967295
	s_addc_u32 s15, s15, (.LBB2_12554-.Lpost_getpc34948)>>32
	s_setpc_b64 s[14:15]
.LBB2_26892:
	v_mov_b32_e32 v12, 0
	v_cmp_ne_u16_sdwa s[8:9], v13, v12 src0_sel:BYTE_0 src1_sel:DWORD
	s_andn2_b64 s[4:5], s[4:5], exec
	s_and_b64 s[8:9], s[8:9], exec
	s_or_b64 s[4:5], s[4:5], s[8:9]
	s_or_b64 exec, exec, s[6:7]
	s_and_saveexec_b64 s[6:7], s[4:5]
	s_cbranch_execz .LBB2_34949
; %bb.62731:
	s_getpc_b64 s[14:15]
.Lpost_getpc34949:
	s_add_u32 s14, s14, (.LBB2_12555-.Lpost_getpc34949)&4294967295
	s_addc_u32 s15, s15, (.LBB2_12555-.Lpost_getpc34949)>>32
	s_setpc_b64 s[14:15]
.LBB2_34949:
	s_getpc_b64 s[14:15]
.Lpost_getpc21058:
	s_add_u32 s14, s14, (.LBB2_12556-.Lpost_getpc21058)&4294967295
	s_addc_u32 s15, s15, (.LBB2_12556-.Lpost_getpc21058)>>32
	s_setpc_b64 s[14:15]
.LBB2_26893:
	s_movk_i32 s4, 0x80
	v_cmp_eq_u16_sdwa s[12:13], v13, s4 src0_sel:BYTE_0 src1_sel:DWORD
	s_mov_b64 s[4:5], -1
                                        ; implicit-def: $sgpr10
	s_and_saveexec_b64 s[8:9], s[12:13]
; %bb.26894:
	s_mov_b32 s10, 0x7f800001
	s_xor_b64 s[4:5], exec, -1
; %bb.26895:
	s_or_b64 exec, exec, s[8:9]
	s_and_b64 s[4:5], s[4:5], exec
	s_or_saveexec_b64 s[6:7], s[6:7]
	v_mov_b32_e32 v14, s10
	s_xor_b64 exec, exec, s[6:7]
	s_cbranch_execnz .LBB2_26896
; %bb.62733:
	s_getpc_b64 s[14:15]
.Lpost_getpc34950:
	s_add_u32 s14, s14, (.LBB2_12558-.Lpost_getpc34950)&4294967295
	s_addc_u32 s15, s15, (.LBB2_12558-.Lpost_getpc34950)>>32
	s_setpc_b64 s[14:15]
.LBB2_26896:
	v_mov_b32_e32 v14, 0
	v_cmp_ne_u16_sdwa s[8:9], v13, v14 src0_sel:BYTE_0 src1_sel:DWORD
	s_andn2_b64 s[4:5], s[4:5], exec
	s_and_b64 s[8:9], s[8:9], exec
	s_or_b64 s[4:5], s[4:5], s[8:9]
	s_or_b64 exec, exec, s[6:7]
	s_and_saveexec_b64 s[6:7], s[4:5]
	s_cbranch_execz .LBB2_34951
; %bb.62735:
	s_getpc_b64 s[14:15]
.Lpost_getpc34951:
	s_add_u32 s14, s14, (.LBB2_12559-.Lpost_getpc34951)&4294967295
	s_addc_u32 s15, s15, (.LBB2_12559-.Lpost_getpc34951)>>32
	s_setpc_b64 s[14:15]
.LBB2_34951:
	s_getpc_b64 s[14:15]
.Lpost_getpc21059:
	s_add_u32 s14, s14, (.LBB2_12560-.Lpost_getpc21059)&4294967295
	s_addc_u32 s15, s15, (.LBB2_12560-.Lpost_getpc21059)>>32
	s_setpc_b64 s[14:15]
.LBB2_26897:
	s_movk_i32 s4, 0x80
	v_cmp_eq_u16_e32 vcc, s4, v13
	s_mov_b64 s[4:5], -1
                                        ; implicit-def: $sgpr10
	s_and_saveexec_b64 s[8:9], vcc
; %bb.26898:
	s_mov_b32 s10, 0x7f800001
	s_xor_b64 s[4:5], exec, -1
; %bb.26899:
	s_or_b64 exec, exec, s[8:9]
	s_and_b64 s[4:5], s[4:5], exec
                                        ; implicit-def: $vgpr13
	s_or_saveexec_b64 s[6:7], s[6:7]
	v_mov_b32_e32 v12, s10
	s_xor_b64 exec, exec, s[6:7]
	s_cbranch_execnz .LBB2_26900
; %bb.62737:
	s_getpc_b64 s[14:15]
.Lpost_getpc34952:
	s_add_u32 s14, s14, (.LBB2_12562-.Lpost_getpc34952)&4294967295
	s_addc_u32 s15, s15, (.LBB2_12562-.Lpost_getpc34952)>>32
	s_setpc_b64 s[14:15]
.LBB2_26900:
	v_cmp_ne_u16_e32 vcc, 0, v13
	s_andn2_b64 s[4:5], s[4:5], exec
	s_and_b64 s[8:9], vcc, exec
	v_mov_b32_e32 v12, 0
	s_or_b64 s[4:5], s[4:5], s[8:9]
	s_or_b64 exec, exec, s[6:7]
	s_and_saveexec_b64 s[6:7], s[4:5]
	s_cbranch_execz .LBB2_34953
; %bb.62739:
	s_getpc_b64 s[14:15]
.Lpost_getpc34953:
	s_add_u32 s14, s14, (.LBB2_12563-.Lpost_getpc34953)&4294967295
	s_addc_u32 s15, s15, (.LBB2_12563-.Lpost_getpc34953)>>32
	s_setpc_b64 s[14:15]
.LBB2_34953:
	s_getpc_b64 s[14:15]
.Lpost_getpc21060:
	s_add_u32 s14, s14, (.LBB2_12564-.Lpost_getpc21060)&4294967295
	s_addc_u32 s15, s15, (.LBB2_12564-.Lpost_getpc21060)>>32
	s_setpc_b64 s[14:15]
.LBB2_26901:
	s_movk_i32 s4, 0x80
	v_cmp_eq_u16_e32 vcc, s4, v13
	s_mov_b64 s[4:5], -1
                                        ; implicit-def: $sgpr10
	s_and_saveexec_b64 s[8:9], vcc
; %bb.26902:
	s_mov_b32 s10, 0x7f800001
	s_xor_b64 s[4:5], exec, -1
; %bb.26903:
	s_or_b64 exec, exec, s[8:9]
	s_and_b64 s[4:5], s[4:5], exec
                                        ; implicit-def: $vgpr13
	s_or_saveexec_b64 s[6:7], s[6:7]
	v_mov_b32_e32 v14, s10
	s_xor_b64 exec, exec, s[6:7]
	s_cbranch_execnz .LBB2_26904
; %bb.62741:
	s_getpc_b64 s[14:15]
.Lpost_getpc34954:
	s_add_u32 s14, s14, (.LBB2_12566-.Lpost_getpc34954)&4294967295
	s_addc_u32 s15, s15, (.LBB2_12566-.Lpost_getpc34954)>>32
	s_setpc_b64 s[14:15]
.LBB2_26904:
	v_cmp_ne_u16_e32 vcc, 0, v13
	s_andn2_b64 s[4:5], s[4:5], exec
	s_and_b64 s[8:9], vcc, exec
	v_mov_b32_e32 v14, 0
	s_or_b64 s[4:5], s[4:5], s[8:9]
	s_or_b64 exec, exec, s[6:7]
	s_and_saveexec_b64 s[6:7], s[4:5]
	s_cbranch_execz .LBB2_34955
; %bb.62743:
	s_getpc_b64 s[14:15]
.Lpost_getpc34955:
	s_add_u32 s14, s14, (.LBB2_12567-.Lpost_getpc34955)&4294967295
	s_addc_u32 s15, s15, (.LBB2_12567-.Lpost_getpc34955)>>32
	s_setpc_b64 s[14:15]
.LBB2_34955:
	s_getpc_b64 s[14:15]
.Lpost_getpc21061:
	s_add_u32 s14, s14, (.LBB2_12568-.Lpost_getpc21061)&4294967295
	s_addc_u32 s15, s15, (.LBB2_12568-.Lpost_getpc21061)>>32
	s_setpc_b64 s[14:15]
.LBB2_26905:
	s_movk_i32 s4, 0x80
	v_cmp_eq_u16_sdwa s[12:13], v6, s4 src0_sel:BYTE_3 src1_sel:DWORD
	s_mov_b64 s[4:5], -1
                                        ; implicit-def: $sgpr10
	s_and_saveexec_b64 s[8:9], s[12:13]
; %bb.26906:
	s_mov_b32 s10, 0x7f800001
	s_xor_b64 s[4:5], exec, -1
; %bb.26907:
	s_or_b64 exec, exec, s[8:9]
	s_and_b64 s[4:5], s[4:5], exec
	s_or_saveexec_b64 s[6:7], s[6:7]
	v_mov_b32_e32 v12, s10
	s_xor_b64 exec, exec, s[6:7]
	s_cbranch_execnz .LBB2_26908
; %bb.62745:
	s_getpc_b64 s[14:15]
.Lpost_getpc34956:
	s_add_u32 s14, s14, (.LBB2_12570-.Lpost_getpc34956)&4294967295
	s_addc_u32 s15, s15, (.LBB2_12570-.Lpost_getpc34956)>>32
	s_setpc_b64 s[14:15]
.LBB2_26908:
	v_mov_b32_e32 v12, 0
	v_cmp_ne_u16_sdwa s[8:9], v6, v12 src0_sel:BYTE_3 src1_sel:DWORD
	s_andn2_b64 s[4:5], s[4:5], exec
	s_and_b64 s[8:9], s[8:9], exec
	s_or_b64 s[4:5], s[4:5], s[8:9]
	s_or_b64 exec, exec, s[6:7]
	s_and_saveexec_b64 s[6:7], s[4:5]
	s_cbranch_execz .LBB2_34957
; %bb.62747:
	s_getpc_b64 s[14:15]
.Lpost_getpc34957:
	s_add_u32 s14, s14, (.LBB2_12571-.Lpost_getpc34957)&4294967295
	s_addc_u32 s15, s15, (.LBB2_12571-.Lpost_getpc34957)>>32
	s_setpc_b64 s[14:15]
.LBB2_34957:
	s_getpc_b64 s[14:15]
.Lpost_getpc21062:
	s_add_u32 s14, s14, (.LBB2_12572-.Lpost_getpc21062)&4294967295
	s_addc_u32 s15, s15, (.LBB2_12572-.Lpost_getpc21062)>>32
	s_setpc_b64 s[14:15]
.LBB2_26909:
	s_movk_i32 s4, 0x80
	v_cmp_eq_u16_sdwa s[12:13], v2, s4 src0_sel:BYTE_3 src1_sel:DWORD
	s_mov_b64 s[4:5], -1
                                        ; implicit-def: $sgpr10
	s_and_saveexec_b64 s[8:9], s[12:13]
; %bb.26910:
	s_mov_b32 s10, 0x7f800001
	s_xor_b64 s[4:5], exec, -1
; %bb.26911:
	s_or_b64 exec, exec, s[8:9]
	s_and_b64 s[4:5], s[4:5], exec
	s_or_saveexec_b64 s[6:7], s[6:7]
	v_mov_b32_e32 v6, s10
	s_xor_b64 exec, exec, s[6:7]
	s_cbranch_execnz .LBB2_26912
; %bb.62749:
	s_getpc_b64 s[14:15]
.Lpost_getpc34958:
	s_add_u32 s14, s14, (.LBB2_12574-.Lpost_getpc34958)&4294967295
	s_addc_u32 s15, s15, (.LBB2_12574-.Lpost_getpc34958)>>32
	s_setpc_b64 s[14:15]
.LBB2_26912:
	v_mov_b32_e32 v6, 0
	v_cmp_ne_u16_sdwa s[8:9], v2, v6 src0_sel:BYTE_3 src1_sel:DWORD
	s_andn2_b64 s[4:5], s[4:5], exec
	s_and_b64 s[8:9], s[8:9], exec
	s_or_b64 s[4:5], s[4:5], s[8:9]
	s_or_b64 exec, exec, s[6:7]
	s_and_saveexec_b64 s[6:7], s[4:5]
	s_cbranch_execz .LBB2_34959
; %bb.62751:
	s_getpc_b64 s[14:15]
.Lpost_getpc34959:
	s_add_u32 s14, s14, (.LBB2_12575-.Lpost_getpc34959)&4294967295
	s_addc_u32 s15, s15, (.LBB2_12575-.Lpost_getpc34959)>>32
	s_setpc_b64 s[14:15]
.LBB2_34959:
	s_getpc_b64 s[14:15]
.Lpost_getpc21063:
	s_add_u32 s14, s14, (.LBB2_12576-.Lpost_getpc21063)&4294967295
	s_addc_u32 s15, s15, (.LBB2_12576-.Lpost_getpc21063)>>32
	s_setpc_b64 s[14:15]
.LBB2_26913:
	s_movk_i32 s4, 0x80
	v_cmp_eq_u16_sdwa s[12:13], v7, s4 src0_sel:BYTE_0 src1_sel:DWORD
	s_mov_b64 s[4:5], -1
                                        ; implicit-def: $sgpr10
	s_and_saveexec_b64 s[8:9], s[12:13]
; %bb.26914:
	s_mov_b32 s10, 0x7f800001
	s_xor_b64 s[4:5], exec, -1
; %bb.26915:
	s_or_b64 exec, exec, s[8:9]
	s_and_b64 s[4:5], s[4:5], exec
	s_or_saveexec_b64 s[6:7], s[6:7]
	v_mov_b32_e32 v2, s10
	s_xor_b64 exec, exec, s[6:7]
	s_cbranch_execnz .LBB2_26916
; %bb.62753:
	s_getpc_b64 s[14:15]
.Lpost_getpc34960:
	s_add_u32 s14, s14, (.LBB2_12578-.Lpost_getpc34960)&4294967295
	s_addc_u32 s15, s15, (.LBB2_12578-.Lpost_getpc34960)>>32
	s_setpc_b64 s[14:15]
.LBB2_26916:
	v_mov_b32_e32 v2, 0
	v_cmp_ne_u16_sdwa s[8:9], v7, v2 src0_sel:BYTE_0 src1_sel:DWORD
	s_andn2_b64 s[4:5], s[4:5], exec
	s_and_b64 s[8:9], s[8:9], exec
	s_or_b64 s[4:5], s[4:5], s[8:9]
	s_or_b64 exec, exec, s[6:7]
	s_and_saveexec_b64 s[6:7], s[4:5]
	s_cbranch_execz .LBB2_34961
; %bb.62755:
	s_getpc_b64 s[14:15]
.Lpost_getpc34961:
	s_add_u32 s14, s14, (.LBB2_12579-.Lpost_getpc34961)&4294967295
	s_addc_u32 s15, s15, (.LBB2_12579-.Lpost_getpc34961)>>32
	s_setpc_b64 s[14:15]
.LBB2_34961:
	s_getpc_b64 s[14:15]
.Lpost_getpc21064:
	s_add_u32 s14, s14, (.LBB2_12580-.Lpost_getpc21064)&4294967295
	s_addc_u32 s15, s15, (.LBB2_12580-.Lpost_getpc21064)>>32
	s_setpc_b64 s[14:15]
.LBB2_26917:
	s_movk_i32 s4, 0x80
	v_cmp_eq_u16_sdwa s[12:13], v3, s4 src0_sel:BYTE_0 src1_sel:DWORD
	s_mov_b64 s[4:5], -1
                                        ; implicit-def: $sgpr10
	s_and_saveexec_b64 s[8:9], s[12:13]
; %bb.26918:
	s_mov_b32 s10, 0x7f800001
	s_xor_b64 s[4:5], exec, -1
; %bb.26919:
	s_or_b64 exec, exec, s[8:9]
	s_and_b64 s[4:5], s[4:5], exec
	s_or_saveexec_b64 s[6:7], s[6:7]
	v_mov_b32_e32 v6, s10
	s_xor_b64 exec, exec, s[6:7]
	s_cbranch_execnz .LBB2_26920
; %bb.62757:
	s_getpc_b64 s[14:15]
.Lpost_getpc34962:
	s_add_u32 s14, s14, (.LBB2_12582-.Lpost_getpc34962)&4294967295
	s_addc_u32 s15, s15, (.LBB2_12582-.Lpost_getpc34962)>>32
	s_setpc_b64 s[14:15]
.LBB2_26920:
	v_mov_b32_e32 v6, 0
	v_cmp_ne_u16_sdwa s[8:9], v3, v6 src0_sel:BYTE_0 src1_sel:DWORD
	s_andn2_b64 s[4:5], s[4:5], exec
	s_and_b64 s[8:9], s[8:9], exec
	s_or_b64 s[4:5], s[4:5], s[8:9]
	s_or_b64 exec, exec, s[6:7]
	s_and_saveexec_b64 s[6:7], s[4:5]
	s_cbranch_execz .LBB2_34963
; %bb.62759:
	s_getpc_b64 s[14:15]
.Lpost_getpc34963:
	s_add_u32 s14, s14, (.LBB2_12583-.Lpost_getpc34963)&4294967295
	s_addc_u32 s15, s15, (.LBB2_12583-.Lpost_getpc34963)>>32
	s_setpc_b64 s[14:15]
.LBB2_34963:
	s_getpc_b64 s[14:15]
.Lpost_getpc21065:
	s_add_u32 s14, s14, (.LBB2_12584-.Lpost_getpc21065)&4294967295
	s_addc_u32 s15, s15, (.LBB2_12584-.Lpost_getpc21065)>>32
	s_setpc_b64 s[14:15]
.LBB2_26921:
	s_movk_i32 s4, 0x80
	v_cmp_eq_u16_sdwa s[12:13], v6, s4 src0_sel:BYTE_0 src1_sel:DWORD
	s_mov_b64 s[4:5], -1
                                        ; implicit-def: $sgpr10
	s_and_saveexec_b64 s[8:9], s[12:13]
; %bb.26922:
	s_mov_b32 s10, 0x7f800001
	s_xor_b64 s[4:5], exec, -1
; %bb.26923:
	s_or_b64 exec, exec, s[8:9]
	s_and_b64 s[4:5], s[4:5], exec
	s_or_saveexec_b64 s[6:7], s[6:7]
	v_mov_b32_e32 v2, s10
	s_xor_b64 exec, exec, s[6:7]
	s_cbranch_execnz .LBB2_26924
; %bb.62761:
	s_getpc_b64 s[14:15]
.Lpost_getpc34964:
	s_add_u32 s14, s14, (.LBB2_12586-.Lpost_getpc34964)&4294967295
	s_addc_u32 s15, s15, (.LBB2_12586-.Lpost_getpc34964)>>32
	s_setpc_b64 s[14:15]
.LBB2_26924:
	v_mov_b32_e32 v2, 0
	v_cmp_ne_u16_sdwa s[8:9], v6, v2 src0_sel:BYTE_0 src1_sel:DWORD
	s_andn2_b64 s[4:5], s[4:5], exec
	s_and_b64 s[8:9], s[8:9], exec
	s_or_b64 s[4:5], s[4:5], s[8:9]
	s_or_b64 exec, exec, s[6:7]
	s_and_saveexec_b64 s[6:7], s[4:5]
	s_cbranch_execz .LBB2_34965
; %bb.62763:
	s_getpc_b64 s[14:15]
.Lpost_getpc34965:
	s_add_u32 s14, s14, (.LBB2_12587-.Lpost_getpc34965)&4294967295
	s_addc_u32 s15, s15, (.LBB2_12587-.Lpost_getpc34965)>>32
	s_setpc_b64 s[14:15]
.LBB2_34965:
	s_getpc_b64 s[14:15]
.Lpost_getpc21066:
	s_add_u32 s14, s14, (.LBB2_12588-.Lpost_getpc21066)&4294967295
	s_addc_u32 s15, s15, (.LBB2_12588-.Lpost_getpc21066)>>32
	s_setpc_b64 s[14:15]
.LBB2_26925:
	s_movk_i32 s4, 0x80
	v_cmp_eq_u16_sdwa s[12:13], v6, s4 src0_sel:BYTE_0 src1_sel:DWORD
	s_mov_b64 s[4:5], -1
                                        ; implicit-def: $sgpr10
	s_and_saveexec_b64 s[8:9], s[12:13]
; %bb.26926:
	s_mov_b32 s10, 0x7f800001
	s_xor_b64 s[4:5], exec, -1
; %bb.26927:
	s_or_b64 exec, exec, s[8:9]
	s_and_b64 s[4:5], s[4:5], exec
	s_or_saveexec_b64 s[6:7], s[6:7]
	v_mov_b32_e32 v12, s10
	s_xor_b64 exec, exec, s[6:7]
	s_cbranch_execnz .LBB2_26928
; %bb.62765:
	s_getpc_b64 s[14:15]
.Lpost_getpc34966:
	s_add_u32 s14, s14, (.LBB2_12590-.Lpost_getpc34966)&4294967295
	s_addc_u32 s15, s15, (.LBB2_12590-.Lpost_getpc34966)>>32
	s_setpc_b64 s[14:15]
.LBB2_26928:
	v_mov_b32_e32 v12, 0
	v_cmp_ne_u16_sdwa s[8:9], v6, v12 src0_sel:BYTE_0 src1_sel:DWORD
	s_andn2_b64 s[4:5], s[4:5], exec
	s_and_b64 s[8:9], s[8:9], exec
	s_or_b64 s[4:5], s[4:5], s[8:9]
	s_or_b64 exec, exec, s[6:7]
	s_and_saveexec_b64 s[6:7], s[4:5]
	s_cbranch_execz .LBB2_34967
; %bb.62767:
	s_getpc_b64 s[14:15]
.Lpost_getpc34967:
	s_add_u32 s14, s14, (.LBB2_12591-.Lpost_getpc34967)&4294967295
	s_addc_u32 s15, s15, (.LBB2_12591-.Lpost_getpc34967)>>32
	s_setpc_b64 s[14:15]
.LBB2_34967:
	s_getpc_b64 s[14:15]
.Lpost_getpc21067:
	s_add_u32 s14, s14, (.LBB2_12592-.Lpost_getpc21067)&4294967295
	s_addc_u32 s15, s15, (.LBB2_12592-.Lpost_getpc21067)>>32
	s_setpc_b64 s[14:15]
.LBB2_26929:
	s_movk_i32 s4, 0x80
	v_cmp_eq_u16_e32 vcc, s4, v6
	s_mov_b64 s[4:5], -1
                                        ; implicit-def: $sgpr10
	s_and_saveexec_b64 s[8:9], vcc
; %bb.26930:
	s_mov_b32 s10, 0x7f800001
	s_xor_b64 s[4:5], exec, -1
; %bb.26931:
	s_or_b64 exec, exec, s[8:9]
	s_and_b64 s[4:5], s[4:5], exec
                                        ; implicit-def: $vgpr6
	s_or_saveexec_b64 s[6:7], s[6:7]
	v_mov_b32_e32 v2, s10
	s_xor_b64 exec, exec, s[6:7]
	s_cbranch_execnz .LBB2_26932
; %bb.62769:
	s_getpc_b64 s[14:15]
.Lpost_getpc34968:
	s_add_u32 s14, s14, (.LBB2_12594-.Lpost_getpc34968)&4294967295
	s_addc_u32 s15, s15, (.LBB2_12594-.Lpost_getpc34968)>>32
	s_setpc_b64 s[14:15]
.LBB2_26932:
	v_cmp_ne_u16_e32 vcc, 0, v6
	s_andn2_b64 s[4:5], s[4:5], exec
	s_and_b64 s[8:9], vcc, exec
	v_mov_b32_e32 v2, 0
	s_or_b64 s[4:5], s[4:5], s[8:9]
	s_or_b64 exec, exec, s[6:7]
	s_and_saveexec_b64 s[6:7], s[4:5]
	s_cbranch_execz .LBB2_34969
; %bb.62771:
	s_getpc_b64 s[14:15]
.Lpost_getpc34969:
	s_add_u32 s14, s14, (.LBB2_12595-.Lpost_getpc34969)&4294967295
	s_addc_u32 s15, s15, (.LBB2_12595-.Lpost_getpc34969)>>32
	s_setpc_b64 s[14:15]
.LBB2_34969:
	s_getpc_b64 s[14:15]
.Lpost_getpc21068:
	s_add_u32 s14, s14, (.LBB2_12596-.Lpost_getpc21068)&4294967295
	s_addc_u32 s15, s15, (.LBB2_12596-.Lpost_getpc21068)>>32
	s_setpc_b64 s[14:15]
.LBB2_26933:
	s_movk_i32 s4, 0x80
	v_cmp_eq_u16_e32 vcc, s4, v6
	s_mov_b64 s[4:5], -1
                                        ; implicit-def: $sgpr10
	s_and_saveexec_b64 s[8:9], vcc
; %bb.26934:
	s_mov_b32 s10, 0x7f800001
	s_xor_b64 s[4:5], exec, -1
; %bb.26935:
	s_or_b64 exec, exec, s[8:9]
	s_and_b64 s[4:5], s[4:5], exec
                                        ; implicit-def: $vgpr6
	s_or_saveexec_b64 s[6:7], s[6:7]
	v_mov_b32_e32 v12, s10
	s_xor_b64 exec, exec, s[6:7]
	s_cbranch_execnz .LBB2_26936
; %bb.62773:
	s_getpc_b64 s[14:15]
.Lpost_getpc34970:
	s_add_u32 s14, s14, (.LBB2_12598-.Lpost_getpc34970)&4294967295
	s_addc_u32 s15, s15, (.LBB2_12598-.Lpost_getpc34970)>>32
	s_setpc_b64 s[14:15]
.LBB2_26936:
	v_cmp_ne_u16_e32 vcc, 0, v6
	s_andn2_b64 s[4:5], s[4:5], exec
	s_and_b64 s[8:9], vcc, exec
	v_mov_b32_e32 v12, 0
	s_or_b64 s[4:5], s[4:5], s[8:9]
	s_or_b64 exec, exec, s[6:7]
	s_and_saveexec_b64 s[6:7], s[4:5]
	s_cbranch_execz .LBB2_34971
; %bb.62775:
	s_getpc_b64 s[14:15]
.Lpost_getpc34971:
	s_add_u32 s14, s14, (.LBB2_12599-.Lpost_getpc34971)&4294967295
	s_addc_u32 s15, s15, (.LBB2_12599-.Lpost_getpc34971)>>32
	s_setpc_b64 s[14:15]
.LBB2_34971:
	s_getpc_b64 s[14:15]
.Lpost_getpc21069:
	s_add_u32 s14, s14, (.LBB2_12600-.Lpost_getpc21069)&4294967295
	s_addc_u32 s15, s15, (.LBB2_12600-.Lpost_getpc21069)>>32
	s_setpc_b64 s[14:15]
.LBB2_26937:
	s_movk_i32 s4, 0x80
	v_cmp_eq_u16_sdwa s[12:13], v7, s4 src0_sel:BYTE_3 src1_sel:DWORD
	s_mov_b64 s[4:5], -1
                                        ; implicit-def: $sgpr10
	s_and_saveexec_b64 s[8:9], s[12:13]
; %bb.26938:
	s_mov_b32 s10, 0x7f800001
	s_xor_b64 s[4:5], exec, -1
; %bb.26939:
	s_or_b64 exec, exec, s[8:9]
	s_and_b64 s[4:5], s[4:5], exec
	s_or_saveexec_b64 s[6:7], s[6:7]
	v_mov_b32_e32 v2, s10
	s_xor_b64 exec, exec, s[6:7]
	s_cbranch_execnz .LBB2_26940
; %bb.62777:
	s_getpc_b64 s[14:15]
.Lpost_getpc34972:
	s_add_u32 s14, s14, (.LBB2_12602-.Lpost_getpc34972)&4294967295
	s_addc_u32 s15, s15, (.LBB2_12602-.Lpost_getpc34972)>>32
	s_setpc_b64 s[14:15]
.LBB2_26940:
	v_mov_b32_e32 v2, 0
	v_cmp_ne_u16_sdwa s[8:9], v7, v2 src0_sel:BYTE_3 src1_sel:DWORD
	s_andn2_b64 s[4:5], s[4:5], exec
	s_and_b64 s[8:9], s[8:9], exec
	s_or_b64 s[4:5], s[4:5], s[8:9]
	s_or_b64 exec, exec, s[6:7]
	s_and_saveexec_b64 s[6:7], s[4:5]
	s_cbranch_execz .LBB2_34973
; %bb.62779:
	s_getpc_b64 s[14:15]
.Lpost_getpc34973:
	s_add_u32 s14, s14, (.LBB2_12603-.Lpost_getpc34973)&4294967295
	s_addc_u32 s15, s15, (.LBB2_12603-.Lpost_getpc34973)>>32
	s_setpc_b64 s[14:15]
.LBB2_34973:
	s_getpc_b64 s[14:15]
.Lpost_getpc21070:
	s_add_u32 s14, s14, (.LBB2_12604-.Lpost_getpc21070)&4294967295
	s_addc_u32 s15, s15, (.LBB2_12604-.Lpost_getpc21070)>>32
	s_setpc_b64 s[14:15]
.LBB2_26941:
	s_movk_i32 s4, 0x80
	v_cmp_eq_u16_sdwa s[12:13], v3, s4 src0_sel:BYTE_3 src1_sel:DWORD
	s_mov_b64 s[4:5], -1
                                        ; implicit-def: $sgpr10
	s_and_saveexec_b64 s[8:9], s[12:13]
; %bb.26942:
	s_mov_b32 s10, 0x7f800001
	s_xor_b64 s[4:5], exec, -1
; %bb.26943:
	s_or_b64 exec, exec, s[8:9]
	s_and_b64 s[4:5], s[4:5], exec
	s_or_saveexec_b64 s[6:7], s[6:7]
	v_mov_b32_e32 v6, s10
	s_xor_b64 exec, exec, s[6:7]
	s_cbranch_execnz .LBB2_26944
; %bb.62781:
	s_getpc_b64 s[14:15]
.Lpost_getpc34974:
	s_add_u32 s14, s14, (.LBB2_12606-.Lpost_getpc34974)&4294967295
	s_addc_u32 s15, s15, (.LBB2_12606-.Lpost_getpc34974)>>32
	s_setpc_b64 s[14:15]
.LBB2_26944:
	v_mov_b32_e32 v6, 0
	v_cmp_ne_u16_sdwa s[8:9], v3, v6 src0_sel:BYTE_3 src1_sel:DWORD
	s_andn2_b64 s[4:5], s[4:5], exec
	s_and_b64 s[8:9], s[8:9], exec
	s_or_b64 s[4:5], s[4:5], s[8:9]
	s_or_b64 exec, exec, s[6:7]
	s_and_saveexec_b64 s[6:7], s[4:5]
	s_cbranch_execz .LBB2_34975
; %bb.62783:
	s_getpc_b64 s[14:15]
.Lpost_getpc34975:
	s_add_u32 s14, s14, (.LBB2_12607-.Lpost_getpc34975)&4294967295
	s_addc_u32 s15, s15, (.LBB2_12607-.Lpost_getpc34975)>>32
	s_setpc_b64 s[14:15]
.LBB2_34975:
	s_getpc_b64 s[14:15]
.Lpost_getpc21071:
	s_add_u32 s14, s14, (.LBB2_12608-.Lpost_getpc21071)&4294967295
	s_addc_u32 s15, s15, (.LBB2_12608-.Lpost_getpc21071)>>32
	s_setpc_b64 s[14:15]
.LBB2_26945:
	s_movk_i32 s4, 0x80
	v_cmp_eq_u16_sdwa s[12:13], v8, s4 src0_sel:BYTE_0 src1_sel:DWORD
	s_mov_b64 s[4:5], -1
                                        ; implicit-def: $sgpr10
	s_and_saveexec_b64 s[8:9], s[12:13]
; %bb.26946:
	s_mov_b32 s10, 0x7f800001
	s_xor_b64 s[4:5], exec, -1
; %bb.26947:
	s_or_b64 exec, exec, s[8:9]
	s_and_b64 s[4:5], s[4:5], exec
	s_or_saveexec_b64 s[6:7], s[6:7]
	v_mov_b32_e32 v2, s10
	s_xor_b64 exec, exec, s[6:7]
	s_cbranch_execnz .LBB2_26948
; %bb.62785:
	s_getpc_b64 s[14:15]
.Lpost_getpc34976:
	s_add_u32 s14, s14, (.LBB2_12610-.Lpost_getpc34976)&4294967295
	s_addc_u32 s15, s15, (.LBB2_12610-.Lpost_getpc34976)>>32
	s_setpc_b64 s[14:15]
.LBB2_26948:
	v_mov_b32_e32 v2, 0
	v_cmp_ne_u16_sdwa s[8:9], v8, v2 src0_sel:BYTE_0 src1_sel:DWORD
	s_andn2_b64 s[4:5], s[4:5], exec
	s_and_b64 s[8:9], s[8:9], exec
	s_or_b64 s[4:5], s[4:5], s[8:9]
	s_or_b64 exec, exec, s[6:7]
	s_and_saveexec_b64 s[6:7], s[4:5]
	s_cbranch_execz .LBB2_34977
; %bb.62787:
	s_getpc_b64 s[14:15]
.Lpost_getpc34977:
	s_add_u32 s14, s14, (.LBB2_12611-.Lpost_getpc34977)&4294967295
	s_addc_u32 s15, s15, (.LBB2_12611-.Lpost_getpc34977)>>32
	s_setpc_b64 s[14:15]
.LBB2_34977:
	s_getpc_b64 s[14:15]
.Lpost_getpc21072:
	s_add_u32 s14, s14, (.LBB2_12612-.Lpost_getpc21072)&4294967295
	s_addc_u32 s15, s15, (.LBB2_12612-.Lpost_getpc21072)>>32
	s_setpc_b64 s[14:15]
.LBB2_26949:
	s_movk_i32 s4, 0x80
	v_cmp_eq_u16_sdwa s[12:13], v4, s4 src0_sel:BYTE_0 src1_sel:DWORD
	s_mov_b64 s[4:5], -1
                                        ; implicit-def: $sgpr10
	s_and_saveexec_b64 s[8:9], s[12:13]
; %bb.26950:
	s_mov_b32 s10, 0x7f800001
	s_xor_b64 s[4:5], exec, -1
; %bb.26951:
	s_or_b64 exec, exec, s[8:9]
	s_and_b64 s[4:5], s[4:5], exec
	s_or_saveexec_b64 s[6:7], s[6:7]
	v_mov_b32_e32 v3, s10
	s_xor_b64 exec, exec, s[6:7]
	s_cbranch_execnz .LBB2_26952
; %bb.62789:
	s_getpc_b64 s[14:15]
.Lpost_getpc34978:
	s_add_u32 s14, s14, (.LBB2_12614-.Lpost_getpc34978)&4294967295
	s_addc_u32 s15, s15, (.LBB2_12614-.Lpost_getpc34978)>>32
	s_setpc_b64 s[14:15]
.LBB2_26952:
	v_mov_b32_e32 v3, 0
	v_cmp_ne_u16_sdwa s[8:9], v4, v3 src0_sel:BYTE_0 src1_sel:DWORD
	s_andn2_b64 s[4:5], s[4:5], exec
	s_and_b64 s[8:9], s[8:9], exec
	s_or_b64 s[4:5], s[4:5], s[8:9]
	s_or_b64 exec, exec, s[6:7]
	s_and_saveexec_b64 s[6:7], s[4:5]
	s_cbranch_execz .LBB2_34979
; %bb.62791:
	s_getpc_b64 s[14:15]
.Lpost_getpc34979:
	s_add_u32 s14, s14, (.LBB2_12615-.Lpost_getpc34979)&4294967295
	s_addc_u32 s15, s15, (.LBB2_12615-.Lpost_getpc34979)>>32
	s_setpc_b64 s[14:15]
.LBB2_34979:
	s_getpc_b64 s[14:15]
.Lpost_getpc21073:
	s_add_u32 s14, s14, (.LBB2_12616-.Lpost_getpc21073)&4294967295
	s_addc_u32 s15, s15, (.LBB2_12616-.Lpost_getpc21073)>>32
	s_setpc_b64 s[14:15]
.LBB2_26953:
	s_movk_i32 s4, 0x80
	v_cmp_eq_u16_sdwa s[12:13], v3, s4 src0_sel:BYTE_0 src1_sel:DWORD
	s_mov_b64 s[4:5], -1
                                        ; implicit-def: $sgpr10
	s_and_saveexec_b64 s[8:9], s[12:13]
; %bb.26954:
	s_mov_b32 s10, 0x7f800001
	s_xor_b64 s[4:5], exec, -1
; %bb.26955:
	s_or_b64 exec, exec, s[8:9]
	s_and_b64 s[4:5], s[4:5], exec
	s_or_saveexec_b64 s[6:7], s[6:7]
	v_mov_b32_e32 v2, s10
	s_xor_b64 exec, exec, s[6:7]
	s_cbranch_execnz .LBB2_26956
; %bb.62793:
	s_getpc_b64 s[14:15]
.Lpost_getpc34980:
	s_add_u32 s14, s14, (.LBB2_12618-.Lpost_getpc34980)&4294967295
	s_addc_u32 s15, s15, (.LBB2_12618-.Lpost_getpc34980)>>32
	s_setpc_b64 s[14:15]
.LBB2_26956:
	v_mov_b32_e32 v2, 0
	v_cmp_ne_u16_sdwa s[8:9], v3, v2 src0_sel:BYTE_0 src1_sel:DWORD
	s_andn2_b64 s[4:5], s[4:5], exec
	s_and_b64 s[8:9], s[8:9], exec
	s_or_b64 s[4:5], s[4:5], s[8:9]
	s_or_b64 exec, exec, s[6:7]
	s_and_saveexec_b64 s[6:7], s[4:5]
	s_cbranch_execz .LBB2_34981
; %bb.62795:
	s_getpc_b64 s[14:15]
.Lpost_getpc34981:
	s_add_u32 s14, s14, (.LBB2_12619-.Lpost_getpc34981)&4294967295
	s_addc_u32 s15, s15, (.LBB2_12619-.Lpost_getpc34981)>>32
	s_setpc_b64 s[14:15]
.LBB2_34981:
	s_getpc_b64 s[14:15]
.Lpost_getpc21074:
	s_add_u32 s14, s14, (.LBB2_12620-.Lpost_getpc21074)&4294967295
	s_addc_u32 s15, s15, (.LBB2_12620-.Lpost_getpc21074)>>32
	s_setpc_b64 s[14:15]
.LBB2_26957:
	s_movk_i32 s4, 0x80
	v_cmp_eq_u16_sdwa s[12:13], v3, s4 src0_sel:BYTE_0 src1_sel:DWORD
	s_mov_b64 s[4:5], -1
                                        ; implicit-def: $sgpr10
	s_and_saveexec_b64 s[8:9], s[12:13]
; %bb.26958:
	s_mov_b32 s10, 0x7f800001
	s_xor_b64 s[4:5], exec, -1
; %bb.26959:
	s_or_b64 exec, exec, s[8:9]
	s_and_b64 s[4:5], s[4:5], exec
	s_or_saveexec_b64 s[6:7], s[6:7]
	v_mov_b32_e32 v6, s10
	s_xor_b64 exec, exec, s[6:7]
	s_cbranch_execnz .LBB2_26960
; %bb.62797:
	s_getpc_b64 s[14:15]
.Lpost_getpc34982:
	s_add_u32 s14, s14, (.LBB2_12622-.Lpost_getpc34982)&4294967295
	s_addc_u32 s15, s15, (.LBB2_12622-.Lpost_getpc34982)>>32
	s_setpc_b64 s[14:15]
.LBB2_26960:
	v_mov_b32_e32 v6, 0
	v_cmp_ne_u16_sdwa s[8:9], v3, v6 src0_sel:BYTE_0 src1_sel:DWORD
	s_andn2_b64 s[4:5], s[4:5], exec
	s_and_b64 s[8:9], s[8:9], exec
	s_or_b64 s[4:5], s[4:5], s[8:9]
	s_or_b64 exec, exec, s[6:7]
	s_and_saveexec_b64 s[6:7], s[4:5]
	s_cbranch_execz .LBB2_34983
; %bb.62799:
	s_getpc_b64 s[14:15]
.Lpost_getpc34983:
	s_add_u32 s14, s14, (.LBB2_12623-.Lpost_getpc34983)&4294967295
	s_addc_u32 s15, s15, (.LBB2_12623-.Lpost_getpc34983)>>32
	s_setpc_b64 s[14:15]
.LBB2_34983:
	s_getpc_b64 s[14:15]
.Lpost_getpc21075:
	s_add_u32 s14, s14, (.LBB2_12624-.Lpost_getpc21075)&4294967295
	s_addc_u32 s15, s15, (.LBB2_12624-.Lpost_getpc21075)>>32
	s_setpc_b64 s[14:15]
.LBB2_26961:
	s_movk_i32 s4, 0x80
	v_cmp_eq_u16_e32 vcc, s4, v3
	s_mov_b64 s[4:5], -1
                                        ; implicit-def: $sgpr10
	s_and_saveexec_b64 s[8:9], vcc
; %bb.26962:
	s_mov_b32 s10, 0x7f800001
	s_xor_b64 s[4:5], exec, -1
; %bb.26963:
	s_or_b64 exec, exec, s[8:9]
	s_and_b64 s[4:5], s[4:5], exec
                                        ; implicit-def: $vgpr3
	s_or_saveexec_b64 s[6:7], s[6:7]
	v_mov_b32_e32 v2, s10
	s_xor_b64 exec, exec, s[6:7]
	s_cbranch_execnz .LBB2_26964
; %bb.62801:
	s_getpc_b64 s[14:15]
.Lpost_getpc34984:
	s_add_u32 s14, s14, (.LBB2_12626-.Lpost_getpc34984)&4294967295
	s_addc_u32 s15, s15, (.LBB2_12626-.Lpost_getpc34984)>>32
	s_setpc_b64 s[14:15]
.LBB2_26964:
	v_cmp_ne_u16_e32 vcc, 0, v3
	s_andn2_b64 s[4:5], s[4:5], exec
	s_and_b64 s[8:9], vcc, exec
	v_mov_b32_e32 v2, 0
	s_or_b64 s[4:5], s[4:5], s[8:9]
	s_or_b64 exec, exec, s[6:7]
	s_and_saveexec_b64 s[6:7], s[4:5]
	s_cbranch_execz .LBB2_34985
; %bb.62803:
	s_getpc_b64 s[14:15]
.Lpost_getpc34985:
	s_add_u32 s14, s14, (.LBB2_12627-.Lpost_getpc34985)&4294967295
	s_addc_u32 s15, s15, (.LBB2_12627-.Lpost_getpc34985)>>32
	s_setpc_b64 s[14:15]
.LBB2_34985:
	s_getpc_b64 s[14:15]
.Lpost_getpc21076:
	s_add_u32 s14, s14, (.LBB2_12628-.Lpost_getpc21076)&4294967295
	s_addc_u32 s15, s15, (.LBB2_12628-.Lpost_getpc21076)>>32
	s_setpc_b64 s[14:15]
.LBB2_26965:
	s_movk_i32 s4, 0x80
	v_cmp_eq_u16_e32 vcc, s4, v3
	s_mov_b64 s[4:5], -1
                                        ; implicit-def: $sgpr10
	s_and_saveexec_b64 s[8:9], vcc
; %bb.26966:
	s_mov_b32 s10, 0x7f800001
	s_xor_b64 s[4:5], exec, -1
; %bb.26967:
	s_or_b64 exec, exec, s[8:9]
	s_and_b64 s[4:5], s[4:5], exec
                                        ; implicit-def: $vgpr3
	s_or_saveexec_b64 s[6:7], s[6:7]
	v_mov_b32_e32 v6, s10
	s_xor_b64 exec, exec, s[6:7]
	s_cbranch_execnz .LBB2_26968
; %bb.62805:
	s_getpc_b64 s[14:15]
.Lpost_getpc34986:
	s_add_u32 s14, s14, (.LBB2_12630-.Lpost_getpc34986)&4294967295
	s_addc_u32 s15, s15, (.LBB2_12630-.Lpost_getpc34986)>>32
	s_setpc_b64 s[14:15]
.LBB2_26968:
	v_cmp_ne_u16_e32 vcc, 0, v3
	s_andn2_b64 s[4:5], s[4:5], exec
	s_and_b64 s[8:9], vcc, exec
	v_mov_b32_e32 v6, 0
	s_or_b64 s[4:5], s[4:5], s[8:9]
	s_or_b64 exec, exec, s[6:7]
	s_and_saveexec_b64 s[6:7], s[4:5]
	s_cbranch_execz .LBB2_34987
; %bb.62807:
	s_getpc_b64 s[14:15]
.Lpost_getpc34987:
	s_add_u32 s14, s14, (.LBB2_12631-.Lpost_getpc34987)&4294967295
	s_addc_u32 s15, s15, (.LBB2_12631-.Lpost_getpc34987)>>32
	s_setpc_b64 s[14:15]
.LBB2_34987:
	s_getpc_b64 s[14:15]
.Lpost_getpc21077:
	s_add_u32 s14, s14, (.LBB2_12632-.Lpost_getpc21077)&4294967295
	s_addc_u32 s15, s15, (.LBB2_12632-.Lpost_getpc21077)>>32
	s_setpc_b64 s[14:15]
.LBB2_26969:
	s_movk_i32 s4, 0x80
	v_cmp_eq_u16_sdwa s[12:13], v8, s4 src0_sel:BYTE_3 src1_sel:DWORD
	s_mov_b64 s[4:5], -1
                                        ; implicit-def: $sgpr10
	s_and_saveexec_b64 s[8:9], s[12:13]
; %bb.26970:
	s_mov_b32 s10, 0x7f800001
	s_xor_b64 s[4:5], exec, -1
; %bb.26971:
	s_or_b64 exec, exec, s[8:9]
	s_and_b64 s[4:5], s[4:5], exec
	s_or_saveexec_b64 s[6:7], s[6:7]
	v_mov_b32_e32 v2, s10
	s_xor_b64 exec, exec, s[6:7]
	s_cbranch_execnz .LBB2_26972
; %bb.62809:
	s_getpc_b64 s[14:15]
.Lpost_getpc34988:
	s_add_u32 s14, s14, (.LBB2_12634-.Lpost_getpc34988)&4294967295
	s_addc_u32 s15, s15, (.LBB2_12634-.Lpost_getpc34988)>>32
	s_setpc_b64 s[14:15]
.LBB2_26972:
	v_mov_b32_e32 v2, 0
	v_cmp_ne_u16_sdwa s[8:9], v8, v2 src0_sel:BYTE_3 src1_sel:DWORD
	s_andn2_b64 s[4:5], s[4:5], exec
	s_and_b64 s[8:9], s[8:9], exec
	s_or_b64 s[4:5], s[4:5], s[8:9]
	s_or_b64 exec, exec, s[6:7]
	s_and_saveexec_b64 s[6:7], s[4:5]
	s_cbranch_execz .LBB2_34989
; %bb.62811:
	s_getpc_b64 s[14:15]
.Lpost_getpc34989:
	s_add_u32 s14, s14, (.LBB2_12635-.Lpost_getpc34989)&4294967295
	s_addc_u32 s15, s15, (.LBB2_12635-.Lpost_getpc34989)>>32
	s_setpc_b64 s[14:15]
.LBB2_34989:
	s_getpc_b64 s[14:15]
.Lpost_getpc21078:
	s_add_u32 s14, s14, (.LBB2_12636-.Lpost_getpc21078)&4294967295
	s_addc_u32 s15, s15, (.LBB2_12636-.Lpost_getpc21078)>>32
	s_setpc_b64 s[14:15]
.LBB2_26973:
	s_movk_i32 s4, 0x80
	v_cmp_eq_u16_sdwa s[12:13], v4, s4 src0_sel:BYTE_3 src1_sel:DWORD
	s_mov_b64 s[4:5], -1
                                        ; implicit-def: $sgpr10
	s_and_saveexec_b64 s[8:9], s[12:13]
; %bb.26974:
	s_mov_b32 s10, 0x7f800001
	s_xor_b64 s[4:5], exec, -1
; %bb.26975:
	s_or_b64 exec, exec, s[8:9]
	s_and_b64 s[4:5], s[4:5], exec
	s_or_saveexec_b64 s[6:7], s[6:7]
	v_mov_b32_e32 v3, s10
	s_xor_b64 exec, exec, s[6:7]
	s_cbranch_execnz .LBB2_26976
; %bb.62813:
	s_getpc_b64 s[14:15]
.Lpost_getpc34990:
	s_add_u32 s14, s14, (.LBB2_12638-.Lpost_getpc34990)&4294967295
	s_addc_u32 s15, s15, (.LBB2_12638-.Lpost_getpc34990)>>32
	s_setpc_b64 s[14:15]
.LBB2_26976:
	v_mov_b32_e32 v3, 0
	v_cmp_ne_u16_sdwa s[8:9], v4, v3 src0_sel:BYTE_3 src1_sel:DWORD
	s_andn2_b64 s[4:5], s[4:5], exec
	s_and_b64 s[8:9], s[8:9], exec
	s_or_b64 s[4:5], s[4:5], s[8:9]
	s_or_b64 exec, exec, s[6:7]
	s_and_saveexec_b64 s[6:7], s[4:5]
	s_cbranch_execz .LBB2_34991
; %bb.62815:
	s_getpc_b64 s[14:15]
.Lpost_getpc34991:
	s_add_u32 s14, s14, (.LBB2_12639-.Lpost_getpc34991)&4294967295
	s_addc_u32 s15, s15, (.LBB2_12639-.Lpost_getpc34991)>>32
	s_setpc_b64 s[14:15]
.LBB2_34991:
	s_getpc_b64 s[14:15]
.Lpost_getpc21079:
	s_add_u32 s14, s14, (.LBB2_12640-.Lpost_getpc21079)&4294967295
	s_addc_u32 s15, s15, (.LBB2_12640-.Lpost_getpc21079)>>32
	s_setpc_b64 s[14:15]
.LBB2_26977:
	s_movk_i32 s4, 0x80
	v_cmp_eq_u16_sdwa s[12:13], v9, s4 src0_sel:BYTE_0 src1_sel:DWORD
	s_mov_b64 s[4:5], -1
                                        ; implicit-def: $sgpr10
	s_and_saveexec_b64 s[8:9], s[12:13]
; %bb.26978:
	s_mov_b32 s10, 0x7f800001
	s_xor_b64 s[4:5], exec, -1
; %bb.26979:
	s_or_b64 exec, exec, s[8:9]
	s_and_b64 s[4:5], s[4:5], exec
	s_or_saveexec_b64 s[6:7], s[6:7]
	v_mov_b32_e32 v2, s10
	s_xor_b64 exec, exec, s[6:7]
	s_cbranch_execnz .LBB2_26980
; %bb.62817:
	s_getpc_b64 s[14:15]
.Lpost_getpc34992:
	s_add_u32 s14, s14, (.LBB2_12642-.Lpost_getpc34992)&4294967295
	s_addc_u32 s15, s15, (.LBB2_12642-.Lpost_getpc34992)>>32
	s_setpc_b64 s[14:15]
.LBB2_26980:
	v_mov_b32_e32 v2, 0
	v_cmp_ne_u16_sdwa s[8:9], v9, v2 src0_sel:BYTE_0 src1_sel:DWORD
	s_andn2_b64 s[4:5], s[4:5], exec
	s_and_b64 s[8:9], s[8:9], exec
	s_or_b64 s[4:5], s[4:5], s[8:9]
	s_or_b64 exec, exec, s[6:7]
	s_and_saveexec_b64 s[6:7], s[4:5]
	s_cbranch_execz .LBB2_34993
; %bb.62819:
	s_getpc_b64 s[14:15]
.Lpost_getpc34993:
	s_add_u32 s14, s14, (.LBB2_12643-.Lpost_getpc34993)&4294967295
	s_addc_u32 s15, s15, (.LBB2_12643-.Lpost_getpc34993)>>32
	s_setpc_b64 s[14:15]
.LBB2_34993:
	s_getpc_b64 s[14:15]
.Lpost_getpc21080:
	s_add_u32 s14, s14, (.LBB2_12644-.Lpost_getpc21080)&4294967295
	s_addc_u32 s15, s15, (.LBB2_12644-.Lpost_getpc21080)>>32
	s_setpc_b64 s[14:15]
.LBB2_26981:
	s_movk_i32 s4, 0x80
	v_cmp_eq_u16_sdwa s[12:13], v5, s4 src0_sel:BYTE_0 src1_sel:DWORD
	s_mov_b64 s[4:5], -1
                                        ; implicit-def: $sgpr10
	s_and_saveexec_b64 s[8:9], s[12:13]
; %bb.26982:
	s_mov_b32 s10, 0x7f800001
	s_xor_b64 s[4:5], exec, -1
; %bb.26983:
	s_or_b64 exec, exec, s[8:9]
	s_and_b64 s[4:5], s[4:5], exec
	s_or_saveexec_b64 s[6:7], s[6:7]
	v_mov_b32_e32 v3, s10
	s_xor_b64 exec, exec, s[6:7]
	s_cbranch_execnz .LBB2_26984
; %bb.62821:
	s_getpc_b64 s[14:15]
.Lpost_getpc34994:
	s_add_u32 s14, s14, (.LBB2_12646-.Lpost_getpc34994)&4294967295
	s_addc_u32 s15, s15, (.LBB2_12646-.Lpost_getpc34994)>>32
	s_setpc_b64 s[14:15]
.LBB2_26984:
	v_mov_b32_e32 v3, 0
	v_cmp_ne_u16_sdwa s[8:9], v5, v3 src0_sel:BYTE_0 src1_sel:DWORD
	s_andn2_b64 s[4:5], s[4:5], exec
	s_and_b64 s[8:9], s[8:9], exec
	s_or_b64 s[4:5], s[4:5], s[8:9]
	s_or_b64 exec, exec, s[6:7]
	s_and_saveexec_b64 s[6:7], s[4:5]
	s_cbranch_execz .LBB2_34995
; %bb.62823:
	s_getpc_b64 s[14:15]
.Lpost_getpc34995:
	s_add_u32 s14, s14, (.LBB2_12647-.Lpost_getpc34995)&4294967295
	s_addc_u32 s15, s15, (.LBB2_12647-.Lpost_getpc34995)>>32
	s_setpc_b64 s[14:15]
.LBB2_34995:
	s_getpc_b64 s[14:15]
.Lpost_getpc21081:
	s_add_u32 s14, s14, (.LBB2_12648-.Lpost_getpc21081)&4294967295
	s_addc_u32 s15, s15, (.LBB2_12648-.Lpost_getpc21081)>>32
	s_setpc_b64 s[14:15]
.LBB2_26985:
	s_movk_i32 s4, 0x80
	v_cmp_eq_u16_sdwa s[12:13], v3, s4 src0_sel:BYTE_0 src1_sel:DWORD
	s_mov_b64 s[4:5], -1
                                        ; implicit-def: $sgpr10
	s_and_saveexec_b64 s[8:9], s[12:13]
; %bb.26986:
	s_mov_b32 s10, 0x7f800001
	s_xor_b64 s[4:5], exec, -1
; %bb.26987:
	s_or_b64 exec, exec, s[8:9]
	s_and_b64 s[4:5], s[4:5], exec
	s_or_saveexec_b64 s[6:7], s[6:7]
	v_mov_b32_e32 v2, s10
	s_xor_b64 exec, exec, s[6:7]
	s_cbranch_execnz .LBB2_26988
; %bb.62825:
	s_getpc_b64 s[14:15]
.Lpost_getpc34996:
	s_add_u32 s14, s14, (.LBB2_12650-.Lpost_getpc34996)&4294967295
	s_addc_u32 s15, s15, (.LBB2_12650-.Lpost_getpc34996)>>32
	s_setpc_b64 s[14:15]
.LBB2_26988:
	v_mov_b32_e32 v2, 0
	v_cmp_ne_u16_sdwa s[8:9], v3, v2 src0_sel:BYTE_0 src1_sel:DWORD
	s_andn2_b64 s[4:5], s[4:5], exec
	s_and_b64 s[8:9], s[8:9], exec
	s_or_b64 s[4:5], s[4:5], s[8:9]
	s_or_b64 exec, exec, s[6:7]
	s_and_saveexec_b64 s[6:7], s[4:5]
	s_cbranch_execz .LBB2_34997
; %bb.62827:
	s_getpc_b64 s[14:15]
.Lpost_getpc34997:
	s_add_u32 s14, s14, (.LBB2_12651-.Lpost_getpc34997)&4294967295
	s_addc_u32 s15, s15, (.LBB2_12651-.Lpost_getpc34997)>>32
	s_setpc_b64 s[14:15]
.LBB2_34997:
	s_getpc_b64 s[14:15]
.Lpost_getpc21082:
	s_add_u32 s14, s14, (.LBB2_12652-.Lpost_getpc21082)&4294967295
	s_addc_u32 s15, s15, (.LBB2_12652-.Lpost_getpc21082)>>32
	s_setpc_b64 s[14:15]
.LBB2_26989:
	s_movk_i32 s4, 0x80
	v_cmp_eq_u16_sdwa s[12:13], v3, s4 src0_sel:BYTE_0 src1_sel:DWORD
	s_mov_b64 s[4:5], -1
                                        ; implicit-def: $sgpr10
	s_and_saveexec_b64 s[8:9], s[12:13]
; %bb.26990:
	s_mov_b32 s10, 0x7f800001
	s_xor_b64 s[4:5], exec, -1
; %bb.26991:
	s_or_b64 exec, exec, s[8:9]
	s_and_b64 s[4:5], s[4:5], exec
	s_or_saveexec_b64 s[6:7], s[6:7]
	v_mov_b32_e32 v4, s10
	s_xor_b64 exec, exec, s[6:7]
	s_cbranch_execnz .LBB2_26992
; %bb.62829:
	s_getpc_b64 s[14:15]
.Lpost_getpc34998:
	s_add_u32 s14, s14, (.LBB2_12654-.Lpost_getpc34998)&4294967295
	s_addc_u32 s15, s15, (.LBB2_12654-.Lpost_getpc34998)>>32
	s_setpc_b64 s[14:15]
.LBB2_26992:
	v_mov_b32_e32 v4, 0
	v_cmp_ne_u16_sdwa s[8:9], v3, v4 src0_sel:BYTE_0 src1_sel:DWORD
	s_andn2_b64 s[4:5], s[4:5], exec
	s_and_b64 s[8:9], s[8:9], exec
	s_or_b64 s[4:5], s[4:5], s[8:9]
	s_or_b64 exec, exec, s[6:7]
	s_and_saveexec_b64 s[6:7], s[4:5]
	s_cbranch_execz .LBB2_34999
; %bb.62831:
	s_getpc_b64 s[14:15]
.Lpost_getpc34999:
	s_add_u32 s14, s14, (.LBB2_12655-.Lpost_getpc34999)&4294967295
	s_addc_u32 s15, s15, (.LBB2_12655-.Lpost_getpc34999)>>32
	s_setpc_b64 s[14:15]
.LBB2_34999:
	s_getpc_b64 s[14:15]
.Lpost_getpc21083:
	s_add_u32 s14, s14, (.LBB2_12656-.Lpost_getpc21083)&4294967295
	s_addc_u32 s15, s15, (.LBB2_12656-.Lpost_getpc21083)>>32
	s_setpc_b64 s[14:15]
.LBB2_26993:
	s_movk_i32 s4, 0x80
	v_cmp_eq_u16_e32 vcc, s4, v3
	s_mov_b64 s[4:5], -1
                                        ; implicit-def: $sgpr10
	s_and_saveexec_b64 s[8:9], vcc
; %bb.26994:
	s_mov_b32 s10, 0x7f800001
	s_xor_b64 s[4:5], exec, -1
; %bb.26995:
	s_or_b64 exec, exec, s[8:9]
	s_and_b64 s[4:5], s[4:5], exec
                                        ; implicit-def: $vgpr3
	s_or_saveexec_b64 s[6:7], s[6:7]
	v_mov_b32_e32 v2, s10
	s_xor_b64 exec, exec, s[6:7]
	s_cbranch_execnz .LBB2_26996
; %bb.62833:
	s_getpc_b64 s[14:15]
.Lpost_getpc35000:
	s_add_u32 s14, s14, (.LBB2_12658-.Lpost_getpc35000)&4294967295
	s_addc_u32 s15, s15, (.LBB2_12658-.Lpost_getpc35000)>>32
	s_setpc_b64 s[14:15]
.LBB2_26996:
	v_cmp_ne_u16_e32 vcc, 0, v3
	s_andn2_b64 s[4:5], s[4:5], exec
	s_and_b64 s[8:9], vcc, exec
	v_mov_b32_e32 v2, 0
	s_or_b64 s[4:5], s[4:5], s[8:9]
	s_or_b64 exec, exec, s[6:7]
	s_and_saveexec_b64 s[6:7], s[4:5]
	s_cbranch_execz .LBB2_35001
; %bb.62835:
	s_getpc_b64 s[14:15]
.Lpost_getpc35001:
	s_add_u32 s14, s14, (.LBB2_12659-.Lpost_getpc35001)&4294967295
	s_addc_u32 s15, s15, (.LBB2_12659-.Lpost_getpc35001)>>32
	s_setpc_b64 s[14:15]
.LBB2_35001:
	s_getpc_b64 s[14:15]
.Lpost_getpc21084:
	s_add_u32 s14, s14, (.LBB2_12660-.Lpost_getpc21084)&4294967295
	s_addc_u32 s15, s15, (.LBB2_12660-.Lpost_getpc21084)>>32
	s_setpc_b64 s[14:15]
.LBB2_26997:
	s_movk_i32 s4, 0x80
	v_cmp_eq_u16_e32 vcc, s4, v3
	s_mov_b64 s[4:5], -1
                                        ; implicit-def: $sgpr10
	s_and_saveexec_b64 s[8:9], vcc
; %bb.26998:
	s_mov_b32 s10, 0x7f800001
	s_xor_b64 s[4:5], exec, -1
; %bb.26999:
	s_or_b64 exec, exec, s[8:9]
	s_and_b64 s[4:5], s[4:5], exec
                                        ; implicit-def: $vgpr3
	s_or_saveexec_b64 s[6:7], s[6:7]
	v_mov_b32_e32 v4, s10
	s_xor_b64 exec, exec, s[6:7]
	s_cbranch_execnz .LBB2_27000
; %bb.62837:
	s_getpc_b64 s[14:15]
.Lpost_getpc35002:
	s_add_u32 s14, s14, (.LBB2_12662-.Lpost_getpc35002)&4294967295
	s_addc_u32 s15, s15, (.LBB2_12662-.Lpost_getpc35002)>>32
	s_setpc_b64 s[14:15]
.LBB2_27000:
	v_cmp_ne_u16_e32 vcc, 0, v3
	s_andn2_b64 s[4:5], s[4:5], exec
	s_and_b64 s[8:9], vcc, exec
	v_mov_b32_e32 v4, 0
	s_or_b64 s[4:5], s[4:5], s[8:9]
	s_or_b64 exec, exec, s[6:7]
	s_and_saveexec_b64 s[6:7], s[4:5]
	s_cbranch_execz .LBB2_35003
; %bb.62839:
	s_getpc_b64 s[14:15]
.Lpost_getpc35003:
	s_add_u32 s14, s14, (.LBB2_12663-.Lpost_getpc35003)&4294967295
	s_addc_u32 s15, s15, (.LBB2_12663-.Lpost_getpc35003)>>32
	s_setpc_b64 s[14:15]
.LBB2_35003:
	s_getpc_b64 s[14:15]
.Lpost_getpc21085:
	s_add_u32 s14, s14, (.LBB2_12664-.Lpost_getpc21085)&4294967295
	s_addc_u32 s15, s15, (.LBB2_12664-.Lpost_getpc21085)>>32
	s_setpc_b64 s[14:15]
.LBB2_27001:
	s_movk_i32 s4, 0x80
	v_cmp_eq_u16_sdwa s[12:13], v9, s4 src0_sel:BYTE_3 src1_sel:DWORD
	s_mov_b64 s[4:5], -1
                                        ; implicit-def: $sgpr10
	s_and_saveexec_b64 s[8:9], s[12:13]
; %bb.27002:
	s_mov_b32 s10, 0x7f800001
	s_xor_b64 s[4:5], exec, -1
; %bb.27003:
	s_or_b64 exec, exec, s[8:9]
	s_and_b64 s[4:5], s[4:5], exec
	s_or_saveexec_b64 s[6:7], s[6:7]
	v_mov_b32_e32 v2, s10
	s_xor_b64 exec, exec, s[6:7]
	s_cbranch_execnz .LBB2_27004
; %bb.62841:
	s_getpc_b64 s[14:15]
.Lpost_getpc35004:
	s_add_u32 s14, s14, (.LBB2_12666-.Lpost_getpc35004)&4294967295
	s_addc_u32 s15, s15, (.LBB2_12666-.Lpost_getpc35004)>>32
	s_setpc_b64 s[14:15]
.LBB2_27004:
	v_mov_b32_e32 v2, 0
	v_cmp_ne_u16_sdwa s[8:9], v9, v2 src0_sel:BYTE_3 src1_sel:DWORD
	s_andn2_b64 s[4:5], s[4:5], exec
	s_and_b64 s[8:9], s[8:9], exec
	s_or_b64 s[4:5], s[4:5], s[8:9]
	s_or_b64 exec, exec, s[6:7]
	s_and_saveexec_b64 s[6:7], s[4:5]
	s_cbranch_execz .LBB2_35005
; %bb.62843:
	s_getpc_b64 s[14:15]
.Lpost_getpc35005:
	s_add_u32 s14, s14, (.LBB2_12667-.Lpost_getpc35005)&4294967295
	s_addc_u32 s15, s15, (.LBB2_12667-.Lpost_getpc35005)>>32
	s_setpc_b64 s[14:15]
.LBB2_35005:
	s_getpc_b64 s[14:15]
.Lpost_getpc21086:
	s_add_u32 s14, s14, (.LBB2_12668-.Lpost_getpc21086)&4294967295
	s_addc_u32 s15, s15, (.LBB2_12668-.Lpost_getpc21086)>>32
	s_setpc_b64 s[14:15]
.LBB2_27005:
	s_movk_i32 s4, 0x80
	v_cmp_eq_u16_sdwa s[12:13], v5, s4 src0_sel:BYTE_3 src1_sel:DWORD
	s_mov_b64 s[4:5], -1
                                        ; implicit-def: $sgpr10
	s_and_saveexec_b64 s[8:9], s[12:13]
; %bb.27006:
	s_mov_b32 s10, 0x7f800001
	s_xor_b64 s[4:5], exec, -1
; %bb.27007:
	s_or_b64 exec, exec, s[8:9]
	s_and_b64 s[4:5], s[4:5], exec
	s_or_saveexec_b64 s[6:7], s[6:7]
	v_mov_b32_e32 v3, s10
	s_xor_b64 exec, exec, s[6:7]
	s_cbranch_execnz .LBB2_27008
; %bb.62845:
	s_getpc_b64 s[14:15]
.Lpost_getpc35006:
	s_add_u32 s14, s14, (.LBB2_12670-.Lpost_getpc35006)&4294967295
	s_addc_u32 s15, s15, (.LBB2_12670-.Lpost_getpc35006)>>32
	s_setpc_b64 s[14:15]
.LBB2_27008:
	v_mov_b32_e32 v3, 0
	v_cmp_ne_u16_sdwa s[8:9], v5, v3 src0_sel:BYTE_3 src1_sel:DWORD
	s_andn2_b64 s[4:5], s[4:5], exec
	s_and_b64 s[8:9], s[8:9], exec
	s_or_b64 s[4:5], s[4:5], s[8:9]
	s_or_b64 exec, exec, s[6:7]
	s_and_saveexec_b64 s[6:7], s[4:5]
	s_cbranch_execz .LBB2_35007
; %bb.62847:
	s_getpc_b64 s[14:15]
.Lpost_getpc35007:
	s_add_u32 s14, s14, (.LBB2_12671-.Lpost_getpc35007)&4294967295
	s_addc_u32 s15, s15, (.LBB2_12671-.Lpost_getpc35007)>>32
	s_setpc_b64 s[14:15]
.LBB2_35007:
	s_getpc_b64 s[14:15]
.Lpost_getpc21087:
	s_add_u32 s14, s14, (.LBB2_12672-.Lpost_getpc21087)&4294967295
	s_addc_u32 s15, s15, (.LBB2_12672-.Lpost_getpc21087)>>32
	s_setpc_b64 s[14:15]
.LBB2_27009:
	s_movk_i32 s4, 0x80
	v_cmp_eq_u16_sdwa s[12:13], v6, s4 src0_sel:BYTE_0 src1_sel:DWORD
	s_mov_b64 s[4:5], -1
                                        ; implicit-def: $sgpr10
	s_and_saveexec_b64 s[8:9], s[12:13]
; %bb.27010:
	s_mov_b32 s10, 0x7f800001
	s_xor_b64 s[4:5], exec, -1
; %bb.27011:
	s_or_b64 exec, exec, s[8:9]
	s_and_b64 s[4:5], s[4:5], exec
	s_or_saveexec_b64 s[6:7], s[6:7]
	v_mov_b32_e32 v12, s10
	s_xor_b64 exec, exec, s[6:7]
	s_cbranch_execnz .LBB2_27012
; %bb.62849:
	s_getpc_b64 s[14:15]
.Lpost_getpc35008:
	s_add_u32 s14, s14, (.LBB2_12674-.Lpost_getpc35008)&4294967295
	s_addc_u32 s15, s15, (.LBB2_12674-.Lpost_getpc35008)>>32
	s_setpc_b64 s[14:15]
.LBB2_27012:
	v_mov_b32_e32 v12, 0
	v_cmp_ne_u16_sdwa s[8:9], v6, v12 src0_sel:BYTE_0 src1_sel:DWORD
	s_andn2_b64 s[4:5], s[4:5], exec
	s_and_b64 s[8:9], s[8:9], exec
	s_or_b64 s[4:5], s[4:5], s[8:9]
	s_or_b64 exec, exec, s[6:7]
	s_and_saveexec_b64 s[6:7], s[4:5]
	s_cbranch_execz .LBB2_35009
; %bb.62851:
	s_getpc_b64 s[14:15]
.Lpost_getpc35009:
	s_add_u32 s14, s14, (.LBB2_12675-.Lpost_getpc35009)&4294967295
	s_addc_u32 s15, s15, (.LBB2_12675-.Lpost_getpc35009)>>32
	s_setpc_b64 s[14:15]
.LBB2_35009:
	s_getpc_b64 s[14:15]
.Lpost_getpc21088:
	s_add_u32 s14, s14, (.LBB2_12676-.Lpost_getpc21088)&4294967295
	s_addc_u32 s15, s15, (.LBB2_12676-.Lpost_getpc21088)>>32
	s_setpc_b64 s[14:15]
.LBB2_27013:
	s_movk_i32 s4, 0x80
	v_cmp_eq_u16_sdwa s[12:13], v2, s4 src0_sel:BYTE_0 src1_sel:DWORD
	s_mov_b64 s[4:5], -1
                                        ; implicit-def: $sgpr10
	s_and_saveexec_b64 s[8:9], s[12:13]
; %bb.27014:
	s_mov_b32 s10, 0x7f800001
	s_xor_b64 s[4:5], exec, -1
; %bb.27015:
	s_or_b64 exec, exec, s[8:9]
	s_and_b64 s[4:5], s[4:5], exec
	s_or_saveexec_b64 s[6:7], s[6:7]
	v_mov_b32_e32 v13, s10
	s_xor_b64 exec, exec, s[6:7]
	s_cbranch_execnz .LBB2_27016
; %bb.62853:
	s_getpc_b64 s[14:15]
.Lpost_getpc35010:
	s_add_u32 s14, s14, (.LBB2_12678-.Lpost_getpc35010)&4294967295
	s_addc_u32 s15, s15, (.LBB2_12678-.Lpost_getpc35010)>>32
	s_setpc_b64 s[14:15]
.LBB2_27016:
	v_mov_b32_e32 v13, 0
	v_cmp_ne_u16_sdwa s[8:9], v2, v13 src0_sel:BYTE_0 src1_sel:DWORD
	s_andn2_b64 s[4:5], s[4:5], exec
	s_and_b64 s[8:9], s[8:9], exec
	s_or_b64 s[4:5], s[4:5], s[8:9]
	s_or_b64 exec, exec, s[6:7]
	s_and_saveexec_b64 s[6:7], s[4:5]
	s_cbranch_execz .LBB2_35011
; %bb.62855:
	s_getpc_b64 s[14:15]
.Lpost_getpc35011:
	s_add_u32 s14, s14, (.LBB2_12679-.Lpost_getpc35011)&4294967295
	s_addc_u32 s15, s15, (.LBB2_12679-.Lpost_getpc35011)>>32
	s_setpc_b64 s[14:15]
.LBB2_35011:
	s_getpc_b64 s[14:15]
.Lpost_getpc21089:
	s_add_u32 s14, s14, (.LBB2_12680-.Lpost_getpc21089)&4294967295
	s_addc_u32 s15, s15, (.LBB2_12680-.Lpost_getpc21089)>>32
	s_setpc_b64 s[14:15]
.LBB2_27017:
	s_movk_i32 s4, 0x80
	v_cmp_eq_u16_sdwa s[12:13], v13, s4 src0_sel:BYTE_0 src1_sel:DWORD
	s_mov_b64 s[4:5], -1
                                        ; implicit-def: $sgpr10
	s_and_saveexec_b64 s[8:9], s[12:13]
; %bb.27018:
	s_mov_b32 s10, 0x7f800001
	s_xor_b64 s[4:5], exec, -1
; %bb.27019:
	s_or_b64 exec, exec, s[8:9]
	s_and_b64 s[4:5], s[4:5], exec
	s_or_saveexec_b64 s[6:7], s[6:7]
	v_mov_b32_e32 v12, s10
	s_xor_b64 exec, exec, s[6:7]
	s_cbranch_execnz .LBB2_27020
; %bb.62857:
	s_getpc_b64 s[14:15]
.Lpost_getpc35012:
	s_add_u32 s14, s14, (.LBB2_12682-.Lpost_getpc35012)&4294967295
	s_addc_u32 s15, s15, (.LBB2_12682-.Lpost_getpc35012)>>32
	s_setpc_b64 s[14:15]
.LBB2_27020:
	v_mov_b32_e32 v12, 0
	v_cmp_ne_u16_sdwa s[8:9], v13, v12 src0_sel:BYTE_0 src1_sel:DWORD
	s_andn2_b64 s[4:5], s[4:5], exec
	s_and_b64 s[8:9], s[8:9], exec
	s_or_b64 s[4:5], s[4:5], s[8:9]
	s_or_b64 exec, exec, s[6:7]
	s_and_saveexec_b64 s[6:7], s[4:5]
	s_cbranch_execz .LBB2_35013
; %bb.62859:
	s_getpc_b64 s[14:15]
.Lpost_getpc35013:
	s_add_u32 s14, s14, (.LBB2_12683-.Lpost_getpc35013)&4294967295
	s_addc_u32 s15, s15, (.LBB2_12683-.Lpost_getpc35013)>>32
	s_setpc_b64 s[14:15]
.LBB2_35013:
	s_getpc_b64 s[14:15]
.Lpost_getpc21090:
	s_add_u32 s14, s14, (.LBB2_12684-.Lpost_getpc21090)&4294967295
	s_addc_u32 s15, s15, (.LBB2_12684-.Lpost_getpc21090)>>32
	s_setpc_b64 s[14:15]
.LBB2_27021:
	s_movk_i32 s4, 0x80
	v_cmp_eq_u16_sdwa s[12:13], v13, s4 src0_sel:BYTE_0 src1_sel:DWORD
	s_mov_b64 s[4:5], -1
                                        ; implicit-def: $sgpr10
	s_and_saveexec_b64 s[8:9], s[12:13]
; %bb.27022:
	s_mov_b32 s10, 0x7f800001
	s_xor_b64 s[4:5], exec, -1
; %bb.27023:
	s_or_b64 exec, exec, s[8:9]
	s_and_b64 s[4:5], s[4:5], exec
	s_or_saveexec_b64 s[6:7], s[6:7]
	v_mov_b32_e32 v14, s10
	s_xor_b64 exec, exec, s[6:7]
	s_cbranch_execnz .LBB2_27024
; %bb.62861:
	s_getpc_b64 s[14:15]
.Lpost_getpc35014:
	s_add_u32 s14, s14, (.LBB2_12686-.Lpost_getpc35014)&4294967295
	s_addc_u32 s15, s15, (.LBB2_12686-.Lpost_getpc35014)>>32
	s_setpc_b64 s[14:15]
.LBB2_27024:
	v_mov_b32_e32 v14, 0
	v_cmp_ne_u16_sdwa s[8:9], v13, v14 src0_sel:BYTE_0 src1_sel:DWORD
	s_andn2_b64 s[4:5], s[4:5], exec
	s_and_b64 s[8:9], s[8:9], exec
	s_or_b64 s[4:5], s[4:5], s[8:9]
	s_or_b64 exec, exec, s[6:7]
	s_and_saveexec_b64 s[6:7], s[4:5]
	s_cbranch_execz .LBB2_35015
; %bb.62863:
	s_getpc_b64 s[14:15]
.Lpost_getpc35015:
	s_add_u32 s14, s14, (.LBB2_12687-.Lpost_getpc35015)&4294967295
	s_addc_u32 s15, s15, (.LBB2_12687-.Lpost_getpc35015)>>32
	s_setpc_b64 s[14:15]
.LBB2_35015:
	s_getpc_b64 s[14:15]
.Lpost_getpc21091:
	s_add_u32 s14, s14, (.LBB2_12688-.Lpost_getpc21091)&4294967295
	s_addc_u32 s15, s15, (.LBB2_12688-.Lpost_getpc21091)>>32
	s_setpc_b64 s[14:15]
.LBB2_27025:
	s_movk_i32 s4, 0x80
	v_cmp_eq_u16_e32 vcc, s4, v13
	s_mov_b64 s[4:5], -1
                                        ; implicit-def: $sgpr10
	s_and_saveexec_b64 s[8:9], vcc
; %bb.27026:
	s_mov_b32 s10, 0x7f800001
	s_xor_b64 s[4:5], exec, -1
; %bb.27027:
	s_or_b64 exec, exec, s[8:9]
	s_and_b64 s[4:5], s[4:5], exec
                                        ; implicit-def: $vgpr13
	s_or_saveexec_b64 s[6:7], s[6:7]
	v_mov_b32_e32 v12, s10
	s_xor_b64 exec, exec, s[6:7]
	s_cbranch_execnz .LBB2_27028
; %bb.62865:
	s_getpc_b64 s[14:15]
.Lpost_getpc35016:
	s_add_u32 s14, s14, (.LBB2_12690-.Lpost_getpc35016)&4294967295
	s_addc_u32 s15, s15, (.LBB2_12690-.Lpost_getpc35016)>>32
	s_setpc_b64 s[14:15]
.LBB2_27028:
	v_cmp_ne_u16_e32 vcc, 0, v13
	s_andn2_b64 s[4:5], s[4:5], exec
	s_and_b64 s[8:9], vcc, exec
	v_mov_b32_e32 v12, 0
	s_or_b64 s[4:5], s[4:5], s[8:9]
	s_or_b64 exec, exec, s[6:7]
	s_and_saveexec_b64 s[6:7], s[4:5]
	s_cbranch_execz .LBB2_35017
; %bb.62867:
	s_getpc_b64 s[14:15]
.Lpost_getpc35017:
	s_add_u32 s14, s14, (.LBB2_12691-.Lpost_getpc35017)&4294967295
	s_addc_u32 s15, s15, (.LBB2_12691-.Lpost_getpc35017)>>32
	s_setpc_b64 s[14:15]
.LBB2_35017:
	s_getpc_b64 s[14:15]
.Lpost_getpc21092:
	s_add_u32 s14, s14, (.LBB2_12692-.Lpost_getpc21092)&4294967295
	s_addc_u32 s15, s15, (.LBB2_12692-.Lpost_getpc21092)>>32
	s_setpc_b64 s[14:15]
.LBB2_27029:
	s_movk_i32 s4, 0x80
	v_cmp_eq_u16_e32 vcc, s4, v13
	s_mov_b64 s[4:5], -1
                                        ; implicit-def: $sgpr10
	s_and_saveexec_b64 s[8:9], vcc
; %bb.27030:
	s_mov_b32 s10, 0x7f800001
	s_xor_b64 s[4:5], exec, -1
; %bb.27031:
	s_or_b64 exec, exec, s[8:9]
	s_and_b64 s[4:5], s[4:5], exec
                                        ; implicit-def: $vgpr13
	s_or_saveexec_b64 s[6:7], s[6:7]
	v_mov_b32_e32 v14, s10
	s_xor_b64 exec, exec, s[6:7]
	s_cbranch_execnz .LBB2_27032
; %bb.62869:
	s_getpc_b64 s[14:15]
.Lpost_getpc35018:
	s_add_u32 s14, s14, (.LBB2_12694-.Lpost_getpc35018)&4294967295
	s_addc_u32 s15, s15, (.LBB2_12694-.Lpost_getpc35018)>>32
	s_setpc_b64 s[14:15]
.LBB2_27032:
	v_cmp_ne_u16_e32 vcc, 0, v13
	s_andn2_b64 s[4:5], s[4:5], exec
	s_and_b64 s[8:9], vcc, exec
	v_mov_b32_e32 v14, 0
	s_or_b64 s[4:5], s[4:5], s[8:9]
	s_or_b64 exec, exec, s[6:7]
	s_and_saveexec_b64 s[6:7], s[4:5]
	s_cbranch_execz .LBB2_35019
; %bb.62871:
	s_getpc_b64 s[14:15]
.Lpost_getpc35019:
	s_add_u32 s14, s14, (.LBB2_12695-.Lpost_getpc35019)&4294967295
	s_addc_u32 s15, s15, (.LBB2_12695-.Lpost_getpc35019)>>32
	s_setpc_b64 s[14:15]
.LBB2_35019:
	s_getpc_b64 s[14:15]
.Lpost_getpc21093:
	s_add_u32 s14, s14, (.LBB2_12696-.Lpost_getpc21093)&4294967295
	s_addc_u32 s15, s15, (.LBB2_12696-.Lpost_getpc21093)>>32
	s_setpc_b64 s[14:15]
.LBB2_27033:
	s_movk_i32 s4, 0x80
	v_cmp_eq_u16_sdwa s[12:13], v6, s4 src0_sel:BYTE_3 src1_sel:DWORD
	s_mov_b64 s[4:5], -1
                                        ; implicit-def: $sgpr10
	s_and_saveexec_b64 s[8:9], s[12:13]
; %bb.27034:
	s_mov_b32 s10, 0x7f800001
	s_xor_b64 s[4:5], exec, -1
; %bb.27035:
	s_or_b64 exec, exec, s[8:9]
	s_and_b64 s[4:5], s[4:5], exec
	s_or_saveexec_b64 s[6:7], s[6:7]
	v_mov_b32_e32 v12, s10
	s_xor_b64 exec, exec, s[6:7]
	s_cbranch_execnz .LBB2_27036
; %bb.62873:
	s_getpc_b64 s[14:15]
.Lpost_getpc35020:
	s_add_u32 s14, s14, (.LBB2_12698-.Lpost_getpc35020)&4294967295
	s_addc_u32 s15, s15, (.LBB2_12698-.Lpost_getpc35020)>>32
	s_setpc_b64 s[14:15]
.LBB2_27036:
	v_mov_b32_e32 v12, 0
	v_cmp_ne_u16_sdwa s[8:9], v6, v12 src0_sel:BYTE_3 src1_sel:DWORD
	s_andn2_b64 s[4:5], s[4:5], exec
	s_and_b64 s[8:9], s[8:9], exec
	s_or_b64 s[4:5], s[4:5], s[8:9]
	s_or_b64 exec, exec, s[6:7]
	s_and_saveexec_b64 s[6:7], s[4:5]
	s_cbranch_execz .LBB2_35021
; %bb.62875:
	s_getpc_b64 s[14:15]
.Lpost_getpc35021:
	s_add_u32 s14, s14, (.LBB2_12699-.Lpost_getpc35021)&4294967295
	s_addc_u32 s15, s15, (.LBB2_12699-.Lpost_getpc35021)>>32
	s_setpc_b64 s[14:15]
.LBB2_35021:
	s_getpc_b64 s[14:15]
.Lpost_getpc21094:
	s_add_u32 s14, s14, (.LBB2_12700-.Lpost_getpc21094)&4294967295
	s_addc_u32 s15, s15, (.LBB2_12700-.Lpost_getpc21094)>>32
	s_setpc_b64 s[14:15]
.LBB2_27037:
	s_movk_i32 s4, 0x80
	v_cmp_eq_u16_sdwa s[12:13], v2, s4 src0_sel:BYTE_3 src1_sel:DWORD
	s_mov_b64 s[4:5], -1
                                        ; implicit-def: $sgpr10
	s_and_saveexec_b64 s[8:9], s[12:13]
; %bb.27038:
	s_mov_b32 s10, 0x7f800001
	s_xor_b64 s[4:5], exec, -1
; %bb.27039:
	s_or_b64 exec, exec, s[8:9]
	s_and_b64 s[4:5], s[4:5], exec
	s_or_saveexec_b64 s[6:7], s[6:7]
	v_mov_b32_e32 v6, s10
	s_xor_b64 exec, exec, s[6:7]
	s_cbranch_execnz .LBB2_27040
; %bb.62877:
	s_getpc_b64 s[14:15]
.Lpost_getpc35022:
	s_add_u32 s14, s14, (.LBB2_12702-.Lpost_getpc35022)&4294967295
	s_addc_u32 s15, s15, (.LBB2_12702-.Lpost_getpc35022)>>32
	s_setpc_b64 s[14:15]
.LBB2_27040:
	v_mov_b32_e32 v6, 0
	v_cmp_ne_u16_sdwa s[8:9], v2, v6 src0_sel:BYTE_3 src1_sel:DWORD
	s_andn2_b64 s[4:5], s[4:5], exec
	s_and_b64 s[8:9], s[8:9], exec
	s_or_b64 s[4:5], s[4:5], s[8:9]
	s_or_b64 exec, exec, s[6:7]
	s_and_saveexec_b64 s[6:7], s[4:5]
	s_cbranch_execz .LBB2_35023
; %bb.62879:
	s_getpc_b64 s[14:15]
.Lpost_getpc35023:
	s_add_u32 s14, s14, (.LBB2_12703-.Lpost_getpc35023)&4294967295
	s_addc_u32 s15, s15, (.LBB2_12703-.Lpost_getpc35023)>>32
	s_setpc_b64 s[14:15]
.LBB2_35023:
	s_getpc_b64 s[14:15]
.Lpost_getpc21095:
	s_add_u32 s14, s14, (.LBB2_12704-.Lpost_getpc21095)&4294967295
	s_addc_u32 s15, s15, (.LBB2_12704-.Lpost_getpc21095)>>32
	s_setpc_b64 s[14:15]
.LBB2_27041:
	s_movk_i32 s4, 0x80
	v_cmp_eq_u16_sdwa s[12:13], v7, s4 src0_sel:BYTE_0 src1_sel:DWORD
	s_mov_b64 s[4:5], -1
                                        ; implicit-def: $sgpr10
	s_and_saveexec_b64 s[8:9], s[12:13]
; %bb.27042:
	s_mov_b32 s10, 0x7f800001
	s_xor_b64 s[4:5], exec, -1
; %bb.27043:
	s_or_b64 exec, exec, s[8:9]
	s_and_b64 s[4:5], s[4:5], exec
	s_or_saveexec_b64 s[6:7], s[6:7]
	v_mov_b32_e32 v2, s10
	s_xor_b64 exec, exec, s[6:7]
	s_cbranch_execnz .LBB2_27044
; %bb.62881:
	s_getpc_b64 s[14:15]
.Lpost_getpc35024:
	s_add_u32 s14, s14, (.LBB2_12706-.Lpost_getpc35024)&4294967295
	s_addc_u32 s15, s15, (.LBB2_12706-.Lpost_getpc35024)>>32
	s_setpc_b64 s[14:15]
.LBB2_27044:
	v_mov_b32_e32 v2, 0
	v_cmp_ne_u16_sdwa s[8:9], v7, v2 src0_sel:BYTE_0 src1_sel:DWORD
	s_andn2_b64 s[4:5], s[4:5], exec
	s_and_b64 s[8:9], s[8:9], exec
	s_or_b64 s[4:5], s[4:5], s[8:9]
	s_or_b64 exec, exec, s[6:7]
	s_and_saveexec_b64 s[6:7], s[4:5]
	s_cbranch_execz .LBB2_35025
; %bb.62883:
	s_getpc_b64 s[14:15]
.Lpost_getpc35025:
	s_add_u32 s14, s14, (.LBB2_12707-.Lpost_getpc35025)&4294967295
	s_addc_u32 s15, s15, (.LBB2_12707-.Lpost_getpc35025)>>32
	s_setpc_b64 s[14:15]
.LBB2_35025:
	s_getpc_b64 s[14:15]
.Lpost_getpc21096:
	s_add_u32 s14, s14, (.LBB2_12708-.Lpost_getpc21096)&4294967295
	s_addc_u32 s15, s15, (.LBB2_12708-.Lpost_getpc21096)>>32
	s_setpc_b64 s[14:15]
.LBB2_27045:
	s_movk_i32 s4, 0x80
	v_cmp_eq_u16_sdwa s[12:13], v3, s4 src0_sel:BYTE_0 src1_sel:DWORD
	s_mov_b64 s[4:5], -1
                                        ; implicit-def: $sgpr10
	s_and_saveexec_b64 s[8:9], s[12:13]
; %bb.27046:
	s_mov_b32 s10, 0x7f800001
	s_xor_b64 s[4:5], exec, -1
; %bb.27047:
	s_or_b64 exec, exec, s[8:9]
	s_and_b64 s[4:5], s[4:5], exec
	s_or_saveexec_b64 s[6:7], s[6:7]
	v_mov_b32_e32 v6, s10
	s_xor_b64 exec, exec, s[6:7]
	s_cbranch_execnz .LBB2_27048
; %bb.62885:
	s_getpc_b64 s[14:15]
.Lpost_getpc35026:
	s_add_u32 s14, s14, (.LBB2_12710-.Lpost_getpc35026)&4294967295
	s_addc_u32 s15, s15, (.LBB2_12710-.Lpost_getpc35026)>>32
	s_setpc_b64 s[14:15]
.LBB2_27048:
	v_mov_b32_e32 v6, 0
	v_cmp_ne_u16_sdwa s[8:9], v3, v6 src0_sel:BYTE_0 src1_sel:DWORD
	s_andn2_b64 s[4:5], s[4:5], exec
	s_and_b64 s[8:9], s[8:9], exec
	s_or_b64 s[4:5], s[4:5], s[8:9]
	s_or_b64 exec, exec, s[6:7]
	s_and_saveexec_b64 s[6:7], s[4:5]
	s_cbranch_execz .LBB2_35027
; %bb.62887:
	s_getpc_b64 s[14:15]
.Lpost_getpc35027:
	s_add_u32 s14, s14, (.LBB2_12711-.Lpost_getpc35027)&4294967295
	s_addc_u32 s15, s15, (.LBB2_12711-.Lpost_getpc35027)>>32
	s_setpc_b64 s[14:15]
.LBB2_35027:
	s_getpc_b64 s[14:15]
.Lpost_getpc21097:
	s_add_u32 s14, s14, (.LBB2_12712-.Lpost_getpc21097)&4294967295
	s_addc_u32 s15, s15, (.LBB2_12712-.Lpost_getpc21097)>>32
	s_setpc_b64 s[14:15]
.LBB2_27049:
	s_movk_i32 s4, 0x80
	v_cmp_eq_u16_sdwa s[12:13], v6, s4 src0_sel:BYTE_0 src1_sel:DWORD
	s_mov_b64 s[4:5], -1
                                        ; implicit-def: $sgpr10
	s_and_saveexec_b64 s[8:9], s[12:13]
; %bb.27050:
	s_mov_b32 s10, 0x7f800001
	s_xor_b64 s[4:5], exec, -1
; %bb.27051:
	s_or_b64 exec, exec, s[8:9]
	s_and_b64 s[4:5], s[4:5], exec
	s_or_saveexec_b64 s[6:7], s[6:7]
	v_mov_b32_e32 v2, s10
	s_xor_b64 exec, exec, s[6:7]
	s_cbranch_execnz .LBB2_27052
; %bb.62889:
	s_getpc_b64 s[14:15]
.Lpost_getpc35028:
	s_add_u32 s14, s14, (.LBB2_12714-.Lpost_getpc35028)&4294967295
	s_addc_u32 s15, s15, (.LBB2_12714-.Lpost_getpc35028)>>32
	s_setpc_b64 s[14:15]
.LBB2_27052:
	v_mov_b32_e32 v2, 0
	v_cmp_ne_u16_sdwa s[8:9], v6, v2 src0_sel:BYTE_0 src1_sel:DWORD
	s_andn2_b64 s[4:5], s[4:5], exec
	s_and_b64 s[8:9], s[8:9], exec
	s_or_b64 s[4:5], s[4:5], s[8:9]
	s_or_b64 exec, exec, s[6:7]
	s_and_saveexec_b64 s[6:7], s[4:5]
	s_cbranch_execz .LBB2_35029
; %bb.62891:
	s_getpc_b64 s[14:15]
.Lpost_getpc35029:
	s_add_u32 s14, s14, (.LBB2_12715-.Lpost_getpc35029)&4294967295
	s_addc_u32 s15, s15, (.LBB2_12715-.Lpost_getpc35029)>>32
	s_setpc_b64 s[14:15]
.LBB2_35029:
	s_getpc_b64 s[14:15]
.Lpost_getpc21098:
	s_add_u32 s14, s14, (.LBB2_12716-.Lpost_getpc21098)&4294967295
	s_addc_u32 s15, s15, (.LBB2_12716-.Lpost_getpc21098)>>32
	s_setpc_b64 s[14:15]
.LBB2_27053:
	s_movk_i32 s4, 0x80
	v_cmp_eq_u16_sdwa s[12:13], v6, s4 src0_sel:BYTE_0 src1_sel:DWORD
	s_mov_b64 s[4:5], -1
                                        ; implicit-def: $sgpr10
	s_and_saveexec_b64 s[8:9], s[12:13]
; %bb.27054:
	s_mov_b32 s10, 0x7f800001
	s_xor_b64 s[4:5], exec, -1
; %bb.27055:
	s_or_b64 exec, exec, s[8:9]
	s_and_b64 s[4:5], s[4:5], exec
	s_or_saveexec_b64 s[6:7], s[6:7]
	v_mov_b32_e32 v12, s10
	s_xor_b64 exec, exec, s[6:7]
	s_cbranch_execnz .LBB2_27056
; %bb.62893:
	s_getpc_b64 s[14:15]
.Lpost_getpc35030:
	s_add_u32 s14, s14, (.LBB2_12718-.Lpost_getpc35030)&4294967295
	s_addc_u32 s15, s15, (.LBB2_12718-.Lpost_getpc35030)>>32
	s_setpc_b64 s[14:15]
.LBB2_27056:
	v_mov_b32_e32 v12, 0
	v_cmp_ne_u16_sdwa s[8:9], v6, v12 src0_sel:BYTE_0 src1_sel:DWORD
	s_andn2_b64 s[4:5], s[4:5], exec
	s_and_b64 s[8:9], s[8:9], exec
	s_or_b64 s[4:5], s[4:5], s[8:9]
	s_or_b64 exec, exec, s[6:7]
	s_and_saveexec_b64 s[6:7], s[4:5]
	s_cbranch_execz .LBB2_35031
; %bb.62895:
	s_getpc_b64 s[14:15]
.Lpost_getpc35031:
	s_add_u32 s14, s14, (.LBB2_12719-.Lpost_getpc35031)&4294967295
	s_addc_u32 s15, s15, (.LBB2_12719-.Lpost_getpc35031)>>32
	s_setpc_b64 s[14:15]
.LBB2_35031:
	s_getpc_b64 s[14:15]
.Lpost_getpc21099:
	s_add_u32 s14, s14, (.LBB2_12720-.Lpost_getpc21099)&4294967295
	s_addc_u32 s15, s15, (.LBB2_12720-.Lpost_getpc21099)>>32
	s_setpc_b64 s[14:15]
.LBB2_27057:
	s_movk_i32 s4, 0x80
	v_cmp_eq_u16_e32 vcc, s4, v6
	s_mov_b64 s[4:5], -1
                                        ; implicit-def: $sgpr10
	s_and_saveexec_b64 s[8:9], vcc
; %bb.27058:
	s_mov_b32 s10, 0x7f800001
	s_xor_b64 s[4:5], exec, -1
; %bb.27059:
	s_or_b64 exec, exec, s[8:9]
	s_and_b64 s[4:5], s[4:5], exec
                                        ; implicit-def: $vgpr6
	s_or_saveexec_b64 s[6:7], s[6:7]
	v_mov_b32_e32 v2, s10
	s_xor_b64 exec, exec, s[6:7]
	s_cbranch_execnz .LBB2_27060
; %bb.62897:
	s_getpc_b64 s[14:15]
.Lpost_getpc35032:
	s_add_u32 s14, s14, (.LBB2_12722-.Lpost_getpc35032)&4294967295
	s_addc_u32 s15, s15, (.LBB2_12722-.Lpost_getpc35032)>>32
	s_setpc_b64 s[14:15]
.LBB2_27060:
	v_cmp_ne_u16_e32 vcc, 0, v6
	s_andn2_b64 s[4:5], s[4:5], exec
	s_and_b64 s[8:9], vcc, exec
	v_mov_b32_e32 v2, 0
	s_or_b64 s[4:5], s[4:5], s[8:9]
	s_or_b64 exec, exec, s[6:7]
	s_and_saveexec_b64 s[6:7], s[4:5]
	s_cbranch_execz .LBB2_35033
; %bb.62899:
	s_getpc_b64 s[14:15]
.Lpost_getpc35033:
	s_add_u32 s14, s14, (.LBB2_12723-.Lpost_getpc35033)&4294967295
	s_addc_u32 s15, s15, (.LBB2_12723-.Lpost_getpc35033)>>32
	s_setpc_b64 s[14:15]
.LBB2_35033:
	s_getpc_b64 s[14:15]
.Lpost_getpc21100:
	s_add_u32 s14, s14, (.LBB2_12724-.Lpost_getpc21100)&4294967295
	s_addc_u32 s15, s15, (.LBB2_12724-.Lpost_getpc21100)>>32
	s_setpc_b64 s[14:15]
.LBB2_27061:
	s_movk_i32 s4, 0x80
	v_cmp_eq_u16_e32 vcc, s4, v6
	s_mov_b64 s[4:5], -1
                                        ; implicit-def: $sgpr10
	s_and_saveexec_b64 s[8:9], vcc
; %bb.27062:
	s_mov_b32 s10, 0x7f800001
	s_xor_b64 s[4:5], exec, -1
; %bb.27063:
	s_or_b64 exec, exec, s[8:9]
	s_and_b64 s[4:5], s[4:5], exec
                                        ; implicit-def: $vgpr6
	s_or_saveexec_b64 s[6:7], s[6:7]
	v_mov_b32_e32 v12, s10
	s_xor_b64 exec, exec, s[6:7]
	s_cbranch_execnz .LBB2_27064
; %bb.62901:
	s_getpc_b64 s[14:15]
.Lpost_getpc35034:
	s_add_u32 s14, s14, (.LBB2_12726-.Lpost_getpc35034)&4294967295
	s_addc_u32 s15, s15, (.LBB2_12726-.Lpost_getpc35034)>>32
	s_setpc_b64 s[14:15]
.LBB2_27064:
	v_cmp_ne_u16_e32 vcc, 0, v6
	s_andn2_b64 s[4:5], s[4:5], exec
	s_and_b64 s[8:9], vcc, exec
	v_mov_b32_e32 v12, 0
	s_or_b64 s[4:5], s[4:5], s[8:9]
	s_or_b64 exec, exec, s[6:7]
	s_and_saveexec_b64 s[6:7], s[4:5]
	s_cbranch_execz .LBB2_35035
; %bb.62903:
	s_getpc_b64 s[14:15]
.Lpost_getpc35035:
	s_add_u32 s14, s14, (.LBB2_12727-.Lpost_getpc35035)&4294967295
	s_addc_u32 s15, s15, (.LBB2_12727-.Lpost_getpc35035)>>32
	s_setpc_b64 s[14:15]
.LBB2_35035:
	s_getpc_b64 s[14:15]
.Lpost_getpc21101:
	s_add_u32 s14, s14, (.LBB2_12728-.Lpost_getpc21101)&4294967295
	s_addc_u32 s15, s15, (.LBB2_12728-.Lpost_getpc21101)>>32
	s_setpc_b64 s[14:15]
.LBB2_27065:
	s_movk_i32 s4, 0x80
	v_cmp_eq_u16_sdwa s[12:13], v7, s4 src0_sel:BYTE_3 src1_sel:DWORD
	s_mov_b64 s[4:5], -1
                                        ; implicit-def: $sgpr10
	s_and_saveexec_b64 s[8:9], s[12:13]
; %bb.27066:
	s_mov_b32 s10, 0x7f800001
	s_xor_b64 s[4:5], exec, -1
; %bb.27067:
	s_or_b64 exec, exec, s[8:9]
	s_and_b64 s[4:5], s[4:5], exec
	s_or_saveexec_b64 s[6:7], s[6:7]
	v_mov_b32_e32 v2, s10
	s_xor_b64 exec, exec, s[6:7]
	s_cbranch_execnz .LBB2_27068
; %bb.62905:
	s_getpc_b64 s[14:15]
.Lpost_getpc35036:
	s_add_u32 s14, s14, (.LBB2_12730-.Lpost_getpc35036)&4294967295
	s_addc_u32 s15, s15, (.LBB2_12730-.Lpost_getpc35036)>>32
	s_setpc_b64 s[14:15]
.LBB2_27068:
	v_mov_b32_e32 v2, 0
	v_cmp_ne_u16_sdwa s[8:9], v7, v2 src0_sel:BYTE_3 src1_sel:DWORD
	s_andn2_b64 s[4:5], s[4:5], exec
	s_and_b64 s[8:9], s[8:9], exec
	s_or_b64 s[4:5], s[4:5], s[8:9]
	s_or_b64 exec, exec, s[6:7]
	s_and_saveexec_b64 s[6:7], s[4:5]
	s_cbranch_execz .LBB2_35037
; %bb.62907:
	s_getpc_b64 s[14:15]
.Lpost_getpc35037:
	s_add_u32 s14, s14, (.LBB2_12731-.Lpost_getpc35037)&4294967295
	s_addc_u32 s15, s15, (.LBB2_12731-.Lpost_getpc35037)>>32
	s_setpc_b64 s[14:15]
.LBB2_35037:
	s_getpc_b64 s[14:15]
.Lpost_getpc21102:
	s_add_u32 s14, s14, (.LBB2_12732-.Lpost_getpc21102)&4294967295
	s_addc_u32 s15, s15, (.LBB2_12732-.Lpost_getpc21102)>>32
	s_setpc_b64 s[14:15]
.LBB2_27069:
	s_movk_i32 s4, 0x80
	v_cmp_eq_u16_sdwa s[12:13], v3, s4 src0_sel:BYTE_3 src1_sel:DWORD
	s_mov_b64 s[4:5], -1
                                        ; implicit-def: $sgpr10
	s_and_saveexec_b64 s[8:9], s[12:13]
; %bb.27070:
	s_mov_b32 s10, 0x7f800001
	s_xor_b64 s[4:5], exec, -1
; %bb.27071:
	s_or_b64 exec, exec, s[8:9]
	s_and_b64 s[4:5], s[4:5], exec
	s_or_saveexec_b64 s[6:7], s[6:7]
	v_mov_b32_e32 v6, s10
	s_xor_b64 exec, exec, s[6:7]
	s_cbranch_execnz .LBB2_27072
; %bb.62909:
	s_getpc_b64 s[14:15]
.Lpost_getpc35038:
	s_add_u32 s14, s14, (.LBB2_12734-.Lpost_getpc35038)&4294967295
	s_addc_u32 s15, s15, (.LBB2_12734-.Lpost_getpc35038)>>32
	s_setpc_b64 s[14:15]
.LBB2_27072:
	v_mov_b32_e32 v6, 0
	v_cmp_ne_u16_sdwa s[8:9], v3, v6 src0_sel:BYTE_3 src1_sel:DWORD
	s_andn2_b64 s[4:5], s[4:5], exec
	s_and_b64 s[8:9], s[8:9], exec
	s_or_b64 s[4:5], s[4:5], s[8:9]
	s_or_b64 exec, exec, s[6:7]
	s_and_saveexec_b64 s[6:7], s[4:5]
	s_cbranch_execz .LBB2_35039
; %bb.62911:
	s_getpc_b64 s[14:15]
.Lpost_getpc35039:
	s_add_u32 s14, s14, (.LBB2_12735-.Lpost_getpc35039)&4294967295
	s_addc_u32 s15, s15, (.LBB2_12735-.Lpost_getpc35039)>>32
	s_setpc_b64 s[14:15]
.LBB2_35039:
	s_getpc_b64 s[14:15]
.Lpost_getpc21103:
	s_add_u32 s14, s14, (.LBB2_12736-.Lpost_getpc21103)&4294967295
	s_addc_u32 s15, s15, (.LBB2_12736-.Lpost_getpc21103)>>32
	s_setpc_b64 s[14:15]
.LBB2_27073:
	s_movk_i32 s4, 0x80
	v_cmp_eq_u16_sdwa s[12:13], v8, s4 src0_sel:BYTE_0 src1_sel:DWORD
	s_mov_b64 s[4:5], -1
                                        ; implicit-def: $sgpr10
	s_and_saveexec_b64 s[8:9], s[12:13]
; %bb.27074:
	s_mov_b32 s10, 0x7f800001
	s_xor_b64 s[4:5], exec, -1
; %bb.27075:
	s_or_b64 exec, exec, s[8:9]
	s_and_b64 s[4:5], s[4:5], exec
	s_or_saveexec_b64 s[6:7], s[6:7]
	v_mov_b32_e32 v2, s10
	s_xor_b64 exec, exec, s[6:7]
	s_cbranch_execnz .LBB2_27076
; %bb.62913:
	s_getpc_b64 s[14:15]
.Lpost_getpc35040:
	s_add_u32 s14, s14, (.LBB2_12738-.Lpost_getpc35040)&4294967295
	s_addc_u32 s15, s15, (.LBB2_12738-.Lpost_getpc35040)>>32
	s_setpc_b64 s[14:15]
.LBB2_27076:
	v_mov_b32_e32 v2, 0
	v_cmp_ne_u16_sdwa s[8:9], v8, v2 src0_sel:BYTE_0 src1_sel:DWORD
	s_andn2_b64 s[4:5], s[4:5], exec
	s_and_b64 s[8:9], s[8:9], exec
	s_or_b64 s[4:5], s[4:5], s[8:9]
	s_or_b64 exec, exec, s[6:7]
	s_and_saveexec_b64 s[6:7], s[4:5]
	s_cbranch_execz .LBB2_35041
; %bb.62915:
	s_getpc_b64 s[14:15]
.Lpost_getpc35041:
	s_add_u32 s14, s14, (.LBB2_12739-.Lpost_getpc35041)&4294967295
	s_addc_u32 s15, s15, (.LBB2_12739-.Lpost_getpc35041)>>32
	s_setpc_b64 s[14:15]
.LBB2_35041:
	s_getpc_b64 s[14:15]
.Lpost_getpc21104:
	s_add_u32 s14, s14, (.LBB2_12740-.Lpost_getpc21104)&4294967295
	s_addc_u32 s15, s15, (.LBB2_12740-.Lpost_getpc21104)>>32
	s_setpc_b64 s[14:15]
.LBB2_27077:
	s_movk_i32 s4, 0x80
	v_cmp_eq_u16_sdwa s[12:13], v4, s4 src0_sel:BYTE_0 src1_sel:DWORD
	s_mov_b64 s[4:5], -1
                                        ; implicit-def: $sgpr10
	s_and_saveexec_b64 s[8:9], s[12:13]
; %bb.27078:
	s_mov_b32 s10, 0x7f800001
	s_xor_b64 s[4:5], exec, -1
; %bb.27079:
	s_or_b64 exec, exec, s[8:9]
	s_and_b64 s[4:5], s[4:5], exec
	s_or_saveexec_b64 s[6:7], s[6:7]
	v_mov_b32_e32 v3, s10
	s_xor_b64 exec, exec, s[6:7]
	s_cbranch_execnz .LBB2_27080
; %bb.62917:
	s_getpc_b64 s[14:15]
.Lpost_getpc35042:
	s_add_u32 s14, s14, (.LBB2_12742-.Lpost_getpc35042)&4294967295
	s_addc_u32 s15, s15, (.LBB2_12742-.Lpost_getpc35042)>>32
	s_setpc_b64 s[14:15]
.LBB2_27080:
	v_mov_b32_e32 v3, 0
	v_cmp_ne_u16_sdwa s[8:9], v4, v3 src0_sel:BYTE_0 src1_sel:DWORD
	s_andn2_b64 s[4:5], s[4:5], exec
	s_and_b64 s[8:9], s[8:9], exec
	s_or_b64 s[4:5], s[4:5], s[8:9]
	s_or_b64 exec, exec, s[6:7]
	s_and_saveexec_b64 s[6:7], s[4:5]
	s_cbranch_execz .LBB2_35043
; %bb.62919:
	s_getpc_b64 s[14:15]
.Lpost_getpc35043:
	s_add_u32 s14, s14, (.LBB2_12743-.Lpost_getpc35043)&4294967295
	s_addc_u32 s15, s15, (.LBB2_12743-.Lpost_getpc35043)>>32
	s_setpc_b64 s[14:15]
.LBB2_35043:
	s_getpc_b64 s[14:15]
.Lpost_getpc21105:
	s_add_u32 s14, s14, (.LBB2_12744-.Lpost_getpc21105)&4294967295
	s_addc_u32 s15, s15, (.LBB2_12744-.Lpost_getpc21105)>>32
	s_setpc_b64 s[14:15]
.LBB2_27081:
	s_movk_i32 s4, 0x80
	v_cmp_eq_u16_sdwa s[12:13], v3, s4 src0_sel:BYTE_0 src1_sel:DWORD
	s_mov_b64 s[4:5], -1
                                        ; implicit-def: $sgpr10
	s_and_saveexec_b64 s[8:9], s[12:13]
; %bb.27082:
	s_mov_b32 s10, 0x7f800001
	s_xor_b64 s[4:5], exec, -1
; %bb.27083:
	s_or_b64 exec, exec, s[8:9]
	s_and_b64 s[4:5], s[4:5], exec
	s_or_saveexec_b64 s[6:7], s[6:7]
	v_mov_b32_e32 v2, s10
	s_xor_b64 exec, exec, s[6:7]
	s_cbranch_execnz .LBB2_27084
; %bb.62921:
	s_getpc_b64 s[14:15]
.Lpost_getpc35044:
	s_add_u32 s14, s14, (.LBB2_12746-.Lpost_getpc35044)&4294967295
	s_addc_u32 s15, s15, (.LBB2_12746-.Lpost_getpc35044)>>32
	s_setpc_b64 s[14:15]
.LBB2_27084:
	v_mov_b32_e32 v2, 0
	v_cmp_ne_u16_sdwa s[8:9], v3, v2 src0_sel:BYTE_0 src1_sel:DWORD
	s_andn2_b64 s[4:5], s[4:5], exec
	s_and_b64 s[8:9], s[8:9], exec
	s_or_b64 s[4:5], s[4:5], s[8:9]
	s_or_b64 exec, exec, s[6:7]
	s_and_saveexec_b64 s[6:7], s[4:5]
	s_cbranch_execz .LBB2_35045
; %bb.62923:
	s_getpc_b64 s[14:15]
.Lpost_getpc35045:
	s_add_u32 s14, s14, (.LBB2_12747-.Lpost_getpc35045)&4294967295
	s_addc_u32 s15, s15, (.LBB2_12747-.Lpost_getpc35045)>>32
	s_setpc_b64 s[14:15]
.LBB2_35045:
	s_getpc_b64 s[14:15]
.Lpost_getpc21106:
	s_add_u32 s14, s14, (.LBB2_12748-.Lpost_getpc21106)&4294967295
	s_addc_u32 s15, s15, (.LBB2_12748-.Lpost_getpc21106)>>32
	s_setpc_b64 s[14:15]
.LBB2_27085:
	s_movk_i32 s4, 0x80
	v_cmp_eq_u16_sdwa s[12:13], v3, s4 src0_sel:BYTE_0 src1_sel:DWORD
	s_mov_b64 s[4:5], -1
                                        ; implicit-def: $sgpr10
	s_and_saveexec_b64 s[8:9], s[12:13]
; %bb.27086:
	s_mov_b32 s10, 0x7f800001
	s_xor_b64 s[4:5], exec, -1
; %bb.27087:
	s_or_b64 exec, exec, s[8:9]
	s_and_b64 s[4:5], s[4:5], exec
	s_or_saveexec_b64 s[6:7], s[6:7]
	v_mov_b32_e32 v6, s10
	s_xor_b64 exec, exec, s[6:7]
	s_cbranch_execnz .LBB2_27088
; %bb.62925:
	s_getpc_b64 s[14:15]
.Lpost_getpc35046:
	s_add_u32 s14, s14, (.LBB2_12750-.Lpost_getpc35046)&4294967295
	s_addc_u32 s15, s15, (.LBB2_12750-.Lpost_getpc35046)>>32
	s_setpc_b64 s[14:15]
.LBB2_27088:
	v_mov_b32_e32 v6, 0
	v_cmp_ne_u16_sdwa s[8:9], v3, v6 src0_sel:BYTE_0 src1_sel:DWORD
	s_andn2_b64 s[4:5], s[4:5], exec
	s_and_b64 s[8:9], s[8:9], exec
	s_or_b64 s[4:5], s[4:5], s[8:9]
	s_or_b64 exec, exec, s[6:7]
	s_and_saveexec_b64 s[6:7], s[4:5]
	s_cbranch_execz .LBB2_35047
; %bb.62927:
	s_getpc_b64 s[14:15]
.Lpost_getpc35047:
	s_add_u32 s14, s14, (.LBB2_12751-.Lpost_getpc35047)&4294967295
	s_addc_u32 s15, s15, (.LBB2_12751-.Lpost_getpc35047)>>32
	s_setpc_b64 s[14:15]
.LBB2_35047:
	s_getpc_b64 s[14:15]
.Lpost_getpc21107:
	s_add_u32 s14, s14, (.LBB2_12752-.Lpost_getpc21107)&4294967295
	s_addc_u32 s15, s15, (.LBB2_12752-.Lpost_getpc21107)>>32
	s_setpc_b64 s[14:15]
.LBB2_27089:
	s_movk_i32 s4, 0x80
	v_cmp_eq_u16_e32 vcc, s4, v3
	s_mov_b64 s[4:5], -1
                                        ; implicit-def: $sgpr10
	s_and_saveexec_b64 s[8:9], vcc
; %bb.27090:
	s_mov_b32 s10, 0x7f800001
	s_xor_b64 s[4:5], exec, -1
; %bb.27091:
	s_or_b64 exec, exec, s[8:9]
	s_and_b64 s[4:5], s[4:5], exec
                                        ; implicit-def: $vgpr3
	s_or_saveexec_b64 s[6:7], s[6:7]
	v_mov_b32_e32 v2, s10
	s_xor_b64 exec, exec, s[6:7]
	s_cbranch_execnz .LBB2_27092
; %bb.62929:
	s_getpc_b64 s[14:15]
.Lpost_getpc35048:
	s_add_u32 s14, s14, (.LBB2_12754-.Lpost_getpc35048)&4294967295
	s_addc_u32 s15, s15, (.LBB2_12754-.Lpost_getpc35048)>>32
	s_setpc_b64 s[14:15]
.LBB2_27092:
	v_cmp_ne_u16_e32 vcc, 0, v3
	s_andn2_b64 s[4:5], s[4:5], exec
	s_and_b64 s[8:9], vcc, exec
	v_mov_b32_e32 v2, 0
	s_or_b64 s[4:5], s[4:5], s[8:9]
	s_or_b64 exec, exec, s[6:7]
	s_and_saveexec_b64 s[6:7], s[4:5]
	s_cbranch_execz .LBB2_35049
; %bb.62931:
	s_getpc_b64 s[14:15]
.Lpost_getpc35049:
	s_add_u32 s14, s14, (.LBB2_12755-.Lpost_getpc35049)&4294967295
	s_addc_u32 s15, s15, (.LBB2_12755-.Lpost_getpc35049)>>32
	s_setpc_b64 s[14:15]
.LBB2_35049:
	s_getpc_b64 s[14:15]
.Lpost_getpc21108:
	s_add_u32 s14, s14, (.LBB2_12756-.Lpost_getpc21108)&4294967295
	s_addc_u32 s15, s15, (.LBB2_12756-.Lpost_getpc21108)>>32
	s_setpc_b64 s[14:15]
.LBB2_27093:
	s_movk_i32 s4, 0x80
	v_cmp_eq_u16_e32 vcc, s4, v3
	s_mov_b64 s[4:5], -1
                                        ; implicit-def: $sgpr10
	s_and_saveexec_b64 s[8:9], vcc
; %bb.27094:
	s_mov_b32 s10, 0x7f800001
	s_xor_b64 s[4:5], exec, -1
; %bb.27095:
	s_or_b64 exec, exec, s[8:9]
	s_and_b64 s[4:5], s[4:5], exec
                                        ; implicit-def: $vgpr3
	s_or_saveexec_b64 s[6:7], s[6:7]
	v_mov_b32_e32 v6, s10
	s_xor_b64 exec, exec, s[6:7]
	s_cbranch_execnz .LBB2_27096
; %bb.62933:
	s_getpc_b64 s[14:15]
.Lpost_getpc35050:
	s_add_u32 s14, s14, (.LBB2_12758-.Lpost_getpc35050)&4294967295
	s_addc_u32 s15, s15, (.LBB2_12758-.Lpost_getpc35050)>>32
	s_setpc_b64 s[14:15]
.LBB2_27096:
	v_cmp_ne_u16_e32 vcc, 0, v3
	s_andn2_b64 s[4:5], s[4:5], exec
	s_and_b64 s[8:9], vcc, exec
	v_mov_b32_e32 v6, 0
	s_or_b64 s[4:5], s[4:5], s[8:9]
	s_or_b64 exec, exec, s[6:7]
	s_and_saveexec_b64 s[6:7], s[4:5]
	s_cbranch_execz .LBB2_35051
; %bb.62935:
	s_getpc_b64 s[14:15]
.Lpost_getpc35051:
	s_add_u32 s14, s14, (.LBB2_12759-.Lpost_getpc35051)&4294967295
	s_addc_u32 s15, s15, (.LBB2_12759-.Lpost_getpc35051)>>32
	s_setpc_b64 s[14:15]
.LBB2_35051:
	s_getpc_b64 s[14:15]
.Lpost_getpc21109:
	s_add_u32 s14, s14, (.LBB2_12760-.Lpost_getpc21109)&4294967295
	s_addc_u32 s15, s15, (.LBB2_12760-.Lpost_getpc21109)>>32
	s_setpc_b64 s[14:15]
.LBB2_27097:
	s_movk_i32 s4, 0x80
	v_cmp_eq_u16_sdwa s[12:13], v8, s4 src0_sel:BYTE_3 src1_sel:DWORD
	s_mov_b64 s[4:5], -1
                                        ; implicit-def: $sgpr10
	s_and_saveexec_b64 s[8:9], s[12:13]
; %bb.27098:
	s_mov_b32 s10, 0x7f800001
	s_xor_b64 s[4:5], exec, -1
; %bb.27099:
	s_or_b64 exec, exec, s[8:9]
	s_and_b64 s[4:5], s[4:5], exec
	s_or_saveexec_b64 s[6:7], s[6:7]
	v_mov_b32_e32 v2, s10
	s_xor_b64 exec, exec, s[6:7]
	s_cbranch_execnz .LBB2_27100
; %bb.62937:
	s_getpc_b64 s[14:15]
.Lpost_getpc35052:
	s_add_u32 s14, s14, (.LBB2_12762-.Lpost_getpc35052)&4294967295
	s_addc_u32 s15, s15, (.LBB2_12762-.Lpost_getpc35052)>>32
	s_setpc_b64 s[14:15]
.LBB2_27100:
	v_mov_b32_e32 v2, 0
	v_cmp_ne_u16_sdwa s[8:9], v8, v2 src0_sel:BYTE_3 src1_sel:DWORD
	s_andn2_b64 s[4:5], s[4:5], exec
	s_and_b64 s[8:9], s[8:9], exec
	s_or_b64 s[4:5], s[4:5], s[8:9]
	s_or_b64 exec, exec, s[6:7]
	s_and_saveexec_b64 s[6:7], s[4:5]
	s_cbranch_execz .LBB2_35053
; %bb.62939:
	s_getpc_b64 s[14:15]
.Lpost_getpc35053:
	s_add_u32 s14, s14, (.LBB2_12763-.Lpost_getpc35053)&4294967295
	s_addc_u32 s15, s15, (.LBB2_12763-.Lpost_getpc35053)>>32
	s_setpc_b64 s[14:15]
.LBB2_35053:
	s_getpc_b64 s[14:15]
.Lpost_getpc21110:
	s_add_u32 s14, s14, (.LBB2_12764-.Lpost_getpc21110)&4294967295
	s_addc_u32 s15, s15, (.LBB2_12764-.Lpost_getpc21110)>>32
	s_setpc_b64 s[14:15]
.LBB2_27101:
	s_movk_i32 s4, 0x80
	v_cmp_eq_u16_sdwa s[12:13], v4, s4 src0_sel:BYTE_3 src1_sel:DWORD
	s_mov_b64 s[4:5], -1
                                        ; implicit-def: $sgpr10
	s_and_saveexec_b64 s[8:9], s[12:13]
; %bb.27102:
	s_mov_b32 s10, 0x7f800001
	s_xor_b64 s[4:5], exec, -1
; %bb.27103:
	s_or_b64 exec, exec, s[8:9]
	s_and_b64 s[4:5], s[4:5], exec
	s_or_saveexec_b64 s[6:7], s[6:7]
	v_mov_b32_e32 v3, s10
	s_xor_b64 exec, exec, s[6:7]
	s_cbranch_execnz .LBB2_27104
; %bb.62941:
	s_getpc_b64 s[14:15]
.Lpost_getpc35054:
	s_add_u32 s14, s14, (.LBB2_12766-.Lpost_getpc35054)&4294967295
	s_addc_u32 s15, s15, (.LBB2_12766-.Lpost_getpc35054)>>32
	s_setpc_b64 s[14:15]
.LBB2_27104:
	v_mov_b32_e32 v3, 0
	v_cmp_ne_u16_sdwa s[8:9], v4, v3 src0_sel:BYTE_3 src1_sel:DWORD
	s_andn2_b64 s[4:5], s[4:5], exec
	s_and_b64 s[8:9], s[8:9], exec
	s_or_b64 s[4:5], s[4:5], s[8:9]
	s_or_b64 exec, exec, s[6:7]
	s_and_saveexec_b64 s[6:7], s[4:5]
	s_cbranch_execz .LBB2_35055
; %bb.62943:
	s_getpc_b64 s[14:15]
.Lpost_getpc35055:
	s_add_u32 s14, s14, (.LBB2_12767-.Lpost_getpc35055)&4294967295
	s_addc_u32 s15, s15, (.LBB2_12767-.Lpost_getpc35055)>>32
	s_setpc_b64 s[14:15]
.LBB2_35055:
	s_getpc_b64 s[14:15]
.Lpost_getpc21111:
	s_add_u32 s14, s14, (.LBB2_12768-.Lpost_getpc21111)&4294967295
	s_addc_u32 s15, s15, (.LBB2_12768-.Lpost_getpc21111)>>32
	s_setpc_b64 s[14:15]
.LBB2_27105:
	s_movk_i32 s4, 0x80
	v_cmp_eq_u16_sdwa s[12:13], v9, s4 src0_sel:BYTE_0 src1_sel:DWORD
	s_mov_b64 s[4:5], -1
                                        ; implicit-def: $sgpr10
	s_and_saveexec_b64 s[8:9], s[12:13]
; %bb.27106:
	s_mov_b32 s10, 0x7f800001
	s_xor_b64 s[4:5], exec, -1
; %bb.27107:
	s_or_b64 exec, exec, s[8:9]
	s_and_b64 s[4:5], s[4:5], exec
	s_or_saveexec_b64 s[6:7], s[6:7]
	v_mov_b32_e32 v2, s10
	s_xor_b64 exec, exec, s[6:7]
	s_cbranch_execnz .LBB2_27108
; %bb.62945:
	s_getpc_b64 s[14:15]
.Lpost_getpc35056:
	s_add_u32 s14, s14, (.LBB2_12770-.Lpost_getpc35056)&4294967295
	s_addc_u32 s15, s15, (.LBB2_12770-.Lpost_getpc35056)>>32
	s_setpc_b64 s[14:15]
.LBB2_27108:
	v_mov_b32_e32 v2, 0
	v_cmp_ne_u16_sdwa s[8:9], v9, v2 src0_sel:BYTE_0 src1_sel:DWORD
	s_andn2_b64 s[4:5], s[4:5], exec
	s_and_b64 s[8:9], s[8:9], exec
	s_or_b64 s[4:5], s[4:5], s[8:9]
	s_or_b64 exec, exec, s[6:7]
	s_and_saveexec_b64 s[6:7], s[4:5]
	s_cbranch_execz .LBB2_35057
; %bb.62947:
	s_getpc_b64 s[14:15]
.Lpost_getpc35057:
	s_add_u32 s14, s14, (.LBB2_12771-.Lpost_getpc35057)&4294967295
	s_addc_u32 s15, s15, (.LBB2_12771-.Lpost_getpc35057)>>32
	s_setpc_b64 s[14:15]
.LBB2_35057:
	s_getpc_b64 s[14:15]
.Lpost_getpc21112:
	s_add_u32 s14, s14, (.LBB2_12772-.Lpost_getpc21112)&4294967295
	s_addc_u32 s15, s15, (.LBB2_12772-.Lpost_getpc21112)>>32
	s_setpc_b64 s[14:15]
.LBB2_27109:
	s_movk_i32 s4, 0x80
	v_cmp_eq_u16_sdwa s[12:13], v5, s4 src0_sel:BYTE_0 src1_sel:DWORD
	s_mov_b64 s[4:5], -1
                                        ; implicit-def: $sgpr10
	s_and_saveexec_b64 s[8:9], s[12:13]
; %bb.27110:
	s_mov_b32 s10, 0x7f800001
	s_xor_b64 s[4:5], exec, -1
; %bb.27111:
	s_or_b64 exec, exec, s[8:9]
	s_and_b64 s[4:5], s[4:5], exec
	s_or_saveexec_b64 s[6:7], s[6:7]
	v_mov_b32_e32 v3, s10
	s_xor_b64 exec, exec, s[6:7]
	s_cbranch_execnz .LBB2_27112
; %bb.62949:
	s_getpc_b64 s[14:15]
.Lpost_getpc35058:
	s_add_u32 s14, s14, (.LBB2_12774-.Lpost_getpc35058)&4294967295
	s_addc_u32 s15, s15, (.LBB2_12774-.Lpost_getpc35058)>>32
	s_setpc_b64 s[14:15]
.LBB2_27112:
	v_mov_b32_e32 v3, 0
	v_cmp_ne_u16_sdwa s[8:9], v5, v3 src0_sel:BYTE_0 src1_sel:DWORD
	s_andn2_b64 s[4:5], s[4:5], exec
	s_and_b64 s[8:9], s[8:9], exec
	s_or_b64 s[4:5], s[4:5], s[8:9]
	s_or_b64 exec, exec, s[6:7]
	s_and_saveexec_b64 s[6:7], s[4:5]
	s_cbranch_execz .LBB2_35059
; %bb.62951:
	s_getpc_b64 s[14:15]
.Lpost_getpc35059:
	s_add_u32 s14, s14, (.LBB2_12775-.Lpost_getpc35059)&4294967295
	s_addc_u32 s15, s15, (.LBB2_12775-.Lpost_getpc35059)>>32
	s_setpc_b64 s[14:15]
.LBB2_35059:
	s_getpc_b64 s[14:15]
.Lpost_getpc21113:
	s_add_u32 s14, s14, (.LBB2_12776-.Lpost_getpc21113)&4294967295
	s_addc_u32 s15, s15, (.LBB2_12776-.Lpost_getpc21113)>>32
	s_setpc_b64 s[14:15]
.LBB2_27113:
	s_movk_i32 s4, 0x80
	v_cmp_eq_u16_sdwa s[12:13], v3, s4 src0_sel:BYTE_0 src1_sel:DWORD
	s_mov_b64 s[4:5], -1
                                        ; implicit-def: $sgpr10
	s_and_saveexec_b64 s[8:9], s[12:13]
; %bb.27114:
	s_mov_b32 s10, 0x7f800001
	s_xor_b64 s[4:5], exec, -1
; %bb.27115:
	s_or_b64 exec, exec, s[8:9]
	s_and_b64 s[4:5], s[4:5], exec
	s_or_saveexec_b64 s[6:7], s[6:7]
	v_mov_b32_e32 v2, s10
	s_xor_b64 exec, exec, s[6:7]
	s_cbranch_execnz .LBB2_27116
; %bb.62953:
	s_getpc_b64 s[14:15]
.Lpost_getpc35060:
	s_add_u32 s14, s14, (.LBB2_12778-.Lpost_getpc35060)&4294967295
	s_addc_u32 s15, s15, (.LBB2_12778-.Lpost_getpc35060)>>32
	s_setpc_b64 s[14:15]
.LBB2_27116:
	v_mov_b32_e32 v2, 0
	v_cmp_ne_u16_sdwa s[8:9], v3, v2 src0_sel:BYTE_0 src1_sel:DWORD
	s_andn2_b64 s[4:5], s[4:5], exec
	s_and_b64 s[8:9], s[8:9], exec
	s_or_b64 s[4:5], s[4:5], s[8:9]
	s_or_b64 exec, exec, s[6:7]
	s_and_saveexec_b64 s[6:7], s[4:5]
	s_cbranch_execz .LBB2_35061
; %bb.62955:
	s_getpc_b64 s[14:15]
.Lpost_getpc35061:
	s_add_u32 s14, s14, (.LBB2_12779-.Lpost_getpc35061)&4294967295
	s_addc_u32 s15, s15, (.LBB2_12779-.Lpost_getpc35061)>>32
	s_setpc_b64 s[14:15]
.LBB2_35061:
	s_getpc_b64 s[14:15]
.Lpost_getpc21114:
	s_add_u32 s14, s14, (.LBB2_12780-.Lpost_getpc21114)&4294967295
	s_addc_u32 s15, s15, (.LBB2_12780-.Lpost_getpc21114)>>32
	s_setpc_b64 s[14:15]
.LBB2_27117:
	s_movk_i32 s4, 0x80
	v_cmp_eq_u16_sdwa s[12:13], v3, s4 src0_sel:BYTE_0 src1_sel:DWORD
	s_mov_b64 s[4:5], -1
                                        ; implicit-def: $sgpr10
	s_and_saveexec_b64 s[8:9], s[12:13]
; %bb.27118:
	s_mov_b32 s10, 0x7f800001
	s_xor_b64 s[4:5], exec, -1
; %bb.27119:
	s_or_b64 exec, exec, s[8:9]
	s_and_b64 s[4:5], s[4:5], exec
	s_or_saveexec_b64 s[6:7], s[6:7]
	v_mov_b32_e32 v4, s10
	s_xor_b64 exec, exec, s[6:7]
	s_cbranch_execnz .LBB2_27120
; %bb.62957:
	s_getpc_b64 s[14:15]
.Lpost_getpc35062:
	s_add_u32 s14, s14, (.LBB2_12782-.Lpost_getpc35062)&4294967295
	s_addc_u32 s15, s15, (.LBB2_12782-.Lpost_getpc35062)>>32
	s_setpc_b64 s[14:15]
.LBB2_27120:
	v_mov_b32_e32 v4, 0
	v_cmp_ne_u16_sdwa s[8:9], v3, v4 src0_sel:BYTE_0 src1_sel:DWORD
	s_andn2_b64 s[4:5], s[4:5], exec
	s_and_b64 s[8:9], s[8:9], exec
	s_or_b64 s[4:5], s[4:5], s[8:9]
	s_or_b64 exec, exec, s[6:7]
	s_and_saveexec_b64 s[6:7], s[4:5]
	s_cbranch_execz .LBB2_35063
; %bb.62959:
	s_getpc_b64 s[14:15]
.Lpost_getpc35063:
	s_add_u32 s14, s14, (.LBB2_12783-.Lpost_getpc35063)&4294967295
	s_addc_u32 s15, s15, (.LBB2_12783-.Lpost_getpc35063)>>32
	s_setpc_b64 s[14:15]
.LBB2_35063:
	s_getpc_b64 s[14:15]
.Lpost_getpc21115:
	s_add_u32 s14, s14, (.LBB2_12784-.Lpost_getpc21115)&4294967295
	s_addc_u32 s15, s15, (.LBB2_12784-.Lpost_getpc21115)>>32
	s_setpc_b64 s[14:15]
.LBB2_27121:
	s_movk_i32 s4, 0x80
	v_cmp_eq_u16_e32 vcc, s4, v3
	s_mov_b64 s[4:5], -1
                                        ; implicit-def: $sgpr10
	s_and_saveexec_b64 s[8:9], vcc
; %bb.27122:
	s_mov_b32 s10, 0x7f800001
	s_xor_b64 s[4:5], exec, -1
; %bb.27123:
	s_or_b64 exec, exec, s[8:9]
	s_and_b64 s[4:5], s[4:5], exec
                                        ; implicit-def: $vgpr3
	s_or_saveexec_b64 s[6:7], s[6:7]
	v_mov_b32_e32 v2, s10
	s_xor_b64 exec, exec, s[6:7]
	s_cbranch_execnz .LBB2_27124
; %bb.62961:
	s_getpc_b64 s[14:15]
.Lpost_getpc35064:
	s_add_u32 s14, s14, (.LBB2_12786-.Lpost_getpc35064)&4294967295
	s_addc_u32 s15, s15, (.LBB2_12786-.Lpost_getpc35064)>>32
	s_setpc_b64 s[14:15]
.LBB2_27124:
	v_cmp_ne_u16_e32 vcc, 0, v3
	s_andn2_b64 s[4:5], s[4:5], exec
	s_and_b64 s[8:9], vcc, exec
	v_mov_b32_e32 v2, 0
	s_or_b64 s[4:5], s[4:5], s[8:9]
	s_or_b64 exec, exec, s[6:7]
	s_and_saveexec_b64 s[6:7], s[4:5]
	s_cbranch_execz .LBB2_35065
; %bb.62963:
	s_getpc_b64 s[14:15]
.Lpost_getpc35065:
	s_add_u32 s14, s14, (.LBB2_12787-.Lpost_getpc35065)&4294967295
	s_addc_u32 s15, s15, (.LBB2_12787-.Lpost_getpc35065)>>32
	s_setpc_b64 s[14:15]
.LBB2_35065:
	s_getpc_b64 s[14:15]
.Lpost_getpc21116:
	s_add_u32 s14, s14, (.LBB2_12788-.Lpost_getpc21116)&4294967295
	s_addc_u32 s15, s15, (.LBB2_12788-.Lpost_getpc21116)>>32
	s_setpc_b64 s[14:15]
.LBB2_27125:
	s_movk_i32 s4, 0x80
	v_cmp_eq_u16_e32 vcc, s4, v3
	s_mov_b64 s[4:5], -1
                                        ; implicit-def: $sgpr10
	s_and_saveexec_b64 s[8:9], vcc
; %bb.27126:
	s_mov_b32 s10, 0x7f800001
	s_xor_b64 s[4:5], exec, -1
; %bb.27127:
	s_or_b64 exec, exec, s[8:9]
	s_and_b64 s[4:5], s[4:5], exec
                                        ; implicit-def: $vgpr3
	s_or_saveexec_b64 s[6:7], s[6:7]
	v_mov_b32_e32 v4, s10
	s_xor_b64 exec, exec, s[6:7]
	s_cbranch_execnz .LBB2_27128
; %bb.62965:
	s_getpc_b64 s[14:15]
.Lpost_getpc35066:
	s_add_u32 s14, s14, (.LBB2_12790-.Lpost_getpc35066)&4294967295
	s_addc_u32 s15, s15, (.LBB2_12790-.Lpost_getpc35066)>>32
	s_setpc_b64 s[14:15]
.LBB2_27128:
	v_cmp_ne_u16_e32 vcc, 0, v3
	s_andn2_b64 s[4:5], s[4:5], exec
	s_and_b64 s[8:9], vcc, exec
	v_mov_b32_e32 v4, 0
	s_or_b64 s[4:5], s[4:5], s[8:9]
	s_or_b64 exec, exec, s[6:7]
	s_and_saveexec_b64 s[6:7], s[4:5]
	s_cbranch_execz .LBB2_35067
; %bb.62967:
	s_getpc_b64 s[14:15]
.Lpost_getpc35067:
	s_add_u32 s14, s14, (.LBB2_12791-.Lpost_getpc35067)&4294967295
	s_addc_u32 s15, s15, (.LBB2_12791-.Lpost_getpc35067)>>32
	s_setpc_b64 s[14:15]
.LBB2_35067:
	s_getpc_b64 s[14:15]
.Lpost_getpc21117:
	s_add_u32 s14, s14, (.LBB2_12792-.Lpost_getpc21117)&4294967295
	s_addc_u32 s15, s15, (.LBB2_12792-.Lpost_getpc21117)>>32
	s_setpc_b64 s[14:15]
.LBB2_27129:
	s_movk_i32 s4, 0x80
	v_cmp_eq_u16_sdwa s[12:13], v9, s4 src0_sel:BYTE_3 src1_sel:DWORD
	s_mov_b64 s[4:5], -1
                                        ; implicit-def: $sgpr10
	s_and_saveexec_b64 s[8:9], s[12:13]
; %bb.27130:
	s_mov_b32 s10, 0x7f800001
	s_xor_b64 s[4:5], exec, -1
; %bb.27131:
	s_or_b64 exec, exec, s[8:9]
	s_and_b64 s[4:5], s[4:5], exec
	s_or_saveexec_b64 s[6:7], s[6:7]
	v_mov_b32_e32 v2, s10
	s_xor_b64 exec, exec, s[6:7]
	s_cbranch_execnz .LBB2_27132
; %bb.62969:
	s_getpc_b64 s[14:15]
.Lpost_getpc35068:
	s_add_u32 s14, s14, (.LBB2_12794-.Lpost_getpc35068)&4294967295
	s_addc_u32 s15, s15, (.LBB2_12794-.Lpost_getpc35068)>>32
	s_setpc_b64 s[14:15]
.LBB2_27132:
	v_mov_b32_e32 v2, 0
	v_cmp_ne_u16_sdwa s[8:9], v9, v2 src0_sel:BYTE_3 src1_sel:DWORD
	s_andn2_b64 s[4:5], s[4:5], exec
	s_and_b64 s[8:9], s[8:9], exec
	s_or_b64 s[4:5], s[4:5], s[8:9]
	s_or_b64 exec, exec, s[6:7]
	s_and_saveexec_b64 s[6:7], s[4:5]
	s_cbranch_execz .LBB2_35069
; %bb.62971:
	s_getpc_b64 s[14:15]
.Lpost_getpc35069:
	s_add_u32 s14, s14, (.LBB2_12795-.Lpost_getpc35069)&4294967295
	s_addc_u32 s15, s15, (.LBB2_12795-.Lpost_getpc35069)>>32
	s_setpc_b64 s[14:15]
.LBB2_35069:
	s_getpc_b64 s[14:15]
.Lpost_getpc21118:
	s_add_u32 s14, s14, (.LBB2_12796-.Lpost_getpc21118)&4294967295
	s_addc_u32 s15, s15, (.LBB2_12796-.Lpost_getpc21118)>>32
	s_setpc_b64 s[14:15]
.LBB2_27133:
	s_movk_i32 s4, 0x80
	v_cmp_eq_u16_sdwa s[12:13], v5, s4 src0_sel:BYTE_3 src1_sel:DWORD
	s_mov_b64 s[4:5], -1
                                        ; implicit-def: $sgpr10
	s_and_saveexec_b64 s[8:9], s[12:13]
; %bb.27134:
	s_mov_b32 s10, 0x7f800001
	s_xor_b64 s[4:5], exec, -1
; %bb.27135:
	s_or_b64 exec, exec, s[8:9]
	s_and_b64 s[4:5], s[4:5], exec
	s_or_saveexec_b64 s[6:7], s[6:7]
	v_mov_b32_e32 v3, s10
	s_xor_b64 exec, exec, s[6:7]
	s_cbranch_execnz .LBB2_27136
; %bb.62973:
	s_getpc_b64 s[14:15]
.Lpost_getpc35070:
	s_add_u32 s14, s14, (.LBB2_12798-.Lpost_getpc35070)&4294967295
	s_addc_u32 s15, s15, (.LBB2_12798-.Lpost_getpc35070)>>32
	s_setpc_b64 s[14:15]
.LBB2_27136:
	v_mov_b32_e32 v3, 0
	v_cmp_ne_u16_sdwa s[8:9], v5, v3 src0_sel:BYTE_3 src1_sel:DWORD
	s_andn2_b64 s[4:5], s[4:5], exec
	s_and_b64 s[8:9], s[8:9], exec
	s_or_b64 s[4:5], s[4:5], s[8:9]
	s_or_b64 exec, exec, s[6:7]
	s_and_saveexec_b64 s[6:7], s[4:5]
	s_cbranch_execz .LBB2_35071
; %bb.62975:
	s_getpc_b64 s[14:15]
.Lpost_getpc35071:
	s_add_u32 s14, s14, (.LBB2_12799-.Lpost_getpc35071)&4294967295
	s_addc_u32 s15, s15, (.LBB2_12799-.Lpost_getpc35071)>>32
	s_setpc_b64 s[14:15]
.LBB2_35071:
	s_getpc_b64 s[14:15]
.Lpost_getpc21119:
	s_add_u32 s14, s14, (.LBB2_12800-.Lpost_getpc21119)&4294967295
	s_addc_u32 s15, s15, (.LBB2_12800-.Lpost_getpc21119)>>32
	s_setpc_b64 s[14:15]
.LBB2_27137:
	s_movk_i32 s4, 0x80
	v_cmp_eq_u16_sdwa s[12:13], v6, s4 src0_sel:BYTE_0 src1_sel:DWORD
	s_mov_b64 s[4:5], -1
                                        ; implicit-def: $sgpr10
	s_and_saveexec_b64 s[8:9], s[12:13]
; %bb.27138:
	s_mov_b32 s10, 0x7f800001
	s_xor_b64 s[4:5], exec, -1
; %bb.27139:
	s_or_b64 exec, exec, s[8:9]
	s_and_b64 s[4:5], s[4:5], exec
	s_or_saveexec_b64 s[6:7], s[6:7]
	v_mov_b32_e32 v12, s10
	s_xor_b64 exec, exec, s[6:7]
	s_cbranch_execnz .LBB2_27140
; %bb.62977:
	s_getpc_b64 s[14:15]
.Lpost_getpc35072:
	s_add_u32 s14, s14, (.LBB2_12802-.Lpost_getpc35072)&4294967295
	s_addc_u32 s15, s15, (.LBB2_12802-.Lpost_getpc35072)>>32
	s_setpc_b64 s[14:15]
.LBB2_27140:
	v_mov_b32_e32 v12, 0
	v_cmp_ne_u16_sdwa s[8:9], v6, v12 src0_sel:BYTE_0 src1_sel:DWORD
	s_andn2_b64 s[4:5], s[4:5], exec
	s_and_b64 s[8:9], s[8:9], exec
	s_or_b64 s[4:5], s[4:5], s[8:9]
	s_or_b64 exec, exec, s[6:7]
	s_and_saveexec_b64 s[6:7], s[4:5]
	s_cbranch_execz .LBB2_35073
; %bb.62979:
	s_getpc_b64 s[14:15]
.Lpost_getpc35073:
	s_add_u32 s14, s14, (.LBB2_12803-.Lpost_getpc35073)&4294967295
	s_addc_u32 s15, s15, (.LBB2_12803-.Lpost_getpc35073)>>32
	s_setpc_b64 s[14:15]
.LBB2_35073:
	s_getpc_b64 s[14:15]
.Lpost_getpc21120:
	s_add_u32 s14, s14, (.LBB2_12804-.Lpost_getpc21120)&4294967295
	s_addc_u32 s15, s15, (.LBB2_12804-.Lpost_getpc21120)>>32
	s_setpc_b64 s[14:15]
.LBB2_27141:
	s_movk_i32 s4, 0x80
	v_cmp_eq_u16_sdwa s[12:13], v2, s4 src0_sel:BYTE_0 src1_sel:DWORD
	s_mov_b64 s[4:5], -1
                                        ; implicit-def: $sgpr10
	s_and_saveexec_b64 s[8:9], s[12:13]
; %bb.27142:
	s_mov_b32 s10, 0x7f800001
	s_xor_b64 s[4:5], exec, -1
; %bb.27143:
	s_or_b64 exec, exec, s[8:9]
	s_and_b64 s[4:5], s[4:5], exec
	s_or_saveexec_b64 s[6:7], s[6:7]
	v_mov_b32_e32 v13, s10
	s_xor_b64 exec, exec, s[6:7]
	s_cbranch_execnz .LBB2_27144
; %bb.62981:
	s_getpc_b64 s[14:15]
.Lpost_getpc35074:
	s_add_u32 s14, s14, (.LBB2_12806-.Lpost_getpc35074)&4294967295
	s_addc_u32 s15, s15, (.LBB2_12806-.Lpost_getpc35074)>>32
	s_setpc_b64 s[14:15]
.LBB2_27144:
	v_mov_b32_e32 v13, 0
	v_cmp_ne_u16_sdwa s[8:9], v2, v13 src0_sel:BYTE_0 src1_sel:DWORD
	s_andn2_b64 s[4:5], s[4:5], exec
	s_and_b64 s[8:9], s[8:9], exec
	s_or_b64 s[4:5], s[4:5], s[8:9]
	s_or_b64 exec, exec, s[6:7]
	s_and_saveexec_b64 s[6:7], s[4:5]
	s_cbranch_execz .LBB2_35075
; %bb.62983:
	s_getpc_b64 s[14:15]
.Lpost_getpc35075:
	s_add_u32 s14, s14, (.LBB2_12807-.Lpost_getpc35075)&4294967295
	s_addc_u32 s15, s15, (.LBB2_12807-.Lpost_getpc35075)>>32
	s_setpc_b64 s[14:15]
.LBB2_35075:
	s_getpc_b64 s[14:15]
.Lpost_getpc21121:
	s_add_u32 s14, s14, (.LBB2_12808-.Lpost_getpc21121)&4294967295
	s_addc_u32 s15, s15, (.LBB2_12808-.Lpost_getpc21121)>>32
	s_setpc_b64 s[14:15]
.LBB2_27145:
	s_movk_i32 s4, 0x80
	v_cmp_eq_u16_sdwa s[12:13], v13, s4 src0_sel:BYTE_0 src1_sel:DWORD
	s_mov_b64 s[4:5], -1
                                        ; implicit-def: $sgpr10
	s_and_saveexec_b64 s[8:9], s[12:13]
; %bb.27146:
	s_mov_b32 s10, 0x7f800001
	s_xor_b64 s[4:5], exec, -1
; %bb.27147:
	s_or_b64 exec, exec, s[8:9]
	s_and_b64 s[4:5], s[4:5], exec
	s_or_saveexec_b64 s[6:7], s[6:7]
	v_mov_b32_e32 v12, s10
	s_xor_b64 exec, exec, s[6:7]
	s_cbranch_execnz .LBB2_27148
; %bb.62985:
	s_getpc_b64 s[14:15]
.Lpost_getpc35076:
	s_add_u32 s14, s14, (.LBB2_12810-.Lpost_getpc35076)&4294967295
	s_addc_u32 s15, s15, (.LBB2_12810-.Lpost_getpc35076)>>32
	s_setpc_b64 s[14:15]
.LBB2_27148:
	v_mov_b32_e32 v12, 0
	v_cmp_ne_u16_sdwa s[8:9], v13, v12 src0_sel:BYTE_0 src1_sel:DWORD
	s_andn2_b64 s[4:5], s[4:5], exec
	s_and_b64 s[8:9], s[8:9], exec
	s_or_b64 s[4:5], s[4:5], s[8:9]
	s_or_b64 exec, exec, s[6:7]
	s_and_saveexec_b64 s[6:7], s[4:5]
	s_cbranch_execz .LBB2_35077
; %bb.62987:
	s_getpc_b64 s[14:15]
.Lpost_getpc35077:
	s_add_u32 s14, s14, (.LBB2_12811-.Lpost_getpc35077)&4294967295
	s_addc_u32 s15, s15, (.LBB2_12811-.Lpost_getpc35077)>>32
	s_setpc_b64 s[14:15]
.LBB2_35077:
	s_getpc_b64 s[14:15]
.Lpost_getpc21122:
	s_add_u32 s14, s14, (.LBB2_12812-.Lpost_getpc21122)&4294967295
	s_addc_u32 s15, s15, (.LBB2_12812-.Lpost_getpc21122)>>32
	s_setpc_b64 s[14:15]
.LBB2_27149:
	s_movk_i32 s4, 0x80
	v_cmp_eq_u16_sdwa s[12:13], v13, s4 src0_sel:BYTE_0 src1_sel:DWORD
	s_mov_b64 s[4:5], -1
                                        ; implicit-def: $sgpr10
	s_and_saveexec_b64 s[8:9], s[12:13]
; %bb.27150:
	s_mov_b32 s10, 0x7f800001
	s_xor_b64 s[4:5], exec, -1
; %bb.27151:
	s_or_b64 exec, exec, s[8:9]
	s_and_b64 s[4:5], s[4:5], exec
	s_or_saveexec_b64 s[6:7], s[6:7]
	v_mov_b32_e32 v14, s10
	s_xor_b64 exec, exec, s[6:7]
	s_cbranch_execnz .LBB2_27152
; %bb.62989:
	s_getpc_b64 s[14:15]
.Lpost_getpc35078:
	s_add_u32 s14, s14, (.LBB2_12814-.Lpost_getpc35078)&4294967295
	s_addc_u32 s15, s15, (.LBB2_12814-.Lpost_getpc35078)>>32
	s_setpc_b64 s[14:15]
.LBB2_27152:
	v_mov_b32_e32 v14, 0
	v_cmp_ne_u16_sdwa s[8:9], v13, v14 src0_sel:BYTE_0 src1_sel:DWORD
	s_andn2_b64 s[4:5], s[4:5], exec
	s_and_b64 s[8:9], s[8:9], exec
	s_or_b64 s[4:5], s[4:5], s[8:9]
	s_or_b64 exec, exec, s[6:7]
	s_and_saveexec_b64 s[6:7], s[4:5]
	s_cbranch_execz .LBB2_35079
; %bb.62991:
	s_getpc_b64 s[14:15]
.Lpost_getpc35079:
	s_add_u32 s14, s14, (.LBB2_12815-.Lpost_getpc35079)&4294967295
	s_addc_u32 s15, s15, (.LBB2_12815-.Lpost_getpc35079)>>32
	s_setpc_b64 s[14:15]
.LBB2_35079:
	s_getpc_b64 s[14:15]
.Lpost_getpc21123:
	s_add_u32 s14, s14, (.LBB2_12816-.Lpost_getpc21123)&4294967295
	s_addc_u32 s15, s15, (.LBB2_12816-.Lpost_getpc21123)>>32
	s_setpc_b64 s[14:15]
.LBB2_27153:
	s_movk_i32 s4, 0x80
	v_cmp_eq_u16_e32 vcc, s4, v13
	s_mov_b64 s[4:5], -1
                                        ; implicit-def: $sgpr10
	s_and_saveexec_b64 s[8:9], vcc
; %bb.27154:
	s_mov_b32 s10, 0x7f800001
	s_xor_b64 s[4:5], exec, -1
; %bb.27155:
	s_or_b64 exec, exec, s[8:9]
	s_and_b64 s[4:5], s[4:5], exec
                                        ; implicit-def: $vgpr13
	s_or_saveexec_b64 s[6:7], s[6:7]
	v_mov_b32_e32 v12, s10
	s_xor_b64 exec, exec, s[6:7]
	s_cbranch_execnz .LBB2_27156
; %bb.62993:
	s_getpc_b64 s[14:15]
.Lpost_getpc35080:
	s_add_u32 s14, s14, (.LBB2_12818-.Lpost_getpc35080)&4294967295
	s_addc_u32 s15, s15, (.LBB2_12818-.Lpost_getpc35080)>>32
	s_setpc_b64 s[14:15]
.LBB2_27156:
	v_cmp_ne_u16_e32 vcc, 0, v13
	s_andn2_b64 s[4:5], s[4:5], exec
	s_and_b64 s[8:9], vcc, exec
	v_mov_b32_e32 v12, 0
	s_or_b64 s[4:5], s[4:5], s[8:9]
	s_or_b64 exec, exec, s[6:7]
	s_and_saveexec_b64 s[6:7], s[4:5]
	s_cbranch_execz .LBB2_35081
; %bb.62995:
	s_getpc_b64 s[14:15]
.Lpost_getpc35081:
	s_add_u32 s14, s14, (.LBB2_12819-.Lpost_getpc35081)&4294967295
	s_addc_u32 s15, s15, (.LBB2_12819-.Lpost_getpc35081)>>32
	s_setpc_b64 s[14:15]
.LBB2_35081:
	s_getpc_b64 s[14:15]
.Lpost_getpc21124:
	s_add_u32 s14, s14, (.LBB2_12820-.Lpost_getpc21124)&4294967295
	s_addc_u32 s15, s15, (.LBB2_12820-.Lpost_getpc21124)>>32
	s_setpc_b64 s[14:15]
.LBB2_27157:
	s_movk_i32 s4, 0x80
	v_cmp_eq_u16_e32 vcc, s4, v13
	s_mov_b64 s[4:5], -1
                                        ; implicit-def: $sgpr10
	s_and_saveexec_b64 s[8:9], vcc
; %bb.27158:
	s_mov_b32 s10, 0x7f800001
	s_xor_b64 s[4:5], exec, -1
; %bb.27159:
	s_or_b64 exec, exec, s[8:9]
	s_and_b64 s[4:5], s[4:5], exec
                                        ; implicit-def: $vgpr13
	s_or_saveexec_b64 s[6:7], s[6:7]
	v_mov_b32_e32 v14, s10
	s_xor_b64 exec, exec, s[6:7]
	s_cbranch_execnz .LBB2_27160
; %bb.62997:
	s_getpc_b64 s[14:15]
.Lpost_getpc35082:
	s_add_u32 s14, s14, (.LBB2_12822-.Lpost_getpc35082)&4294967295
	s_addc_u32 s15, s15, (.LBB2_12822-.Lpost_getpc35082)>>32
	s_setpc_b64 s[14:15]
.LBB2_27160:
	v_cmp_ne_u16_e32 vcc, 0, v13
	s_andn2_b64 s[4:5], s[4:5], exec
	s_and_b64 s[8:9], vcc, exec
	v_mov_b32_e32 v14, 0
	s_or_b64 s[4:5], s[4:5], s[8:9]
	s_or_b64 exec, exec, s[6:7]
	s_and_saveexec_b64 s[6:7], s[4:5]
	s_cbranch_execz .LBB2_35083
; %bb.62999:
	s_getpc_b64 s[14:15]
.Lpost_getpc35083:
	s_add_u32 s14, s14, (.LBB2_12823-.Lpost_getpc35083)&4294967295
	s_addc_u32 s15, s15, (.LBB2_12823-.Lpost_getpc35083)>>32
	s_setpc_b64 s[14:15]
.LBB2_35083:
	s_getpc_b64 s[14:15]
.Lpost_getpc21125:
	s_add_u32 s14, s14, (.LBB2_12824-.Lpost_getpc21125)&4294967295
	s_addc_u32 s15, s15, (.LBB2_12824-.Lpost_getpc21125)>>32
	s_setpc_b64 s[14:15]
.LBB2_27161:
	s_movk_i32 s4, 0x80
	v_cmp_eq_u16_sdwa s[12:13], v6, s4 src0_sel:BYTE_3 src1_sel:DWORD
	s_mov_b64 s[4:5], -1
                                        ; implicit-def: $sgpr10
	s_and_saveexec_b64 s[8:9], s[12:13]
; %bb.27162:
	s_mov_b32 s10, 0x7f800001
	s_xor_b64 s[4:5], exec, -1
; %bb.27163:
	s_or_b64 exec, exec, s[8:9]
	s_and_b64 s[4:5], s[4:5], exec
	s_or_saveexec_b64 s[6:7], s[6:7]
	v_mov_b32_e32 v12, s10
	s_xor_b64 exec, exec, s[6:7]
	s_cbranch_execnz .LBB2_27164
; %bb.63001:
	s_getpc_b64 s[14:15]
.Lpost_getpc35084:
	s_add_u32 s14, s14, (.LBB2_12826-.Lpost_getpc35084)&4294967295
	s_addc_u32 s15, s15, (.LBB2_12826-.Lpost_getpc35084)>>32
	s_setpc_b64 s[14:15]
.LBB2_27164:
	v_mov_b32_e32 v12, 0
	v_cmp_ne_u16_sdwa s[8:9], v6, v12 src0_sel:BYTE_3 src1_sel:DWORD
	s_andn2_b64 s[4:5], s[4:5], exec
	s_and_b64 s[8:9], s[8:9], exec
	s_or_b64 s[4:5], s[4:5], s[8:9]
	s_or_b64 exec, exec, s[6:7]
	s_and_saveexec_b64 s[6:7], s[4:5]
	s_cbranch_execz .LBB2_35085
; %bb.63003:
	s_getpc_b64 s[14:15]
.Lpost_getpc35085:
	s_add_u32 s14, s14, (.LBB2_12827-.Lpost_getpc35085)&4294967295
	s_addc_u32 s15, s15, (.LBB2_12827-.Lpost_getpc35085)>>32
	s_setpc_b64 s[14:15]
.LBB2_35085:
	s_getpc_b64 s[14:15]
.Lpost_getpc21126:
	s_add_u32 s14, s14, (.LBB2_12828-.Lpost_getpc21126)&4294967295
	s_addc_u32 s15, s15, (.LBB2_12828-.Lpost_getpc21126)>>32
	s_setpc_b64 s[14:15]
.LBB2_27165:
	s_movk_i32 s4, 0x80
	v_cmp_eq_u16_sdwa s[12:13], v2, s4 src0_sel:BYTE_3 src1_sel:DWORD
	s_mov_b64 s[4:5], -1
                                        ; implicit-def: $sgpr10
	s_and_saveexec_b64 s[8:9], s[12:13]
; %bb.27166:
	s_mov_b32 s10, 0x7f800001
	s_xor_b64 s[4:5], exec, -1
; %bb.27167:
	s_or_b64 exec, exec, s[8:9]
	s_and_b64 s[4:5], s[4:5], exec
	s_or_saveexec_b64 s[6:7], s[6:7]
	v_mov_b32_e32 v6, s10
	s_xor_b64 exec, exec, s[6:7]
	s_cbranch_execnz .LBB2_27168
; %bb.63005:
	s_getpc_b64 s[14:15]
.Lpost_getpc35086:
	s_add_u32 s14, s14, (.LBB2_12830-.Lpost_getpc35086)&4294967295
	s_addc_u32 s15, s15, (.LBB2_12830-.Lpost_getpc35086)>>32
	s_setpc_b64 s[14:15]
.LBB2_27168:
	v_mov_b32_e32 v6, 0
	v_cmp_ne_u16_sdwa s[8:9], v2, v6 src0_sel:BYTE_3 src1_sel:DWORD
	s_andn2_b64 s[4:5], s[4:5], exec
	s_and_b64 s[8:9], s[8:9], exec
	s_or_b64 s[4:5], s[4:5], s[8:9]
	s_or_b64 exec, exec, s[6:7]
	s_and_saveexec_b64 s[6:7], s[4:5]
	s_cbranch_execz .LBB2_35087
; %bb.63007:
	s_getpc_b64 s[14:15]
.Lpost_getpc35087:
	s_add_u32 s14, s14, (.LBB2_12831-.Lpost_getpc35087)&4294967295
	s_addc_u32 s15, s15, (.LBB2_12831-.Lpost_getpc35087)>>32
	s_setpc_b64 s[14:15]
.LBB2_35087:
	s_getpc_b64 s[14:15]
.Lpost_getpc21127:
	s_add_u32 s14, s14, (.LBB2_12832-.Lpost_getpc21127)&4294967295
	s_addc_u32 s15, s15, (.LBB2_12832-.Lpost_getpc21127)>>32
	s_setpc_b64 s[14:15]
.LBB2_27169:
	s_movk_i32 s4, 0x80
	v_cmp_eq_u16_sdwa s[12:13], v7, s4 src0_sel:BYTE_0 src1_sel:DWORD
	s_mov_b64 s[4:5], -1
                                        ; implicit-def: $sgpr10
	s_and_saveexec_b64 s[8:9], s[12:13]
; %bb.27170:
	s_mov_b32 s10, 0x7f800001
	s_xor_b64 s[4:5], exec, -1
; %bb.27171:
	s_or_b64 exec, exec, s[8:9]
	s_and_b64 s[4:5], s[4:5], exec
	s_or_saveexec_b64 s[6:7], s[6:7]
	v_mov_b32_e32 v2, s10
	s_xor_b64 exec, exec, s[6:7]
	s_cbranch_execnz .LBB2_27172
; %bb.63009:
	s_getpc_b64 s[14:15]
.Lpost_getpc35088:
	s_add_u32 s14, s14, (.LBB2_12834-.Lpost_getpc35088)&4294967295
	s_addc_u32 s15, s15, (.LBB2_12834-.Lpost_getpc35088)>>32
	s_setpc_b64 s[14:15]
.LBB2_27172:
	v_mov_b32_e32 v2, 0
	v_cmp_ne_u16_sdwa s[8:9], v7, v2 src0_sel:BYTE_0 src1_sel:DWORD
	s_andn2_b64 s[4:5], s[4:5], exec
	s_and_b64 s[8:9], s[8:9], exec
	s_or_b64 s[4:5], s[4:5], s[8:9]
	s_or_b64 exec, exec, s[6:7]
	s_and_saveexec_b64 s[6:7], s[4:5]
	s_cbranch_execz .LBB2_35089
; %bb.63011:
	s_getpc_b64 s[14:15]
.Lpost_getpc35089:
	s_add_u32 s14, s14, (.LBB2_12835-.Lpost_getpc35089)&4294967295
	s_addc_u32 s15, s15, (.LBB2_12835-.Lpost_getpc35089)>>32
	s_setpc_b64 s[14:15]
.LBB2_35089:
	s_getpc_b64 s[14:15]
.Lpost_getpc21128:
	s_add_u32 s14, s14, (.LBB2_12836-.Lpost_getpc21128)&4294967295
	s_addc_u32 s15, s15, (.LBB2_12836-.Lpost_getpc21128)>>32
	s_setpc_b64 s[14:15]
.LBB2_27173:
	s_movk_i32 s4, 0x80
	v_cmp_eq_u16_sdwa s[12:13], v3, s4 src0_sel:BYTE_0 src1_sel:DWORD
	s_mov_b64 s[4:5], -1
                                        ; implicit-def: $sgpr10
	s_and_saveexec_b64 s[8:9], s[12:13]
; %bb.27174:
	s_mov_b32 s10, 0x7f800001
	s_xor_b64 s[4:5], exec, -1
; %bb.27175:
	s_or_b64 exec, exec, s[8:9]
	s_and_b64 s[4:5], s[4:5], exec
	s_or_saveexec_b64 s[6:7], s[6:7]
	v_mov_b32_e32 v6, s10
	s_xor_b64 exec, exec, s[6:7]
	s_cbranch_execnz .LBB2_27176
; %bb.63013:
	s_getpc_b64 s[14:15]
.Lpost_getpc35090:
	s_add_u32 s14, s14, (.LBB2_12838-.Lpost_getpc35090)&4294967295
	s_addc_u32 s15, s15, (.LBB2_12838-.Lpost_getpc35090)>>32
	s_setpc_b64 s[14:15]
.LBB2_27176:
	v_mov_b32_e32 v6, 0
	v_cmp_ne_u16_sdwa s[8:9], v3, v6 src0_sel:BYTE_0 src1_sel:DWORD
	s_andn2_b64 s[4:5], s[4:5], exec
	s_and_b64 s[8:9], s[8:9], exec
	s_or_b64 s[4:5], s[4:5], s[8:9]
	s_or_b64 exec, exec, s[6:7]
	s_and_saveexec_b64 s[6:7], s[4:5]
	s_cbranch_execz .LBB2_35091
; %bb.63015:
	s_getpc_b64 s[14:15]
.Lpost_getpc35091:
	s_add_u32 s14, s14, (.LBB2_12839-.Lpost_getpc35091)&4294967295
	s_addc_u32 s15, s15, (.LBB2_12839-.Lpost_getpc35091)>>32
	s_setpc_b64 s[14:15]
.LBB2_35091:
	s_getpc_b64 s[14:15]
.Lpost_getpc21129:
	s_add_u32 s14, s14, (.LBB2_12840-.Lpost_getpc21129)&4294967295
	s_addc_u32 s15, s15, (.LBB2_12840-.Lpost_getpc21129)>>32
	s_setpc_b64 s[14:15]
.LBB2_27177:
	s_movk_i32 s4, 0x80
	v_cmp_eq_u16_sdwa s[12:13], v6, s4 src0_sel:BYTE_0 src1_sel:DWORD
	s_mov_b64 s[4:5], -1
                                        ; implicit-def: $sgpr10
	s_and_saveexec_b64 s[8:9], s[12:13]
; %bb.27178:
	s_mov_b32 s10, 0x7f800001
	s_xor_b64 s[4:5], exec, -1
; %bb.27179:
	s_or_b64 exec, exec, s[8:9]
	s_and_b64 s[4:5], s[4:5], exec
	s_or_saveexec_b64 s[6:7], s[6:7]
	v_mov_b32_e32 v2, s10
	s_xor_b64 exec, exec, s[6:7]
	s_cbranch_execnz .LBB2_27180
; %bb.63017:
	s_getpc_b64 s[14:15]
.Lpost_getpc35092:
	s_add_u32 s14, s14, (.LBB2_12842-.Lpost_getpc35092)&4294967295
	s_addc_u32 s15, s15, (.LBB2_12842-.Lpost_getpc35092)>>32
	s_setpc_b64 s[14:15]
.LBB2_27180:
	v_mov_b32_e32 v2, 0
	v_cmp_ne_u16_sdwa s[8:9], v6, v2 src0_sel:BYTE_0 src1_sel:DWORD
	s_andn2_b64 s[4:5], s[4:5], exec
	s_and_b64 s[8:9], s[8:9], exec
	s_or_b64 s[4:5], s[4:5], s[8:9]
	s_or_b64 exec, exec, s[6:7]
	s_and_saveexec_b64 s[6:7], s[4:5]
	s_cbranch_execz .LBB2_35093
; %bb.63019:
	s_getpc_b64 s[14:15]
.Lpost_getpc35093:
	s_add_u32 s14, s14, (.LBB2_12843-.Lpost_getpc35093)&4294967295
	s_addc_u32 s15, s15, (.LBB2_12843-.Lpost_getpc35093)>>32
	s_setpc_b64 s[14:15]
.LBB2_35093:
	s_getpc_b64 s[14:15]
.Lpost_getpc21130:
	s_add_u32 s14, s14, (.LBB2_12844-.Lpost_getpc21130)&4294967295
	s_addc_u32 s15, s15, (.LBB2_12844-.Lpost_getpc21130)>>32
	s_setpc_b64 s[14:15]
.LBB2_27181:
	s_movk_i32 s4, 0x80
	v_cmp_eq_u16_sdwa s[12:13], v6, s4 src0_sel:BYTE_0 src1_sel:DWORD
	s_mov_b64 s[4:5], -1
                                        ; implicit-def: $sgpr10
	s_and_saveexec_b64 s[8:9], s[12:13]
; %bb.27182:
	s_mov_b32 s10, 0x7f800001
	s_xor_b64 s[4:5], exec, -1
; %bb.27183:
	s_or_b64 exec, exec, s[8:9]
	s_and_b64 s[4:5], s[4:5], exec
	s_or_saveexec_b64 s[6:7], s[6:7]
	v_mov_b32_e32 v12, s10
	s_xor_b64 exec, exec, s[6:7]
	s_cbranch_execnz .LBB2_27184
; %bb.63021:
	s_getpc_b64 s[14:15]
.Lpost_getpc35094:
	s_add_u32 s14, s14, (.LBB2_12846-.Lpost_getpc35094)&4294967295
	s_addc_u32 s15, s15, (.LBB2_12846-.Lpost_getpc35094)>>32
	s_setpc_b64 s[14:15]
.LBB2_27184:
	v_mov_b32_e32 v12, 0
	v_cmp_ne_u16_sdwa s[8:9], v6, v12 src0_sel:BYTE_0 src1_sel:DWORD
	s_andn2_b64 s[4:5], s[4:5], exec
	s_and_b64 s[8:9], s[8:9], exec
	s_or_b64 s[4:5], s[4:5], s[8:9]
	s_or_b64 exec, exec, s[6:7]
	s_and_saveexec_b64 s[6:7], s[4:5]
	s_cbranch_execz .LBB2_35095
; %bb.63023:
	s_getpc_b64 s[14:15]
.Lpost_getpc35095:
	s_add_u32 s14, s14, (.LBB2_12847-.Lpost_getpc35095)&4294967295
	s_addc_u32 s15, s15, (.LBB2_12847-.Lpost_getpc35095)>>32
	s_setpc_b64 s[14:15]
.LBB2_35095:
	s_getpc_b64 s[14:15]
.Lpost_getpc21131:
	s_add_u32 s14, s14, (.LBB2_12848-.Lpost_getpc21131)&4294967295
	s_addc_u32 s15, s15, (.LBB2_12848-.Lpost_getpc21131)>>32
	s_setpc_b64 s[14:15]
.LBB2_27185:
	s_movk_i32 s4, 0x80
	v_cmp_eq_u16_e32 vcc, s4, v6
	s_mov_b64 s[4:5], -1
                                        ; implicit-def: $sgpr10
	s_and_saveexec_b64 s[8:9], vcc
; %bb.27186:
	s_mov_b32 s10, 0x7f800001
	s_xor_b64 s[4:5], exec, -1
; %bb.27187:
	s_or_b64 exec, exec, s[8:9]
	s_and_b64 s[4:5], s[4:5], exec
                                        ; implicit-def: $vgpr6
	s_or_saveexec_b64 s[6:7], s[6:7]
	v_mov_b32_e32 v2, s10
	s_xor_b64 exec, exec, s[6:7]
	s_cbranch_execnz .LBB2_27188
; %bb.63025:
	s_getpc_b64 s[14:15]
.Lpost_getpc35096:
	s_add_u32 s14, s14, (.LBB2_12850-.Lpost_getpc35096)&4294967295
	s_addc_u32 s15, s15, (.LBB2_12850-.Lpost_getpc35096)>>32
	s_setpc_b64 s[14:15]
.LBB2_27188:
	v_cmp_ne_u16_e32 vcc, 0, v6
	s_andn2_b64 s[4:5], s[4:5], exec
	s_and_b64 s[8:9], vcc, exec
	v_mov_b32_e32 v2, 0
	s_or_b64 s[4:5], s[4:5], s[8:9]
	s_or_b64 exec, exec, s[6:7]
	s_and_saveexec_b64 s[6:7], s[4:5]
	s_cbranch_execz .LBB2_35097
; %bb.63027:
	s_getpc_b64 s[14:15]
.Lpost_getpc35097:
	s_add_u32 s14, s14, (.LBB2_12851-.Lpost_getpc35097)&4294967295
	s_addc_u32 s15, s15, (.LBB2_12851-.Lpost_getpc35097)>>32
	s_setpc_b64 s[14:15]
.LBB2_35097:
	s_getpc_b64 s[14:15]
.Lpost_getpc21132:
	s_add_u32 s14, s14, (.LBB2_12852-.Lpost_getpc21132)&4294967295
	s_addc_u32 s15, s15, (.LBB2_12852-.Lpost_getpc21132)>>32
	s_setpc_b64 s[14:15]
.LBB2_27189:
	s_movk_i32 s4, 0x80
	v_cmp_eq_u16_e32 vcc, s4, v6
	s_mov_b64 s[4:5], -1
                                        ; implicit-def: $sgpr10
	s_and_saveexec_b64 s[8:9], vcc
; %bb.27190:
	s_mov_b32 s10, 0x7f800001
	s_xor_b64 s[4:5], exec, -1
; %bb.27191:
	s_or_b64 exec, exec, s[8:9]
	s_and_b64 s[4:5], s[4:5], exec
                                        ; implicit-def: $vgpr6
	s_or_saveexec_b64 s[6:7], s[6:7]
	v_mov_b32_e32 v12, s10
	s_xor_b64 exec, exec, s[6:7]
	s_cbranch_execnz .LBB2_27192
; %bb.63029:
	s_getpc_b64 s[14:15]
.Lpost_getpc35098:
	s_add_u32 s14, s14, (.LBB2_12854-.Lpost_getpc35098)&4294967295
	s_addc_u32 s15, s15, (.LBB2_12854-.Lpost_getpc35098)>>32
	s_setpc_b64 s[14:15]
.LBB2_27192:
	v_cmp_ne_u16_e32 vcc, 0, v6
	s_andn2_b64 s[4:5], s[4:5], exec
	s_and_b64 s[8:9], vcc, exec
	v_mov_b32_e32 v12, 0
	s_or_b64 s[4:5], s[4:5], s[8:9]
	s_or_b64 exec, exec, s[6:7]
	s_and_saveexec_b64 s[6:7], s[4:5]
	s_cbranch_execz .LBB2_35099
; %bb.63031:
	s_getpc_b64 s[14:15]
.Lpost_getpc35099:
	s_add_u32 s14, s14, (.LBB2_12855-.Lpost_getpc35099)&4294967295
	s_addc_u32 s15, s15, (.LBB2_12855-.Lpost_getpc35099)>>32
	s_setpc_b64 s[14:15]
.LBB2_35099:
	s_getpc_b64 s[14:15]
.Lpost_getpc21133:
	s_add_u32 s14, s14, (.LBB2_12856-.Lpost_getpc21133)&4294967295
	s_addc_u32 s15, s15, (.LBB2_12856-.Lpost_getpc21133)>>32
	s_setpc_b64 s[14:15]
.LBB2_27193:
	s_movk_i32 s4, 0x80
	v_cmp_eq_u16_sdwa s[12:13], v7, s4 src0_sel:BYTE_3 src1_sel:DWORD
	s_mov_b64 s[4:5], -1
                                        ; implicit-def: $sgpr10
	s_and_saveexec_b64 s[8:9], s[12:13]
; %bb.27194:
	s_mov_b32 s10, 0x7f800001
	s_xor_b64 s[4:5], exec, -1
; %bb.27195:
	s_or_b64 exec, exec, s[8:9]
	s_and_b64 s[4:5], s[4:5], exec
	s_or_saveexec_b64 s[6:7], s[6:7]
	v_mov_b32_e32 v2, s10
	s_xor_b64 exec, exec, s[6:7]
	s_cbranch_execnz .LBB2_27196
; %bb.63033:
	s_getpc_b64 s[14:15]
.Lpost_getpc35100:
	s_add_u32 s14, s14, (.LBB2_12858-.Lpost_getpc35100)&4294967295
	s_addc_u32 s15, s15, (.LBB2_12858-.Lpost_getpc35100)>>32
	s_setpc_b64 s[14:15]
.LBB2_27196:
	v_mov_b32_e32 v2, 0
	v_cmp_ne_u16_sdwa s[8:9], v7, v2 src0_sel:BYTE_3 src1_sel:DWORD
	s_andn2_b64 s[4:5], s[4:5], exec
	s_and_b64 s[8:9], s[8:9], exec
	s_or_b64 s[4:5], s[4:5], s[8:9]
	s_or_b64 exec, exec, s[6:7]
	s_and_saveexec_b64 s[6:7], s[4:5]
	s_cbranch_execz .LBB2_35101
; %bb.63035:
	s_getpc_b64 s[14:15]
.Lpost_getpc35101:
	s_add_u32 s14, s14, (.LBB2_12859-.Lpost_getpc35101)&4294967295
	s_addc_u32 s15, s15, (.LBB2_12859-.Lpost_getpc35101)>>32
	s_setpc_b64 s[14:15]
.LBB2_35101:
	s_getpc_b64 s[14:15]
.Lpost_getpc21134:
	s_add_u32 s14, s14, (.LBB2_12860-.Lpost_getpc21134)&4294967295
	s_addc_u32 s15, s15, (.LBB2_12860-.Lpost_getpc21134)>>32
	s_setpc_b64 s[14:15]
.LBB2_27197:
	s_movk_i32 s4, 0x80
	v_cmp_eq_u16_sdwa s[12:13], v3, s4 src0_sel:BYTE_3 src1_sel:DWORD
	s_mov_b64 s[4:5], -1
                                        ; implicit-def: $sgpr10
	s_and_saveexec_b64 s[8:9], s[12:13]
; %bb.27198:
	s_mov_b32 s10, 0x7f800001
	s_xor_b64 s[4:5], exec, -1
; %bb.27199:
	s_or_b64 exec, exec, s[8:9]
	s_and_b64 s[4:5], s[4:5], exec
	s_or_saveexec_b64 s[6:7], s[6:7]
	v_mov_b32_e32 v6, s10
	s_xor_b64 exec, exec, s[6:7]
	s_cbranch_execnz .LBB2_27200
; %bb.63037:
	s_getpc_b64 s[14:15]
.Lpost_getpc35102:
	s_add_u32 s14, s14, (.LBB2_12862-.Lpost_getpc35102)&4294967295
	s_addc_u32 s15, s15, (.LBB2_12862-.Lpost_getpc35102)>>32
	s_setpc_b64 s[14:15]
.LBB2_27200:
	v_mov_b32_e32 v6, 0
	v_cmp_ne_u16_sdwa s[8:9], v3, v6 src0_sel:BYTE_3 src1_sel:DWORD
	s_andn2_b64 s[4:5], s[4:5], exec
	s_and_b64 s[8:9], s[8:9], exec
	s_or_b64 s[4:5], s[4:5], s[8:9]
	s_or_b64 exec, exec, s[6:7]
	s_and_saveexec_b64 s[6:7], s[4:5]
	s_cbranch_execz .LBB2_35103
; %bb.63039:
	s_getpc_b64 s[14:15]
.Lpost_getpc35103:
	s_add_u32 s14, s14, (.LBB2_12863-.Lpost_getpc35103)&4294967295
	s_addc_u32 s15, s15, (.LBB2_12863-.Lpost_getpc35103)>>32
	s_setpc_b64 s[14:15]
.LBB2_35103:
	s_getpc_b64 s[14:15]
.Lpost_getpc21135:
	s_add_u32 s14, s14, (.LBB2_12864-.Lpost_getpc21135)&4294967295
	s_addc_u32 s15, s15, (.LBB2_12864-.Lpost_getpc21135)>>32
	s_setpc_b64 s[14:15]
.LBB2_27201:
	s_movk_i32 s4, 0x80
	v_cmp_eq_u16_sdwa s[12:13], v8, s4 src0_sel:BYTE_0 src1_sel:DWORD
	s_mov_b64 s[4:5], -1
                                        ; implicit-def: $sgpr10
	s_and_saveexec_b64 s[8:9], s[12:13]
; %bb.27202:
	s_mov_b32 s10, 0x7f800001
	s_xor_b64 s[4:5], exec, -1
; %bb.27203:
	s_or_b64 exec, exec, s[8:9]
	s_and_b64 s[4:5], s[4:5], exec
	s_or_saveexec_b64 s[6:7], s[6:7]
	v_mov_b32_e32 v2, s10
	s_xor_b64 exec, exec, s[6:7]
	s_cbranch_execnz .LBB2_27204
; %bb.63041:
	s_getpc_b64 s[14:15]
.Lpost_getpc35104:
	s_add_u32 s14, s14, (.LBB2_12866-.Lpost_getpc35104)&4294967295
	s_addc_u32 s15, s15, (.LBB2_12866-.Lpost_getpc35104)>>32
	s_setpc_b64 s[14:15]
.LBB2_27204:
	v_mov_b32_e32 v2, 0
	v_cmp_ne_u16_sdwa s[8:9], v8, v2 src0_sel:BYTE_0 src1_sel:DWORD
	s_andn2_b64 s[4:5], s[4:5], exec
	s_and_b64 s[8:9], s[8:9], exec
	s_or_b64 s[4:5], s[4:5], s[8:9]
	s_or_b64 exec, exec, s[6:7]
	s_and_saveexec_b64 s[6:7], s[4:5]
	s_cbranch_execz .LBB2_35105
; %bb.63043:
	s_getpc_b64 s[14:15]
.Lpost_getpc35105:
	s_add_u32 s14, s14, (.LBB2_12867-.Lpost_getpc35105)&4294967295
	s_addc_u32 s15, s15, (.LBB2_12867-.Lpost_getpc35105)>>32
	s_setpc_b64 s[14:15]
.LBB2_35105:
	s_getpc_b64 s[14:15]
.Lpost_getpc21136:
	s_add_u32 s14, s14, (.LBB2_12868-.Lpost_getpc21136)&4294967295
	s_addc_u32 s15, s15, (.LBB2_12868-.Lpost_getpc21136)>>32
	s_setpc_b64 s[14:15]
.LBB2_27205:
	s_movk_i32 s4, 0x80
	v_cmp_eq_u16_sdwa s[12:13], v4, s4 src0_sel:BYTE_0 src1_sel:DWORD
	s_mov_b64 s[4:5], -1
                                        ; implicit-def: $sgpr10
	s_and_saveexec_b64 s[8:9], s[12:13]
; %bb.27206:
	s_mov_b32 s10, 0x7f800001
	s_xor_b64 s[4:5], exec, -1
; %bb.27207:
	s_or_b64 exec, exec, s[8:9]
	s_and_b64 s[4:5], s[4:5], exec
	s_or_saveexec_b64 s[6:7], s[6:7]
	v_mov_b32_e32 v3, s10
	s_xor_b64 exec, exec, s[6:7]
	s_cbranch_execnz .LBB2_27208
; %bb.63045:
	s_getpc_b64 s[14:15]
.Lpost_getpc35106:
	s_add_u32 s14, s14, (.LBB2_12870-.Lpost_getpc35106)&4294967295
	s_addc_u32 s15, s15, (.LBB2_12870-.Lpost_getpc35106)>>32
	s_setpc_b64 s[14:15]
.LBB2_27208:
	v_mov_b32_e32 v3, 0
	v_cmp_ne_u16_sdwa s[8:9], v4, v3 src0_sel:BYTE_0 src1_sel:DWORD
	s_andn2_b64 s[4:5], s[4:5], exec
	s_and_b64 s[8:9], s[8:9], exec
	s_or_b64 s[4:5], s[4:5], s[8:9]
	s_or_b64 exec, exec, s[6:7]
	s_and_saveexec_b64 s[6:7], s[4:5]
	s_cbranch_execz .LBB2_35107
; %bb.63047:
	s_getpc_b64 s[14:15]
.Lpost_getpc35107:
	s_add_u32 s14, s14, (.LBB2_12871-.Lpost_getpc35107)&4294967295
	s_addc_u32 s15, s15, (.LBB2_12871-.Lpost_getpc35107)>>32
	s_setpc_b64 s[14:15]
.LBB2_35107:
	s_getpc_b64 s[14:15]
.Lpost_getpc21137:
	s_add_u32 s14, s14, (.LBB2_12872-.Lpost_getpc21137)&4294967295
	s_addc_u32 s15, s15, (.LBB2_12872-.Lpost_getpc21137)>>32
	s_setpc_b64 s[14:15]
.LBB2_27209:
	s_movk_i32 s4, 0x80
	v_cmp_eq_u16_sdwa s[12:13], v3, s4 src0_sel:BYTE_0 src1_sel:DWORD
	s_mov_b64 s[4:5], -1
                                        ; implicit-def: $sgpr10
	s_and_saveexec_b64 s[8:9], s[12:13]
; %bb.27210:
	s_mov_b32 s10, 0x7f800001
	s_xor_b64 s[4:5], exec, -1
; %bb.27211:
	s_or_b64 exec, exec, s[8:9]
	s_and_b64 s[4:5], s[4:5], exec
	s_or_saveexec_b64 s[6:7], s[6:7]
	v_mov_b32_e32 v2, s10
	s_xor_b64 exec, exec, s[6:7]
	s_cbranch_execnz .LBB2_27212
; %bb.63049:
	s_getpc_b64 s[14:15]
.Lpost_getpc35108:
	s_add_u32 s14, s14, (.LBB2_12874-.Lpost_getpc35108)&4294967295
	s_addc_u32 s15, s15, (.LBB2_12874-.Lpost_getpc35108)>>32
	s_setpc_b64 s[14:15]
.LBB2_27212:
	v_mov_b32_e32 v2, 0
	v_cmp_ne_u16_sdwa s[8:9], v3, v2 src0_sel:BYTE_0 src1_sel:DWORD
	s_andn2_b64 s[4:5], s[4:5], exec
	s_and_b64 s[8:9], s[8:9], exec
	s_or_b64 s[4:5], s[4:5], s[8:9]
	s_or_b64 exec, exec, s[6:7]
	s_and_saveexec_b64 s[6:7], s[4:5]
	s_cbranch_execz .LBB2_35109
; %bb.63051:
	s_getpc_b64 s[14:15]
.Lpost_getpc35109:
	s_add_u32 s14, s14, (.LBB2_12875-.Lpost_getpc35109)&4294967295
	s_addc_u32 s15, s15, (.LBB2_12875-.Lpost_getpc35109)>>32
	s_setpc_b64 s[14:15]
.LBB2_35109:
	s_getpc_b64 s[14:15]
.Lpost_getpc21138:
	s_add_u32 s14, s14, (.LBB2_12876-.Lpost_getpc21138)&4294967295
	s_addc_u32 s15, s15, (.LBB2_12876-.Lpost_getpc21138)>>32
	s_setpc_b64 s[14:15]
.LBB2_27213:
	s_movk_i32 s4, 0x80
	v_cmp_eq_u16_sdwa s[12:13], v3, s4 src0_sel:BYTE_0 src1_sel:DWORD
	s_mov_b64 s[4:5], -1
                                        ; implicit-def: $sgpr10
	s_and_saveexec_b64 s[8:9], s[12:13]
; %bb.27214:
	s_mov_b32 s10, 0x7f800001
	s_xor_b64 s[4:5], exec, -1
; %bb.27215:
	s_or_b64 exec, exec, s[8:9]
	s_and_b64 s[4:5], s[4:5], exec
	s_or_saveexec_b64 s[6:7], s[6:7]
	v_mov_b32_e32 v6, s10
	s_xor_b64 exec, exec, s[6:7]
	s_cbranch_execnz .LBB2_27216
; %bb.63053:
	s_getpc_b64 s[14:15]
.Lpost_getpc35110:
	s_add_u32 s14, s14, (.LBB2_12878-.Lpost_getpc35110)&4294967295
	s_addc_u32 s15, s15, (.LBB2_12878-.Lpost_getpc35110)>>32
	s_setpc_b64 s[14:15]
.LBB2_27216:
	v_mov_b32_e32 v6, 0
	v_cmp_ne_u16_sdwa s[8:9], v3, v6 src0_sel:BYTE_0 src1_sel:DWORD
	s_andn2_b64 s[4:5], s[4:5], exec
	s_and_b64 s[8:9], s[8:9], exec
	s_or_b64 s[4:5], s[4:5], s[8:9]
	s_or_b64 exec, exec, s[6:7]
	s_and_saveexec_b64 s[6:7], s[4:5]
	s_cbranch_execz .LBB2_35111
; %bb.63055:
	s_getpc_b64 s[14:15]
.Lpost_getpc35111:
	s_add_u32 s14, s14, (.LBB2_12879-.Lpost_getpc35111)&4294967295
	s_addc_u32 s15, s15, (.LBB2_12879-.Lpost_getpc35111)>>32
	s_setpc_b64 s[14:15]
.LBB2_35111:
	s_getpc_b64 s[14:15]
.Lpost_getpc21139:
	s_add_u32 s14, s14, (.LBB2_12880-.Lpost_getpc21139)&4294967295
	s_addc_u32 s15, s15, (.LBB2_12880-.Lpost_getpc21139)>>32
	s_setpc_b64 s[14:15]
.LBB2_27217:
	s_movk_i32 s4, 0x80
	v_cmp_eq_u16_e32 vcc, s4, v3
	s_mov_b64 s[4:5], -1
                                        ; implicit-def: $sgpr10
	s_and_saveexec_b64 s[8:9], vcc
; %bb.27218:
	s_mov_b32 s10, 0x7f800001
	s_xor_b64 s[4:5], exec, -1
; %bb.27219:
	s_or_b64 exec, exec, s[8:9]
	s_and_b64 s[4:5], s[4:5], exec
                                        ; implicit-def: $vgpr3
	s_or_saveexec_b64 s[6:7], s[6:7]
	v_mov_b32_e32 v2, s10
	s_xor_b64 exec, exec, s[6:7]
	s_cbranch_execnz .LBB2_27220
; %bb.63057:
	s_getpc_b64 s[14:15]
.Lpost_getpc35112:
	s_add_u32 s14, s14, (.LBB2_12882-.Lpost_getpc35112)&4294967295
	s_addc_u32 s15, s15, (.LBB2_12882-.Lpost_getpc35112)>>32
	s_setpc_b64 s[14:15]
.LBB2_27220:
	v_cmp_ne_u16_e32 vcc, 0, v3
	s_andn2_b64 s[4:5], s[4:5], exec
	s_and_b64 s[8:9], vcc, exec
	v_mov_b32_e32 v2, 0
	s_or_b64 s[4:5], s[4:5], s[8:9]
	s_or_b64 exec, exec, s[6:7]
	s_and_saveexec_b64 s[6:7], s[4:5]
	s_cbranch_execz .LBB2_35113
; %bb.63059:
	s_getpc_b64 s[14:15]
.Lpost_getpc35113:
	s_add_u32 s14, s14, (.LBB2_12883-.Lpost_getpc35113)&4294967295
	s_addc_u32 s15, s15, (.LBB2_12883-.Lpost_getpc35113)>>32
	s_setpc_b64 s[14:15]
.LBB2_35113:
	s_getpc_b64 s[14:15]
.Lpost_getpc21140:
	s_add_u32 s14, s14, (.LBB2_12884-.Lpost_getpc21140)&4294967295
	s_addc_u32 s15, s15, (.LBB2_12884-.Lpost_getpc21140)>>32
	s_setpc_b64 s[14:15]
.LBB2_27221:
	s_movk_i32 s4, 0x80
	v_cmp_eq_u16_e32 vcc, s4, v3
	s_mov_b64 s[4:5], -1
                                        ; implicit-def: $sgpr10
	s_and_saveexec_b64 s[8:9], vcc
; %bb.27222:
	s_mov_b32 s10, 0x7f800001
	s_xor_b64 s[4:5], exec, -1
; %bb.27223:
	s_or_b64 exec, exec, s[8:9]
	s_and_b64 s[4:5], s[4:5], exec
                                        ; implicit-def: $vgpr3
	s_or_saveexec_b64 s[6:7], s[6:7]
	v_mov_b32_e32 v6, s10
	s_xor_b64 exec, exec, s[6:7]
	s_cbranch_execnz .LBB2_27224
; %bb.63061:
	s_getpc_b64 s[14:15]
.Lpost_getpc35114:
	s_add_u32 s14, s14, (.LBB2_12886-.Lpost_getpc35114)&4294967295
	s_addc_u32 s15, s15, (.LBB2_12886-.Lpost_getpc35114)>>32
	s_setpc_b64 s[14:15]
.LBB2_27224:
	v_cmp_ne_u16_e32 vcc, 0, v3
	s_andn2_b64 s[4:5], s[4:5], exec
	s_and_b64 s[8:9], vcc, exec
	v_mov_b32_e32 v6, 0
	s_or_b64 s[4:5], s[4:5], s[8:9]
	s_or_b64 exec, exec, s[6:7]
	s_and_saveexec_b64 s[6:7], s[4:5]
	s_cbranch_execz .LBB2_35115
; %bb.63063:
	s_getpc_b64 s[14:15]
.Lpost_getpc35115:
	s_add_u32 s14, s14, (.LBB2_12887-.Lpost_getpc35115)&4294967295
	s_addc_u32 s15, s15, (.LBB2_12887-.Lpost_getpc35115)>>32
	s_setpc_b64 s[14:15]
.LBB2_35115:
	s_getpc_b64 s[14:15]
.Lpost_getpc21141:
	s_add_u32 s14, s14, (.LBB2_12888-.Lpost_getpc21141)&4294967295
	s_addc_u32 s15, s15, (.LBB2_12888-.Lpost_getpc21141)>>32
	s_setpc_b64 s[14:15]
.LBB2_27225:
	s_movk_i32 s4, 0x80
	v_cmp_eq_u16_sdwa s[12:13], v8, s4 src0_sel:BYTE_3 src1_sel:DWORD
	s_mov_b64 s[4:5], -1
                                        ; implicit-def: $sgpr10
	s_and_saveexec_b64 s[8:9], s[12:13]
; %bb.27226:
	s_mov_b32 s10, 0x7f800001
	s_xor_b64 s[4:5], exec, -1
; %bb.27227:
	s_or_b64 exec, exec, s[8:9]
	s_and_b64 s[4:5], s[4:5], exec
	s_or_saveexec_b64 s[6:7], s[6:7]
	v_mov_b32_e32 v2, s10
	s_xor_b64 exec, exec, s[6:7]
	s_cbranch_execnz .LBB2_27228
; %bb.63065:
	s_getpc_b64 s[14:15]
.Lpost_getpc35116:
	s_add_u32 s14, s14, (.LBB2_12890-.Lpost_getpc35116)&4294967295
	s_addc_u32 s15, s15, (.LBB2_12890-.Lpost_getpc35116)>>32
	s_setpc_b64 s[14:15]
.LBB2_27228:
	v_mov_b32_e32 v2, 0
	v_cmp_ne_u16_sdwa s[8:9], v8, v2 src0_sel:BYTE_3 src1_sel:DWORD
	s_andn2_b64 s[4:5], s[4:5], exec
	s_and_b64 s[8:9], s[8:9], exec
	s_or_b64 s[4:5], s[4:5], s[8:9]
	s_or_b64 exec, exec, s[6:7]
	s_and_saveexec_b64 s[6:7], s[4:5]
	s_cbranch_execz .LBB2_35117
; %bb.63067:
	s_getpc_b64 s[14:15]
.Lpost_getpc35117:
	s_add_u32 s14, s14, (.LBB2_12891-.Lpost_getpc35117)&4294967295
	s_addc_u32 s15, s15, (.LBB2_12891-.Lpost_getpc35117)>>32
	s_setpc_b64 s[14:15]
.LBB2_35117:
	s_getpc_b64 s[14:15]
.Lpost_getpc21142:
	s_add_u32 s14, s14, (.LBB2_12892-.Lpost_getpc21142)&4294967295
	s_addc_u32 s15, s15, (.LBB2_12892-.Lpost_getpc21142)>>32
	s_setpc_b64 s[14:15]
.LBB2_27229:
	s_movk_i32 s4, 0x80
	v_cmp_eq_u16_sdwa s[12:13], v4, s4 src0_sel:BYTE_3 src1_sel:DWORD
	s_mov_b64 s[4:5], -1
                                        ; implicit-def: $sgpr10
	s_and_saveexec_b64 s[8:9], s[12:13]
; %bb.27230:
	s_mov_b32 s10, 0x7f800001
	s_xor_b64 s[4:5], exec, -1
; %bb.27231:
	s_or_b64 exec, exec, s[8:9]
	s_and_b64 s[4:5], s[4:5], exec
	s_or_saveexec_b64 s[6:7], s[6:7]
	v_mov_b32_e32 v3, s10
	s_xor_b64 exec, exec, s[6:7]
	s_cbranch_execnz .LBB2_27232
; %bb.63069:
	s_getpc_b64 s[14:15]
.Lpost_getpc35118:
	s_add_u32 s14, s14, (.LBB2_12894-.Lpost_getpc35118)&4294967295
	s_addc_u32 s15, s15, (.LBB2_12894-.Lpost_getpc35118)>>32
	s_setpc_b64 s[14:15]
.LBB2_27232:
	v_mov_b32_e32 v3, 0
	v_cmp_ne_u16_sdwa s[8:9], v4, v3 src0_sel:BYTE_3 src1_sel:DWORD
	s_andn2_b64 s[4:5], s[4:5], exec
	s_and_b64 s[8:9], s[8:9], exec
	s_or_b64 s[4:5], s[4:5], s[8:9]
	s_or_b64 exec, exec, s[6:7]
	s_and_saveexec_b64 s[6:7], s[4:5]
	s_cbranch_execz .LBB2_35119
; %bb.63071:
	s_getpc_b64 s[14:15]
.Lpost_getpc35119:
	s_add_u32 s14, s14, (.LBB2_12895-.Lpost_getpc35119)&4294967295
	s_addc_u32 s15, s15, (.LBB2_12895-.Lpost_getpc35119)>>32
	s_setpc_b64 s[14:15]
.LBB2_35119:
	s_getpc_b64 s[14:15]
.Lpost_getpc21143:
	s_add_u32 s14, s14, (.LBB2_12896-.Lpost_getpc21143)&4294967295
	s_addc_u32 s15, s15, (.LBB2_12896-.Lpost_getpc21143)>>32
	s_setpc_b64 s[14:15]
.LBB2_27233:
	s_movk_i32 s4, 0x80
	v_cmp_eq_u16_sdwa s[12:13], v9, s4 src0_sel:BYTE_0 src1_sel:DWORD
	s_mov_b64 s[4:5], -1
                                        ; implicit-def: $sgpr10
	s_and_saveexec_b64 s[8:9], s[12:13]
; %bb.27234:
	s_mov_b32 s10, 0x7f800001
	s_xor_b64 s[4:5], exec, -1
; %bb.27235:
	s_or_b64 exec, exec, s[8:9]
	s_and_b64 s[4:5], s[4:5], exec
	s_or_saveexec_b64 s[6:7], s[6:7]
	v_mov_b32_e32 v2, s10
	s_xor_b64 exec, exec, s[6:7]
	s_cbranch_execnz .LBB2_27236
; %bb.63073:
	s_getpc_b64 s[14:15]
.Lpost_getpc35120:
	s_add_u32 s14, s14, (.LBB2_12898-.Lpost_getpc35120)&4294967295
	s_addc_u32 s15, s15, (.LBB2_12898-.Lpost_getpc35120)>>32
	s_setpc_b64 s[14:15]
.LBB2_27236:
	v_mov_b32_e32 v2, 0
	v_cmp_ne_u16_sdwa s[8:9], v9, v2 src0_sel:BYTE_0 src1_sel:DWORD
	s_andn2_b64 s[4:5], s[4:5], exec
	s_and_b64 s[8:9], s[8:9], exec
	s_or_b64 s[4:5], s[4:5], s[8:9]
	s_or_b64 exec, exec, s[6:7]
	s_and_saveexec_b64 s[6:7], s[4:5]
	s_cbranch_execz .LBB2_35121
; %bb.63075:
	s_getpc_b64 s[14:15]
.Lpost_getpc35121:
	s_add_u32 s14, s14, (.LBB2_12899-.Lpost_getpc35121)&4294967295
	s_addc_u32 s15, s15, (.LBB2_12899-.Lpost_getpc35121)>>32
	s_setpc_b64 s[14:15]
.LBB2_35121:
	s_getpc_b64 s[14:15]
.Lpost_getpc21144:
	s_add_u32 s14, s14, (.LBB2_12900-.Lpost_getpc21144)&4294967295
	s_addc_u32 s15, s15, (.LBB2_12900-.Lpost_getpc21144)>>32
	s_setpc_b64 s[14:15]
.LBB2_27237:
	s_movk_i32 s4, 0x80
	v_cmp_eq_u16_sdwa s[12:13], v5, s4 src0_sel:BYTE_0 src1_sel:DWORD
	s_mov_b64 s[4:5], -1
                                        ; implicit-def: $sgpr10
	s_and_saveexec_b64 s[8:9], s[12:13]
; %bb.27238:
	s_mov_b32 s10, 0x7f800001
	s_xor_b64 s[4:5], exec, -1
; %bb.27239:
	s_or_b64 exec, exec, s[8:9]
	s_and_b64 s[4:5], s[4:5], exec
	s_or_saveexec_b64 s[6:7], s[6:7]
	v_mov_b32_e32 v3, s10
	s_xor_b64 exec, exec, s[6:7]
	s_cbranch_execnz .LBB2_27240
; %bb.63077:
	s_getpc_b64 s[14:15]
.Lpost_getpc35122:
	s_add_u32 s14, s14, (.LBB2_12902-.Lpost_getpc35122)&4294967295
	s_addc_u32 s15, s15, (.LBB2_12902-.Lpost_getpc35122)>>32
	s_setpc_b64 s[14:15]
.LBB2_27240:
	v_mov_b32_e32 v3, 0
	v_cmp_ne_u16_sdwa s[8:9], v5, v3 src0_sel:BYTE_0 src1_sel:DWORD
	s_andn2_b64 s[4:5], s[4:5], exec
	s_and_b64 s[8:9], s[8:9], exec
	s_or_b64 s[4:5], s[4:5], s[8:9]
	s_or_b64 exec, exec, s[6:7]
	s_and_saveexec_b64 s[6:7], s[4:5]
	s_cbranch_execz .LBB2_35123
; %bb.63079:
	s_getpc_b64 s[14:15]
.Lpost_getpc35123:
	s_add_u32 s14, s14, (.LBB2_12903-.Lpost_getpc35123)&4294967295
	s_addc_u32 s15, s15, (.LBB2_12903-.Lpost_getpc35123)>>32
	s_setpc_b64 s[14:15]
.LBB2_35123:
	s_getpc_b64 s[14:15]
.Lpost_getpc21145:
	s_add_u32 s14, s14, (.LBB2_12904-.Lpost_getpc21145)&4294967295
	s_addc_u32 s15, s15, (.LBB2_12904-.Lpost_getpc21145)>>32
	s_setpc_b64 s[14:15]
.LBB2_27241:
	s_movk_i32 s4, 0x80
	v_cmp_eq_u16_sdwa s[12:13], v3, s4 src0_sel:BYTE_0 src1_sel:DWORD
	s_mov_b64 s[4:5], -1
                                        ; implicit-def: $sgpr10
	s_and_saveexec_b64 s[8:9], s[12:13]
; %bb.27242:
	s_mov_b32 s10, 0x7f800001
	s_xor_b64 s[4:5], exec, -1
; %bb.27243:
	s_or_b64 exec, exec, s[8:9]
	s_and_b64 s[4:5], s[4:5], exec
	s_or_saveexec_b64 s[6:7], s[6:7]
	v_mov_b32_e32 v2, s10
	s_xor_b64 exec, exec, s[6:7]
	s_cbranch_execnz .LBB2_27244
; %bb.63081:
	s_getpc_b64 s[14:15]
.Lpost_getpc35124:
	s_add_u32 s14, s14, (.LBB2_12906-.Lpost_getpc35124)&4294967295
	s_addc_u32 s15, s15, (.LBB2_12906-.Lpost_getpc35124)>>32
	s_setpc_b64 s[14:15]
.LBB2_27244:
	v_mov_b32_e32 v2, 0
	v_cmp_ne_u16_sdwa s[8:9], v3, v2 src0_sel:BYTE_0 src1_sel:DWORD
	s_andn2_b64 s[4:5], s[4:5], exec
	s_and_b64 s[8:9], s[8:9], exec
	s_or_b64 s[4:5], s[4:5], s[8:9]
	s_or_b64 exec, exec, s[6:7]
	s_and_saveexec_b64 s[6:7], s[4:5]
	s_cbranch_execz .LBB2_35125
; %bb.63083:
	s_getpc_b64 s[14:15]
.Lpost_getpc35125:
	s_add_u32 s14, s14, (.LBB2_12907-.Lpost_getpc35125)&4294967295
	s_addc_u32 s15, s15, (.LBB2_12907-.Lpost_getpc35125)>>32
	s_setpc_b64 s[14:15]
.LBB2_35125:
	s_getpc_b64 s[14:15]
.Lpost_getpc21146:
	s_add_u32 s14, s14, (.LBB2_12908-.Lpost_getpc21146)&4294967295
	s_addc_u32 s15, s15, (.LBB2_12908-.Lpost_getpc21146)>>32
	s_setpc_b64 s[14:15]
.LBB2_27245:
	s_movk_i32 s4, 0x80
	v_cmp_eq_u16_sdwa s[12:13], v3, s4 src0_sel:BYTE_0 src1_sel:DWORD
	s_mov_b64 s[4:5], -1
                                        ; implicit-def: $sgpr10
	s_and_saveexec_b64 s[8:9], s[12:13]
; %bb.27246:
	s_mov_b32 s10, 0x7f800001
	s_xor_b64 s[4:5], exec, -1
; %bb.27247:
	s_or_b64 exec, exec, s[8:9]
	s_and_b64 s[4:5], s[4:5], exec
	s_or_saveexec_b64 s[6:7], s[6:7]
	v_mov_b32_e32 v4, s10
	s_xor_b64 exec, exec, s[6:7]
	s_cbranch_execnz .LBB2_27248
; %bb.63085:
	s_getpc_b64 s[14:15]
.Lpost_getpc35126:
	s_add_u32 s14, s14, (.LBB2_12910-.Lpost_getpc35126)&4294967295
	s_addc_u32 s15, s15, (.LBB2_12910-.Lpost_getpc35126)>>32
	s_setpc_b64 s[14:15]
.LBB2_27248:
	v_mov_b32_e32 v4, 0
	v_cmp_ne_u16_sdwa s[8:9], v3, v4 src0_sel:BYTE_0 src1_sel:DWORD
	s_andn2_b64 s[4:5], s[4:5], exec
	s_and_b64 s[8:9], s[8:9], exec
	s_or_b64 s[4:5], s[4:5], s[8:9]
	s_or_b64 exec, exec, s[6:7]
	s_and_saveexec_b64 s[6:7], s[4:5]
	s_cbranch_execz .LBB2_35127
; %bb.63087:
	s_getpc_b64 s[14:15]
.Lpost_getpc35127:
	s_add_u32 s14, s14, (.LBB2_12911-.Lpost_getpc35127)&4294967295
	s_addc_u32 s15, s15, (.LBB2_12911-.Lpost_getpc35127)>>32
	s_setpc_b64 s[14:15]
.LBB2_35127:
	s_getpc_b64 s[14:15]
.Lpost_getpc21147:
	s_add_u32 s14, s14, (.LBB2_12912-.Lpost_getpc21147)&4294967295
	s_addc_u32 s15, s15, (.LBB2_12912-.Lpost_getpc21147)>>32
	s_setpc_b64 s[14:15]
.LBB2_27249:
	s_movk_i32 s4, 0x80
	v_cmp_eq_u16_e32 vcc, s4, v3
	s_mov_b64 s[4:5], -1
                                        ; implicit-def: $sgpr10
	s_and_saveexec_b64 s[8:9], vcc
; %bb.27250:
	s_mov_b32 s10, 0x7f800001
	s_xor_b64 s[4:5], exec, -1
; %bb.27251:
	s_or_b64 exec, exec, s[8:9]
	s_and_b64 s[4:5], s[4:5], exec
                                        ; implicit-def: $vgpr3
	s_or_saveexec_b64 s[6:7], s[6:7]
	v_mov_b32_e32 v2, s10
	s_xor_b64 exec, exec, s[6:7]
	s_cbranch_execnz .LBB2_27252
; %bb.63089:
	s_getpc_b64 s[14:15]
.Lpost_getpc35128:
	s_add_u32 s14, s14, (.LBB2_12914-.Lpost_getpc35128)&4294967295
	s_addc_u32 s15, s15, (.LBB2_12914-.Lpost_getpc35128)>>32
	s_setpc_b64 s[14:15]
.LBB2_27252:
	v_cmp_ne_u16_e32 vcc, 0, v3
	s_andn2_b64 s[4:5], s[4:5], exec
	s_and_b64 s[8:9], vcc, exec
	v_mov_b32_e32 v2, 0
	s_or_b64 s[4:5], s[4:5], s[8:9]
	s_or_b64 exec, exec, s[6:7]
	s_and_saveexec_b64 s[6:7], s[4:5]
	s_cbranch_execz .LBB2_35129
; %bb.63091:
	s_getpc_b64 s[14:15]
.Lpost_getpc35129:
	s_add_u32 s14, s14, (.LBB2_12915-.Lpost_getpc35129)&4294967295
	s_addc_u32 s15, s15, (.LBB2_12915-.Lpost_getpc35129)>>32
	s_setpc_b64 s[14:15]
.LBB2_35129:
	s_getpc_b64 s[14:15]
.Lpost_getpc21148:
	s_add_u32 s14, s14, (.LBB2_12916-.Lpost_getpc21148)&4294967295
	s_addc_u32 s15, s15, (.LBB2_12916-.Lpost_getpc21148)>>32
	s_setpc_b64 s[14:15]
.LBB2_27253:
	s_movk_i32 s4, 0x80
	v_cmp_eq_u16_e32 vcc, s4, v3
	s_mov_b64 s[4:5], -1
                                        ; implicit-def: $sgpr10
	s_and_saveexec_b64 s[8:9], vcc
; %bb.27254:
	s_mov_b32 s10, 0x7f800001
	s_xor_b64 s[4:5], exec, -1
; %bb.27255:
	s_or_b64 exec, exec, s[8:9]
	s_and_b64 s[4:5], s[4:5], exec
                                        ; implicit-def: $vgpr3
	s_or_saveexec_b64 s[6:7], s[6:7]
	v_mov_b32_e32 v4, s10
	s_xor_b64 exec, exec, s[6:7]
	s_cbranch_execnz .LBB2_27256
; %bb.63093:
	s_getpc_b64 s[14:15]
.Lpost_getpc35130:
	s_add_u32 s14, s14, (.LBB2_12918-.Lpost_getpc35130)&4294967295
	s_addc_u32 s15, s15, (.LBB2_12918-.Lpost_getpc35130)>>32
	s_setpc_b64 s[14:15]
.LBB2_27256:
	v_cmp_ne_u16_e32 vcc, 0, v3
	s_andn2_b64 s[4:5], s[4:5], exec
	s_and_b64 s[8:9], vcc, exec
	v_mov_b32_e32 v4, 0
	s_or_b64 s[4:5], s[4:5], s[8:9]
	s_or_b64 exec, exec, s[6:7]
	s_and_saveexec_b64 s[6:7], s[4:5]
	s_cbranch_execz .LBB2_35131
; %bb.63095:
	s_getpc_b64 s[14:15]
.Lpost_getpc35131:
	s_add_u32 s14, s14, (.LBB2_12919-.Lpost_getpc35131)&4294967295
	s_addc_u32 s15, s15, (.LBB2_12919-.Lpost_getpc35131)>>32
	s_setpc_b64 s[14:15]
.LBB2_35131:
	s_getpc_b64 s[14:15]
.Lpost_getpc21149:
	s_add_u32 s14, s14, (.LBB2_12920-.Lpost_getpc21149)&4294967295
	s_addc_u32 s15, s15, (.LBB2_12920-.Lpost_getpc21149)>>32
	s_setpc_b64 s[14:15]
.LBB2_27257:
	s_movk_i32 s4, 0x80
	v_cmp_eq_u16_sdwa s[12:13], v9, s4 src0_sel:BYTE_3 src1_sel:DWORD
	s_mov_b64 s[4:5], -1
                                        ; implicit-def: $sgpr10
	s_and_saveexec_b64 s[8:9], s[12:13]
; %bb.27258:
	s_mov_b32 s10, 0x7f800001
	s_xor_b64 s[4:5], exec, -1
; %bb.27259:
	s_or_b64 exec, exec, s[8:9]
	s_and_b64 s[4:5], s[4:5], exec
	s_or_saveexec_b64 s[6:7], s[6:7]
	v_mov_b32_e32 v2, s10
	s_xor_b64 exec, exec, s[6:7]
	s_cbranch_execnz .LBB2_27260
; %bb.63097:
	s_getpc_b64 s[14:15]
.Lpost_getpc35132:
	s_add_u32 s14, s14, (.LBB2_12922-.Lpost_getpc35132)&4294967295
	s_addc_u32 s15, s15, (.LBB2_12922-.Lpost_getpc35132)>>32
	s_setpc_b64 s[14:15]
.LBB2_27260:
	v_mov_b32_e32 v2, 0
	v_cmp_ne_u16_sdwa s[8:9], v9, v2 src0_sel:BYTE_3 src1_sel:DWORD
	s_andn2_b64 s[4:5], s[4:5], exec
	s_and_b64 s[8:9], s[8:9], exec
	s_or_b64 s[4:5], s[4:5], s[8:9]
	s_or_b64 exec, exec, s[6:7]
	s_and_saveexec_b64 s[6:7], s[4:5]
	s_cbranch_execz .LBB2_35133
; %bb.63099:
	s_getpc_b64 s[14:15]
.Lpost_getpc35133:
	s_add_u32 s14, s14, (.LBB2_12923-.Lpost_getpc35133)&4294967295
	s_addc_u32 s15, s15, (.LBB2_12923-.Lpost_getpc35133)>>32
	s_setpc_b64 s[14:15]
.LBB2_35133:
	s_getpc_b64 s[14:15]
.Lpost_getpc21150:
	s_add_u32 s14, s14, (.LBB2_12924-.Lpost_getpc21150)&4294967295
	s_addc_u32 s15, s15, (.LBB2_12924-.Lpost_getpc21150)>>32
	s_setpc_b64 s[14:15]
.LBB2_27261:
	s_movk_i32 s4, 0x80
	v_cmp_eq_u16_sdwa s[12:13], v5, s4 src0_sel:BYTE_3 src1_sel:DWORD
	s_mov_b64 s[4:5], -1
                                        ; implicit-def: $sgpr10
	s_and_saveexec_b64 s[8:9], s[12:13]
; %bb.27262:
	s_mov_b32 s10, 0x7f800001
	s_xor_b64 s[4:5], exec, -1
; %bb.27263:
	s_or_b64 exec, exec, s[8:9]
	s_and_b64 s[4:5], s[4:5], exec
	s_or_saveexec_b64 s[6:7], s[6:7]
	v_mov_b32_e32 v3, s10
	s_xor_b64 exec, exec, s[6:7]
	s_cbranch_execnz .LBB2_27264
; %bb.63101:
	s_getpc_b64 s[14:15]
.Lpost_getpc35134:
	s_add_u32 s14, s14, (.LBB2_12926-.Lpost_getpc35134)&4294967295
	s_addc_u32 s15, s15, (.LBB2_12926-.Lpost_getpc35134)>>32
	s_setpc_b64 s[14:15]
.LBB2_27264:
	v_mov_b32_e32 v3, 0
	v_cmp_ne_u16_sdwa s[8:9], v5, v3 src0_sel:BYTE_3 src1_sel:DWORD
	s_andn2_b64 s[4:5], s[4:5], exec
	s_and_b64 s[8:9], s[8:9], exec
	s_or_b64 s[4:5], s[4:5], s[8:9]
	s_or_b64 exec, exec, s[6:7]
	s_and_saveexec_b64 s[6:7], s[4:5]
	s_cbranch_execz .LBB2_35135
; %bb.63103:
	s_getpc_b64 s[14:15]
.Lpost_getpc35135:
	s_add_u32 s14, s14, (.LBB2_12927-.Lpost_getpc35135)&4294967295
	s_addc_u32 s15, s15, (.LBB2_12927-.Lpost_getpc35135)>>32
	s_setpc_b64 s[14:15]
.LBB2_35135:
	s_getpc_b64 s[14:15]
.Lpost_getpc21151:
	s_add_u32 s14, s14, (.LBB2_12928-.Lpost_getpc21151)&4294967295
	s_addc_u32 s15, s15, (.LBB2_12928-.Lpost_getpc21151)>>32
	s_setpc_b64 s[14:15]
.LBB2_27265:
	s_movk_i32 s4, 0x80
	v_cmp_eq_u16_sdwa s[12:13], v6, s4 src0_sel:BYTE_0 src1_sel:DWORD
	s_mov_b64 s[4:5], -1
                                        ; implicit-def: $sgpr10
	s_and_saveexec_b64 s[8:9], s[12:13]
; %bb.27266:
	s_mov_b32 s10, 0x7f800001
	s_xor_b64 s[4:5], exec, -1
; %bb.27267:
	s_or_b64 exec, exec, s[8:9]
	s_and_b64 s[4:5], s[4:5], exec
	s_or_saveexec_b64 s[6:7], s[6:7]
	v_mov_b32_e32 v12, s10
	s_xor_b64 exec, exec, s[6:7]
	s_cbranch_execnz .LBB2_27268
; %bb.63105:
	s_getpc_b64 s[14:15]
.Lpost_getpc35136:
	s_add_u32 s14, s14, (.LBB2_12930-.Lpost_getpc35136)&4294967295
	s_addc_u32 s15, s15, (.LBB2_12930-.Lpost_getpc35136)>>32
	s_setpc_b64 s[14:15]
.LBB2_27268:
	v_mov_b32_e32 v12, 0
	v_cmp_ne_u16_sdwa s[8:9], v6, v12 src0_sel:BYTE_0 src1_sel:DWORD
	s_andn2_b64 s[4:5], s[4:5], exec
	s_and_b64 s[8:9], s[8:9], exec
	s_or_b64 s[4:5], s[4:5], s[8:9]
	s_or_b64 exec, exec, s[6:7]
	s_and_saveexec_b64 s[6:7], s[4:5]
	s_cbranch_execz .LBB2_35137
; %bb.63107:
	s_getpc_b64 s[14:15]
.Lpost_getpc35137:
	s_add_u32 s14, s14, (.LBB2_12931-.Lpost_getpc35137)&4294967295
	s_addc_u32 s15, s15, (.LBB2_12931-.Lpost_getpc35137)>>32
	s_setpc_b64 s[14:15]
.LBB2_35137:
	s_getpc_b64 s[14:15]
.Lpost_getpc21152:
	s_add_u32 s14, s14, (.LBB2_12932-.Lpost_getpc21152)&4294967295
	s_addc_u32 s15, s15, (.LBB2_12932-.Lpost_getpc21152)>>32
	s_setpc_b64 s[14:15]
.LBB2_27269:
	s_movk_i32 s4, 0x80
	v_cmp_eq_u16_sdwa s[12:13], v2, s4 src0_sel:BYTE_0 src1_sel:DWORD
	s_mov_b64 s[4:5], -1
                                        ; implicit-def: $sgpr10
	s_and_saveexec_b64 s[8:9], s[12:13]
; %bb.27270:
	s_mov_b32 s10, 0x7f800001
	s_xor_b64 s[4:5], exec, -1
; %bb.27271:
	s_or_b64 exec, exec, s[8:9]
	s_and_b64 s[4:5], s[4:5], exec
	s_or_saveexec_b64 s[6:7], s[6:7]
	v_mov_b32_e32 v13, s10
	s_xor_b64 exec, exec, s[6:7]
	s_cbranch_execnz .LBB2_27272
; %bb.63109:
	s_getpc_b64 s[14:15]
.Lpost_getpc35138:
	s_add_u32 s14, s14, (.LBB2_12934-.Lpost_getpc35138)&4294967295
	s_addc_u32 s15, s15, (.LBB2_12934-.Lpost_getpc35138)>>32
	s_setpc_b64 s[14:15]
.LBB2_27272:
	v_mov_b32_e32 v13, 0
	v_cmp_ne_u16_sdwa s[8:9], v2, v13 src0_sel:BYTE_0 src1_sel:DWORD
	s_andn2_b64 s[4:5], s[4:5], exec
	s_and_b64 s[8:9], s[8:9], exec
	s_or_b64 s[4:5], s[4:5], s[8:9]
	s_or_b64 exec, exec, s[6:7]
	s_and_saveexec_b64 s[6:7], s[4:5]
	s_cbranch_execz .LBB2_35139
; %bb.63111:
	s_getpc_b64 s[14:15]
.Lpost_getpc35139:
	s_add_u32 s14, s14, (.LBB2_12935-.Lpost_getpc35139)&4294967295
	s_addc_u32 s15, s15, (.LBB2_12935-.Lpost_getpc35139)>>32
	s_setpc_b64 s[14:15]
.LBB2_35139:
	s_getpc_b64 s[14:15]
.Lpost_getpc21153:
	s_add_u32 s14, s14, (.LBB2_12936-.Lpost_getpc21153)&4294967295
	s_addc_u32 s15, s15, (.LBB2_12936-.Lpost_getpc21153)>>32
	s_setpc_b64 s[14:15]
.LBB2_27273:
	s_movk_i32 s4, 0x80
	v_cmp_eq_u16_sdwa s[12:13], v13, s4 src0_sel:BYTE_0 src1_sel:DWORD
	s_mov_b64 s[4:5], -1
                                        ; implicit-def: $sgpr10
	s_and_saveexec_b64 s[8:9], s[12:13]
; %bb.27274:
	s_mov_b32 s10, 0x7f800001
	s_xor_b64 s[4:5], exec, -1
; %bb.27275:
	s_or_b64 exec, exec, s[8:9]
	s_and_b64 s[4:5], s[4:5], exec
	s_or_saveexec_b64 s[6:7], s[6:7]
	v_mov_b32_e32 v12, s10
	s_xor_b64 exec, exec, s[6:7]
	s_cbranch_execnz .LBB2_27276
; %bb.63113:
	s_getpc_b64 s[14:15]
.Lpost_getpc35140:
	s_add_u32 s14, s14, (.LBB2_12938-.Lpost_getpc35140)&4294967295
	s_addc_u32 s15, s15, (.LBB2_12938-.Lpost_getpc35140)>>32
	s_setpc_b64 s[14:15]
.LBB2_27276:
	v_mov_b32_e32 v12, 0
	v_cmp_ne_u16_sdwa s[8:9], v13, v12 src0_sel:BYTE_0 src1_sel:DWORD
	s_andn2_b64 s[4:5], s[4:5], exec
	s_and_b64 s[8:9], s[8:9], exec
	s_or_b64 s[4:5], s[4:5], s[8:9]
	s_or_b64 exec, exec, s[6:7]
	s_and_saveexec_b64 s[6:7], s[4:5]
	s_cbranch_execz .LBB2_35141
; %bb.63115:
	s_getpc_b64 s[14:15]
.Lpost_getpc35141:
	s_add_u32 s14, s14, (.LBB2_12939-.Lpost_getpc35141)&4294967295
	s_addc_u32 s15, s15, (.LBB2_12939-.Lpost_getpc35141)>>32
	s_setpc_b64 s[14:15]
.LBB2_35141:
	s_getpc_b64 s[14:15]
.Lpost_getpc21154:
	s_add_u32 s14, s14, (.LBB2_12940-.Lpost_getpc21154)&4294967295
	s_addc_u32 s15, s15, (.LBB2_12940-.Lpost_getpc21154)>>32
	s_setpc_b64 s[14:15]
.LBB2_27277:
	s_movk_i32 s4, 0x80
	v_cmp_eq_u16_sdwa s[12:13], v13, s4 src0_sel:BYTE_0 src1_sel:DWORD
	s_mov_b64 s[4:5], -1
                                        ; implicit-def: $sgpr10
	s_and_saveexec_b64 s[8:9], s[12:13]
; %bb.27278:
	s_mov_b32 s10, 0x7f800001
	s_xor_b64 s[4:5], exec, -1
; %bb.27279:
	s_or_b64 exec, exec, s[8:9]
	s_and_b64 s[4:5], s[4:5], exec
	s_or_saveexec_b64 s[6:7], s[6:7]
	v_mov_b32_e32 v14, s10
	s_xor_b64 exec, exec, s[6:7]
	s_cbranch_execnz .LBB2_27280
; %bb.63117:
	s_getpc_b64 s[14:15]
.Lpost_getpc35142:
	s_add_u32 s14, s14, (.LBB2_12942-.Lpost_getpc35142)&4294967295
	s_addc_u32 s15, s15, (.LBB2_12942-.Lpost_getpc35142)>>32
	s_setpc_b64 s[14:15]
.LBB2_27280:
	v_mov_b32_e32 v14, 0
	v_cmp_ne_u16_sdwa s[8:9], v13, v14 src0_sel:BYTE_0 src1_sel:DWORD
	s_andn2_b64 s[4:5], s[4:5], exec
	s_and_b64 s[8:9], s[8:9], exec
	s_or_b64 s[4:5], s[4:5], s[8:9]
	s_or_b64 exec, exec, s[6:7]
	s_and_saveexec_b64 s[6:7], s[4:5]
	s_cbranch_execz .LBB2_35143
; %bb.63119:
	s_getpc_b64 s[14:15]
.Lpost_getpc35143:
	s_add_u32 s14, s14, (.LBB2_12943-.Lpost_getpc35143)&4294967295
	s_addc_u32 s15, s15, (.LBB2_12943-.Lpost_getpc35143)>>32
	s_setpc_b64 s[14:15]
.LBB2_35143:
	s_getpc_b64 s[14:15]
.Lpost_getpc21155:
	s_add_u32 s14, s14, (.LBB2_12944-.Lpost_getpc21155)&4294967295
	s_addc_u32 s15, s15, (.LBB2_12944-.Lpost_getpc21155)>>32
	s_setpc_b64 s[14:15]
.LBB2_27281:
	s_movk_i32 s4, 0x80
	v_cmp_eq_u16_e32 vcc, s4, v13
	s_mov_b64 s[4:5], -1
                                        ; implicit-def: $sgpr10
	s_and_saveexec_b64 s[8:9], vcc
; %bb.27282:
	s_mov_b32 s10, 0x7f800001
	s_xor_b64 s[4:5], exec, -1
; %bb.27283:
	s_or_b64 exec, exec, s[8:9]
	s_and_b64 s[4:5], s[4:5], exec
                                        ; implicit-def: $vgpr13
	s_or_saveexec_b64 s[6:7], s[6:7]
	v_mov_b32_e32 v12, s10
	s_xor_b64 exec, exec, s[6:7]
	s_cbranch_execnz .LBB2_27284
; %bb.63121:
	s_getpc_b64 s[14:15]
.Lpost_getpc35144:
	s_add_u32 s14, s14, (.LBB2_12946-.Lpost_getpc35144)&4294967295
	s_addc_u32 s15, s15, (.LBB2_12946-.Lpost_getpc35144)>>32
	s_setpc_b64 s[14:15]
.LBB2_27284:
	v_cmp_ne_u16_e32 vcc, 0, v13
	s_andn2_b64 s[4:5], s[4:5], exec
	s_and_b64 s[8:9], vcc, exec
	v_mov_b32_e32 v12, 0
	s_or_b64 s[4:5], s[4:5], s[8:9]
	s_or_b64 exec, exec, s[6:7]
	s_and_saveexec_b64 s[6:7], s[4:5]
	s_cbranch_execz .LBB2_35145
; %bb.63123:
	s_getpc_b64 s[14:15]
.Lpost_getpc35145:
	s_add_u32 s14, s14, (.LBB2_12947-.Lpost_getpc35145)&4294967295
	s_addc_u32 s15, s15, (.LBB2_12947-.Lpost_getpc35145)>>32
	s_setpc_b64 s[14:15]
.LBB2_35145:
	s_getpc_b64 s[14:15]
.Lpost_getpc21156:
	s_add_u32 s14, s14, (.LBB2_12948-.Lpost_getpc21156)&4294967295
	s_addc_u32 s15, s15, (.LBB2_12948-.Lpost_getpc21156)>>32
	s_setpc_b64 s[14:15]
.LBB2_27285:
	s_movk_i32 s4, 0x80
	v_cmp_eq_u16_e32 vcc, s4, v13
	s_mov_b64 s[4:5], -1
                                        ; implicit-def: $sgpr10
	s_and_saveexec_b64 s[8:9], vcc
; %bb.27286:
	s_mov_b32 s10, 0x7f800001
	s_xor_b64 s[4:5], exec, -1
; %bb.27287:
	s_or_b64 exec, exec, s[8:9]
	s_and_b64 s[4:5], s[4:5], exec
                                        ; implicit-def: $vgpr13
	s_or_saveexec_b64 s[6:7], s[6:7]
	v_mov_b32_e32 v14, s10
	s_xor_b64 exec, exec, s[6:7]
	s_cbranch_execnz .LBB2_27288
; %bb.63125:
	s_getpc_b64 s[14:15]
.Lpost_getpc35146:
	s_add_u32 s14, s14, (.LBB2_12950-.Lpost_getpc35146)&4294967295
	s_addc_u32 s15, s15, (.LBB2_12950-.Lpost_getpc35146)>>32
	s_setpc_b64 s[14:15]
.LBB2_27288:
	v_cmp_ne_u16_e32 vcc, 0, v13
	s_andn2_b64 s[4:5], s[4:5], exec
	s_and_b64 s[8:9], vcc, exec
	v_mov_b32_e32 v14, 0
	s_or_b64 s[4:5], s[4:5], s[8:9]
	s_or_b64 exec, exec, s[6:7]
	s_and_saveexec_b64 s[6:7], s[4:5]
	s_cbranch_execz .LBB2_35147
; %bb.63127:
	s_getpc_b64 s[14:15]
.Lpost_getpc35147:
	s_add_u32 s14, s14, (.LBB2_12951-.Lpost_getpc35147)&4294967295
	s_addc_u32 s15, s15, (.LBB2_12951-.Lpost_getpc35147)>>32
	s_setpc_b64 s[14:15]
.LBB2_35147:
	s_getpc_b64 s[14:15]
.Lpost_getpc21157:
	s_add_u32 s14, s14, (.LBB2_12952-.Lpost_getpc21157)&4294967295
	s_addc_u32 s15, s15, (.LBB2_12952-.Lpost_getpc21157)>>32
	s_setpc_b64 s[14:15]
.LBB2_27289:
	s_movk_i32 s4, 0x80
	v_cmp_eq_u16_sdwa s[12:13], v6, s4 src0_sel:BYTE_3 src1_sel:DWORD
	s_mov_b64 s[4:5], -1
                                        ; implicit-def: $sgpr10
	s_and_saveexec_b64 s[8:9], s[12:13]
; %bb.27290:
	s_mov_b32 s10, 0x7f800001
	s_xor_b64 s[4:5], exec, -1
; %bb.27291:
	s_or_b64 exec, exec, s[8:9]
	s_and_b64 s[4:5], s[4:5], exec
	s_or_saveexec_b64 s[6:7], s[6:7]
	v_mov_b32_e32 v12, s10
	s_xor_b64 exec, exec, s[6:7]
	s_cbranch_execnz .LBB2_27292
; %bb.63129:
	s_getpc_b64 s[14:15]
.Lpost_getpc35148:
	s_add_u32 s14, s14, (.LBB2_12954-.Lpost_getpc35148)&4294967295
	s_addc_u32 s15, s15, (.LBB2_12954-.Lpost_getpc35148)>>32
	s_setpc_b64 s[14:15]
.LBB2_27292:
	v_mov_b32_e32 v12, 0
	v_cmp_ne_u16_sdwa s[8:9], v6, v12 src0_sel:BYTE_3 src1_sel:DWORD
	s_andn2_b64 s[4:5], s[4:5], exec
	s_and_b64 s[8:9], s[8:9], exec
	s_or_b64 s[4:5], s[4:5], s[8:9]
	s_or_b64 exec, exec, s[6:7]
	s_and_saveexec_b64 s[6:7], s[4:5]
	s_cbranch_execz .LBB2_35149
; %bb.63131:
	s_getpc_b64 s[14:15]
.Lpost_getpc35149:
	s_add_u32 s14, s14, (.LBB2_12955-.Lpost_getpc35149)&4294967295
	s_addc_u32 s15, s15, (.LBB2_12955-.Lpost_getpc35149)>>32
	s_setpc_b64 s[14:15]
.LBB2_35149:
	s_getpc_b64 s[14:15]
.Lpost_getpc21158:
	s_add_u32 s14, s14, (.LBB2_12956-.Lpost_getpc21158)&4294967295
	s_addc_u32 s15, s15, (.LBB2_12956-.Lpost_getpc21158)>>32
	s_setpc_b64 s[14:15]
.LBB2_27293:
	s_movk_i32 s4, 0x80
	v_cmp_eq_u16_sdwa s[12:13], v2, s4 src0_sel:BYTE_3 src1_sel:DWORD
	s_mov_b64 s[4:5], -1
                                        ; implicit-def: $sgpr10
	s_and_saveexec_b64 s[8:9], s[12:13]
; %bb.27294:
	s_mov_b32 s10, 0x7f800001
	s_xor_b64 s[4:5], exec, -1
; %bb.27295:
	s_or_b64 exec, exec, s[8:9]
	s_and_b64 s[4:5], s[4:5], exec
	s_or_saveexec_b64 s[6:7], s[6:7]
	v_mov_b32_e32 v6, s10
	s_xor_b64 exec, exec, s[6:7]
	s_cbranch_execnz .LBB2_27296
; %bb.63133:
	s_getpc_b64 s[14:15]
.Lpost_getpc35150:
	s_add_u32 s14, s14, (.LBB2_12958-.Lpost_getpc35150)&4294967295
	s_addc_u32 s15, s15, (.LBB2_12958-.Lpost_getpc35150)>>32
	s_setpc_b64 s[14:15]
.LBB2_27296:
	v_mov_b32_e32 v6, 0
	v_cmp_ne_u16_sdwa s[8:9], v2, v6 src0_sel:BYTE_3 src1_sel:DWORD
	s_andn2_b64 s[4:5], s[4:5], exec
	s_and_b64 s[8:9], s[8:9], exec
	s_or_b64 s[4:5], s[4:5], s[8:9]
	s_or_b64 exec, exec, s[6:7]
	s_and_saveexec_b64 s[6:7], s[4:5]
	s_cbranch_execz .LBB2_35151
; %bb.63135:
	s_getpc_b64 s[14:15]
.Lpost_getpc35151:
	s_add_u32 s14, s14, (.LBB2_12959-.Lpost_getpc35151)&4294967295
	s_addc_u32 s15, s15, (.LBB2_12959-.Lpost_getpc35151)>>32
	s_setpc_b64 s[14:15]
.LBB2_35151:
	s_getpc_b64 s[14:15]
.Lpost_getpc21159:
	s_add_u32 s14, s14, (.LBB2_12960-.Lpost_getpc21159)&4294967295
	s_addc_u32 s15, s15, (.LBB2_12960-.Lpost_getpc21159)>>32
	s_setpc_b64 s[14:15]
.LBB2_27297:
	s_movk_i32 s4, 0x80
	v_cmp_eq_u16_sdwa s[12:13], v7, s4 src0_sel:BYTE_0 src1_sel:DWORD
	s_mov_b64 s[4:5], -1
                                        ; implicit-def: $sgpr10
	s_and_saveexec_b64 s[8:9], s[12:13]
; %bb.27298:
	s_mov_b32 s10, 0x7f800001
	s_xor_b64 s[4:5], exec, -1
; %bb.27299:
	s_or_b64 exec, exec, s[8:9]
	s_and_b64 s[4:5], s[4:5], exec
	s_or_saveexec_b64 s[6:7], s[6:7]
	v_mov_b32_e32 v2, s10
	s_xor_b64 exec, exec, s[6:7]
	s_cbranch_execnz .LBB2_27300
; %bb.63137:
	s_getpc_b64 s[14:15]
.Lpost_getpc35152:
	s_add_u32 s14, s14, (.LBB2_12962-.Lpost_getpc35152)&4294967295
	s_addc_u32 s15, s15, (.LBB2_12962-.Lpost_getpc35152)>>32
	s_setpc_b64 s[14:15]
.LBB2_27300:
	v_mov_b32_e32 v2, 0
	v_cmp_ne_u16_sdwa s[8:9], v7, v2 src0_sel:BYTE_0 src1_sel:DWORD
	s_andn2_b64 s[4:5], s[4:5], exec
	s_and_b64 s[8:9], s[8:9], exec
	s_or_b64 s[4:5], s[4:5], s[8:9]
	s_or_b64 exec, exec, s[6:7]
	s_and_saveexec_b64 s[6:7], s[4:5]
	s_cbranch_execz .LBB2_35153
; %bb.63139:
	s_getpc_b64 s[14:15]
.Lpost_getpc35153:
	s_add_u32 s14, s14, (.LBB2_12963-.Lpost_getpc35153)&4294967295
	s_addc_u32 s15, s15, (.LBB2_12963-.Lpost_getpc35153)>>32
	s_setpc_b64 s[14:15]
.LBB2_35153:
	s_getpc_b64 s[14:15]
.Lpost_getpc21160:
	s_add_u32 s14, s14, (.LBB2_12964-.Lpost_getpc21160)&4294967295
	s_addc_u32 s15, s15, (.LBB2_12964-.Lpost_getpc21160)>>32
	s_setpc_b64 s[14:15]
.LBB2_27301:
	s_movk_i32 s4, 0x80
	v_cmp_eq_u16_sdwa s[12:13], v3, s4 src0_sel:BYTE_0 src1_sel:DWORD
	s_mov_b64 s[4:5], -1
                                        ; implicit-def: $sgpr10
	s_and_saveexec_b64 s[8:9], s[12:13]
; %bb.27302:
	s_mov_b32 s10, 0x7f800001
	s_xor_b64 s[4:5], exec, -1
; %bb.27303:
	s_or_b64 exec, exec, s[8:9]
	s_and_b64 s[4:5], s[4:5], exec
	s_or_saveexec_b64 s[6:7], s[6:7]
	v_mov_b32_e32 v6, s10
	s_xor_b64 exec, exec, s[6:7]
	s_cbranch_execnz .LBB2_27304
; %bb.63141:
	s_getpc_b64 s[14:15]
.Lpost_getpc35154:
	s_add_u32 s14, s14, (.LBB2_12966-.Lpost_getpc35154)&4294967295
	s_addc_u32 s15, s15, (.LBB2_12966-.Lpost_getpc35154)>>32
	s_setpc_b64 s[14:15]
.LBB2_27304:
	v_mov_b32_e32 v6, 0
	v_cmp_ne_u16_sdwa s[8:9], v3, v6 src0_sel:BYTE_0 src1_sel:DWORD
	s_andn2_b64 s[4:5], s[4:5], exec
	s_and_b64 s[8:9], s[8:9], exec
	s_or_b64 s[4:5], s[4:5], s[8:9]
	s_or_b64 exec, exec, s[6:7]
	s_and_saveexec_b64 s[6:7], s[4:5]
	s_cbranch_execz .LBB2_35155
; %bb.63143:
	s_getpc_b64 s[14:15]
.Lpost_getpc35155:
	s_add_u32 s14, s14, (.LBB2_12967-.Lpost_getpc35155)&4294967295
	s_addc_u32 s15, s15, (.LBB2_12967-.Lpost_getpc35155)>>32
	s_setpc_b64 s[14:15]
.LBB2_35155:
	s_getpc_b64 s[14:15]
.Lpost_getpc21161:
	s_add_u32 s14, s14, (.LBB2_12968-.Lpost_getpc21161)&4294967295
	s_addc_u32 s15, s15, (.LBB2_12968-.Lpost_getpc21161)>>32
	s_setpc_b64 s[14:15]
.LBB2_27305:
	s_movk_i32 s4, 0x80
	v_cmp_eq_u16_sdwa s[12:13], v6, s4 src0_sel:BYTE_0 src1_sel:DWORD
	s_mov_b64 s[4:5], -1
                                        ; implicit-def: $sgpr10
	s_and_saveexec_b64 s[8:9], s[12:13]
; %bb.27306:
	s_mov_b32 s10, 0x7f800001
	s_xor_b64 s[4:5], exec, -1
; %bb.27307:
	s_or_b64 exec, exec, s[8:9]
	s_and_b64 s[4:5], s[4:5], exec
	s_or_saveexec_b64 s[6:7], s[6:7]
	v_mov_b32_e32 v2, s10
	s_xor_b64 exec, exec, s[6:7]
	s_cbranch_execnz .LBB2_27308
; %bb.63145:
	s_getpc_b64 s[14:15]
.Lpost_getpc35156:
	s_add_u32 s14, s14, (.LBB2_12970-.Lpost_getpc35156)&4294967295
	s_addc_u32 s15, s15, (.LBB2_12970-.Lpost_getpc35156)>>32
	s_setpc_b64 s[14:15]
.LBB2_27308:
	v_mov_b32_e32 v2, 0
	v_cmp_ne_u16_sdwa s[8:9], v6, v2 src0_sel:BYTE_0 src1_sel:DWORD
	s_andn2_b64 s[4:5], s[4:5], exec
	s_and_b64 s[8:9], s[8:9], exec
	s_or_b64 s[4:5], s[4:5], s[8:9]
	s_or_b64 exec, exec, s[6:7]
	s_and_saveexec_b64 s[6:7], s[4:5]
	s_cbranch_execz .LBB2_35157
; %bb.63147:
	s_getpc_b64 s[14:15]
.Lpost_getpc35157:
	s_add_u32 s14, s14, (.LBB2_12971-.Lpost_getpc35157)&4294967295
	s_addc_u32 s15, s15, (.LBB2_12971-.Lpost_getpc35157)>>32
	s_setpc_b64 s[14:15]
.LBB2_35157:
	s_getpc_b64 s[14:15]
.Lpost_getpc21162:
	s_add_u32 s14, s14, (.LBB2_12972-.Lpost_getpc21162)&4294967295
	s_addc_u32 s15, s15, (.LBB2_12972-.Lpost_getpc21162)>>32
	s_setpc_b64 s[14:15]
.LBB2_27309:
	s_movk_i32 s4, 0x80
	v_cmp_eq_u16_sdwa s[12:13], v6, s4 src0_sel:BYTE_0 src1_sel:DWORD
	s_mov_b64 s[4:5], -1
                                        ; implicit-def: $sgpr10
	s_and_saveexec_b64 s[8:9], s[12:13]
; %bb.27310:
	s_mov_b32 s10, 0x7f800001
	s_xor_b64 s[4:5], exec, -1
; %bb.27311:
	s_or_b64 exec, exec, s[8:9]
	s_and_b64 s[4:5], s[4:5], exec
	s_or_saveexec_b64 s[6:7], s[6:7]
	v_mov_b32_e32 v12, s10
	s_xor_b64 exec, exec, s[6:7]
	s_cbranch_execnz .LBB2_27312
; %bb.63149:
	s_getpc_b64 s[14:15]
.Lpost_getpc35158:
	s_add_u32 s14, s14, (.LBB2_12974-.Lpost_getpc35158)&4294967295
	s_addc_u32 s15, s15, (.LBB2_12974-.Lpost_getpc35158)>>32
	s_setpc_b64 s[14:15]
.LBB2_27312:
	v_mov_b32_e32 v12, 0
	v_cmp_ne_u16_sdwa s[8:9], v6, v12 src0_sel:BYTE_0 src1_sel:DWORD
	s_andn2_b64 s[4:5], s[4:5], exec
	s_and_b64 s[8:9], s[8:9], exec
	s_or_b64 s[4:5], s[4:5], s[8:9]
	s_or_b64 exec, exec, s[6:7]
	s_and_saveexec_b64 s[6:7], s[4:5]
	s_cbranch_execz .LBB2_35159
; %bb.63151:
	s_getpc_b64 s[14:15]
.Lpost_getpc35159:
	s_add_u32 s14, s14, (.LBB2_12975-.Lpost_getpc35159)&4294967295
	s_addc_u32 s15, s15, (.LBB2_12975-.Lpost_getpc35159)>>32
	s_setpc_b64 s[14:15]
.LBB2_35159:
	s_getpc_b64 s[14:15]
.Lpost_getpc21163:
	s_add_u32 s14, s14, (.LBB2_12976-.Lpost_getpc21163)&4294967295
	s_addc_u32 s15, s15, (.LBB2_12976-.Lpost_getpc21163)>>32
	s_setpc_b64 s[14:15]
.LBB2_27313:
	s_movk_i32 s4, 0x80
	v_cmp_eq_u16_e32 vcc, s4, v6
	s_mov_b64 s[4:5], -1
                                        ; implicit-def: $sgpr10
	s_and_saveexec_b64 s[8:9], vcc
; %bb.27314:
	s_mov_b32 s10, 0x7f800001
	s_xor_b64 s[4:5], exec, -1
; %bb.27315:
	s_or_b64 exec, exec, s[8:9]
	s_and_b64 s[4:5], s[4:5], exec
                                        ; implicit-def: $vgpr6
	s_or_saveexec_b64 s[6:7], s[6:7]
	v_mov_b32_e32 v2, s10
	s_xor_b64 exec, exec, s[6:7]
	s_cbranch_execnz .LBB2_27316
; %bb.63153:
	s_getpc_b64 s[14:15]
.Lpost_getpc35160:
	s_add_u32 s14, s14, (.LBB2_12978-.Lpost_getpc35160)&4294967295
	s_addc_u32 s15, s15, (.LBB2_12978-.Lpost_getpc35160)>>32
	s_setpc_b64 s[14:15]
.LBB2_27316:
	v_cmp_ne_u16_e32 vcc, 0, v6
	s_andn2_b64 s[4:5], s[4:5], exec
	s_and_b64 s[8:9], vcc, exec
	v_mov_b32_e32 v2, 0
	s_or_b64 s[4:5], s[4:5], s[8:9]
	s_or_b64 exec, exec, s[6:7]
	s_and_saveexec_b64 s[6:7], s[4:5]
	s_cbranch_execz .LBB2_35161
; %bb.63155:
	s_getpc_b64 s[14:15]
.Lpost_getpc35161:
	s_add_u32 s14, s14, (.LBB2_12979-.Lpost_getpc35161)&4294967295
	s_addc_u32 s15, s15, (.LBB2_12979-.Lpost_getpc35161)>>32
	s_setpc_b64 s[14:15]
.LBB2_35161:
	s_getpc_b64 s[14:15]
.Lpost_getpc21164:
	s_add_u32 s14, s14, (.LBB2_12980-.Lpost_getpc21164)&4294967295
	s_addc_u32 s15, s15, (.LBB2_12980-.Lpost_getpc21164)>>32
	s_setpc_b64 s[14:15]
.LBB2_27317:
	s_movk_i32 s4, 0x80
	v_cmp_eq_u16_e32 vcc, s4, v6
	s_mov_b64 s[4:5], -1
                                        ; implicit-def: $sgpr10
	s_and_saveexec_b64 s[8:9], vcc
; %bb.27318:
	s_mov_b32 s10, 0x7f800001
	s_xor_b64 s[4:5], exec, -1
; %bb.27319:
	s_or_b64 exec, exec, s[8:9]
	s_and_b64 s[4:5], s[4:5], exec
                                        ; implicit-def: $vgpr6
	s_or_saveexec_b64 s[6:7], s[6:7]
	v_mov_b32_e32 v12, s10
	s_xor_b64 exec, exec, s[6:7]
	s_cbranch_execnz .LBB2_27320
; %bb.63157:
	s_getpc_b64 s[14:15]
.Lpost_getpc35162:
	s_add_u32 s14, s14, (.LBB2_12982-.Lpost_getpc35162)&4294967295
	s_addc_u32 s15, s15, (.LBB2_12982-.Lpost_getpc35162)>>32
	s_setpc_b64 s[14:15]
.LBB2_27320:
	v_cmp_ne_u16_e32 vcc, 0, v6
	s_andn2_b64 s[4:5], s[4:5], exec
	s_and_b64 s[8:9], vcc, exec
	v_mov_b32_e32 v12, 0
	s_or_b64 s[4:5], s[4:5], s[8:9]
	s_or_b64 exec, exec, s[6:7]
	s_and_saveexec_b64 s[6:7], s[4:5]
	s_cbranch_execz .LBB2_35163
; %bb.63159:
	s_getpc_b64 s[14:15]
.Lpost_getpc35163:
	s_add_u32 s14, s14, (.LBB2_12983-.Lpost_getpc35163)&4294967295
	s_addc_u32 s15, s15, (.LBB2_12983-.Lpost_getpc35163)>>32
	s_setpc_b64 s[14:15]
.LBB2_35163:
	s_getpc_b64 s[14:15]
.Lpost_getpc21165:
	s_add_u32 s14, s14, (.LBB2_12984-.Lpost_getpc21165)&4294967295
	s_addc_u32 s15, s15, (.LBB2_12984-.Lpost_getpc21165)>>32
	s_setpc_b64 s[14:15]
.LBB2_27321:
	s_movk_i32 s4, 0x80
	v_cmp_eq_u16_sdwa s[12:13], v7, s4 src0_sel:BYTE_3 src1_sel:DWORD
	s_mov_b64 s[4:5], -1
                                        ; implicit-def: $sgpr10
	s_and_saveexec_b64 s[8:9], s[12:13]
; %bb.27322:
	s_mov_b32 s10, 0x7f800001
	s_xor_b64 s[4:5], exec, -1
; %bb.27323:
	s_or_b64 exec, exec, s[8:9]
	s_and_b64 s[4:5], s[4:5], exec
	s_or_saveexec_b64 s[6:7], s[6:7]
	v_mov_b32_e32 v2, s10
	s_xor_b64 exec, exec, s[6:7]
	s_cbranch_execnz .LBB2_27324
; %bb.63161:
	s_getpc_b64 s[14:15]
.Lpost_getpc35164:
	s_add_u32 s14, s14, (.LBB2_12986-.Lpost_getpc35164)&4294967295
	s_addc_u32 s15, s15, (.LBB2_12986-.Lpost_getpc35164)>>32
	s_setpc_b64 s[14:15]
.LBB2_27324:
	v_mov_b32_e32 v2, 0
	v_cmp_ne_u16_sdwa s[8:9], v7, v2 src0_sel:BYTE_3 src1_sel:DWORD
	s_andn2_b64 s[4:5], s[4:5], exec
	s_and_b64 s[8:9], s[8:9], exec
	s_or_b64 s[4:5], s[4:5], s[8:9]
	s_or_b64 exec, exec, s[6:7]
	s_and_saveexec_b64 s[6:7], s[4:5]
	s_cbranch_execz .LBB2_35165
; %bb.63163:
	s_getpc_b64 s[14:15]
.Lpost_getpc35165:
	s_add_u32 s14, s14, (.LBB2_12987-.Lpost_getpc35165)&4294967295
	s_addc_u32 s15, s15, (.LBB2_12987-.Lpost_getpc35165)>>32
	s_setpc_b64 s[14:15]
.LBB2_35165:
	s_getpc_b64 s[14:15]
.Lpost_getpc21166:
	s_add_u32 s14, s14, (.LBB2_12988-.Lpost_getpc21166)&4294967295
	s_addc_u32 s15, s15, (.LBB2_12988-.Lpost_getpc21166)>>32
	s_setpc_b64 s[14:15]
.LBB2_27325:
	s_movk_i32 s4, 0x80
	v_cmp_eq_u16_sdwa s[12:13], v3, s4 src0_sel:BYTE_3 src1_sel:DWORD
	s_mov_b64 s[4:5], -1
                                        ; implicit-def: $sgpr10
	s_and_saveexec_b64 s[8:9], s[12:13]
; %bb.27326:
	s_mov_b32 s10, 0x7f800001
	s_xor_b64 s[4:5], exec, -1
; %bb.27327:
	s_or_b64 exec, exec, s[8:9]
	s_and_b64 s[4:5], s[4:5], exec
	s_or_saveexec_b64 s[6:7], s[6:7]
	v_mov_b32_e32 v6, s10
	s_xor_b64 exec, exec, s[6:7]
	s_cbranch_execnz .LBB2_27328
; %bb.63165:
	s_getpc_b64 s[14:15]
.Lpost_getpc35166:
	s_add_u32 s14, s14, (.LBB2_12990-.Lpost_getpc35166)&4294967295
	s_addc_u32 s15, s15, (.LBB2_12990-.Lpost_getpc35166)>>32
	s_setpc_b64 s[14:15]
.LBB2_27328:
	v_mov_b32_e32 v6, 0
	v_cmp_ne_u16_sdwa s[8:9], v3, v6 src0_sel:BYTE_3 src1_sel:DWORD
	s_andn2_b64 s[4:5], s[4:5], exec
	s_and_b64 s[8:9], s[8:9], exec
	s_or_b64 s[4:5], s[4:5], s[8:9]
	s_or_b64 exec, exec, s[6:7]
	s_and_saveexec_b64 s[6:7], s[4:5]
	s_cbranch_execz .LBB2_35167
; %bb.63167:
	s_getpc_b64 s[14:15]
.Lpost_getpc35167:
	s_add_u32 s14, s14, (.LBB2_12991-.Lpost_getpc35167)&4294967295
	s_addc_u32 s15, s15, (.LBB2_12991-.Lpost_getpc35167)>>32
	s_setpc_b64 s[14:15]
.LBB2_35167:
	s_getpc_b64 s[14:15]
.Lpost_getpc21167:
	s_add_u32 s14, s14, (.LBB2_12992-.Lpost_getpc21167)&4294967295
	s_addc_u32 s15, s15, (.LBB2_12992-.Lpost_getpc21167)>>32
	s_setpc_b64 s[14:15]
.LBB2_27329:
	s_movk_i32 s4, 0x80
	v_cmp_eq_u16_sdwa s[12:13], v8, s4 src0_sel:BYTE_0 src1_sel:DWORD
	s_mov_b64 s[4:5], -1
                                        ; implicit-def: $sgpr10
	s_and_saveexec_b64 s[8:9], s[12:13]
; %bb.27330:
	s_mov_b32 s10, 0x7f800001
	s_xor_b64 s[4:5], exec, -1
; %bb.27331:
	s_or_b64 exec, exec, s[8:9]
	s_and_b64 s[4:5], s[4:5], exec
	s_or_saveexec_b64 s[6:7], s[6:7]
	v_mov_b32_e32 v2, s10
	s_xor_b64 exec, exec, s[6:7]
	s_cbranch_execnz .LBB2_27332
; %bb.63169:
	s_getpc_b64 s[14:15]
.Lpost_getpc35168:
	s_add_u32 s14, s14, (.LBB2_12994-.Lpost_getpc35168)&4294967295
	s_addc_u32 s15, s15, (.LBB2_12994-.Lpost_getpc35168)>>32
	s_setpc_b64 s[14:15]
.LBB2_27332:
	v_mov_b32_e32 v2, 0
	v_cmp_ne_u16_sdwa s[8:9], v8, v2 src0_sel:BYTE_0 src1_sel:DWORD
	s_andn2_b64 s[4:5], s[4:5], exec
	s_and_b64 s[8:9], s[8:9], exec
	s_or_b64 s[4:5], s[4:5], s[8:9]
	s_or_b64 exec, exec, s[6:7]
	s_and_saveexec_b64 s[6:7], s[4:5]
	s_cbranch_execz .LBB2_35169
; %bb.63171:
	s_getpc_b64 s[14:15]
.Lpost_getpc35169:
	s_add_u32 s14, s14, (.LBB2_12995-.Lpost_getpc35169)&4294967295
	s_addc_u32 s15, s15, (.LBB2_12995-.Lpost_getpc35169)>>32
	s_setpc_b64 s[14:15]
.LBB2_35169:
	s_getpc_b64 s[14:15]
.Lpost_getpc21168:
	s_add_u32 s14, s14, (.LBB2_12996-.Lpost_getpc21168)&4294967295
	s_addc_u32 s15, s15, (.LBB2_12996-.Lpost_getpc21168)>>32
	s_setpc_b64 s[14:15]
.LBB2_27333:
	s_movk_i32 s4, 0x80
	v_cmp_eq_u16_sdwa s[12:13], v4, s4 src0_sel:BYTE_0 src1_sel:DWORD
	s_mov_b64 s[4:5], -1
                                        ; implicit-def: $sgpr10
	s_and_saveexec_b64 s[8:9], s[12:13]
; %bb.27334:
	s_mov_b32 s10, 0x7f800001
	s_xor_b64 s[4:5], exec, -1
; %bb.27335:
	s_or_b64 exec, exec, s[8:9]
	s_and_b64 s[4:5], s[4:5], exec
	s_or_saveexec_b64 s[6:7], s[6:7]
	v_mov_b32_e32 v3, s10
	s_xor_b64 exec, exec, s[6:7]
	s_cbranch_execnz .LBB2_27336
; %bb.63173:
	s_getpc_b64 s[14:15]
.Lpost_getpc35170:
	s_add_u32 s14, s14, (.LBB2_12998-.Lpost_getpc35170)&4294967295
	s_addc_u32 s15, s15, (.LBB2_12998-.Lpost_getpc35170)>>32
	s_setpc_b64 s[14:15]
.LBB2_27336:
	v_mov_b32_e32 v3, 0
	v_cmp_ne_u16_sdwa s[8:9], v4, v3 src0_sel:BYTE_0 src1_sel:DWORD
	s_andn2_b64 s[4:5], s[4:5], exec
	s_and_b64 s[8:9], s[8:9], exec
	s_or_b64 s[4:5], s[4:5], s[8:9]
	s_or_b64 exec, exec, s[6:7]
	s_and_saveexec_b64 s[6:7], s[4:5]
	s_cbranch_execz .LBB2_35171
; %bb.63175:
	s_getpc_b64 s[14:15]
.Lpost_getpc35171:
	s_add_u32 s14, s14, (.LBB2_12999-.Lpost_getpc35171)&4294967295
	s_addc_u32 s15, s15, (.LBB2_12999-.Lpost_getpc35171)>>32
	s_setpc_b64 s[14:15]
.LBB2_35171:
	s_getpc_b64 s[14:15]
.Lpost_getpc21169:
	s_add_u32 s14, s14, (.LBB2_13000-.Lpost_getpc21169)&4294967295
	s_addc_u32 s15, s15, (.LBB2_13000-.Lpost_getpc21169)>>32
	s_setpc_b64 s[14:15]
.LBB2_27337:
	s_movk_i32 s4, 0x80
	v_cmp_eq_u16_sdwa s[12:13], v3, s4 src0_sel:BYTE_0 src1_sel:DWORD
	s_mov_b64 s[4:5], -1
                                        ; implicit-def: $sgpr10
	s_and_saveexec_b64 s[8:9], s[12:13]
; %bb.27338:
	s_mov_b32 s10, 0x7f800001
	s_xor_b64 s[4:5], exec, -1
; %bb.27339:
	s_or_b64 exec, exec, s[8:9]
	s_and_b64 s[4:5], s[4:5], exec
	s_or_saveexec_b64 s[6:7], s[6:7]
	v_mov_b32_e32 v2, s10
	s_xor_b64 exec, exec, s[6:7]
	s_cbranch_execnz .LBB2_27340
; %bb.63177:
	s_getpc_b64 s[14:15]
.Lpost_getpc35172:
	s_add_u32 s14, s14, (.LBB2_13002-.Lpost_getpc35172)&4294967295
	s_addc_u32 s15, s15, (.LBB2_13002-.Lpost_getpc35172)>>32
	s_setpc_b64 s[14:15]
.LBB2_27340:
	v_mov_b32_e32 v2, 0
	v_cmp_ne_u16_sdwa s[8:9], v3, v2 src0_sel:BYTE_0 src1_sel:DWORD
	s_andn2_b64 s[4:5], s[4:5], exec
	s_and_b64 s[8:9], s[8:9], exec
	s_or_b64 s[4:5], s[4:5], s[8:9]
	s_or_b64 exec, exec, s[6:7]
	s_and_saveexec_b64 s[6:7], s[4:5]
	s_cbranch_execz .LBB2_35173
; %bb.63179:
	s_getpc_b64 s[14:15]
.Lpost_getpc35173:
	s_add_u32 s14, s14, (.LBB2_13003-.Lpost_getpc35173)&4294967295
	s_addc_u32 s15, s15, (.LBB2_13003-.Lpost_getpc35173)>>32
	s_setpc_b64 s[14:15]
.LBB2_35173:
	s_getpc_b64 s[14:15]
.Lpost_getpc21170:
	s_add_u32 s14, s14, (.LBB2_13004-.Lpost_getpc21170)&4294967295
	s_addc_u32 s15, s15, (.LBB2_13004-.Lpost_getpc21170)>>32
	s_setpc_b64 s[14:15]
.LBB2_27341:
	s_movk_i32 s4, 0x80
	v_cmp_eq_u16_sdwa s[12:13], v3, s4 src0_sel:BYTE_0 src1_sel:DWORD
	s_mov_b64 s[4:5], -1
                                        ; implicit-def: $sgpr10
	s_and_saveexec_b64 s[8:9], s[12:13]
; %bb.27342:
	s_mov_b32 s10, 0x7f800001
	s_xor_b64 s[4:5], exec, -1
; %bb.27343:
	s_or_b64 exec, exec, s[8:9]
	s_and_b64 s[4:5], s[4:5], exec
	s_or_saveexec_b64 s[6:7], s[6:7]
	v_mov_b32_e32 v6, s10
	s_xor_b64 exec, exec, s[6:7]
	s_cbranch_execnz .LBB2_27344
; %bb.63181:
	s_getpc_b64 s[14:15]
.Lpost_getpc35174:
	s_add_u32 s14, s14, (.LBB2_13006-.Lpost_getpc35174)&4294967295
	s_addc_u32 s15, s15, (.LBB2_13006-.Lpost_getpc35174)>>32
	s_setpc_b64 s[14:15]
.LBB2_27344:
	v_mov_b32_e32 v6, 0
	v_cmp_ne_u16_sdwa s[8:9], v3, v6 src0_sel:BYTE_0 src1_sel:DWORD
	s_andn2_b64 s[4:5], s[4:5], exec
	s_and_b64 s[8:9], s[8:9], exec
	s_or_b64 s[4:5], s[4:5], s[8:9]
	s_or_b64 exec, exec, s[6:7]
	s_and_saveexec_b64 s[6:7], s[4:5]
	s_cbranch_execz .LBB2_35175
; %bb.63183:
	s_getpc_b64 s[14:15]
.Lpost_getpc35175:
	s_add_u32 s14, s14, (.LBB2_13007-.Lpost_getpc35175)&4294967295
	s_addc_u32 s15, s15, (.LBB2_13007-.Lpost_getpc35175)>>32
	s_setpc_b64 s[14:15]
.LBB2_35175:
	s_getpc_b64 s[14:15]
.Lpost_getpc21171:
	s_add_u32 s14, s14, (.LBB2_13008-.Lpost_getpc21171)&4294967295
	s_addc_u32 s15, s15, (.LBB2_13008-.Lpost_getpc21171)>>32
	s_setpc_b64 s[14:15]
.LBB2_27345:
	s_movk_i32 s4, 0x80
	v_cmp_eq_u16_e32 vcc, s4, v3
	s_mov_b64 s[4:5], -1
                                        ; implicit-def: $sgpr10
	s_and_saveexec_b64 s[8:9], vcc
; %bb.27346:
	s_mov_b32 s10, 0x7f800001
	s_xor_b64 s[4:5], exec, -1
; %bb.27347:
	s_or_b64 exec, exec, s[8:9]
	s_and_b64 s[4:5], s[4:5], exec
                                        ; implicit-def: $vgpr3
	s_or_saveexec_b64 s[6:7], s[6:7]
	v_mov_b32_e32 v2, s10
	s_xor_b64 exec, exec, s[6:7]
	s_cbranch_execnz .LBB2_27348
; %bb.63185:
	s_getpc_b64 s[14:15]
.Lpost_getpc35176:
	s_add_u32 s14, s14, (.LBB2_13010-.Lpost_getpc35176)&4294967295
	s_addc_u32 s15, s15, (.LBB2_13010-.Lpost_getpc35176)>>32
	s_setpc_b64 s[14:15]
.LBB2_27348:
	v_cmp_ne_u16_e32 vcc, 0, v3
	s_andn2_b64 s[4:5], s[4:5], exec
	s_and_b64 s[8:9], vcc, exec
	v_mov_b32_e32 v2, 0
	s_or_b64 s[4:5], s[4:5], s[8:9]
	s_or_b64 exec, exec, s[6:7]
	s_and_saveexec_b64 s[6:7], s[4:5]
	s_cbranch_execz .LBB2_35177
; %bb.63187:
	s_getpc_b64 s[14:15]
.Lpost_getpc35177:
	s_add_u32 s14, s14, (.LBB2_13011-.Lpost_getpc35177)&4294967295
	s_addc_u32 s15, s15, (.LBB2_13011-.Lpost_getpc35177)>>32
	s_setpc_b64 s[14:15]
.LBB2_35177:
	s_getpc_b64 s[14:15]
.Lpost_getpc21172:
	s_add_u32 s14, s14, (.LBB2_13012-.Lpost_getpc21172)&4294967295
	s_addc_u32 s15, s15, (.LBB2_13012-.Lpost_getpc21172)>>32
	s_setpc_b64 s[14:15]
.LBB2_27349:
	s_movk_i32 s4, 0x80
	v_cmp_eq_u16_e32 vcc, s4, v3
	s_mov_b64 s[4:5], -1
                                        ; implicit-def: $sgpr10
	s_and_saveexec_b64 s[8:9], vcc
; %bb.27350:
	s_mov_b32 s10, 0x7f800001
	s_xor_b64 s[4:5], exec, -1
; %bb.27351:
	s_or_b64 exec, exec, s[8:9]
	s_and_b64 s[4:5], s[4:5], exec
                                        ; implicit-def: $vgpr3
	s_or_saveexec_b64 s[6:7], s[6:7]
	v_mov_b32_e32 v6, s10
	s_xor_b64 exec, exec, s[6:7]
	s_cbranch_execnz .LBB2_27352
; %bb.63189:
	s_getpc_b64 s[14:15]
.Lpost_getpc35178:
	s_add_u32 s14, s14, (.LBB2_13014-.Lpost_getpc35178)&4294967295
	s_addc_u32 s15, s15, (.LBB2_13014-.Lpost_getpc35178)>>32
	s_setpc_b64 s[14:15]
.LBB2_27352:
	v_cmp_ne_u16_e32 vcc, 0, v3
	s_andn2_b64 s[4:5], s[4:5], exec
	s_and_b64 s[8:9], vcc, exec
	v_mov_b32_e32 v6, 0
	s_or_b64 s[4:5], s[4:5], s[8:9]
	s_or_b64 exec, exec, s[6:7]
	s_and_saveexec_b64 s[6:7], s[4:5]
	s_cbranch_execz .LBB2_35179
; %bb.63191:
	s_getpc_b64 s[14:15]
.Lpost_getpc35179:
	s_add_u32 s14, s14, (.LBB2_13015-.Lpost_getpc35179)&4294967295
	s_addc_u32 s15, s15, (.LBB2_13015-.Lpost_getpc35179)>>32
	s_setpc_b64 s[14:15]
.LBB2_35179:
	s_getpc_b64 s[14:15]
.Lpost_getpc21173:
	s_add_u32 s14, s14, (.LBB2_13016-.Lpost_getpc21173)&4294967295
	s_addc_u32 s15, s15, (.LBB2_13016-.Lpost_getpc21173)>>32
	s_setpc_b64 s[14:15]
.LBB2_27353:
	s_movk_i32 s4, 0x80
	v_cmp_eq_u16_sdwa s[12:13], v8, s4 src0_sel:BYTE_3 src1_sel:DWORD
	s_mov_b64 s[4:5], -1
                                        ; implicit-def: $sgpr10
	s_and_saveexec_b64 s[8:9], s[12:13]
; %bb.27354:
	s_mov_b32 s10, 0x7f800001
	s_xor_b64 s[4:5], exec, -1
; %bb.27355:
	s_or_b64 exec, exec, s[8:9]
	s_and_b64 s[4:5], s[4:5], exec
	s_or_saveexec_b64 s[6:7], s[6:7]
	v_mov_b32_e32 v2, s10
	s_xor_b64 exec, exec, s[6:7]
	s_cbranch_execnz .LBB2_27356
; %bb.63193:
	s_getpc_b64 s[14:15]
.Lpost_getpc35180:
	s_add_u32 s14, s14, (.LBB2_13018-.Lpost_getpc35180)&4294967295
	s_addc_u32 s15, s15, (.LBB2_13018-.Lpost_getpc35180)>>32
	s_setpc_b64 s[14:15]
.LBB2_27356:
	v_mov_b32_e32 v2, 0
	v_cmp_ne_u16_sdwa s[8:9], v8, v2 src0_sel:BYTE_3 src1_sel:DWORD
	s_andn2_b64 s[4:5], s[4:5], exec
	s_and_b64 s[8:9], s[8:9], exec
	s_or_b64 s[4:5], s[4:5], s[8:9]
	s_or_b64 exec, exec, s[6:7]
	s_and_saveexec_b64 s[6:7], s[4:5]
	s_cbranch_execz .LBB2_35181
; %bb.63195:
	s_getpc_b64 s[14:15]
.Lpost_getpc35181:
	s_add_u32 s14, s14, (.LBB2_13019-.Lpost_getpc35181)&4294967295
	s_addc_u32 s15, s15, (.LBB2_13019-.Lpost_getpc35181)>>32
	s_setpc_b64 s[14:15]
.LBB2_35181:
	s_getpc_b64 s[14:15]
.Lpost_getpc21174:
	s_add_u32 s14, s14, (.LBB2_13020-.Lpost_getpc21174)&4294967295
	s_addc_u32 s15, s15, (.LBB2_13020-.Lpost_getpc21174)>>32
	s_setpc_b64 s[14:15]
.LBB2_27357:
	s_movk_i32 s4, 0x80
	v_cmp_eq_u16_sdwa s[12:13], v4, s4 src0_sel:BYTE_3 src1_sel:DWORD
	s_mov_b64 s[4:5], -1
                                        ; implicit-def: $sgpr10
	s_and_saveexec_b64 s[8:9], s[12:13]
; %bb.27358:
	s_mov_b32 s10, 0x7f800001
	s_xor_b64 s[4:5], exec, -1
; %bb.27359:
	s_or_b64 exec, exec, s[8:9]
	s_and_b64 s[4:5], s[4:5], exec
	s_or_saveexec_b64 s[6:7], s[6:7]
	v_mov_b32_e32 v3, s10
	s_xor_b64 exec, exec, s[6:7]
	s_cbranch_execnz .LBB2_27360
; %bb.63197:
	s_getpc_b64 s[14:15]
.Lpost_getpc35182:
	s_add_u32 s14, s14, (.LBB2_13022-.Lpost_getpc35182)&4294967295
	s_addc_u32 s15, s15, (.LBB2_13022-.Lpost_getpc35182)>>32
	s_setpc_b64 s[14:15]
.LBB2_27360:
	v_mov_b32_e32 v3, 0
	v_cmp_ne_u16_sdwa s[8:9], v4, v3 src0_sel:BYTE_3 src1_sel:DWORD
	s_andn2_b64 s[4:5], s[4:5], exec
	s_and_b64 s[8:9], s[8:9], exec
	s_or_b64 s[4:5], s[4:5], s[8:9]
	s_or_b64 exec, exec, s[6:7]
	s_and_saveexec_b64 s[6:7], s[4:5]
	s_cbranch_execz .LBB2_35183
; %bb.63199:
	s_getpc_b64 s[14:15]
.Lpost_getpc35183:
	s_add_u32 s14, s14, (.LBB2_13023-.Lpost_getpc35183)&4294967295
	s_addc_u32 s15, s15, (.LBB2_13023-.Lpost_getpc35183)>>32
	s_setpc_b64 s[14:15]
.LBB2_35183:
	s_getpc_b64 s[14:15]
.Lpost_getpc21175:
	s_add_u32 s14, s14, (.LBB2_13024-.Lpost_getpc21175)&4294967295
	s_addc_u32 s15, s15, (.LBB2_13024-.Lpost_getpc21175)>>32
	s_setpc_b64 s[14:15]
.LBB2_27361:
	s_movk_i32 s4, 0x80
	v_cmp_eq_u16_sdwa s[12:13], v9, s4 src0_sel:BYTE_0 src1_sel:DWORD
	s_mov_b64 s[4:5], -1
                                        ; implicit-def: $sgpr10
	s_and_saveexec_b64 s[8:9], s[12:13]
; %bb.27362:
	s_mov_b32 s10, 0x7f800001
	s_xor_b64 s[4:5], exec, -1
; %bb.27363:
	s_or_b64 exec, exec, s[8:9]
	s_and_b64 s[4:5], s[4:5], exec
	s_or_saveexec_b64 s[6:7], s[6:7]
	v_mov_b32_e32 v2, s10
	s_xor_b64 exec, exec, s[6:7]
	s_cbranch_execnz .LBB2_27364
; %bb.63201:
	s_getpc_b64 s[14:15]
.Lpost_getpc35184:
	s_add_u32 s14, s14, (.LBB2_13026-.Lpost_getpc35184)&4294967295
	s_addc_u32 s15, s15, (.LBB2_13026-.Lpost_getpc35184)>>32
	s_setpc_b64 s[14:15]
.LBB2_27364:
	v_mov_b32_e32 v2, 0
	v_cmp_ne_u16_sdwa s[8:9], v9, v2 src0_sel:BYTE_0 src1_sel:DWORD
	s_andn2_b64 s[4:5], s[4:5], exec
	s_and_b64 s[8:9], s[8:9], exec
	s_or_b64 s[4:5], s[4:5], s[8:9]
	s_or_b64 exec, exec, s[6:7]
	s_and_saveexec_b64 s[6:7], s[4:5]
	s_cbranch_execz .LBB2_35185
; %bb.63203:
	s_getpc_b64 s[14:15]
.Lpost_getpc35185:
	s_add_u32 s14, s14, (.LBB2_13027-.Lpost_getpc35185)&4294967295
	s_addc_u32 s15, s15, (.LBB2_13027-.Lpost_getpc35185)>>32
	s_setpc_b64 s[14:15]
.LBB2_35185:
	s_getpc_b64 s[14:15]
.Lpost_getpc21176:
	s_add_u32 s14, s14, (.LBB2_13028-.Lpost_getpc21176)&4294967295
	s_addc_u32 s15, s15, (.LBB2_13028-.Lpost_getpc21176)>>32
	s_setpc_b64 s[14:15]
.LBB2_27365:
	s_movk_i32 s4, 0x80
	v_cmp_eq_u16_sdwa s[12:13], v5, s4 src0_sel:BYTE_0 src1_sel:DWORD
	s_mov_b64 s[4:5], -1
                                        ; implicit-def: $sgpr10
	s_and_saveexec_b64 s[8:9], s[12:13]
; %bb.27366:
	s_mov_b32 s10, 0x7f800001
	s_xor_b64 s[4:5], exec, -1
; %bb.27367:
	s_or_b64 exec, exec, s[8:9]
	s_and_b64 s[4:5], s[4:5], exec
	s_or_saveexec_b64 s[6:7], s[6:7]
	v_mov_b32_e32 v3, s10
	s_xor_b64 exec, exec, s[6:7]
	s_cbranch_execnz .LBB2_27368
; %bb.63205:
	s_getpc_b64 s[14:15]
.Lpost_getpc35186:
	s_add_u32 s14, s14, (.LBB2_13030-.Lpost_getpc35186)&4294967295
	s_addc_u32 s15, s15, (.LBB2_13030-.Lpost_getpc35186)>>32
	s_setpc_b64 s[14:15]
.LBB2_27368:
	v_mov_b32_e32 v3, 0
	v_cmp_ne_u16_sdwa s[8:9], v5, v3 src0_sel:BYTE_0 src1_sel:DWORD
	s_andn2_b64 s[4:5], s[4:5], exec
	s_and_b64 s[8:9], s[8:9], exec
	s_or_b64 s[4:5], s[4:5], s[8:9]
	s_or_b64 exec, exec, s[6:7]
	s_and_saveexec_b64 s[6:7], s[4:5]
	s_cbranch_execz .LBB2_35187
; %bb.63207:
	s_getpc_b64 s[14:15]
.Lpost_getpc35187:
	s_add_u32 s14, s14, (.LBB2_13031-.Lpost_getpc35187)&4294967295
	s_addc_u32 s15, s15, (.LBB2_13031-.Lpost_getpc35187)>>32
	s_setpc_b64 s[14:15]
.LBB2_35187:
	s_getpc_b64 s[14:15]
.Lpost_getpc21177:
	s_add_u32 s14, s14, (.LBB2_13032-.Lpost_getpc21177)&4294967295
	s_addc_u32 s15, s15, (.LBB2_13032-.Lpost_getpc21177)>>32
	s_setpc_b64 s[14:15]
.LBB2_27369:
	s_movk_i32 s4, 0x80
	v_cmp_eq_u16_sdwa s[12:13], v3, s4 src0_sel:BYTE_0 src1_sel:DWORD
	s_mov_b64 s[4:5], -1
                                        ; implicit-def: $sgpr10
	s_and_saveexec_b64 s[8:9], s[12:13]
; %bb.27370:
	s_mov_b32 s10, 0x7f800001
	s_xor_b64 s[4:5], exec, -1
; %bb.27371:
	s_or_b64 exec, exec, s[8:9]
	s_and_b64 s[4:5], s[4:5], exec
	s_or_saveexec_b64 s[6:7], s[6:7]
	v_mov_b32_e32 v2, s10
	s_xor_b64 exec, exec, s[6:7]
	s_cbranch_execnz .LBB2_27372
; %bb.63209:
	s_getpc_b64 s[14:15]
.Lpost_getpc35188:
	s_add_u32 s14, s14, (.LBB2_13034-.Lpost_getpc35188)&4294967295
	s_addc_u32 s15, s15, (.LBB2_13034-.Lpost_getpc35188)>>32
	s_setpc_b64 s[14:15]
.LBB2_27372:
	v_mov_b32_e32 v2, 0
	v_cmp_ne_u16_sdwa s[8:9], v3, v2 src0_sel:BYTE_0 src1_sel:DWORD
	s_andn2_b64 s[4:5], s[4:5], exec
	s_and_b64 s[8:9], s[8:9], exec
	s_or_b64 s[4:5], s[4:5], s[8:9]
	s_or_b64 exec, exec, s[6:7]
	s_and_saveexec_b64 s[6:7], s[4:5]
	s_cbranch_execz .LBB2_35189
; %bb.63211:
	s_getpc_b64 s[14:15]
.Lpost_getpc35189:
	s_add_u32 s14, s14, (.LBB2_13035-.Lpost_getpc35189)&4294967295
	s_addc_u32 s15, s15, (.LBB2_13035-.Lpost_getpc35189)>>32
	s_setpc_b64 s[14:15]
.LBB2_35189:
	s_getpc_b64 s[14:15]
.Lpost_getpc21178:
	s_add_u32 s14, s14, (.LBB2_13036-.Lpost_getpc21178)&4294967295
	s_addc_u32 s15, s15, (.LBB2_13036-.Lpost_getpc21178)>>32
	s_setpc_b64 s[14:15]
.LBB2_27373:
	s_movk_i32 s4, 0x80
	v_cmp_eq_u16_sdwa s[12:13], v3, s4 src0_sel:BYTE_0 src1_sel:DWORD
	s_mov_b64 s[4:5], -1
                                        ; implicit-def: $sgpr10
	s_and_saveexec_b64 s[8:9], s[12:13]
; %bb.27374:
	s_mov_b32 s10, 0x7f800001
	s_xor_b64 s[4:5], exec, -1
; %bb.27375:
	s_or_b64 exec, exec, s[8:9]
	s_and_b64 s[4:5], s[4:5], exec
	s_or_saveexec_b64 s[6:7], s[6:7]
	v_mov_b32_e32 v4, s10
	s_xor_b64 exec, exec, s[6:7]
	s_cbranch_execnz .LBB2_27376
; %bb.63213:
	s_getpc_b64 s[14:15]
.Lpost_getpc35190:
	s_add_u32 s14, s14, (.LBB2_13038-.Lpost_getpc35190)&4294967295
	s_addc_u32 s15, s15, (.LBB2_13038-.Lpost_getpc35190)>>32
	s_setpc_b64 s[14:15]
.LBB2_27376:
	v_mov_b32_e32 v4, 0
	v_cmp_ne_u16_sdwa s[8:9], v3, v4 src0_sel:BYTE_0 src1_sel:DWORD
	s_andn2_b64 s[4:5], s[4:5], exec
	s_and_b64 s[8:9], s[8:9], exec
	s_or_b64 s[4:5], s[4:5], s[8:9]
	s_or_b64 exec, exec, s[6:7]
	s_and_saveexec_b64 s[6:7], s[4:5]
	s_cbranch_execz .LBB2_35191
; %bb.63215:
	s_getpc_b64 s[14:15]
.Lpost_getpc35191:
	s_add_u32 s14, s14, (.LBB2_13039-.Lpost_getpc35191)&4294967295
	s_addc_u32 s15, s15, (.LBB2_13039-.Lpost_getpc35191)>>32
	s_setpc_b64 s[14:15]
.LBB2_35191:
	s_getpc_b64 s[14:15]
.Lpost_getpc21179:
	s_add_u32 s14, s14, (.LBB2_13040-.Lpost_getpc21179)&4294967295
	s_addc_u32 s15, s15, (.LBB2_13040-.Lpost_getpc21179)>>32
	s_setpc_b64 s[14:15]
.LBB2_27377:
	s_movk_i32 s4, 0x80
	v_cmp_eq_u16_e32 vcc, s4, v3
	s_mov_b64 s[4:5], -1
                                        ; implicit-def: $sgpr10
	s_and_saveexec_b64 s[8:9], vcc
; %bb.27378:
	s_mov_b32 s10, 0x7f800001
	s_xor_b64 s[4:5], exec, -1
; %bb.27379:
	s_or_b64 exec, exec, s[8:9]
	s_and_b64 s[4:5], s[4:5], exec
                                        ; implicit-def: $vgpr3
	s_or_saveexec_b64 s[6:7], s[6:7]
	v_mov_b32_e32 v2, s10
	s_xor_b64 exec, exec, s[6:7]
	s_cbranch_execnz .LBB2_27380
; %bb.63217:
	s_getpc_b64 s[14:15]
.Lpost_getpc35192:
	s_add_u32 s14, s14, (.LBB2_13042-.Lpost_getpc35192)&4294967295
	s_addc_u32 s15, s15, (.LBB2_13042-.Lpost_getpc35192)>>32
	s_setpc_b64 s[14:15]
.LBB2_27380:
	v_cmp_ne_u16_e32 vcc, 0, v3
	s_andn2_b64 s[4:5], s[4:5], exec
	s_and_b64 s[8:9], vcc, exec
	v_mov_b32_e32 v2, 0
	s_or_b64 s[4:5], s[4:5], s[8:9]
	s_or_b64 exec, exec, s[6:7]
	s_and_saveexec_b64 s[6:7], s[4:5]
	s_cbranch_execz .LBB2_35193
; %bb.63219:
	s_getpc_b64 s[14:15]
.Lpost_getpc35193:
	s_add_u32 s14, s14, (.LBB2_13043-.Lpost_getpc35193)&4294967295
	s_addc_u32 s15, s15, (.LBB2_13043-.Lpost_getpc35193)>>32
	s_setpc_b64 s[14:15]
.LBB2_35193:
	s_getpc_b64 s[14:15]
.Lpost_getpc21180:
	s_add_u32 s14, s14, (.LBB2_13044-.Lpost_getpc21180)&4294967295
	s_addc_u32 s15, s15, (.LBB2_13044-.Lpost_getpc21180)>>32
	s_setpc_b64 s[14:15]
.LBB2_27381:
	s_movk_i32 s4, 0x80
	v_cmp_eq_u16_e32 vcc, s4, v3
	s_mov_b64 s[4:5], -1
                                        ; implicit-def: $sgpr10
	s_and_saveexec_b64 s[8:9], vcc
; %bb.27382:
	s_mov_b32 s10, 0x7f800001
	s_xor_b64 s[4:5], exec, -1
; %bb.27383:
	s_or_b64 exec, exec, s[8:9]
	s_and_b64 s[4:5], s[4:5], exec
                                        ; implicit-def: $vgpr3
	s_or_saveexec_b64 s[6:7], s[6:7]
	v_mov_b32_e32 v4, s10
	s_xor_b64 exec, exec, s[6:7]
	s_cbranch_execnz .LBB2_27384
; %bb.63221:
	s_getpc_b64 s[14:15]
.Lpost_getpc35194:
	s_add_u32 s14, s14, (.LBB2_13046-.Lpost_getpc35194)&4294967295
	s_addc_u32 s15, s15, (.LBB2_13046-.Lpost_getpc35194)>>32
	s_setpc_b64 s[14:15]
.LBB2_27384:
	v_cmp_ne_u16_e32 vcc, 0, v3
	s_andn2_b64 s[4:5], s[4:5], exec
	s_and_b64 s[8:9], vcc, exec
	v_mov_b32_e32 v4, 0
	s_or_b64 s[4:5], s[4:5], s[8:9]
	s_or_b64 exec, exec, s[6:7]
	s_and_saveexec_b64 s[6:7], s[4:5]
	s_cbranch_execz .LBB2_35195
; %bb.63223:
	s_getpc_b64 s[14:15]
.Lpost_getpc35195:
	s_add_u32 s14, s14, (.LBB2_13047-.Lpost_getpc35195)&4294967295
	s_addc_u32 s15, s15, (.LBB2_13047-.Lpost_getpc35195)>>32
	s_setpc_b64 s[14:15]
.LBB2_35195:
	s_getpc_b64 s[14:15]
.Lpost_getpc21181:
	s_add_u32 s14, s14, (.LBB2_13048-.Lpost_getpc21181)&4294967295
	s_addc_u32 s15, s15, (.LBB2_13048-.Lpost_getpc21181)>>32
	s_setpc_b64 s[14:15]
.LBB2_27385:
	s_movk_i32 s4, 0x80
	v_cmp_eq_u16_sdwa s[12:13], v9, s4 src0_sel:BYTE_3 src1_sel:DWORD
	s_mov_b64 s[4:5], -1
                                        ; implicit-def: $sgpr10
	s_and_saveexec_b64 s[8:9], s[12:13]
; %bb.27386:
	s_mov_b32 s10, 0x7f800001
	s_xor_b64 s[4:5], exec, -1
; %bb.27387:
	s_or_b64 exec, exec, s[8:9]
	s_and_b64 s[4:5], s[4:5], exec
	s_or_saveexec_b64 s[6:7], s[6:7]
	v_mov_b32_e32 v2, s10
	s_xor_b64 exec, exec, s[6:7]
	s_cbranch_execnz .LBB2_27388
; %bb.63225:
	s_getpc_b64 s[14:15]
.Lpost_getpc35196:
	s_add_u32 s14, s14, (.LBB2_13050-.Lpost_getpc35196)&4294967295
	s_addc_u32 s15, s15, (.LBB2_13050-.Lpost_getpc35196)>>32
	s_setpc_b64 s[14:15]
.LBB2_27388:
	v_mov_b32_e32 v2, 0
	v_cmp_ne_u16_sdwa s[8:9], v9, v2 src0_sel:BYTE_3 src1_sel:DWORD
	s_andn2_b64 s[4:5], s[4:5], exec
	s_and_b64 s[8:9], s[8:9], exec
	s_or_b64 s[4:5], s[4:5], s[8:9]
	s_or_b64 exec, exec, s[6:7]
	s_and_saveexec_b64 s[6:7], s[4:5]
	s_cbranch_execz .LBB2_35197
; %bb.63227:
	s_getpc_b64 s[14:15]
.Lpost_getpc35197:
	s_add_u32 s14, s14, (.LBB2_13051-.Lpost_getpc35197)&4294967295
	s_addc_u32 s15, s15, (.LBB2_13051-.Lpost_getpc35197)>>32
	s_setpc_b64 s[14:15]
.LBB2_35197:
	s_getpc_b64 s[14:15]
.Lpost_getpc21182:
	s_add_u32 s14, s14, (.LBB2_13052-.Lpost_getpc21182)&4294967295
	s_addc_u32 s15, s15, (.LBB2_13052-.Lpost_getpc21182)>>32
	s_setpc_b64 s[14:15]
.LBB2_27389:
	s_movk_i32 s4, 0x80
	v_cmp_eq_u16_sdwa s[12:13], v5, s4 src0_sel:BYTE_3 src1_sel:DWORD
	s_mov_b64 s[4:5], -1
                                        ; implicit-def: $sgpr10
	s_and_saveexec_b64 s[8:9], s[12:13]
; %bb.27390:
	s_mov_b32 s10, 0x7f800001
	s_xor_b64 s[4:5], exec, -1
; %bb.27391:
	s_or_b64 exec, exec, s[8:9]
	s_and_b64 s[4:5], s[4:5], exec
	s_or_saveexec_b64 s[6:7], s[6:7]
	v_mov_b32_e32 v3, s10
	s_xor_b64 exec, exec, s[6:7]
	s_cbranch_execnz .LBB2_27392
; %bb.63229:
	s_getpc_b64 s[14:15]
.Lpost_getpc35198:
	s_add_u32 s14, s14, (.LBB2_13054-.Lpost_getpc35198)&4294967295
	s_addc_u32 s15, s15, (.LBB2_13054-.Lpost_getpc35198)>>32
	s_setpc_b64 s[14:15]
.LBB2_27392:
	v_mov_b32_e32 v3, 0
	v_cmp_ne_u16_sdwa s[8:9], v5, v3 src0_sel:BYTE_3 src1_sel:DWORD
	s_andn2_b64 s[4:5], s[4:5], exec
	s_and_b64 s[8:9], s[8:9], exec
	s_or_b64 s[4:5], s[4:5], s[8:9]
	s_or_b64 exec, exec, s[6:7]
	s_and_saveexec_b64 s[6:7], s[4:5]
	s_cbranch_execz .LBB2_35199
; %bb.63231:
	s_getpc_b64 s[14:15]
.Lpost_getpc35199:
	s_add_u32 s14, s14, (.LBB2_13055-.Lpost_getpc35199)&4294967295
	s_addc_u32 s15, s15, (.LBB2_13055-.Lpost_getpc35199)>>32
	s_setpc_b64 s[14:15]
.LBB2_35199:
	s_getpc_b64 s[14:15]
.Lpost_getpc21183:
	s_add_u32 s14, s14, (.LBB2_13056-.Lpost_getpc21183)&4294967295
	s_addc_u32 s15, s15, (.LBB2_13056-.Lpost_getpc21183)>>32
	s_setpc_b64 s[14:15]
.LBB2_27393:
	s_movk_i32 s4, 0x80
	v_cmp_eq_u16_sdwa s[12:13], v6, s4 src0_sel:BYTE_0 src1_sel:DWORD
	s_mov_b64 s[4:5], -1
                                        ; implicit-def: $sgpr10
	s_and_saveexec_b64 s[8:9], s[12:13]
; %bb.27394:
	s_mov_b32 s10, 0x7f800001
	s_xor_b64 s[4:5], exec, -1
; %bb.27395:
	s_or_b64 exec, exec, s[8:9]
	s_and_b64 s[4:5], s[4:5], exec
	s_or_saveexec_b64 s[6:7], s[6:7]
	v_mov_b32_e32 v12, s10
	s_xor_b64 exec, exec, s[6:7]
	s_cbranch_execnz .LBB2_27396
; %bb.63233:
	s_getpc_b64 s[14:15]
.Lpost_getpc35200:
	s_add_u32 s14, s14, (.LBB2_13058-.Lpost_getpc35200)&4294967295
	s_addc_u32 s15, s15, (.LBB2_13058-.Lpost_getpc35200)>>32
	s_setpc_b64 s[14:15]
.LBB2_27396:
	v_mov_b32_e32 v12, 0
	v_cmp_ne_u16_sdwa s[8:9], v6, v12 src0_sel:BYTE_0 src1_sel:DWORD
	s_andn2_b64 s[4:5], s[4:5], exec
	s_and_b64 s[8:9], s[8:9], exec
	s_or_b64 s[4:5], s[4:5], s[8:9]
	s_or_b64 exec, exec, s[6:7]
	s_and_saveexec_b64 s[6:7], s[4:5]
	s_cbranch_execz .LBB2_35201
; %bb.63235:
	s_getpc_b64 s[14:15]
.Lpost_getpc35201:
	s_add_u32 s14, s14, (.LBB2_13059-.Lpost_getpc35201)&4294967295
	s_addc_u32 s15, s15, (.LBB2_13059-.Lpost_getpc35201)>>32
	s_setpc_b64 s[14:15]
.LBB2_35201:
	s_getpc_b64 s[14:15]
.Lpost_getpc21184:
	s_add_u32 s14, s14, (.LBB2_13060-.Lpost_getpc21184)&4294967295
	s_addc_u32 s15, s15, (.LBB2_13060-.Lpost_getpc21184)>>32
	s_setpc_b64 s[14:15]
.LBB2_27397:
	s_movk_i32 s4, 0x80
	v_cmp_eq_u16_sdwa s[12:13], v2, s4 src0_sel:BYTE_0 src1_sel:DWORD
	s_mov_b64 s[4:5], -1
                                        ; implicit-def: $sgpr10
	s_and_saveexec_b64 s[8:9], s[12:13]
; %bb.27398:
	s_mov_b32 s10, 0x7f800001
	s_xor_b64 s[4:5], exec, -1
; %bb.27399:
	s_or_b64 exec, exec, s[8:9]
	s_and_b64 s[4:5], s[4:5], exec
	s_or_saveexec_b64 s[6:7], s[6:7]
	v_mov_b32_e32 v13, s10
	s_xor_b64 exec, exec, s[6:7]
	s_cbranch_execnz .LBB2_27400
; %bb.63237:
	s_getpc_b64 s[14:15]
.Lpost_getpc35202:
	s_add_u32 s14, s14, (.LBB2_13062-.Lpost_getpc35202)&4294967295
	s_addc_u32 s15, s15, (.LBB2_13062-.Lpost_getpc35202)>>32
	s_setpc_b64 s[14:15]
.LBB2_27400:
	v_mov_b32_e32 v13, 0
	v_cmp_ne_u16_sdwa s[8:9], v2, v13 src0_sel:BYTE_0 src1_sel:DWORD
	s_andn2_b64 s[4:5], s[4:5], exec
	s_and_b64 s[8:9], s[8:9], exec
	s_or_b64 s[4:5], s[4:5], s[8:9]
	s_or_b64 exec, exec, s[6:7]
	s_and_saveexec_b64 s[6:7], s[4:5]
	s_cbranch_execz .LBB2_35203
; %bb.63239:
	s_getpc_b64 s[14:15]
.Lpost_getpc35203:
	s_add_u32 s14, s14, (.LBB2_13063-.Lpost_getpc35203)&4294967295
	s_addc_u32 s15, s15, (.LBB2_13063-.Lpost_getpc35203)>>32
	s_setpc_b64 s[14:15]
.LBB2_35203:
	s_getpc_b64 s[14:15]
.Lpost_getpc21185:
	s_add_u32 s14, s14, (.LBB2_13064-.Lpost_getpc21185)&4294967295
	s_addc_u32 s15, s15, (.LBB2_13064-.Lpost_getpc21185)>>32
	s_setpc_b64 s[14:15]
.LBB2_27401:
	s_movk_i32 s4, 0x80
	v_cmp_eq_u16_sdwa s[12:13], v13, s4 src0_sel:BYTE_0 src1_sel:DWORD
	s_mov_b64 s[4:5], -1
                                        ; implicit-def: $sgpr10
	s_and_saveexec_b64 s[8:9], s[12:13]
; %bb.27402:
	s_mov_b32 s10, 0x7f800001
	s_xor_b64 s[4:5], exec, -1
; %bb.27403:
	s_or_b64 exec, exec, s[8:9]
	s_and_b64 s[4:5], s[4:5], exec
	s_or_saveexec_b64 s[6:7], s[6:7]
	v_mov_b32_e32 v12, s10
	s_xor_b64 exec, exec, s[6:7]
	s_cbranch_execnz .LBB2_27404
; %bb.63241:
	s_getpc_b64 s[14:15]
.Lpost_getpc35204:
	s_add_u32 s14, s14, (.LBB2_13066-.Lpost_getpc35204)&4294967295
	s_addc_u32 s15, s15, (.LBB2_13066-.Lpost_getpc35204)>>32
	s_setpc_b64 s[14:15]
.LBB2_27404:
	v_mov_b32_e32 v12, 0
	v_cmp_ne_u16_sdwa s[8:9], v13, v12 src0_sel:BYTE_0 src1_sel:DWORD
	s_andn2_b64 s[4:5], s[4:5], exec
	s_and_b64 s[8:9], s[8:9], exec
	s_or_b64 s[4:5], s[4:5], s[8:9]
	s_or_b64 exec, exec, s[6:7]
	s_and_saveexec_b64 s[6:7], s[4:5]
	s_cbranch_execz .LBB2_35205
; %bb.63243:
	s_getpc_b64 s[14:15]
.Lpost_getpc35205:
	s_add_u32 s14, s14, (.LBB2_13067-.Lpost_getpc35205)&4294967295
	s_addc_u32 s15, s15, (.LBB2_13067-.Lpost_getpc35205)>>32
	s_setpc_b64 s[14:15]
.LBB2_35205:
	s_getpc_b64 s[14:15]
.Lpost_getpc21186:
	s_add_u32 s14, s14, (.LBB2_13068-.Lpost_getpc21186)&4294967295
	s_addc_u32 s15, s15, (.LBB2_13068-.Lpost_getpc21186)>>32
	s_setpc_b64 s[14:15]
.LBB2_27405:
	s_movk_i32 s4, 0x80
	v_cmp_eq_u16_sdwa s[12:13], v13, s4 src0_sel:BYTE_0 src1_sel:DWORD
	s_mov_b64 s[4:5], -1
                                        ; implicit-def: $sgpr10
	s_and_saveexec_b64 s[8:9], s[12:13]
; %bb.27406:
	s_mov_b32 s10, 0x7f800001
	s_xor_b64 s[4:5], exec, -1
; %bb.27407:
	s_or_b64 exec, exec, s[8:9]
	s_and_b64 s[4:5], s[4:5], exec
	s_or_saveexec_b64 s[6:7], s[6:7]
	v_mov_b32_e32 v14, s10
	s_xor_b64 exec, exec, s[6:7]
	s_cbranch_execnz .LBB2_27408
; %bb.63245:
	s_getpc_b64 s[14:15]
.Lpost_getpc35206:
	s_add_u32 s14, s14, (.LBB2_13070-.Lpost_getpc35206)&4294967295
	s_addc_u32 s15, s15, (.LBB2_13070-.Lpost_getpc35206)>>32
	s_setpc_b64 s[14:15]
.LBB2_27408:
	v_mov_b32_e32 v14, 0
	v_cmp_ne_u16_sdwa s[8:9], v13, v14 src0_sel:BYTE_0 src1_sel:DWORD
	s_andn2_b64 s[4:5], s[4:5], exec
	s_and_b64 s[8:9], s[8:9], exec
	s_or_b64 s[4:5], s[4:5], s[8:9]
	s_or_b64 exec, exec, s[6:7]
	s_and_saveexec_b64 s[6:7], s[4:5]
	s_cbranch_execz .LBB2_35207
; %bb.63247:
	s_getpc_b64 s[14:15]
.Lpost_getpc35207:
	s_add_u32 s14, s14, (.LBB2_13071-.Lpost_getpc35207)&4294967295
	s_addc_u32 s15, s15, (.LBB2_13071-.Lpost_getpc35207)>>32
	s_setpc_b64 s[14:15]
.LBB2_35207:
	s_getpc_b64 s[14:15]
.Lpost_getpc21187:
	s_add_u32 s14, s14, (.LBB2_13072-.Lpost_getpc21187)&4294967295
	s_addc_u32 s15, s15, (.LBB2_13072-.Lpost_getpc21187)>>32
	s_setpc_b64 s[14:15]
.LBB2_27409:
	s_movk_i32 s4, 0x80
	v_cmp_eq_u16_e32 vcc, s4, v13
	s_mov_b64 s[4:5], -1
                                        ; implicit-def: $sgpr10
	s_and_saveexec_b64 s[8:9], vcc
; %bb.27410:
	s_mov_b32 s10, 0x7f800001
	s_xor_b64 s[4:5], exec, -1
; %bb.27411:
	s_or_b64 exec, exec, s[8:9]
	s_and_b64 s[4:5], s[4:5], exec
                                        ; implicit-def: $vgpr13
	s_or_saveexec_b64 s[6:7], s[6:7]
	v_mov_b32_e32 v12, s10
	s_xor_b64 exec, exec, s[6:7]
	s_cbranch_execnz .LBB2_27412
; %bb.63249:
	s_getpc_b64 s[14:15]
.Lpost_getpc35208:
	s_add_u32 s14, s14, (.LBB2_13074-.Lpost_getpc35208)&4294967295
	s_addc_u32 s15, s15, (.LBB2_13074-.Lpost_getpc35208)>>32
	s_setpc_b64 s[14:15]
.LBB2_27412:
	v_cmp_ne_u16_e32 vcc, 0, v13
	s_andn2_b64 s[4:5], s[4:5], exec
	s_and_b64 s[8:9], vcc, exec
	v_mov_b32_e32 v12, 0
	s_or_b64 s[4:5], s[4:5], s[8:9]
	s_or_b64 exec, exec, s[6:7]
	s_and_saveexec_b64 s[6:7], s[4:5]
	s_cbranch_execz .LBB2_35209
; %bb.63251:
	s_getpc_b64 s[14:15]
.Lpost_getpc35209:
	s_add_u32 s14, s14, (.LBB2_13075-.Lpost_getpc35209)&4294967295
	s_addc_u32 s15, s15, (.LBB2_13075-.Lpost_getpc35209)>>32
	s_setpc_b64 s[14:15]
.LBB2_35209:
	s_getpc_b64 s[14:15]
.Lpost_getpc21188:
	s_add_u32 s14, s14, (.LBB2_13076-.Lpost_getpc21188)&4294967295
	s_addc_u32 s15, s15, (.LBB2_13076-.Lpost_getpc21188)>>32
	s_setpc_b64 s[14:15]
.LBB2_27413:
	s_movk_i32 s4, 0x80
	v_cmp_eq_u16_e32 vcc, s4, v13
	s_mov_b64 s[4:5], -1
                                        ; implicit-def: $sgpr10
	s_and_saveexec_b64 s[8:9], vcc
; %bb.27414:
	s_mov_b32 s10, 0x7f800001
	s_xor_b64 s[4:5], exec, -1
; %bb.27415:
	s_or_b64 exec, exec, s[8:9]
	s_and_b64 s[4:5], s[4:5], exec
                                        ; implicit-def: $vgpr13
	s_or_saveexec_b64 s[6:7], s[6:7]
	v_mov_b32_e32 v14, s10
	s_xor_b64 exec, exec, s[6:7]
	s_cbranch_execnz .LBB2_27416
; %bb.63253:
	s_getpc_b64 s[14:15]
.Lpost_getpc35210:
	s_add_u32 s14, s14, (.LBB2_13078-.Lpost_getpc35210)&4294967295
	s_addc_u32 s15, s15, (.LBB2_13078-.Lpost_getpc35210)>>32
	s_setpc_b64 s[14:15]
.LBB2_27416:
	v_cmp_ne_u16_e32 vcc, 0, v13
	s_andn2_b64 s[4:5], s[4:5], exec
	s_and_b64 s[8:9], vcc, exec
	v_mov_b32_e32 v14, 0
	s_or_b64 s[4:5], s[4:5], s[8:9]
	s_or_b64 exec, exec, s[6:7]
	s_and_saveexec_b64 s[6:7], s[4:5]
	s_cbranch_execz .LBB2_35211
; %bb.63255:
	s_getpc_b64 s[14:15]
.Lpost_getpc35211:
	s_add_u32 s14, s14, (.LBB2_13079-.Lpost_getpc35211)&4294967295
	s_addc_u32 s15, s15, (.LBB2_13079-.Lpost_getpc35211)>>32
	s_setpc_b64 s[14:15]
.LBB2_35211:
	s_getpc_b64 s[14:15]
.Lpost_getpc21189:
	s_add_u32 s14, s14, (.LBB2_13080-.Lpost_getpc21189)&4294967295
	s_addc_u32 s15, s15, (.LBB2_13080-.Lpost_getpc21189)>>32
	s_setpc_b64 s[14:15]
.LBB2_27417:
	s_movk_i32 s4, 0x80
	v_cmp_eq_u16_sdwa s[12:13], v6, s4 src0_sel:BYTE_3 src1_sel:DWORD
	s_mov_b64 s[4:5], -1
                                        ; implicit-def: $sgpr10
	s_and_saveexec_b64 s[8:9], s[12:13]
; %bb.27418:
	s_mov_b32 s10, 0x7f800001
	s_xor_b64 s[4:5], exec, -1
; %bb.27419:
	s_or_b64 exec, exec, s[8:9]
	s_and_b64 s[4:5], s[4:5], exec
	s_or_saveexec_b64 s[6:7], s[6:7]
	v_mov_b32_e32 v12, s10
	s_xor_b64 exec, exec, s[6:7]
	s_cbranch_execnz .LBB2_27420
; %bb.63257:
	s_getpc_b64 s[14:15]
.Lpost_getpc35212:
	s_add_u32 s14, s14, (.LBB2_13082-.Lpost_getpc35212)&4294967295
	s_addc_u32 s15, s15, (.LBB2_13082-.Lpost_getpc35212)>>32
	s_setpc_b64 s[14:15]
.LBB2_27420:
	v_mov_b32_e32 v12, 0
	v_cmp_ne_u16_sdwa s[8:9], v6, v12 src0_sel:BYTE_3 src1_sel:DWORD
	s_andn2_b64 s[4:5], s[4:5], exec
	s_and_b64 s[8:9], s[8:9], exec
	s_or_b64 s[4:5], s[4:5], s[8:9]
	s_or_b64 exec, exec, s[6:7]
	s_and_saveexec_b64 s[6:7], s[4:5]
	s_cbranch_execz .LBB2_35213
; %bb.63259:
	s_getpc_b64 s[14:15]
.Lpost_getpc35213:
	s_add_u32 s14, s14, (.LBB2_13083-.Lpost_getpc35213)&4294967295
	s_addc_u32 s15, s15, (.LBB2_13083-.Lpost_getpc35213)>>32
	s_setpc_b64 s[14:15]
.LBB2_35213:
	s_getpc_b64 s[14:15]
.Lpost_getpc21190:
	s_add_u32 s14, s14, (.LBB2_13084-.Lpost_getpc21190)&4294967295
	s_addc_u32 s15, s15, (.LBB2_13084-.Lpost_getpc21190)>>32
	s_setpc_b64 s[14:15]
.LBB2_27421:
	s_movk_i32 s4, 0x80
	v_cmp_eq_u16_sdwa s[12:13], v2, s4 src0_sel:BYTE_3 src1_sel:DWORD
	s_mov_b64 s[4:5], -1
                                        ; implicit-def: $sgpr10
	s_and_saveexec_b64 s[8:9], s[12:13]
; %bb.27422:
	s_mov_b32 s10, 0x7f800001
	s_xor_b64 s[4:5], exec, -1
; %bb.27423:
	s_or_b64 exec, exec, s[8:9]
	s_and_b64 s[4:5], s[4:5], exec
	s_or_saveexec_b64 s[6:7], s[6:7]
	v_mov_b32_e32 v6, s10
	s_xor_b64 exec, exec, s[6:7]
	s_cbranch_execnz .LBB2_27424
; %bb.63261:
	s_getpc_b64 s[14:15]
.Lpost_getpc35214:
	s_add_u32 s14, s14, (.LBB2_13086-.Lpost_getpc35214)&4294967295
	s_addc_u32 s15, s15, (.LBB2_13086-.Lpost_getpc35214)>>32
	s_setpc_b64 s[14:15]
.LBB2_27424:
	v_mov_b32_e32 v6, 0
	v_cmp_ne_u16_sdwa s[8:9], v2, v6 src0_sel:BYTE_3 src1_sel:DWORD
	s_andn2_b64 s[4:5], s[4:5], exec
	s_and_b64 s[8:9], s[8:9], exec
	s_or_b64 s[4:5], s[4:5], s[8:9]
	s_or_b64 exec, exec, s[6:7]
	s_and_saveexec_b64 s[6:7], s[4:5]
	s_cbranch_execz .LBB2_35215
; %bb.63263:
	s_getpc_b64 s[14:15]
.Lpost_getpc35215:
	s_add_u32 s14, s14, (.LBB2_13087-.Lpost_getpc35215)&4294967295
	s_addc_u32 s15, s15, (.LBB2_13087-.Lpost_getpc35215)>>32
	s_setpc_b64 s[14:15]
.LBB2_35215:
	s_getpc_b64 s[14:15]
.Lpost_getpc21191:
	s_add_u32 s14, s14, (.LBB2_13088-.Lpost_getpc21191)&4294967295
	s_addc_u32 s15, s15, (.LBB2_13088-.Lpost_getpc21191)>>32
	s_setpc_b64 s[14:15]
.LBB2_27425:
	s_movk_i32 s4, 0x80
	v_cmp_eq_u16_sdwa s[12:13], v7, s4 src0_sel:BYTE_0 src1_sel:DWORD
	s_mov_b64 s[4:5], -1
                                        ; implicit-def: $sgpr10
	s_and_saveexec_b64 s[8:9], s[12:13]
; %bb.27426:
	s_mov_b32 s10, 0x7f800001
	s_xor_b64 s[4:5], exec, -1
; %bb.27427:
	s_or_b64 exec, exec, s[8:9]
	s_and_b64 s[4:5], s[4:5], exec
	s_or_saveexec_b64 s[6:7], s[6:7]
	v_mov_b32_e32 v2, s10
	s_xor_b64 exec, exec, s[6:7]
	s_cbranch_execnz .LBB2_27428
; %bb.63265:
	s_getpc_b64 s[14:15]
.Lpost_getpc35216:
	s_add_u32 s14, s14, (.LBB2_13090-.Lpost_getpc35216)&4294967295
	s_addc_u32 s15, s15, (.LBB2_13090-.Lpost_getpc35216)>>32
	s_setpc_b64 s[14:15]
.LBB2_27428:
	v_mov_b32_e32 v2, 0
	v_cmp_ne_u16_sdwa s[8:9], v7, v2 src0_sel:BYTE_0 src1_sel:DWORD
	s_andn2_b64 s[4:5], s[4:5], exec
	s_and_b64 s[8:9], s[8:9], exec
	s_or_b64 s[4:5], s[4:5], s[8:9]
	s_or_b64 exec, exec, s[6:7]
	s_and_saveexec_b64 s[6:7], s[4:5]
	s_cbranch_execz .LBB2_35217
; %bb.63267:
	s_getpc_b64 s[14:15]
.Lpost_getpc35217:
	s_add_u32 s14, s14, (.LBB2_13091-.Lpost_getpc35217)&4294967295
	s_addc_u32 s15, s15, (.LBB2_13091-.Lpost_getpc35217)>>32
	s_setpc_b64 s[14:15]
.LBB2_35217:
	s_getpc_b64 s[14:15]
.Lpost_getpc21192:
	s_add_u32 s14, s14, (.LBB2_13092-.Lpost_getpc21192)&4294967295
	s_addc_u32 s15, s15, (.LBB2_13092-.Lpost_getpc21192)>>32
	s_setpc_b64 s[14:15]
.LBB2_27429:
	s_movk_i32 s4, 0x80
	v_cmp_eq_u16_sdwa s[12:13], v3, s4 src0_sel:BYTE_0 src1_sel:DWORD
	s_mov_b64 s[4:5], -1
                                        ; implicit-def: $sgpr10
	s_and_saveexec_b64 s[8:9], s[12:13]
; %bb.27430:
	s_mov_b32 s10, 0x7f800001
	s_xor_b64 s[4:5], exec, -1
; %bb.27431:
	s_or_b64 exec, exec, s[8:9]
	s_and_b64 s[4:5], s[4:5], exec
	s_or_saveexec_b64 s[6:7], s[6:7]
	v_mov_b32_e32 v6, s10
	s_xor_b64 exec, exec, s[6:7]
	s_cbranch_execnz .LBB2_27432
; %bb.63269:
	s_getpc_b64 s[14:15]
.Lpost_getpc35218:
	s_add_u32 s14, s14, (.LBB2_13094-.Lpost_getpc35218)&4294967295
	s_addc_u32 s15, s15, (.LBB2_13094-.Lpost_getpc35218)>>32
	s_setpc_b64 s[14:15]
.LBB2_27432:
	v_mov_b32_e32 v6, 0
	v_cmp_ne_u16_sdwa s[8:9], v3, v6 src0_sel:BYTE_0 src1_sel:DWORD
	s_andn2_b64 s[4:5], s[4:5], exec
	s_and_b64 s[8:9], s[8:9], exec
	s_or_b64 s[4:5], s[4:5], s[8:9]
	s_or_b64 exec, exec, s[6:7]
	s_and_saveexec_b64 s[6:7], s[4:5]
	s_cbranch_execz .LBB2_35219
; %bb.63271:
	s_getpc_b64 s[14:15]
.Lpost_getpc35219:
	s_add_u32 s14, s14, (.LBB2_13095-.Lpost_getpc35219)&4294967295
	s_addc_u32 s15, s15, (.LBB2_13095-.Lpost_getpc35219)>>32
	s_setpc_b64 s[14:15]
.LBB2_35219:
	s_getpc_b64 s[14:15]
.Lpost_getpc21193:
	s_add_u32 s14, s14, (.LBB2_13096-.Lpost_getpc21193)&4294967295
	s_addc_u32 s15, s15, (.LBB2_13096-.Lpost_getpc21193)>>32
	s_setpc_b64 s[14:15]
.LBB2_27433:
	s_movk_i32 s4, 0x80
	v_cmp_eq_u16_sdwa s[12:13], v6, s4 src0_sel:BYTE_0 src1_sel:DWORD
	s_mov_b64 s[4:5], -1
                                        ; implicit-def: $sgpr10
	s_and_saveexec_b64 s[8:9], s[12:13]
; %bb.27434:
	s_mov_b32 s10, 0x7f800001
	s_xor_b64 s[4:5], exec, -1
; %bb.27435:
	s_or_b64 exec, exec, s[8:9]
	s_and_b64 s[4:5], s[4:5], exec
	s_or_saveexec_b64 s[6:7], s[6:7]
	v_mov_b32_e32 v2, s10
	s_xor_b64 exec, exec, s[6:7]
	s_cbranch_execnz .LBB2_27436
; %bb.63273:
	s_getpc_b64 s[14:15]
.Lpost_getpc35220:
	s_add_u32 s14, s14, (.LBB2_13098-.Lpost_getpc35220)&4294967295
	s_addc_u32 s15, s15, (.LBB2_13098-.Lpost_getpc35220)>>32
	s_setpc_b64 s[14:15]
.LBB2_27436:
	v_mov_b32_e32 v2, 0
	v_cmp_ne_u16_sdwa s[8:9], v6, v2 src0_sel:BYTE_0 src1_sel:DWORD
	s_andn2_b64 s[4:5], s[4:5], exec
	s_and_b64 s[8:9], s[8:9], exec
	s_or_b64 s[4:5], s[4:5], s[8:9]
	s_or_b64 exec, exec, s[6:7]
	s_and_saveexec_b64 s[6:7], s[4:5]
	s_cbranch_execz .LBB2_35221
; %bb.63275:
	s_getpc_b64 s[14:15]
.Lpost_getpc35221:
	s_add_u32 s14, s14, (.LBB2_13099-.Lpost_getpc35221)&4294967295
	s_addc_u32 s15, s15, (.LBB2_13099-.Lpost_getpc35221)>>32
	s_setpc_b64 s[14:15]
.LBB2_35221:
	s_getpc_b64 s[14:15]
.Lpost_getpc21194:
	s_add_u32 s14, s14, (.LBB2_13100-.Lpost_getpc21194)&4294967295
	s_addc_u32 s15, s15, (.LBB2_13100-.Lpost_getpc21194)>>32
	s_setpc_b64 s[14:15]
.LBB2_27437:
	s_movk_i32 s4, 0x80
	v_cmp_eq_u16_sdwa s[12:13], v6, s4 src0_sel:BYTE_0 src1_sel:DWORD
	s_mov_b64 s[4:5], -1
                                        ; implicit-def: $sgpr10
	s_and_saveexec_b64 s[8:9], s[12:13]
; %bb.27438:
	s_mov_b32 s10, 0x7f800001
	s_xor_b64 s[4:5], exec, -1
; %bb.27439:
	s_or_b64 exec, exec, s[8:9]
	s_and_b64 s[4:5], s[4:5], exec
	s_or_saveexec_b64 s[6:7], s[6:7]
	v_mov_b32_e32 v12, s10
	s_xor_b64 exec, exec, s[6:7]
	s_cbranch_execnz .LBB2_27440
; %bb.63277:
	s_getpc_b64 s[14:15]
.Lpost_getpc35222:
	s_add_u32 s14, s14, (.LBB2_13102-.Lpost_getpc35222)&4294967295
	s_addc_u32 s15, s15, (.LBB2_13102-.Lpost_getpc35222)>>32
	s_setpc_b64 s[14:15]
.LBB2_27440:
	v_mov_b32_e32 v12, 0
	v_cmp_ne_u16_sdwa s[8:9], v6, v12 src0_sel:BYTE_0 src1_sel:DWORD
	s_andn2_b64 s[4:5], s[4:5], exec
	s_and_b64 s[8:9], s[8:9], exec
	s_or_b64 s[4:5], s[4:5], s[8:9]
	s_or_b64 exec, exec, s[6:7]
	s_and_saveexec_b64 s[6:7], s[4:5]
	s_cbranch_execz .LBB2_35223
; %bb.63279:
	s_getpc_b64 s[14:15]
.Lpost_getpc35223:
	s_add_u32 s14, s14, (.LBB2_13103-.Lpost_getpc35223)&4294967295
	s_addc_u32 s15, s15, (.LBB2_13103-.Lpost_getpc35223)>>32
	s_setpc_b64 s[14:15]
.LBB2_35223:
	s_getpc_b64 s[14:15]
.Lpost_getpc21195:
	s_add_u32 s14, s14, (.LBB2_13104-.Lpost_getpc21195)&4294967295
	s_addc_u32 s15, s15, (.LBB2_13104-.Lpost_getpc21195)>>32
	s_setpc_b64 s[14:15]
.LBB2_27441:
	s_movk_i32 s4, 0x80
	v_cmp_eq_u16_e32 vcc, s4, v6
	s_mov_b64 s[4:5], -1
                                        ; implicit-def: $sgpr10
	s_and_saveexec_b64 s[8:9], vcc
; %bb.27442:
	s_mov_b32 s10, 0x7f800001
	s_xor_b64 s[4:5], exec, -1
; %bb.27443:
	s_or_b64 exec, exec, s[8:9]
	s_and_b64 s[4:5], s[4:5], exec
                                        ; implicit-def: $vgpr6
	s_or_saveexec_b64 s[6:7], s[6:7]
	v_mov_b32_e32 v2, s10
	s_xor_b64 exec, exec, s[6:7]
	s_cbranch_execnz .LBB2_27444
; %bb.63281:
	s_getpc_b64 s[14:15]
.Lpost_getpc35224:
	s_add_u32 s14, s14, (.LBB2_13106-.Lpost_getpc35224)&4294967295
	s_addc_u32 s15, s15, (.LBB2_13106-.Lpost_getpc35224)>>32
	s_setpc_b64 s[14:15]
.LBB2_27444:
	v_cmp_ne_u16_e32 vcc, 0, v6
	s_andn2_b64 s[4:5], s[4:5], exec
	s_and_b64 s[8:9], vcc, exec
	v_mov_b32_e32 v2, 0
	s_or_b64 s[4:5], s[4:5], s[8:9]
	s_or_b64 exec, exec, s[6:7]
	s_and_saveexec_b64 s[6:7], s[4:5]
	s_cbranch_execz .LBB2_35225
; %bb.63283:
	s_getpc_b64 s[14:15]
.Lpost_getpc35225:
	s_add_u32 s14, s14, (.LBB2_13107-.Lpost_getpc35225)&4294967295
	s_addc_u32 s15, s15, (.LBB2_13107-.Lpost_getpc35225)>>32
	s_setpc_b64 s[14:15]
.LBB2_35225:
	s_getpc_b64 s[14:15]
.Lpost_getpc21196:
	s_add_u32 s14, s14, (.LBB2_13108-.Lpost_getpc21196)&4294967295
	s_addc_u32 s15, s15, (.LBB2_13108-.Lpost_getpc21196)>>32
	s_setpc_b64 s[14:15]
.LBB2_27445:
	s_movk_i32 s4, 0x80
	v_cmp_eq_u16_e32 vcc, s4, v6
	s_mov_b64 s[4:5], -1
                                        ; implicit-def: $sgpr10
	s_and_saveexec_b64 s[8:9], vcc
; %bb.27446:
	s_mov_b32 s10, 0x7f800001
	s_xor_b64 s[4:5], exec, -1
; %bb.27447:
	s_or_b64 exec, exec, s[8:9]
	s_and_b64 s[4:5], s[4:5], exec
                                        ; implicit-def: $vgpr6
	s_or_saveexec_b64 s[6:7], s[6:7]
	v_mov_b32_e32 v12, s10
	s_xor_b64 exec, exec, s[6:7]
	s_cbranch_execnz .LBB2_27448
; %bb.63285:
	s_getpc_b64 s[14:15]
.Lpost_getpc35226:
	s_add_u32 s14, s14, (.LBB2_13110-.Lpost_getpc35226)&4294967295
	s_addc_u32 s15, s15, (.LBB2_13110-.Lpost_getpc35226)>>32
	s_setpc_b64 s[14:15]
.LBB2_27448:
	v_cmp_ne_u16_e32 vcc, 0, v6
	s_andn2_b64 s[4:5], s[4:5], exec
	s_and_b64 s[8:9], vcc, exec
	v_mov_b32_e32 v12, 0
	s_or_b64 s[4:5], s[4:5], s[8:9]
	s_or_b64 exec, exec, s[6:7]
	s_and_saveexec_b64 s[6:7], s[4:5]
	s_cbranch_execz .LBB2_35227
; %bb.63287:
	s_getpc_b64 s[14:15]
.Lpost_getpc35227:
	s_add_u32 s14, s14, (.LBB2_13111-.Lpost_getpc35227)&4294967295
	s_addc_u32 s15, s15, (.LBB2_13111-.Lpost_getpc35227)>>32
	s_setpc_b64 s[14:15]
.LBB2_35227:
	s_getpc_b64 s[14:15]
.Lpost_getpc21197:
	s_add_u32 s14, s14, (.LBB2_13112-.Lpost_getpc21197)&4294967295
	s_addc_u32 s15, s15, (.LBB2_13112-.Lpost_getpc21197)>>32
	s_setpc_b64 s[14:15]
.LBB2_27449:
	s_movk_i32 s4, 0x80
	v_cmp_eq_u16_sdwa s[12:13], v7, s4 src0_sel:BYTE_3 src1_sel:DWORD
	s_mov_b64 s[4:5], -1
                                        ; implicit-def: $sgpr10
	s_and_saveexec_b64 s[8:9], s[12:13]
; %bb.27450:
	s_mov_b32 s10, 0x7f800001
	s_xor_b64 s[4:5], exec, -1
; %bb.27451:
	s_or_b64 exec, exec, s[8:9]
	s_and_b64 s[4:5], s[4:5], exec
	s_or_saveexec_b64 s[6:7], s[6:7]
	v_mov_b32_e32 v2, s10
	s_xor_b64 exec, exec, s[6:7]
	s_cbranch_execnz .LBB2_27452
; %bb.63289:
	s_getpc_b64 s[14:15]
.Lpost_getpc35228:
	s_add_u32 s14, s14, (.LBB2_13114-.Lpost_getpc35228)&4294967295
	s_addc_u32 s15, s15, (.LBB2_13114-.Lpost_getpc35228)>>32
	s_setpc_b64 s[14:15]
.LBB2_27452:
	v_mov_b32_e32 v2, 0
	v_cmp_ne_u16_sdwa s[8:9], v7, v2 src0_sel:BYTE_3 src1_sel:DWORD
	s_andn2_b64 s[4:5], s[4:5], exec
	s_and_b64 s[8:9], s[8:9], exec
	s_or_b64 s[4:5], s[4:5], s[8:9]
	s_or_b64 exec, exec, s[6:7]
	s_and_saveexec_b64 s[6:7], s[4:5]
	s_cbranch_execz .LBB2_35229
; %bb.63291:
	s_getpc_b64 s[14:15]
.Lpost_getpc35229:
	s_add_u32 s14, s14, (.LBB2_13115-.Lpost_getpc35229)&4294967295
	s_addc_u32 s15, s15, (.LBB2_13115-.Lpost_getpc35229)>>32
	s_setpc_b64 s[14:15]
.LBB2_35229:
	s_getpc_b64 s[14:15]
.Lpost_getpc21198:
	s_add_u32 s14, s14, (.LBB2_13116-.Lpost_getpc21198)&4294967295
	s_addc_u32 s15, s15, (.LBB2_13116-.Lpost_getpc21198)>>32
	s_setpc_b64 s[14:15]
.LBB2_27453:
	s_movk_i32 s4, 0x80
	v_cmp_eq_u16_sdwa s[12:13], v3, s4 src0_sel:BYTE_3 src1_sel:DWORD
	s_mov_b64 s[4:5], -1
                                        ; implicit-def: $sgpr10
	s_and_saveexec_b64 s[8:9], s[12:13]
; %bb.27454:
	s_mov_b32 s10, 0x7f800001
	s_xor_b64 s[4:5], exec, -1
; %bb.27455:
	s_or_b64 exec, exec, s[8:9]
	s_and_b64 s[4:5], s[4:5], exec
	s_or_saveexec_b64 s[6:7], s[6:7]
	v_mov_b32_e32 v6, s10
	s_xor_b64 exec, exec, s[6:7]
	s_cbranch_execnz .LBB2_27456
; %bb.63293:
	s_getpc_b64 s[14:15]
.Lpost_getpc35230:
	s_add_u32 s14, s14, (.LBB2_13118-.Lpost_getpc35230)&4294967295
	s_addc_u32 s15, s15, (.LBB2_13118-.Lpost_getpc35230)>>32
	s_setpc_b64 s[14:15]
.LBB2_27456:
	v_mov_b32_e32 v6, 0
	v_cmp_ne_u16_sdwa s[8:9], v3, v6 src0_sel:BYTE_3 src1_sel:DWORD
	s_andn2_b64 s[4:5], s[4:5], exec
	s_and_b64 s[8:9], s[8:9], exec
	s_or_b64 s[4:5], s[4:5], s[8:9]
	s_or_b64 exec, exec, s[6:7]
	s_and_saveexec_b64 s[6:7], s[4:5]
	s_cbranch_execz .LBB2_35231
; %bb.63295:
	s_getpc_b64 s[14:15]
.Lpost_getpc35231:
	s_add_u32 s14, s14, (.LBB2_13119-.Lpost_getpc35231)&4294967295
	s_addc_u32 s15, s15, (.LBB2_13119-.Lpost_getpc35231)>>32
	s_setpc_b64 s[14:15]
.LBB2_35231:
	s_getpc_b64 s[14:15]
.Lpost_getpc21199:
	s_add_u32 s14, s14, (.LBB2_13120-.Lpost_getpc21199)&4294967295
	s_addc_u32 s15, s15, (.LBB2_13120-.Lpost_getpc21199)>>32
	s_setpc_b64 s[14:15]
.LBB2_27457:
	s_movk_i32 s4, 0x80
	v_cmp_eq_u16_sdwa s[12:13], v8, s4 src0_sel:BYTE_0 src1_sel:DWORD
	s_mov_b64 s[4:5], -1
                                        ; implicit-def: $sgpr10
	s_and_saveexec_b64 s[8:9], s[12:13]
; %bb.27458:
	s_mov_b32 s10, 0x7f800001
	s_xor_b64 s[4:5], exec, -1
; %bb.27459:
	s_or_b64 exec, exec, s[8:9]
	s_and_b64 s[4:5], s[4:5], exec
	s_or_saveexec_b64 s[6:7], s[6:7]
	v_mov_b32_e32 v2, s10
	s_xor_b64 exec, exec, s[6:7]
	s_cbranch_execnz .LBB2_27460
; %bb.63297:
	s_getpc_b64 s[14:15]
.Lpost_getpc35232:
	s_add_u32 s14, s14, (.LBB2_13122-.Lpost_getpc35232)&4294967295
	s_addc_u32 s15, s15, (.LBB2_13122-.Lpost_getpc35232)>>32
	s_setpc_b64 s[14:15]
.LBB2_27460:
	v_mov_b32_e32 v2, 0
	v_cmp_ne_u16_sdwa s[8:9], v8, v2 src0_sel:BYTE_0 src1_sel:DWORD
	s_andn2_b64 s[4:5], s[4:5], exec
	s_and_b64 s[8:9], s[8:9], exec
	s_or_b64 s[4:5], s[4:5], s[8:9]
	s_or_b64 exec, exec, s[6:7]
	s_and_saveexec_b64 s[6:7], s[4:5]
	s_cbranch_execz .LBB2_35233
; %bb.63299:
	s_getpc_b64 s[14:15]
.Lpost_getpc35233:
	s_add_u32 s14, s14, (.LBB2_13123-.Lpost_getpc35233)&4294967295
	s_addc_u32 s15, s15, (.LBB2_13123-.Lpost_getpc35233)>>32
	s_setpc_b64 s[14:15]
.LBB2_35233:
	s_getpc_b64 s[14:15]
.Lpost_getpc21200:
	s_add_u32 s14, s14, (.LBB2_13124-.Lpost_getpc21200)&4294967295
	s_addc_u32 s15, s15, (.LBB2_13124-.Lpost_getpc21200)>>32
	s_setpc_b64 s[14:15]
.LBB2_27461:
	s_movk_i32 s4, 0x80
	v_cmp_eq_u16_sdwa s[12:13], v4, s4 src0_sel:BYTE_0 src1_sel:DWORD
	s_mov_b64 s[4:5], -1
                                        ; implicit-def: $sgpr10
	s_and_saveexec_b64 s[8:9], s[12:13]
; %bb.27462:
	s_mov_b32 s10, 0x7f800001
	s_xor_b64 s[4:5], exec, -1
; %bb.27463:
	s_or_b64 exec, exec, s[8:9]
	s_and_b64 s[4:5], s[4:5], exec
	s_or_saveexec_b64 s[6:7], s[6:7]
	v_mov_b32_e32 v3, s10
	s_xor_b64 exec, exec, s[6:7]
	s_cbranch_execnz .LBB2_27464
; %bb.63301:
	s_getpc_b64 s[14:15]
.Lpost_getpc35234:
	s_add_u32 s14, s14, (.LBB2_13126-.Lpost_getpc35234)&4294967295
	s_addc_u32 s15, s15, (.LBB2_13126-.Lpost_getpc35234)>>32
	s_setpc_b64 s[14:15]
.LBB2_27464:
	v_mov_b32_e32 v3, 0
	v_cmp_ne_u16_sdwa s[8:9], v4, v3 src0_sel:BYTE_0 src1_sel:DWORD
	s_andn2_b64 s[4:5], s[4:5], exec
	s_and_b64 s[8:9], s[8:9], exec
	s_or_b64 s[4:5], s[4:5], s[8:9]
	s_or_b64 exec, exec, s[6:7]
	s_and_saveexec_b64 s[6:7], s[4:5]
	s_cbranch_execz .LBB2_35235
; %bb.63303:
	s_getpc_b64 s[14:15]
.Lpost_getpc35235:
	s_add_u32 s14, s14, (.LBB2_13127-.Lpost_getpc35235)&4294967295
	s_addc_u32 s15, s15, (.LBB2_13127-.Lpost_getpc35235)>>32
	s_setpc_b64 s[14:15]
.LBB2_35235:
	s_getpc_b64 s[14:15]
.Lpost_getpc21201:
	s_add_u32 s14, s14, (.LBB2_13128-.Lpost_getpc21201)&4294967295
	s_addc_u32 s15, s15, (.LBB2_13128-.Lpost_getpc21201)>>32
	s_setpc_b64 s[14:15]
.LBB2_27465:
	s_movk_i32 s4, 0x80
	v_cmp_eq_u16_sdwa s[12:13], v3, s4 src0_sel:BYTE_0 src1_sel:DWORD
	s_mov_b64 s[4:5], -1
                                        ; implicit-def: $sgpr10
	s_and_saveexec_b64 s[8:9], s[12:13]
; %bb.27466:
	s_mov_b32 s10, 0x7f800001
	s_xor_b64 s[4:5], exec, -1
; %bb.27467:
	s_or_b64 exec, exec, s[8:9]
	s_and_b64 s[4:5], s[4:5], exec
	s_or_saveexec_b64 s[6:7], s[6:7]
	v_mov_b32_e32 v2, s10
	s_xor_b64 exec, exec, s[6:7]
	s_cbranch_execnz .LBB2_27468
; %bb.63305:
	s_getpc_b64 s[14:15]
.Lpost_getpc35236:
	s_add_u32 s14, s14, (.LBB2_13130-.Lpost_getpc35236)&4294967295
	s_addc_u32 s15, s15, (.LBB2_13130-.Lpost_getpc35236)>>32
	s_setpc_b64 s[14:15]
.LBB2_27468:
	v_mov_b32_e32 v2, 0
	v_cmp_ne_u16_sdwa s[8:9], v3, v2 src0_sel:BYTE_0 src1_sel:DWORD
	s_andn2_b64 s[4:5], s[4:5], exec
	s_and_b64 s[8:9], s[8:9], exec
	s_or_b64 s[4:5], s[4:5], s[8:9]
	s_or_b64 exec, exec, s[6:7]
	s_and_saveexec_b64 s[6:7], s[4:5]
	s_cbranch_execz .LBB2_35237
; %bb.63307:
	s_getpc_b64 s[14:15]
.Lpost_getpc35237:
	s_add_u32 s14, s14, (.LBB2_13131-.Lpost_getpc35237)&4294967295
	s_addc_u32 s15, s15, (.LBB2_13131-.Lpost_getpc35237)>>32
	s_setpc_b64 s[14:15]
.LBB2_35237:
	s_getpc_b64 s[14:15]
.Lpost_getpc21202:
	s_add_u32 s14, s14, (.LBB2_13132-.Lpost_getpc21202)&4294967295
	s_addc_u32 s15, s15, (.LBB2_13132-.Lpost_getpc21202)>>32
	s_setpc_b64 s[14:15]
.LBB2_27469:
	s_movk_i32 s4, 0x80
	v_cmp_eq_u16_sdwa s[12:13], v3, s4 src0_sel:BYTE_0 src1_sel:DWORD
	s_mov_b64 s[4:5], -1
                                        ; implicit-def: $sgpr10
	s_and_saveexec_b64 s[8:9], s[12:13]
; %bb.27470:
	s_mov_b32 s10, 0x7f800001
	s_xor_b64 s[4:5], exec, -1
; %bb.27471:
	s_or_b64 exec, exec, s[8:9]
	s_and_b64 s[4:5], s[4:5], exec
	s_or_saveexec_b64 s[6:7], s[6:7]
	v_mov_b32_e32 v6, s10
	s_xor_b64 exec, exec, s[6:7]
	s_cbranch_execnz .LBB2_27472
; %bb.63309:
	s_getpc_b64 s[14:15]
.Lpost_getpc35238:
	s_add_u32 s14, s14, (.LBB2_13134-.Lpost_getpc35238)&4294967295
	s_addc_u32 s15, s15, (.LBB2_13134-.Lpost_getpc35238)>>32
	s_setpc_b64 s[14:15]
.LBB2_27472:
	v_mov_b32_e32 v6, 0
	v_cmp_ne_u16_sdwa s[8:9], v3, v6 src0_sel:BYTE_0 src1_sel:DWORD
	s_andn2_b64 s[4:5], s[4:5], exec
	s_and_b64 s[8:9], s[8:9], exec
	s_or_b64 s[4:5], s[4:5], s[8:9]
	s_or_b64 exec, exec, s[6:7]
	s_and_saveexec_b64 s[6:7], s[4:5]
	s_cbranch_execz .LBB2_35239
; %bb.63311:
	s_getpc_b64 s[14:15]
.Lpost_getpc35239:
	s_add_u32 s14, s14, (.LBB2_13135-.Lpost_getpc35239)&4294967295
	s_addc_u32 s15, s15, (.LBB2_13135-.Lpost_getpc35239)>>32
	s_setpc_b64 s[14:15]
.LBB2_35239:
	s_getpc_b64 s[14:15]
.Lpost_getpc21203:
	s_add_u32 s14, s14, (.LBB2_13136-.Lpost_getpc21203)&4294967295
	s_addc_u32 s15, s15, (.LBB2_13136-.Lpost_getpc21203)>>32
	s_setpc_b64 s[14:15]
.LBB2_27473:
	s_movk_i32 s4, 0x80
	v_cmp_eq_u16_e32 vcc, s4, v3
	s_mov_b64 s[4:5], -1
                                        ; implicit-def: $sgpr10
	s_and_saveexec_b64 s[8:9], vcc
; %bb.27474:
	s_mov_b32 s10, 0x7f800001
	s_xor_b64 s[4:5], exec, -1
; %bb.27475:
	s_or_b64 exec, exec, s[8:9]
	s_and_b64 s[4:5], s[4:5], exec
                                        ; implicit-def: $vgpr3
	s_or_saveexec_b64 s[6:7], s[6:7]
	v_mov_b32_e32 v2, s10
	s_xor_b64 exec, exec, s[6:7]
	s_cbranch_execnz .LBB2_27476
; %bb.63313:
	s_getpc_b64 s[14:15]
.Lpost_getpc35240:
	s_add_u32 s14, s14, (.LBB2_13138-.Lpost_getpc35240)&4294967295
	s_addc_u32 s15, s15, (.LBB2_13138-.Lpost_getpc35240)>>32
	s_setpc_b64 s[14:15]
.LBB2_27476:
	v_cmp_ne_u16_e32 vcc, 0, v3
	s_andn2_b64 s[4:5], s[4:5], exec
	s_and_b64 s[8:9], vcc, exec
	v_mov_b32_e32 v2, 0
	s_or_b64 s[4:5], s[4:5], s[8:9]
	s_or_b64 exec, exec, s[6:7]
	s_and_saveexec_b64 s[6:7], s[4:5]
	s_cbranch_execz .LBB2_35241
; %bb.63315:
	s_getpc_b64 s[14:15]
.Lpost_getpc35241:
	s_add_u32 s14, s14, (.LBB2_13139-.Lpost_getpc35241)&4294967295
	s_addc_u32 s15, s15, (.LBB2_13139-.Lpost_getpc35241)>>32
	s_setpc_b64 s[14:15]
.LBB2_35241:
	s_getpc_b64 s[14:15]
.Lpost_getpc21204:
	s_add_u32 s14, s14, (.LBB2_13140-.Lpost_getpc21204)&4294967295
	s_addc_u32 s15, s15, (.LBB2_13140-.Lpost_getpc21204)>>32
	s_setpc_b64 s[14:15]
.LBB2_27477:
	s_movk_i32 s4, 0x80
	v_cmp_eq_u16_e32 vcc, s4, v3
	s_mov_b64 s[4:5], -1
                                        ; implicit-def: $sgpr10
	s_and_saveexec_b64 s[8:9], vcc
; %bb.27478:
	s_mov_b32 s10, 0x7f800001
	s_xor_b64 s[4:5], exec, -1
; %bb.27479:
	s_or_b64 exec, exec, s[8:9]
	s_and_b64 s[4:5], s[4:5], exec
                                        ; implicit-def: $vgpr3
	s_or_saveexec_b64 s[6:7], s[6:7]
	v_mov_b32_e32 v6, s10
	s_xor_b64 exec, exec, s[6:7]
	s_cbranch_execnz .LBB2_27480
; %bb.63317:
	s_getpc_b64 s[14:15]
.Lpost_getpc35242:
	s_add_u32 s14, s14, (.LBB2_13142-.Lpost_getpc35242)&4294967295
	s_addc_u32 s15, s15, (.LBB2_13142-.Lpost_getpc35242)>>32
	s_setpc_b64 s[14:15]
.LBB2_27480:
	v_cmp_ne_u16_e32 vcc, 0, v3
	s_andn2_b64 s[4:5], s[4:5], exec
	s_and_b64 s[8:9], vcc, exec
	v_mov_b32_e32 v6, 0
	s_or_b64 s[4:5], s[4:5], s[8:9]
	s_or_b64 exec, exec, s[6:7]
	s_and_saveexec_b64 s[6:7], s[4:5]
	s_cbranch_execz .LBB2_35243
; %bb.63319:
	s_getpc_b64 s[14:15]
.Lpost_getpc35243:
	s_add_u32 s14, s14, (.LBB2_13143-.Lpost_getpc35243)&4294967295
	s_addc_u32 s15, s15, (.LBB2_13143-.Lpost_getpc35243)>>32
	s_setpc_b64 s[14:15]
.LBB2_35243:
	s_getpc_b64 s[14:15]
.Lpost_getpc21205:
	s_add_u32 s14, s14, (.LBB2_13144-.Lpost_getpc21205)&4294967295
	s_addc_u32 s15, s15, (.LBB2_13144-.Lpost_getpc21205)>>32
	s_setpc_b64 s[14:15]
.LBB2_27481:
	s_movk_i32 s4, 0x80
	v_cmp_eq_u16_sdwa s[12:13], v8, s4 src0_sel:BYTE_3 src1_sel:DWORD
	s_mov_b64 s[4:5], -1
                                        ; implicit-def: $sgpr10
	s_and_saveexec_b64 s[8:9], s[12:13]
; %bb.27482:
	s_mov_b32 s10, 0x7f800001
	s_xor_b64 s[4:5], exec, -1
; %bb.27483:
	s_or_b64 exec, exec, s[8:9]
	s_and_b64 s[4:5], s[4:5], exec
	s_or_saveexec_b64 s[6:7], s[6:7]
	v_mov_b32_e32 v2, s10
	s_xor_b64 exec, exec, s[6:7]
	s_cbranch_execnz .LBB2_27484
; %bb.63321:
	s_getpc_b64 s[14:15]
.Lpost_getpc35244:
	s_add_u32 s14, s14, (.LBB2_13146-.Lpost_getpc35244)&4294967295
	s_addc_u32 s15, s15, (.LBB2_13146-.Lpost_getpc35244)>>32
	s_setpc_b64 s[14:15]
.LBB2_27484:
	v_mov_b32_e32 v2, 0
	v_cmp_ne_u16_sdwa s[8:9], v8, v2 src0_sel:BYTE_3 src1_sel:DWORD
	s_andn2_b64 s[4:5], s[4:5], exec
	s_and_b64 s[8:9], s[8:9], exec
	s_or_b64 s[4:5], s[4:5], s[8:9]
	s_or_b64 exec, exec, s[6:7]
	s_and_saveexec_b64 s[6:7], s[4:5]
	s_cbranch_execz .LBB2_35245
; %bb.63323:
	s_getpc_b64 s[14:15]
.Lpost_getpc35245:
	s_add_u32 s14, s14, (.LBB2_13147-.Lpost_getpc35245)&4294967295
	s_addc_u32 s15, s15, (.LBB2_13147-.Lpost_getpc35245)>>32
	s_setpc_b64 s[14:15]
.LBB2_35245:
	s_getpc_b64 s[14:15]
.Lpost_getpc21206:
	s_add_u32 s14, s14, (.LBB2_13148-.Lpost_getpc21206)&4294967295
	s_addc_u32 s15, s15, (.LBB2_13148-.Lpost_getpc21206)>>32
	s_setpc_b64 s[14:15]
.LBB2_27485:
	s_movk_i32 s4, 0x80
	v_cmp_eq_u16_sdwa s[12:13], v4, s4 src0_sel:BYTE_3 src1_sel:DWORD
	s_mov_b64 s[4:5], -1
                                        ; implicit-def: $sgpr10
	s_and_saveexec_b64 s[8:9], s[12:13]
; %bb.27486:
	s_mov_b32 s10, 0x7f800001
	s_xor_b64 s[4:5], exec, -1
; %bb.27487:
	s_or_b64 exec, exec, s[8:9]
	s_and_b64 s[4:5], s[4:5], exec
	s_or_saveexec_b64 s[6:7], s[6:7]
	v_mov_b32_e32 v3, s10
	s_xor_b64 exec, exec, s[6:7]
	s_cbranch_execnz .LBB2_27488
; %bb.63325:
	s_getpc_b64 s[14:15]
.Lpost_getpc35246:
	s_add_u32 s14, s14, (.LBB2_13150-.Lpost_getpc35246)&4294967295
	s_addc_u32 s15, s15, (.LBB2_13150-.Lpost_getpc35246)>>32
	s_setpc_b64 s[14:15]
.LBB2_27488:
	v_mov_b32_e32 v3, 0
	v_cmp_ne_u16_sdwa s[8:9], v4, v3 src0_sel:BYTE_3 src1_sel:DWORD
	s_andn2_b64 s[4:5], s[4:5], exec
	s_and_b64 s[8:9], s[8:9], exec
	s_or_b64 s[4:5], s[4:5], s[8:9]
	s_or_b64 exec, exec, s[6:7]
	s_and_saveexec_b64 s[6:7], s[4:5]
	s_cbranch_execz .LBB2_35247
; %bb.63327:
	s_getpc_b64 s[14:15]
.Lpost_getpc35247:
	s_add_u32 s14, s14, (.LBB2_13151-.Lpost_getpc35247)&4294967295
	s_addc_u32 s15, s15, (.LBB2_13151-.Lpost_getpc35247)>>32
	s_setpc_b64 s[14:15]
.LBB2_35247:
	s_getpc_b64 s[14:15]
.Lpost_getpc21207:
	s_add_u32 s14, s14, (.LBB2_13152-.Lpost_getpc21207)&4294967295
	s_addc_u32 s15, s15, (.LBB2_13152-.Lpost_getpc21207)>>32
	s_setpc_b64 s[14:15]
.LBB2_27489:
	s_movk_i32 s4, 0x80
	v_cmp_eq_u16_sdwa s[12:13], v9, s4 src0_sel:BYTE_0 src1_sel:DWORD
	s_mov_b64 s[4:5], -1
                                        ; implicit-def: $sgpr10
	s_and_saveexec_b64 s[8:9], s[12:13]
; %bb.27490:
	s_mov_b32 s10, 0x7f800001
	s_xor_b64 s[4:5], exec, -1
; %bb.27491:
	s_or_b64 exec, exec, s[8:9]
	s_and_b64 s[4:5], s[4:5], exec
	s_or_saveexec_b64 s[6:7], s[6:7]
	v_mov_b32_e32 v2, s10
	s_xor_b64 exec, exec, s[6:7]
	s_cbranch_execnz .LBB2_27492
; %bb.63329:
	s_getpc_b64 s[14:15]
.Lpost_getpc35248:
	s_add_u32 s14, s14, (.LBB2_13154-.Lpost_getpc35248)&4294967295
	s_addc_u32 s15, s15, (.LBB2_13154-.Lpost_getpc35248)>>32
	s_setpc_b64 s[14:15]
.LBB2_27492:
	v_mov_b32_e32 v2, 0
	v_cmp_ne_u16_sdwa s[8:9], v9, v2 src0_sel:BYTE_0 src1_sel:DWORD
	s_andn2_b64 s[4:5], s[4:5], exec
	s_and_b64 s[8:9], s[8:9], exec
	s_or_b64 s[4:5], s[4:5], s[8:9]
	s_or_b64 exec, exec, s[6:7]
	s_and_saveexec_b64 s[6:7], s[4:5]
	s_cbranch_execz .LBB2_35249
; %bb.63331:
	s_getpc_b64 s[14:15]
.Lpost_getpc35249:
	s_add_u32 s14, s14, (.LBB2_13155-.Lpost_getpc35249)&4294967295
	s_addc_u32 s15, s15, (.LBB2_13155-.Lpost_getpc35249)>>32
	s_setpc_b64 s[14:15]
.LBB2_35249:
	s_getpc_b64 s[14:15]
.Lpost_getpc21208:
	s_add_u32 s14, s14, (.LBB2_13156-.Lpost_getpc21208)&4294967295
	s_addc_u32 s15, s15, (.LBB2_13156-.Lpost_getpc21208)>>32
	s_setpc_b64 s[14:15]
.LBB2_27493:
	s_movk_i32 s4, 0x80
	v_cmp_eq_u16_sdwa s[12:13], v5, s4 src0_sel:BYTE_0 src1_sel:DWORD
	s_mov_b64 s[4:5], -1
                                        ; implicit-def: $sgpr10
	s_and_saveexec_b64 s[8:9], s[12:13]
; %bb.27494:
	s_mov_b32 s10, 0x7f800001
	s_xor_b64 s[4:5], exec, -1
; %bb.27495:
	s_or_b64 exec, exec, s[8:9]
	s_and_b64 s[4:5], s[4:5], exec
	s_or_saveexec_b64 s[6:7], s[6:7]
	v_mov_b32_e32 v3, s10
	s_xor_b64 exec, exec, s[6:7]
	s_cbranch_execnz .LBB2_27496
; %bb.63333:
	s_getpc_b64 s[14:15]
.Lpost_getpc35250:
	s_add_u32 s14, s14, (.LBB2_13158-.Lpost_getpc35250)&4294967295
	s_addc_u32 s15, s15, (.LBB2_13158-.Lpost_getpc35250)>>32
	s_setpc_b64 s[14:15]
.LBB2_27496:
	v_mov_b32_e32 v3, 0
	v_cmp_ne_u16_sdwa s[8:9], v5, v3 src0_sel:BYTE_0 src1_sel:DWORD
	s_andn2_b64 s[4:5], s[4:5], exec
	s_and_b64 s[8:9], s[8:9], exec
	s_or_b64 s[4:5], s[4:5], s[8:9]
	s_or_b64 exec, exec, s[6:7]
	s_and_saveexec_b64 s[6:7], s[4:5]
	s_cbranch_execz .LBB2_35251
; %bb.63335:
	s_getpc_b64 s[14:15]
.Lpost_getpc35251:
	s_add_u32 s14, s14, (.LBB2_13159-.Lpost_getpc35251)&4294967295
	s_addc_u32 s15, s15, (.LBB2_13159-.Lpost_getpc35251)>>32
	s_setpc_b64 s[14:15]
.LBB2_35251:
	s_getpc_b64 s[14:15]
.Lpost_getpc21209:
	s_add_u32 s14, s14, (.LBB2_13160-.Lpost_getpc21209)&4294967295
	s_addc_u32 s15, s15, (.LBB2_13160-.Lpost_getpc21209)>>32
	s_setpc_b64 s[14:15]
.LBB2_27497:
	s_movk_i32 s4, 0x80
	v_cmp_eq_u16_sdwa s[12:13], v3, s4 src0_sel:BYTE_0 src1_sel:DWORD
	s_mov_b64 s[4:5], -1
                                        ; implicit-def: $sgpr10
	s_and_saveexec_b64 s[8:9], s[12:13]
; %bb.27498:
	s_mov_b32 s10, 0x7f800001
	s_xor_b64 s[4:5], exec, -1
; %bb.27499:
	s_or_b64 exec, exec, s[8:9]
	s_and_b64 s[4:5], s[4:5], exec
	s_or_saveexec_b64 s[6:7], s[6:7]
	v_mov_b32_e32 v2, s10
	s_xor_b64 exec, exec, s[6:7]
	s_cbranch_execnz .LBB2_27500
; %bb.63337:
	s_getpc_b64 s[14:15]
.Lpost_getpc35252:
	s_add_u32 s14, s14, (.LBB2_13162-.Lpost_getpc35252)&4294967295
	s_addc_u32 s15, s15, (.LBB2_13162-.Lpost_getpc35252)>>32
	s_setpc_b64 s[14:15]
.LBB2_27500:
	v_mov_b32_e32 v2, 0
	v_cmp_ne_u16_sdwa s[8:9], v3, v2 src0_sel:BYTE_0 src1_sel:DWORD
	s_andn2_b64 s[4:5], s[4:5], exec
	s_and_b64 s[8:9], s[8:9], exec
	s_or_b64 s[4:5], s[4:5], s[8:9]
	s_or_b64 exec, exec, s[6:7]
	s_and_saveexec_b64 s[6:7], s[4:5]
	s_cbranch_execz .LBB2_35253
; %bb.63339:
	s_getpc_b64 s[14:15]
.Lpost_getpc35253:
	s_add_u32 s14, s14, (.LBB2_13163-.Lpost_getpc35253)&4294967295
	s_addc_u32 s15, s15, (.LBB2_13163-.Lpost_getpc35253)>>32
	s_setpc_b64 s[14:15]
.LBB2_35253:
	s_getpc_b64 s[14:15]
.Lpost_getpc21210:
	s_add_u32 s14, s14, (.LBB2_13164-.Lpost_getpc21210)&4294967295
	s_addc_u32 s15, s15, (.LBB2_13164-.Lpost_getpc21210)>>32
	s_setpc_b64 s[14:15]
.LBB2_27501:
	s_movk_i32 s4, 0x80
	v_cmp_eq_u16_sdwa s[12:13], v3, s4 src0_sel:BYTE_0 src1_sel:DWORD
	s_mov_b64 s[4:5], -1
                                        ; implicit-def: $sgpr10
	s_and_saveexec_b64 s[8:9], s[12:13]
; %bb.27502:
	s_mov_b32 s10, 0x7f800001
	s_xor_b64 s[4:5], exec, -1
; %bb.27503:
	s_or_b64 exec, exec, s[8:9]
	s_and_b64 s[4:5], s[4:5], exec
	s_or_saveexec_b64 s[6:7], s[6:7]
	v_mov_b32_e32 v4, s10
	s_xor_b64 exec, exec, s[6:7]
	s_cbranch_execnz .LBB2_27504
; %bb.63341:
	s_getpc_b64 s[14:15]
.Lpost_getpc35254:
	s_add_u32 s14, s14, (.LBB2_13166-.Lpost_getpc35254)&4294967295
	s_addc_u32 s15, s15, (.LBB2_13166-.Lpost_getpc35254)>>32
	s_setpc_b64 s[14:15]
.LBB2_27504:
	v_mov_b32_e32 v4, 0
	v_cmp_ne_u16_sdwa s[8:9], v3, v4 src0_sel:BYTE_0 src1_sel:DWORD
	s_andn2_b64 s[4:5], s[4:5], exec
	s_and_b64 s[8:9], s[8:9], exec
	s_or_b64 s[4:5], s[4:5], s[8:9]
	s_or_b64 exec, exec, s[6:7]
	s_and_saveexec_b64 s[6:7], s[4:5]
	s_cbranch_execz .LBB2_35255
; %bb.63343:
	s_getpc_b64 s[14:15]
.Lpost_getpc35255:
	s_add_u32 s14, s14, (.LBB2_13167-.Lpost_getpc35255)&4294967295
	s_addc_u32 s15, s15, (.LBB2_13167-.Lpost_getpc35255)>>32
	s_setpc_b64 s[14:15]
.LBB2_35255:
	s_getpc_b64 s[14:15]
.Lpost_getpc21211:
	s_add_u32 s14, s14, (.LBB2_13168-.Lpost_getpc21211)&4294967295
	s_addc_u32 s15, s15, (.LBB2_13168-.Lpost_getpc21211)>>32
	s_setpc_b64 s[14:15]
.LBB2_27505:
	s_movk_i32 s4, 0x80
	v_cmp_eq_u16_e32 vcc, s4, v3
	s_mov_b64 s[4:5], -1
                                        ; implicit-def: $sgpr10
	s_and_saveexec_b64 s[8:9], vcc
; %bb.27506:
	s_mov_b32 s10, 0x7f800001
	s_xor_b64 s[4:5], exec, -1
; %bb.27507:
	s_or_b64 exec, exec, s[8:9]
	s_and_b64 s[4:5], s[4:5], exec
                                        ; implicit-def: $vgpr3
	s_or_saveexec_b64 s[6:7], s[6:7]
	v_mov_b32_e32 v2, s10
	s_xor_b64 exec, exec, s[6:7]
	s_cbranch_execnz .LBB2_27508
; %bb.63345:
	s_getpc_b64 s[14:15]
.Lpost_getpc35256:
	s_add_u32 s14, s14, (.LBB2_13170-.Lpost_getpc35256)&4294967295
	s_addc_u32 s15, s15, (.LBB2_13170-.Lpost_getpc35256)>>32
	s_setpc_b64 s[14:15]
.LBB2_27508:
	v_cmp_ne_u16_e32 vcc, 0, v3
	s_andn2_b64 s[4:5], s[4:5], exec
	s_and_b64 s[8:9], vcc, exec
	v_mov_b32_e32 v2, 0
	s_or_b64 s[4:5], s[4:5], s[8:9]
	s_or_b64 exec, exec, s[6:7]
	s_and_saveexec_b64 s[6:7], s[4:5]
	s_cbranch_execz .LBB2_35257
; %bb.63347:
	s_getpc_b64 s[14:15]
.Lpost_getpc35257:
	s_add_u32 s14, s14, (.LBB2_13171-.Lpost_getpc35257)&4294967295
	s_addc_u32 s15, s15, (.LBB2_13171-.Lpost_getpc35257)>>32
	s_setpc_b64 s[14:15]
.LBB2_35257:
	s_getpc_b64 s[14:15]
.Lpost_getpc21212:
	s_add_u32 s14, s14, (.LBB2_13172-.Lpost_getpc21212)&4294967295
	s_addc_u32 s15, s15, (.LBB2_13172-.Lpost_getpc21212)>>32
	s_setpc_b64 s[14:15]
.LBB2_27509:
	s_movk_i32 s4, 0x80
	v_cmp_eq_u16_e32 vcc, s4, v3
	s_mov_b64 s[4:5], -1
                                        ; implicit-def: $sgpr10
	s_and_saveexec_b64 s[8:9], vcc
; %bb.27510:
	s_mov_b32 s10, 0x7f800001
	s_xor_b64 s[4:5], exec, -1
; %bb.27511:
	s_or_b64 exec, exec, s[8:9]
	s_and_b64 s[4:5], s[4:5], exec
                                        ; implicit-def: $vgpr3
	s_or_saveexec_b64 s[6:7], s[6:7]
	v_mov_b32_e32 v4, s10
	s_xor_b64 exec, exec, s[6:7]
	s_cbranch_execnz .LBB2_27512
; %bb.63349:
	s_getpc_b64 s[14:15]
.Lpost_getpc35258:
	s_add_u32 s14, s14, (.LBB2_13174-.Lpost_getpc35258)&4294967295
	s_addc_u32 s15, s15, (.LBB2_13174-.Lpost_getpc35258)>>32
	s_setpc_b64 s[14:15]
.LBB2_27512:
	v_cmp_ne_u16_e32 vcc, 0, v3
	s_andn2_b64 s[4:5], s[4:5], exec
	s_and_b64 s[8:9], vcc, exec
	v_mov_b32_e32 v4, 0
	s_or_b64 s[4:5], s[4:5], s[8:9]
	s_or_b64 exec, exec, s[6:7]
	s_and_saveexec_b64 s[6:7], s[4:5]
	s_cbranch_execz .LBB2_35259
; %bb.63351:
	s_getpc_b64 s[14:15]
.Lpost_getpc35259:
	s_add_u32 s14, s14, (.LBB2_13175-.Lpost_getpc35259)&4294967295
	s_addc_u32 s15, s15, (.LBB2_13175-.Lpost_getpc35259)>>32
	s_setpc_b64 s[14:15]
.LBB2_35259:
	s_getpc_b64 s[14:15]
.Lpost_getpc21213:
	s_add_u32 s14, s14, (.LBB2_13176-.Lpost_getpc21213)&4294967295
	s_addc_u32 s15, s15, (.LBB2_13176-.Lpost_getpc21213)>>32
	s_setpc_b64 s[14:15]
.LBB2_27513:
	s_movk_i32 s4, 0x80
	v_cmp_eq_u16_sdwa s[12:13], v9, s4 src0_sel:BYTE_3 src1_sel:DWORD
	s_mov_b64 s[4:5], -1
                                        ; implicit-def: $sgpr10
	s_and_saveexec_b64 s[8:9], s[12:13]
; %bb.27514:
	s_mov_b32 s10, 0x7f800001
	s_xor_b64 s[4:5], exec, -1
; %bb.27515:
	s_or_b64 exec, exec, s[8:9]
	s_and_b64 s[4:5], s[4:5], exec
	s_or_saveexec_b64 s[6:7], s[6:7]
	v_mov_b32_e32 v2, s10
	s_xor_b64 exec, exec, s[6:7]
	s_cbranch_execnz .LBB2_27516
; %bb.63353:
	s_getpc_b64 s[14:15]
.Lpost_getpc35260:
	s_add_u32 s14, s14, (.LBB2_13178-.Lpost_getpc35260)&4294967295
	s_addc_u32 s15, s15, (.LBB2_13178-.Lpost_getpc35260)>>32
	s_setpc_b64 s[14:15]
.LBB2_27516:
	v_mov_b32_e32 v2, 0
	v_cmp_ne_u16_sdwa s[8:9], v9, v2 src0_sel:BYTE_3 src1_sel:DWORD
	s_andn2_b64 s[4:5], s[4:5], exec
	s_and_b64 s[8:9], s[8:9], exec
	s_or_b64 s[4:5], s[4:5], s[8:9]
	s_or_b64 exec, exec, s[6:7]
	s_and_saveexec_b64 s[6:7], s[4:5]
	s_cbranch_execz .LBB2_35261
; %bb.63355:
	s_getpc_b64 s[14:15]
.Lpost_getpc35261:
	s_add_u32 s14, s14, (.LBB2_13179-.Lpost_getpc35261)&4294967295
	s_addc_u32 s15, s15, (.LBB2_13179-.Lpost_getpc35261)>>32
	s_setpc_b64 s[14:15]
.LBB2_35261:
	s_getpc_b64 s[14:15]
.Lpost_getpc21214:
	s_add_u32 s14, s14, (.LBB2_13180-.Lpost_getpc21214)&4294967295
	s_addc_u32 s15, s15, (.LBB2_13180-.Lpost_getpc21214)>>32
	s_setpc_b64 s[14:15]
.LBB2_27517:
	s_movk_i32 s4, 0x80
	v_cmp_eq_u16_sdwa s[12:13], v5, s4 src0_sel:BYTE_3 src1_sel:DWORD
	s_mov_b64 s[4:5], -1
                                        ; implicit-def: $sgpr10
	s_and_saveexec_b64 s[8:9], s[12:13]
; %bb.27518:
	s_mov_b32 s10, 0x7f800001
	s_xor_b64 s[4:5], exec, -1
; %bb.27519:
	s_or_b64 exec, exec, s[8:9]
	s_and_b64 s[4:5], s[4:5], exec
	s_or_saveexec_b64 s[6:7], s[6:7]
	v_mov_b32_e32 v3, s10
	s_xor_b64 exec, exec, s[6:7]
	s_cbranch_execnz .LBB2_27520
; %bb.63357:
	s_getpc_b64 s[14:15]
.Lpost_getpc35262:
	s_add_u32 s14, s14, (.LBB2_13182-.Lpost_getpc35262)&4294967295
	s_addc_u32 s15, s15, (.LBB2_13182-.Lpost_getpc35262)>>32
	s_setpc_b64 s[14:15]
.LBB2_27520:
	v_mov_b32_e32 v3, 0
	v_cmp_ne_u16_sdwa s[8:9], v5, v3 src0_sel:BYTE_3 src1_sel:DWORD
	s_andn2_b64 s[4:5], s[4:5], exec
	s_and_b64 s[8:9], s[8:9], exec
	s_or_b64 s[4:5], s[4:5], s[8:9]
	s_or_b64 exec, exec, s[6:7]
	s_and_saveexec_b64 s[6:7], s[4:5]
	s_cbranch_execz .LBB2_35263
; %bb.63359:
	s_getpc_b64 s[14:15]
.Lpost_getpc35263:
	s_add_u32 s14, s14, (.LBB2_13183-.Lpost_getpc35263)&4294967295
	s_addc_u32 s15, s15, (.LBB2_13183-.Lpost_getpc35263)>>32
	s_setpc_b64 s[14:15]
.LBB2_35263:
	s_getpc_b64 s[14:15]
.Lpost_getpc21215:
	s_add_u32 s14, s14, (.LBB2_13184-.Lpost_getpc21215)&4294967295
	s_addc_u32 s15, s15, (.LBB2_13184-.Lpost_getpc21215)>>32
	s_setpc_b64 s[14:15]
.LBB2_27521:
	s_movk_i32 s4, 0x80
	v_cmp_eq_u16_sdwa s[12:13], v6, s4 src0_sel:BYTE_0 src1_sel:DWORD
	s_mov_b64 s[4:5], -1
                                        ; implicit-def: $sgpr10
	s_and_saveexec_b64 s[8:9], s[12:13]
; %bb.27522:
	s_mov_b32 s10, 0x7f800001
	s_xor_b64 s[4:5], exec, -1
; %bb.27523:
	s_or_b64 exec, exec, s[8:9]
	s_and_b64 s[4:5], s[4:5], exec
	s_or_saveexec_b64 s[6:7], s[6:7]
	v_mov_b32_e32 v12, s10
	s_xor_b64 exec, exec, s[6:7]
	s_cbranch_execnz .LBB2_27524
; %bb.63361:
	s_getpc_b64 s[14:15]
.Lpost_getpc35264:
	s_add_u32 s14, s14, (.LBB2_13186-.Lpost_getpc35264)&4294967295
	s_addc_u32 s15, s15, (.LBB2_13186-.Lpost_getpc35264)>>32
	s_setpc_b64 s[14:15]
.LBB2_27524:
	v_mov_b32_e32 v12, 0
	v_cmp_ne_u16_sdwa s[8:9], v6, v12 src0_sel:BYTE_0 src1_sel:DWORD
	s_andn2_b64 s[4:5], s[4:5], exec
	s_and_b64 s[8:9], s[8:9], exec
	s_or_b64 s[4:5], s[4:5], s[8:9]
	s_or_b64 exec, exec, s[6:7]
	s_and_saveexec_b64 s[6:7], s[4:5]
	s_cbranch_execz .LBB2_35265
; %bb.63363:
	s_getpc_b64 s[14:15]
.Lpost_getpc35265:
	s_add_u32 s14, s14, (.LBB2_13187-.Lpost_getpc35265)&4294967295
	s_addc_u32 s15, s15, (.LBB2_13187-.Lpost_getpc35265)>>32
	s_setpc_b64 s[14:15]
.LBB2_35265:
	s_getpc_b64 s[14:15]
.Lpost_getpc21216:
	s_add_u32 s14, s14, (.LBB2_13188-.Lpost_getpc21216)&4294967295
	s_addc_u32 s15, s15, (.LBB2_13188-.Lpost_getpc21216)>>32
	s_setpc_b64 s[14:15]
.LBB2_27525:
	s_movk_i32 s4, 0x80
	v_cmp_eq_u16_sdwa s[12:13], v2, s4 src0_sel:BYTE_0 src1_sel:DWORD
	s_mov_b64 s[4:5], -1
                                        ; implicit-def: $sgpr10
	s_and_saveexec_b64 s[8:9], s[12:13]
; %bb.27526:
	s_mov_b32 s10, 0x7f800001
	s_xor_b64 s[4:5], exec, -1
; %bb.27527:
	s_or_b64 exec, exec, s[8:9]
	s_and_b64 s[4:5], s[4:5], exec
	s_or_saveexec_b64 s[6:7], s[6:7]
	v_mov_b32_e32 v13, s10
	s_xor_b64 exec, exec, s[6:7]
	s_cbranch_execnz .LBB2_27528
; %bb.63365:
	s_getpc_b64 s[14:15]
.Lpost_getpc35266:
	s_add_u32 s14, s14, (.LBB2_13190-.Lpost_getpc35266)&4294967295
	s_addc_u32 s15, s15, (.LBB2_13190-.Lpost_getpc35266)>>32
	s_setpc_b64 s[14:15]
.LBB2_27528:
	v_mov_b32_e32 v13, 0
	v_cmp_ne_u16_sdwa s[8:9], v2, v13 src0_sel:BYTE_0 src1_sel:DWORD
	s_andn2_b64 s[4:5], s[4:5], exec
	s_and_b64 s[8:9], s[8:9], exec
	s_or_b64 s[4:5], s[4:5], s[8:9]
	s_or_b64 exec, exec, s[6:7]
	s_and_saveexec_b64 s[6:7], s[4:5]
	s_cbranch_execz .LBB2_35267
; %bb.63367:
	s_getpc_b64 s[14:15]
.Lpost_getpc35267:
	s_add_u32 s14, s14, (.LBB2_13191-.Lpost_getpc35267)&4294967295
	s_addc_u32 s15, s15, (.LBB2_13191-.Lpost_getpc35267)>>32
	s_setpc_b64 s[14:15]
.LBB2_35267:
	s_getpc_b64 s[14:15]
.Lpost_getpc21217:
	s_add_u32 s14, s14, (.LBB2_13192-.Lpost_getpc21217)&4294967295
	s_addc_u32 s15, s15, (.LBB2_13192-.Lpost_getpc21217)>>32
	s_setpc_b64 s[14:15]
.LBB2_27529:
	s_movk_i32 s4, 0x80
	v_cmp_eq_u16_sdwa s[12:13], v13, s4 src0_sel:BYTE_0 src1_sel:DWORD
	s_mov_b64 s[4:5], -1
                                        ; implicit-def: $sgpr10
	s_and_saveexec_b64 s[8:9], s[12:13]
; %bb.27530:
	s_mov_b32 s10, 0x7f800001
	s_xor_b64 s[4:5], exec, -1
; %bb.27531:
	s_or_b64 exec, exec, s[8:9]
	s_and_b64 s[4:5], s[4:5], exec
	s_or_saveexec_b64 s[6:7], s[6:7]
	v_mov_b32_e32 v12, s10
	s_xor_b64 exec, exec, s[6:7]
	s_cbranch_execnz .LBB2_27532
; %bb.63369:
	s_getpc_b64 s[14:15]
.Lpost_getpc35268:
	s_add_u32 s14, s14, (.LBB2_13194-.Lpost_getpc35268)&4294967295
	s_addc_u32 s15, s15, (.LBB2_13194-.Lpost_getpc35268)>>32
	s_setpc_b64 s[14:15]
.LBB2_27532:
	v_mov_b32_e32 v12, 0
	v_cmp_ne_u16_sdwa s[8:9], v13, v12 src0_sel:BYTE_0 src1_sel:DWORD
	s_andn2_b64 s[4:5], s[4:5], exec
	s_and_b64 s[8:9], s[8:9], exec
	s_or_b64 s[4:5], s[4:5], s[8:9]
	s_or_b64 exec, exec, s[6:7]
	s_and_saveexec_b64 s[6:7], s[4:5]
	s_cbranch_execz .LBB2_35269
; %bb.63371:
	s_getpc_b64 s[14:15]
.Lpost_getpc35269:
	s_add_u32 s14, s14, (.LBB2_13195-.Lpost_getpc35269)&4294967295
	s_addc_u32 s15, s15, (.LBB2_13195-.Lpost_getpc35269)>>32
	s_setpc_b64 s[14:15]
.LBB2_35269:
	s_getpc_b64 s[14:15]
.Lpost_getpc21218:
	s_add_u32 s14, s14, (.LBB2_13196-.Lpost_getpc21218)&4294967295
	s_addc_u32 s15, s15, (.LBB2_13196-.Lpost_getpc21218)>>32
	s_setpc_b64 s[14:15]
.LBB2_27533:
	s_movk_i32 s4, 0x80
	v_cmp_eq_u16_sdwa s[12:13], v13, s4 src0_sel:BYTE_0 src1_sel:DWORD
	s_mov_b64 s[4:5], -1
                                        ; implicit-def: $sgpr10
	s_and_saveexec_b64 s[8:9], s[12:13]
; %bb.27534:
	s_mov_b32 s10, 0x7f800001
	s_xor_b64 s[4:5], exec, -1
; %bb.27535:
	s_or_b64 exec, exec, s[8:9]
	s_and_b64 s[4:5], s[4:5], exec
	s_or_saveexec_b64 s[6:7], s[6:7]
	v_mov_b32_e32 v14, s10
	s_xor_b64 exec, exec, s[6:7]
	s_cbranch_execnz .LBB2_27536
; %bb.63373:
	s_getpc_b64 s[14:15]
.Lpost_getpc35270:
	s_add_u32 s14, s14, (.LBB2_13198-.Lpost_getpc35270)&4294967295
	s_addc_u32 s15, s15, (.LBB2_13198-.Lpost_getpc35270)>>32
	s_setpc_b64 s[14:15]
.LBB2_27536:
	v_mov_b32_e32 v14, 0
	v_cmp_ne_u16_sdwa s[8:9], v13, v14 src0_sel:BYTE_0 src1_sel:DWORD
	s_andn2_b64 s[4:5], s[4:5], exec
	s_and_b64 s[8:9], s[8:9], exec
	s_or_b64 s[4:5], s[4:5], s[8:9]
	s_or_b64 exec, exec, s[6:7]
	s_and_saveexec_b64 s[6:7], s[4:5]
	s_cbranch_execz .LBB2_35271
; %bb.63375:
	s_getpc_b64 s[14:15]
.Lpost_getpc35271:
	s_add_u32 s14, s14, (.LBB2_13199-.Lpost_getpc35271)&4294967295
	s_addc_u32 s15, s15, (.LBB2_13199-.Lpost_getpc35271)>>32
	s_setpc_b64 s[14:15]
.LBB2_35271:
	s_getpc_b64 s[14:15]
.Lpost_getpc21219:
	s_add_u32 s14, s14, (.LBB2_13200-.Lpost_getpc21219)&4294967295
	s_addc_u32 s15, s15, (.LBB2_13200-.Lpost_getpc21219)>>32
	s_setpc_b64 s[14:15]
.LBB2_27537:
	s_movk_i32 s4, 0x80
	v_cmp_eq_u16_e32 vcc, s4, v13
	s_mov_b64 s[4:5], -1
                                        ; implicit-def: $sgpr10
	s_and_saveexec_b64 s[8:9], vcc
; %bb.27538:
	s_mov_b32 s10, 0x7f800001
	s_xor_b64 s[4:5], exec, -1
; %bb.27539:
	s_or_b64 exec, exec, s[8:9]
	s_and_b64 s[4:5], s[4:5], exec
                                        ; implicit-def: $vgpr13
	s_or_saveexec_b64 s[6:7], s[6:7]
	v_mov_b32_e32 v12, s10
	s_xor_b64 exec, exec, s[6:7]
	s_cbranch_execnz .LBB2_27540
; %bb.63377:
	s_getpc_b64 s[14:15]
.Lpost_getpc35272:
	s_add_u32 s14, s14, (.LBB2_13202-.Lpost_getpc35272)&4294967295
	s_addc_u32 s15, s15, (.LBB2_13202-.Lpost_getpc35272)>>32
	s_setpc_b64 s[14:15]
.LBB2_27540:
	v_cmp_ne_u16_e32 vcc, 0, v13
	s_andn2_b64 s[4:5], s[4:5], exec
	s_and_b64 s[8:9], vcc, exec
	v_mov_b32_e32 v12, 0
	s_or_b64 s[4:5], s[4:5], s[8:9]
	s_or_b64 exec, exec, s[6:7]
	s_and_saveexec_b64 s[6:7], s[4:5]
	s_cbranch_execz .LBB2_35273
; %bb.63379:
	s_getpc_b64 s[14:15]
.Lpost_getpc35273:
	s_add_u32 s14, s14, (.LBB2_13203-.Lpost_getpc35273)&4294967295
	s_addc_u32 s15, s15, (.LBB2_13203-.Lpost_getpc35273)>>32
	s_setpc_b64 s[14:15]
.LBB2_35273:
	s_getpc_b64 s[14:15]
.Lpost_getpc21220:
	s_add_u32 s14, s14, (.LBB2_13204-.Lpost_getpc21220)&4294967295
	s_addc_u32 s15, s15, (.LBB2_13204-.Lpost_getpc21220)>>32
	s_setpc_b64 s[14:15]
.LBB2_27541:
	s_movk_i32 s4, 0x80
	v_cmp_eq_u16_e32 vcc, s4, v13
	s_mov_b64 s[4:5], -1
                                        ; implicit-def: $sgpr10
	s_and_saveexec_b64 s[8:9], vcc
; %bb.27542:
	s_mov_b32 s10, 0x7f800001
	s_xor_b64 s[4:5], exec, -1
; %bb.27543:
	s_or_b64 exec, exec, s[8:9]
	s_and_b64 s[4:5], s[4:5], exec
                                        ; implicit-def: $vgpr13
	s_or_saveexec_b64 s[6:7], s[6:7]
	v_mov_b32_e32 v14, s10
	s_xor_b64 exec, exec, s[6:7]
	s_cbranch_execnz .LBB2_27544
; %bb.63381:
	s_getpc_b64 s[14:15]
.Lpost_getpc35274:
	s_add_u32 s14, s14, (.LBB2_13206-.Lpost_getpc35274)&4294967295
	s_addc_u32 s15, s15, (.LBB2_13206-.Lpost_getpc35274)>>32
	s_setpc_b64 s[14:15]
.LBB2_27544:
	v_cmp_ne_u16_e32 vcc, 0, v13
	s_andn2_b64 s[4:5], s[4:5], exec
	s_and_b64 s[8:9], vcc, exec
	v_mov_b32_e32 v14, 0
	s_or_b64 s[4:5], s[4:5], s[8:9]
	s_or_b64 exec, exec, s[6:7]
	s_and_saveexec_b64 s[6:7], s[4:5]
	s_cbranch_execz .LBB2_35275
; %bb.63383:
	s_getpc_b64 s[14:15]
.Lpost_getpc35275:
	s_add_u32 s14, s14, (.LBB2_13207-.Lpost_getpc35275)&4294967295
	s_addc_u32 s15, s15, (.LBB2_13207-.Lpost_getpc35275)>>32
	s_setpc_b64 s[14:15]
.LBB2_35275:
	s_getpc_b64 s[14:15]
.Lpost_getpc21221:
	s_add_u32 s14, s14, (.LBB2_13208-.Lpost_getpc21221)&4294967295
	s_addc_u32 s15, s15, (.LBB2_13208-.Lpost_getpc21221)>>32
	s_setpc_b64 s[14:15]
.LBB2_27545:
	s_movk_i32 s4, 0x80
	v_cmp_eq_u16_sdwa s[12:13], v6, s4 src0_sel:BYTE_3 src1_sel:DWORD
	s_mov_b64 s[4:5], -1
                                        ; implicit-def: $sgpr10
	s_and_saveexec_b64 s[8:9], s[12:13]
; %bb.27546:
	s_mov_b32 s10, 0x7f800001
	s_xor_b64 s[4:5], exec, -1
; %bb.27547:
	s_or_b64 exec, exec, s[8:9]
	s_and_b64 s[4:5], s[4:5], exec
	s_or_saveexec_b64 s[6:7], s[6:7]
	v_mov_b32_e32 v12, s10
	s_xor_b64 exec, exec, s[6:7]
	s_cbranch_execnz .LBB2_27548
; %bb.63385:
	s_getpc_b64 s[14:15]
.Lpost_getpc35276:
	s_add_u32 s14, s14, (.LBB2_13210-.Lpost_getpc35276)&4294967295
	s_addc_u32 s15, s15, (.LBB2_13210-.Lpost_getpc35276)>>32
	s_setpc_b64 s[14:15]
.LBB2_27548:
	v_mov_b32_e32 v12, 0
	v_cmp_ne_u16_sdwa s[8:9], v6, v12 src0_sel:BYTE_3 src1_sel:DWORD
	s_andn2_b64 s[4:5], s[4:5], exec
	s_and_b64 s[8:9], s[8:9], exec
	s_or_b64 s[4:5], s[4:5], s[8:9]
	s_or_b64 exec, exec, s[6:7]
	s_and_saveexec_b64 s[6:7], s[4:5]
	s_cbranch_execz .LBB2_35277
; %bb.63387:
	s_getpc_b64 s[14:15]
.Lpost_getpc35277:
	s_add_u32 s14, s14, (.LBB2_13211-.Lpost_getpc35277)&4294967295
	s_addc_u32 s15, s15, (.LBB2_13211-.Lpost_getpc35277)>>32
	s_setpc_b64 s[14:15]
.LBB2_35277:
	s_getpc_b64 s[14:15]
.Lpost_getpc21222:
	s_add_u32 s14, s14, (.LBB2_13212-.Lpost_getpc21222)&4294967295
	s_addc_u32 s15, s15, (.LBB2_13212-.Lpost_getpc21222)>>32
	s_setpc_b64 s[14:15]
.LBB2_27549:
	s_movk_i32 s4, 0x80
	v_cmp_eq_u16_sdwa s[12:13], v2, s4 src0_sel:BYTE_3 src1_sel:DWORD
	s_mov_b64 s[4:5], -1
                                        ; implicit-def: $sgpr10
	s_and_saveexec_b64 s[8:9], s[12:13]
; %bb.27550:
	s_mov_b32 s10, 0x7f800001
	s_xor_b64 s[4:5], exec, -1
; %bb.27551:
	s_or_b64 exec, exec, s[8:9]
	s_and_b64 s[4:5], s[4:5], exec
	s_or_saveexec_b64 s[6:7], s[6:7]
	v_mov_b32_e32 v6, s10
	s_xor_b64 exec, exec, s[6:7]
	s_cbranch_execnz .LBB2_27552
; %bb.63389:
	s_getpc_b64 s[14:15]
.Lpost_getpc35278:
	s_add_u32 s14, s14, (.LBB2_13214-.Lpost_getpc35278)&4294967295
	s_addc_u32 s15, s15, (.LBB2_13214-.Lpost_getpc35278)>>32
	s_setpc_b64 s[14:15]
.LBB2_27552:
	v_mov_b32_e32 v6, 0
	v_cmp_ne_u16_sdwa s[8:9], v2, v6 src0_sel:BYTE_3 src1_sel:DWORD
	s_andn2_b64 s[4:5], s[4:5], exec
	s_and_b64 s[8:9], s[8:9], exec
	s_or_b64 s[4:5], s[4:5], s[8:9]
	s_or_b64 exec, exec, s[6:7]
	s_and_saveexec_b64 s[6:7], s[4:5]
	s_cbranch_execz .LBB2_35279
; %bb.63391:
	s_getpc_b64 s[14:15]
.Lpost_getpc35279:
	s_add_u32 s14, s14, (.LBB2_13215-.Lpost_getpc35279)&4294967295
	s_addc_u32 s15, s15, (.LBB2_13215-.Lpost_getpc35279)>>32
	s_setpc_b64 s[14:15]
.LBB2_35279:
	s_getpc_b64 s[14:15]
.Lpost_getpc21223:
	s_add_u32 s14, s14, (.LBB2_13216-.Lpost_getpc21223)&4294967295
	s_addc_u32 s15, s15, (.LBB2_13216-.Lpost_getpc21223)>>32
	s_setpc_b64 s[14:15]
.LBB2_27553:
	s_movk_i32 s4, 0x80
	v_cmp_eq_u16_sdwa s[12:13], v7, s4 src0_sel:BYTE_0 src1_sel:DWORD
	s_mov_b64 s[4:5], -1
                                        ; implicit-def: $sgpr10
	s_and_saveexec_b64 s[8:9], s[12:13]
; %bb.27554:
	s_mov_b32 s10, 0x7f800001
	s_xor_b64 s[4:5], exec, -1
; %bb.27555:
	s_or_b64 exec, exec, s[8:9]
	s_and_b64 s[4:5], s[4:5], exec
	s_or_saveexec_b64 s[6:7], s[6:7]
	v_mov_b32_e32 v2, s10
	s_xor_b64 exec, exec, s[6:7]
	s_cbranch_execnz .LBB2_27556
; %bb.63393:
	s_getpc_b64 s[14:15]
.Lpost_getpc35280:
	s_add_u32 s14, s14, (.LBB2_13218-.Lpost_getpc35280)&4294967295
	s_addc_u32 s15, s15, (.LBB2_13218-.Lpost_getpc35280)>>32
	s_setpc_b64 s[14:15]
.LBB2_27556:
	v_mov_b32_e32 v2, 0
	v_cmp_ne_u16_sdwa s[8:9], v7, v2 src0_sel:BYTE_0 src1_sel:DWORD
	s_andn2_b64 s[4:5], s[4:5], exec
	s_and_b64 s[8:9], s[8:9], exec
	s_or_b64 s[4:5], s[4:5], s[8:9]
	s_or_b64 exec, exec, s[6:7]
	s_and_saveexec_b64 s[6:7], s[4:5]
	s_cbranch_execz .LBB2_35281
; %bb.63395:
	s_getpc_b64 s[14:15]
.Lpost_getpc35281:
	s_add_u32 s14, s14, (.LBB2_13219-.Lpost_getpc35281)&4294967295
	s_addc_u32 s15, s15, (.LBB2_13219-.Lpost_getpc35281)>>32
	s_setpc_b64 s[14:15]
.LBB2_35281:
	s_getpc_b64 s[14:15]
.Lpost_getpc21224:
	s_add_u32 s14, s14, (.LBB2_13220-.Lpost_getpc21224)&4294967295
	s_addc_u32 s15, s15, (.LBB2_13220-.Lpost_getpc21224)>>32
	s_setpc_b64 s[14:15]
.LBB2_27557:
	s_movk_i32 s4, 0x80
	v_cmp_eq_u16_sdwa s[12:13], v3, s4 src0_sel:BYTE_0 src1_sel:DWORD
	s_mov_b64 s[4:5], -1
                                        ; implicit-def: $sgpr10
	s_and_saveexec_b64 s[8:9], s[12:13]
; %bb.27558:
	s_mov_b32 s10, 0x7f800001
	s_xor_b64 s[4:5], exec, -1
; %bb.27559:
	s_or_b64 exec, exec, s[8:9]
	s_and_b64 s[4:5], s[4:5], exec
	s_or_saveexec_b64 s[6:7], s[6:7]
	v_mov_b32_e32 v6, s10
	s_xor_b64 exec, exec, s[6:7]
	s_cbranch_execnz .LBB2_27560
; %bb.63397:
	s_getpc_b64 s[14:15]
.Lpost_getpc35282:
	s_add_u32 s14, s14, (.LBB2_13222-.Lpost_getpc35282)&4294967295
	s_addc_u32 s15, s15, (.LBB2_13222-.Lpost_getpc35282)>>32
	s_setpc_b64 s[14:15]
.LBB2_27560:
	v_mov_b32_e32 v6, 0
	v_cmp_ne_u16_sdwa s[8:9], v3, v6 src0_sel:BYTE_0 src1_sel:DWORD
	s_andn2_b64 s[4:5], s[4:5], exec
	s_and_b64 s[8:9], s[8:9], exec
	s_or_b64 s[4:5], s[4:5], s[8:9]
	s_or_b64 exec, exec, s[6:7]
	s_and_saveexec_b64 s[6:7], s[4:5]
	s_cbranch_execz .LBB2_35283
; %bb.63399:
	s_getpc_b64 s[14:15]
.Lpost_getpc35283:
	s_add_u32 s14, s14, (.LBB2_13223-.Lpost_getpc35283)&4294967295
	s_addc_u32 s15, s15, (.LBB2_13223-.Lpost_getpc35283)>>32
	s_setpc_b64 s[14:15]
.LBB2_35283:
	s_getpc_b64 s[14:15]
.Lpost_getpc21225:
	s_add_u32 s14, s14, (.LBB2_13224-.Lpost_getpc21225)&4294967295
	s_addc_u32 s15, s15, (.LBB2_13224-.Lpost_getpc21225)>>32
	s_setpc_b64 s[14:15]
.LBB2_27561:
	s_movk_i32 s4, 0x80
	v_cmp_eq_u16_sdwa s[12:13], v6, s4 src0_sel:BYTE_0 src1_sel:DWORD
	s_mov_b64 s[4:5], -1
                                        ; implicit-def: $sgpr10
	s_and_saveexec_b64 s[8:9], s[12:13]
; %bb.27562:
	s_mov_b32 s10, 0x7f800001
	s_xor_b64 s[4:5], exec, -1
; %bb.27563:
	s_or_b64 exec, exec, s[8:9]
	s_and_b64 s[4:5], s[4:5], exec
	s_or_saveexec_b64 s[6:7], s[6:7]
	v_mov_b32_e32 v2, s10
	s_xor_b64 exec, exec, s[6:7]
	s_cbranch_execnz .LBB2_27564
; %bb.63401:
	s_getpc_b64 s[14:15]
.Lpost_getpc35284:
	s_add_u32 s14, s14, (.LBB2_13226-.Lpost_getpc35284)&4294967295
	s_addc_u32 s15, s15, (.LBB2_13226-.Lpost_getpc35284)>>32
	s_setpc_b64 s[14:15]
.LBB2_27564:
	v_mov_b32_e32 v2, 0
	v_cmp_ne_u16_sdwa s[8:9], v6, v2 src0_sel:BYTE_0 src1_sel:DWORD
	s_andn2_b64 s[4:5], s[4:5], exec
	s_and_b64 s[8:9], s[8:9], exec
	s_or_b64 s[4:5], s[4:5], s[8:9]
	s_or_b64 exec, exec, s[6:7]
	s_and_saveexec_b64 s[6:7], s[4:5]
	s_cbranch_execz .LBB2_35285
; %bb.63403:
	s_getpc_b64 s[14:15]
.Lpost_getpc35285:
	s_add_u32 s14, s14, (.LBB2_13227-.Lpost_getpc35285)&4294967295
	s_addc_u32 s15, s15, (.LBB2_13227-.Lpost_getpc35285)>>32
	s_setpc_b64 s[14:15]
.LBB2_35285:
	s_getpc_b64 s[14:15]
.Lpost_getpc21226:
	s_add_u32 s14, s14, (.LBB2_13228-.Lpost_getpc21226)&4294967295
	s_addc_u32 s15, s15, (.LBB2_13228-.Lpost_getpc21226)>>32
	s_setpc_b64 s[14:15]
.LBB2_27565:
	s_movk_i32 s4, 0x80
	v_cmp_eq_u16_sdwa s[12:13], v6, s4 src0_sel:BYTE_0 src1_sel:DWORD
	s_mov_b64 s[4:5], -1
                                        ; implicit-def: $sgpr10
	s_and_saveexec_b64 s[8:9], s[12:13]
; %bb.27566:
	s_mov_b32 s10, 0x7f800001
	s_xor_b64 s[4:5], exec, -1
; %bb.27567:
	s_or_b64 exec, exec, s[8:9]
	s_and_b64 s[4:5], s[4:5], exec
	s_or_saveexec_b64 s[6:7], s[6:7]
	v_mov_b32_e32 v12, s10
	s_xor_b64 exec, exec, s[6:7]
	s_cbranch_execnz .LBB2_27568
; %bb.63405:
	s_getpc_b64 s[14:15]
.Lpost_getpc35286:
	s_add_u32 s14, s14, (.LBB2_13230-.Lpost_getpc35286)&4294967295
	s_addc_u32 s15, s15, (.LBB2_13230-.Lpost_getpc35286)>>32
	s_setpc_b64 s[14:15]
.LBB2_27568:
	v_mov_b32_e32 v12, 0
	v_cmp_ne_u16_sdwa s[8:9], v6, v12 src0_sel:BYTE_0 src1_sel:DWORD
	s_andn2_b64 s[4:5], s[4:5], exec
	s_and_b64 s[8:9], s[8:9], exec
	s_or_b64 s[4:5], s[4:5], s[8:9]
	s_or_b64 exec, exec, s[6:7]
	s_and_saveexec_b64 s[6:7], s[4:5]
	s_cbranch_execz .LBB2_35287
; %bb.63407:
	s_getpc_b64 s[14:15]
.Lpost_getpc35287:
	s_add_u32 s14, s14, (.LBB2_13231-.Lpost_getpc35287)&4294967295
	s_addc_u32 s15, s15, (.LBB2_13231-.Lpost_getpc35287)>>32
	s_setpc_b64 s[14:15]
.LBB2_35287:
	s_getpc_b64 s[14:15]
.Lpost_getpc21227:
	s_add_u32 s14, s14, (.LBB2_13232-.Lpost_getpc21227)&4294967295
	s_addc_u32 s15, s15, (.LBB2_13232-.Lpost_getpc21227)>>32
	s_setpc_b64 s[14:15]
.LBB2_27569:
	s_movk_i32 s4, 0x80
	v_cmp_eq_u16_e32 vcc, s4, v6
	s_mov_b64 s[4:5], -1
                                        ; implicit-def: $sgpr10
	s_and_saveexec_b64 s[8:9], vcc
; %bb.27570:
	s_mov_b32 s10, 0x7f800001
	s_xor_b64 s[4:5], exec, -1
; %bb.27571:
	s_or_b64 exec, exec, s[8:9]
	s_and_b64 s[4:5], s[4:5], exec
                                        ; implicit-def: $vgpr6
	s_or_saveexec_b64 s[6:7], s[6:7]
	v_mov_b32_e32 v2, s10
	s_xor_b64 exec, exec, s[6:7]
	s_cbranch_execnz .LBB2_27572
; %bb.63409:
	s_getpc_b64 s[14:15]
.Lpost_getpc35288:
	s_add_u32 s14, s14, (.LBB2_13234-.Lpost_getpc35288)&4294967295
	s_addc_u32 s15, s15, (.LBB2_13234-.Lpost_getpc35288)>>32
	s_setpc_b64 s[14:15]
.LBB2_27572:
	v_cmp_ne_u16_e32 vcc, 0, v6
	s_andn2_b64 s[4:5], s[4:5], exec
	s_and_b64 s[8:9], vcc, exec
	v_mov_b32_e32 v2, 0
	s_or_b64 s[4:5], s[4:5], s[8:9]
	s_or_b64 exec, exec, s[6:7]
	s_and_saveexec_b64 s[6:7], s[4:5]
	s_cbranch_execz .LBB2_35289
; %bb.63411:
	s_getpc_b64 s[14:15]
.Lpost_getpc35289:
	s_add_u32 s14, s14, (.LBB2_13235-.Lpost_getpc35289)&4294967295
	s_addc_u32 s15, s15, (.LBB2_13235-.Lpost_getpc35289)>>32
	s_setpc_b64 s[14:15]
.LBB2_35289:
	s_getpc_b64 s[14:15]
.Lpost_getpc21228:
	s_add_u32 s14, s14, (.LBB2_13236-.Lpost_getpc21228)&4294967295
	s_addc_u32 s15, s15, (.LBB2_13236-.Lpost_getpc21228)>>32
	s_setpc_b64 s[14:15]
.LBB2_27573:
	s_movk_i32 s4, 0x80
	v_cmp_eq_u16_e32 vcc, s4, v6
	s_mov_b64 s[4:5], -1
                                        ; implicit-def: $sgpr10
	s_and_saveexec_b64 s[8:9], vcc
; %bb.27574:
	s_mov_b32 s10, 0x7f800001
	s_xor_b64 s[4:5], exec, -1
; %bb.27575:
	s_or_b64 exec, exec, s[8:9]
	s_and_b64 s[4:5], s[4:5], exec
                                        ; implicit-def: $vgpr6
	s_or_saveexec_b64 s[6:7], s[6:7]
	v_mov_b32_e32 v12, s10
	s_xor_b64 exec, exec, s[6:7]
	s_cbranch_execnz .LBB2_27576
; %bb.63413:
	s_getpc_b64 s[14:15]
.Lpost_getpc35290:
	s_add_u32 s14, s14, (.LBB2_13238-.Lpost_getpc35290)&4294967295
	s_addc_u32 s15, s15, (.LBB2_13238-.Lpost_getpc35290)>>32
	s_setpc_b64 s[14:15]
.LBB2_27576:
	v_cmp_ne_u16_e32 vcc, 0, v6
	s_andn2_b64 s[4:5], s[4:5], exec
	s_and_b64 s[8:9], vcc, exec
	v_mov_b32_e32 v12, 0
	s_or_b64 s[4:5], s[4:5], s[8:9]
	s_or_b64 exec, exec, s[6:7]
	s_and_saveexec_b64 s[6:7], s[4:5]
	s_cbranch_execz .LBB2_35291
; %bb.63415:
	s_getpc_b64 s[14:15]
.Lpost_getpc35291:
	s_add_u32 s14, s14, (.LBB2_13239-.Lpost_getpc35291)&4294967295
	s_addc_u32 s15, s15, (.LBB2_13239-.Lpost_getpc35291)>>32
	s_setpc_b64 s[14:15]
.LBB2_35291:
	s_getpc_b64 s[14:15]
.Lpost_getpc21229:
	s_add_u32 s14, s14, (.LBB2_13240-.Lpost_getpc21229)&4294967295
	s_addc_u32 s15, s15, (.LBB2_13240-.Lpost_getpc21229)>>32
	s_setpc_b64 s[14:15]
.LBB2_27577:
	s_movk_i32 s4, 0x80
	v_cmp_eq_u16_sdwa s[12:13], v7, s4 src0_sel:BYTE_3 src1_sel:DWORD
	s_mov_b64 s[4:5], -1
                                        ; implicit-def: $sgpr10
	s_and_saveexec_b64 s[8:9], s[12:13]
; %bb.27578:
	s_mov_b32 s10, 0x7f800001
	s_xor_b64 s[4:5], exec, -1
; %bb.27579:
	s_or_b64 exec, exec, s[8:9]
	s_and_b64 s[4:5], s[4:5], exec
	s_or_saveexec_b64 s[6:7], s[6:7]
	v_mov_b32_e32 v2, s10
	s_xor_b64 exec, exec, s[6:7]
	s_cbranch_execnz .LBB2_27580
; %bb.63417:
	s_getpc_b64 s[14:15]
.Lpost_getpc35292:
	s_add_u32 s14, s14, (.LBB2_13242-.Lpost_getpc35292)&4294967295
	s_addc_u32 s15, s15, (.LBB2_13242-.Lpost_getpc35292)>>32
	s_setpc_b64 s[14:15]
.LBB2_27580:
	v_mov_b32_e32 v2, 0
	v_cmp_ne_u16_sdwa s[8:9], v7, v2 src0_sel:BYTE_3 src1_sel:DWORD
	s_andn2_b64 s[4:5], s[4:5], exec
	s_and_b64 s[8:9], s[8:9], exec
	s_or_b64 s[4:5], s[4:5], s[8:9]
	s_or_b64 exec, exec, s[6:7]
	s_and_saveexec_b64 s[6:7], s[4:5]
	s_cbranch_execz .LBB2_35293
; %bb.63419:
	s_getpc_b64 s[14:15]
.Lpost_getpc35293:
	s_add_u32 s14, s14, (.LBB2_13243-.Lpost_getpc35293)&4294967295
	s_addc_u32 s15, s15, (.LBB2_13243-.Lpost_getpc35293)>>32
	s_setpc_b64 s[14:15]
.LBB2_35293:
	s_getpc_b64 s[14:15]
.Lpost_getpc21230:
	s_add_u32 s14, s14, (.LBB2_13244-.Lpost_getpc21230)&4294967295
	s_addc_u32 s15, s15, (.LBB2_13244-.Lpost_getpc21230)>>32
	s_setpc_b64 s[14:15]
.LBB2_27581:
	s_movk_i32 s4, 0x80
	v_cmp_eq_u16_sdwa s[12:13], v3, s4 src0_sel:BYTE_3 src1_sel:DWORD
	s_mov_b64 s[4:5], -1
                                        ; implicit-def: $sgpr10
	s_and_saveexec_b64 s[8:9], s[12:13]
; %bb.27582:
	s_mov_b32 s10, 0x7f800001
	s_xor_b64 s[4:5], exec, -1
; %bb.27583:
	s_or_b64 exec, exec, s[8:9]
	s_and_b64 s[4:5], s[4:5], exec
	s_or_saveexec_b64 s[6:7], s[6:7]
	v_mov_b32_e32 v6, s10
	s_xor_b64 exec, exec, s[6:7]
	s_cbranch_execnz .LBB2_27584
; %bb.63421:
	s_getpc_b64 s[14:15]
.Lpost_getpc35294:
	s_add_u32 s14, s14, (.LBB2_13246-.Lpost_getpc35294)&4294967295
	s_addc_u32 s15, s15, (.LBB2_13246-.Lpost_getpc35294)>>32
	s_setpc_b64 s[14:15]
.LBB2_27584:
	v_mov_b32_e32 v6, 0
	v_cmp_ne_u16_sdwa s[8:9], v3, v6 src0_sel:BYTE_3 src1_sel:DWORD
	s_andn2_b64 s[4:5], s[4:5], exec
	s_and_b64 s[8:9], s[8:9], exec
	s_or_b64 s[4:5], s[4:5], s[8:9]
	s_or_b64 exec, exec, s[6:7]
	s_and_saveexec_b64 s[6:7], s[4:5]
	s_cbranch_execz .LBB2_35295
; %bb.63423:
	s_getpc_b64 s[14:15]
.Lpost_getpc35295:
	s_add_u32 s14, s14, (.LBB2_13247-.Lpost_getpc35295)&4294967295
	s_addc_u32 s15, s15, (.LBB2_13247-.Lpost_getpc35295)>>32
	s_setpc_b64 s[14:15]
.LBB2_35295:
	s_getpc_b64 s[14:15]
.Lpost_getpc21231:
	s_add_u32 s14, s14, (.LBB2_13248-.Lpost_getpc21231)&4294967295
	s_addc_u32 s15, s15, (.LBB2_13248-.Lpost_getpc21231)>>32
	s_setpc_b64 s[14:15]
.LBB2_27585:
	s_movk_i32 s4, 0x80
	v_cmp_eq_u16_sdwa s[12:13], v8, s4 src0_sel:BYTE_0 src1_sel:DWORD
	s_mov_b64 s[4:5], -1
                                        ; implicit-def: $sgpr10
	s_and_saveexec_b64 s[8:9], s[12:13]
; %bb.27586:
	s_mov_b32 s10, 0x7f800001
	s_xor_b64 s[4:5], exec, -1
; %bb.27587:
	s_or_b64 exec, exec, s[8:9]
	s_and_b64 s[4:5], s[4:5], exec
	s_or_saveexec_b64 s[6:7], s[6:7]
	v_mov_b32_e32 v2, s10
	s_xor_b64 exec, exec, s[6:7]
	s_cbranch_execnz .LBB2_27588
; %bb.63425:
	s_getpc_b64 s[14:15]
.Lpost_getpc35296:
	s_add_u32 s14, s14, (.LBB2_13250-.Lpost_getpc35296)&4294967295
	s_addc_u32 s15, s15, (.LBB2_13250-.Lpost_getpc35296)>>32
	s_setpc_b64 s[14:15]
.LBB2_27588:
	v_mov_b32_e32 v2, 0
	v_cmp_ne_u16_sdwa s[8:9], v8, v2 src0_sel:BYTE_0 src1_sel:DWORD
	s_andn2_b64 s[4:5], s[4:5], exec
	s_and_b64 s[8:9], s[8:9], exec
	s_or_b64 s[4:5], s[4:5], s[8:9]
	s_or_b64 exec, exec, s[6:7]
	s_and_saveexec_b64 s[6:7], s[4:5]
	s_cbranch_execz .LBB2_35297
; %bb.63427:
	s_getpc_b64 s[14:15]
.Lpost_getpc35297:
	s_add_u32 s14, s14, (.LBB2_13251-.Lpost_getpc35297)&4294967295
	s_addc_u32 s15, s15, (.LBB2_13251-.Lpost_getpc35297)>>32
	s_setpc_b64 s[14:15]
.LBB2_35297:
	s_getpc_b64 s[14:15]
.Lpost_getpc21232:
	s_add_u32 s14, s14, (.LBB2_13252-.Lpost_getpc21232)&4294967295
	s_addc_u32 s15, s15, (.LBB2_13252-.Lpost_getpc21232)>>32
	s_setpc_b64 s[14:15]
.LBB2_27589:
	s_movk_i32 s4, 0x80
	v_cmp_eq_u16_sdwa s[12:13], v4, s4 src0_sel:BYTE_0 src1_sel:DWORD
	s_mov_b64 s[4:5], -1
                                        ; implicit-def: $sgpr10
	s_and_saveexec_b64 s[8:9], s[12:13]
; %bb.27590:
	s_mov_b32 s10, 0x7f800001
	s_xor_b64 s[4:5], exec, -1
; %bb.27591:
	s_or_b64 exec, exec, s[8:9]
	s_and_b64 s[4:5], s[4:5], exec
	s_or_saveexec_b64 s[6:7], s[6:7]
	v_mov_b32_e32 v3, s10
	s_xor_b64 exec, exec, s[6:7]
	s_cbranch_execnz .LBB2_27592
; %bb.63429:
	s_getpc_b64 s[14:15]
.Lpost_getpc35298:
	s_add_u32 s14, s14, (.LBB2_13254-.Lpost_getpc35298)&4294967295
	s_addc_u32 s15, s15, (.LBB2_13254-.Lpost_getpc35298)>>32
	s_setpc_b64 s[14:15]
.LBB2_27592:
	v_mov_b32_e32 v3, 0
	v_cmp_ne_u16_sdwa s[8:9], v4, v3 src0_sel:BYTE_0 src1_sel:DWORD
	s_andn2_b64 s[4:5], s[4:5], exec
	s_and_b64 s[8:9], s[8:9], exec
	s_or_b64 s[4:5], s[4:5], s[8:9]
	s_or_b64 exec, exec, s[6:7]
	s_and_saveexec_b64 s[6:7], s[4:5]
	s_cbranch_execz .LBB2_35299
; %bb.63431:
	s_getpc_b64 s[14:15]
.Lpost_getpc35299:
	s_add_u32 s14, s14, (.LBB2_13255-.Lpost_getpc35299)&4294967295
	s_addc_u32 s15, s15, (.LBB2_13255-.Lpost_getpc35299)>>32
	s_setpc_b64 s[14:15]
.LBB2_35299:
	s_getpc_b64 s[14:15]
.Lpost_getpc21233:
	s_add_u32 s14, s14, (.LBB2_13256-.Lpost_getpc21233)&4294967295
	s_addc_u32 s15, s15, (.LBB2_13256-.Lpost_getpc21233)>>32
	s_setpc_b64 s[14:15]
.LBB2_27593:
	s_movk_i32 s4, 0x80
	v_cmp_eq_u16_sdwa s[12:13], v3, s4 src0_sel:BYTE_0 src1_sel:DWORD
	s_mov_b64 s[4:5], -1
                                        ; implicit-def: $sgpr10
	s_and_saveexec_b64 s[8:9], s[12:13]
; %bb.27594:
	s_mov_b32 s10, 0x7f800001
	s_xor_b64 s[4:5], exec, -1
; %bb.27595:
	s_or_b64 exec, exec, s[8:9]
	s_and_b64 s[4:5], s[4:5], exec
	s_or_saveexec_b64 s[6:7], s[6:7]
	v_mov_b32_e32 v2, s10
	s_xor_b64 exec, exec, s[6:7]
	s_cbranch_execnz .LBB2_27596
; %bb.63433:
	s_getpc_b64 s[14:15]
.Lpost_getpc35300:
	s_add_u32 s14, s14, (.LBB2_13258-.Lpost_getpc35300)&4294967295
	s_addc_u32 s15, s15, (.LBB2_13258-.Lpost_getpc35300)>>32
	s_setpc_b64 s[14:15]
.LBB2_27596:
	v_mov_b32_e32 v2, 0
	v_cmp_ne_u16_sdwa s[8:9], v3, v2 src0_sel:BYTE_0 src1_sel:DWORD
	s_andn2_b64 s[4:5], s[4:5], exec
	s_and_b64 s[8:9], s[8:9], exec
	s_or_b64 s[4:5], s[4:5], s[8:9]
	s_or_b64 exec, exec, s[6:7]
	s_and_saveexec_b64 s[6:7], s[4:5]
	s_cbranch_execz .LBB2_35301
; %bb.63435:
	s_getpc_b64 s[14:15]
.Lpost_getpc35301:
	s_add_u32 s14, s14, (.LBB2_13259-.Lpost_getpc35301)&4294967295
	s_addc_u32 s15, s15, (.LBB2_13259-.Lpost_getpc35301)>>32
	s_setpc_b64 s[14:15]
.LBB2_35301:
	s_getpc_b64 s[14:15]
.Lpost_getpc21234:
	s_add_u32 s14, s14, (.LBB2_13260-.Lpost_getpc21234)&4294967295
	s_addc_u32 s15, s15, (.LBB2_13260-.Lpost_getpc21234)>>32
	s_setpc_b64 s[14:15]
.LBB2_27597:
	s_movk_i32 s4, 0x80
	v_cmp_eq_u16_sdwa s[12:13], v3, s4 src0_sel:BYTE_0 src1_sel:DWORD
	s_mov_b64 s[4:5], -1
                                        ; implicit-def: $sgpr10
	s_and_saveexec_b64 s[8:9], s[12:13]
; %bb.27598:
	s_mov_b32 s10, 0x7f800001
	s_xor_b64 s[4:5], exec, -1
; %bb.27599:
	s_or_b64 exec, exec, s[8:9]
	s_and_b64 s[4:5], s[4:5], exec
	s_or_saveexec_b64 s[6:7], s[6:7]
	v_mov_b32_e32 v6, s10
	s_xor_b64 exec, exec, s[6:7]
	s_cbranch_execnz .LBB2_27600
; %bb.63437:
	s_getpc_b64 s[14:15]
.Lpost_getpc35302:
	s_add_u32 s14, s14, (.LBB2_13262-.Lpost_getpc35302)&4294967295
	s_addc_u32 s15, s15, (.LBB2_13262-.Lpost_getpc35302)>>32
	s_setpc_b64 s[14:15]
.LBB2_27600:
	v_mov_b32_e32 v6, 0
	v_cmp_ne_u16_sdwa s[8:9], v3, v6 src0_sel:BYTE_0 src1_sel:DWORD
	s_andn2_b64 s[4:5], s[4:5], exec
	s_and_b64 s[8:9], s[8:9], exec
	s_or_b64 s[4:5], s[4:5], s[8:9]
	s_or_b64 exec, exec, s[6:7]
	s_and_saveexec_b64 s[6:7], s[4:5]
	s_cbranch_execz .LBB2_35303
; %bb.63439:
	s_getpc_b64 s[14:15]
.Lpost_getpc35303:
	s_add_u32 s14, s14, (.LBB2_13263-.Lpost_getpc35303)&4294967295
	s_addc_u32 s15, s15, (.LBB2_13263-.Lpost_getpc35303)>>32
	s_setpc_b64 s[14:15]
.LBB2_35303:
	s_getpc_b64 s[14:15]
.Lpost_getpc21235:
	s_add_u32 s14, s14, (.LBB2_13264-.Lpost_getpc21235)&4294967295
	s_addc_u32 s15, s15, (.LBB2_13264-.Lpost_getpc21235)>>32
	s_setpc_b64 s[14:15]
.LBB2_27601:
	s_movk_i32 s4, 0x80
	v_cmp_eq_u16_e32 vcc, s4, v3
	s_mov_b64 s[4:5], -1
                                        ; implicit-def: $sgpr10
	s_and_saveexec_b64 s[8:9], vcc
; %bb.27602:
	s_mov_b32 s10, 0x7f800001
	s_xor_b64 s[4:5], exec, -1
; %bb.27603:
	s_or_b64 exec, exec, s[8:9]
	s_and_b64 s[4:5], s[4:5], exec
                                        ; implicit-def: $vgpr3
	s_or_saveexec_b64 s[6:7], s[6:7]
	v_mov_b32_e32 v2, s10
	s_xor_b64 exec, exec, s[6:7]
	s_cbranch_execnz .LBB2_27604
; %bb.63441:
	s_getpc_b64 s[14:15]
.Lpost_getpc35304:
	s_add_u32 s14, s14, (.LBB2_13266-.Lpost_getpc35304)&4294967295
	s_addc_u32 s15, s15, (.LBB2_13266-.Lpost_getpc35304)>>32
	s_setpc_b64 s[14:15]
.LBB2_27604:
	v_cmp_ne_u16_e32 vcc, 0, v3
	s_andn2_b64 s[4:5], s[4:5], exec
	s_and_b64 s[8:9], vcc, exec
	v_mov_b32_e32 v2, 0
	s_or_b64 s[4:5], s[4:5], s[8:9]
	s_or_b64 exec, exec, s[6:7]
	s_and_saveexec_b64 s[6:7], s[4:5]
	s_cbranch_execz .LBB2_35305
; %bb.63443:
	s_getpc_b64 s[14:15]
.Lpost_getpc35305:
	s_add_u32 s14, s14, (.LBB2_13267-.Lpost_getpc35305)&4294967295
	s_addc_u32 s15, s15, (.LBB2_13267-.Lpost_getpc35305)>>32
	s_setpc_b64 s[14:15]
.LBB2_35305:
	s_getpc_b64 s[14:15]
.Lpost_getpc21236:
	s_add_u32 s14, s14, (.LBB2_13268-.Lpost_getpc21236)&4294967295
	s_addc_u32 s15, s15, (.LBB2_13268-.Lpost_getpc21236)>>32
	s_setpc_b64 s[14:15]
.LBB2_27605:
	s_movk_i32 s4, 0x80
	v_cmp_eq_u16_e32 vcc, s4, v3
	s_mov_b64 s[4:5], -1
                                        ; implicit-def: $sgpr10
	s_and_saveexec_b64 s[8:9], vcc
; %bb.27606:
	s_mov_b32 s10, 0x7f800001
	s_xor_b64 s[4:5], exec, -1
; %bb.27607:
	s_or_b64 exec, exec, s[8:9]
	s_and_b64 s[4:5], s[4:5], exec
                                        ; implicit-def: $vgpr3
	s_or_saveexec_b64 s[6:7], s[6:7]
	v_mov_b32_e32 v6, s10
	s_xor_b64 exec, exec, s[6:7]
	s_cbranch_execnz .LBB2_27608
; %bb.63445:
	s_getpc_b64 s[14:15]
.Lpost_getpc35306:
	s_add_u32 s14, s14, (.LBB2_13270-.Lpost_getpc35306)&4294967295
	s_addc_u32 s15, s15, (.LBB2_13270-.Lpost_getpc35306)>>32
	s_setpc_b64 s[14:15]
.LBB2_27608:
	v_cmp_ne_u16_e32 vcc, 0, v3
	s_andn2_b64 s[4:5], s[4:5], exec
	s_and_b64 s[8:9], vcc, exec
	v_mov_b32_e32 v6, 0
	s_or_b64 s[4:5], s[4:5], s[8:9]
	s_or_b64 exec, exec, s[6:7]
	s_and_saveexec_b64 s[6:7], s[4:5]
	s_cbranch_execz .LBB2_35307
; %bb.63447:
	s_getpc_b64 s[14:15]
.Lpost_getpc35307:
	s_add_u32 s14, s14, (.LBB2_13271-.Lpost_getpc35307)&4294967295
	s_addc_u32 s15, s15, (.LBB2_13271-.Lpost_getpc35307)>>32
	s_setpc_b64 s[14:15]
.LBB2_35307:
	s_getpc_b64 s[14:15]
.Lpost_getpc21237:
	s_add_u32 s14, s14, (.LBB2_13272-.Lpost_getpc21237)&4294967295
	s_addc_u32 s15, s15, (.LBB2_13272-.Lpost_getpc21237)>>32
	s_setpc_b64 s[14:15]
.LBB2_27609:
	s_movk_i32 s4, 0x80
	v_cmp_eq_u16_sdwa s[12:13], v8, s4 src0_sel:BYTE_3 src1_sel:DWORD
	s_mov_b64 s[4:5], -1
                                        ; implicit-def: $sgpr10
	s_and_saveexec_b64 s[8:9], s[12:13]
; %bb.27610:
	s_mov_b32 s10, 0x7f800001
	s_xor_b64 s[4:5], exec, -1
; %bb.27611:
	s_or_b64 exec, exec, s[8:9]
	s_and_b64 s[4:5], s[4:5], exec
	s_or_saveexec_b64 s[6:7], s[6:7]
	v_mov_b32_e32 v2, s10
	s_xor_b64 exec, exec, s[6:7]
	s_cbranch_execnz .LBB2_27612
; %bb.63449:
	s_getpc_b64 s[14:15]
.Lpost_getpc35308:
	s_add_u32 s14, s14, (.LBB2_13274-.Lpost_getpc35308)&4294967295
	s_addc_u32 s15, s15, (.LBB2_13274-.Lpost_getpc35308)>>32
	s_setpc_b64 s[14:15]
.LBB2_27612:
	v_mov_b32_e32 v2, 0
	v_cmp_ne_u16_sdwa s[8:9], v8, v2 src0_sel:BYTE_3 src1_sel:DWORD
	s_andn2_b64 s[4:5], s[4:5], exec
	s_and_b64 s[8:9], s[8:9], exec
	s_or_b64 s[4:5], s[4:5], s[8:9]
	s_or_b64 exec, exec, s[6:7]
	s_and_saveexec_b64 s[6:7], s[4:5]
	s_cbranch_execz .LBB2_35309
; %bb.63451:
	s_getpc_b64 s[14:15]
.Lpost_getpc35309:
	s_add_u32 s14, s14, (.LBB2_13275-.Lpost_getpc35309)&4294967295
	s_addc_u32 s15, s15, (.LBB2_13275-.Lpost_getpc35309)>>32
	s_setpc_b64 s[14:15]
.LBB2_35309:
	s_getpc_b64 s[14:15]
.Lpost_getpc21238:
	s_add_u32 s14, s14, (.LBB2_13276-.Lpost_getpc21238)&4294967295
	s_addc_u32 s15, s15, (.LBB2_13276-.Lpost_getpc21238)>>32
	s_setpc_b64 s[14:15]
.LBB2_27613:
	s_movk_i32 s4, 0x80
	v_cmp_eq_u16_sdwa s[12:13], v4, s4 src0_sel:BYTE_3 src1_sel:DWORD
	s_mov_b64 s[4:5], -1
                                        ; implicit-def: $sgpr10
	s_and_saveexec_b64 s[8:9], s[12:13]
; %bb.27614:
	s_mov_b32 s10, 0x7f800001
	s_xor_b64 s[4:5], exec, -1
; %bb.27615:
	s_or_b64 exec, exec, s[8:9]
	s_and_b64 s[4:5], s[4:5], exec
	s_or_saveexec_b64 s[6:7], s[6:7]
	v_mov_b32_e32 v3, s10
	s_xor_b64 exec, exec, s[6:7]
	s_cbranch_execnz .LBB2_27616
; %bb.63453:
	s_getpc_b64 s[14:15]
.Lpost_getpc35310:
	s_add_u32 s14, s14, (.LBB2_13278-.Lpost_getpc35310)&4294967295
	s_addc_u32 s15, s15, (.LBB2_13278-.Lpost_getpc35310)>>32
	s_setpc_b64 s[14:15]
.LBB2_27616:
	v_mov_b32_e32 v3, 0
	v_cmp_ne_u16_sdwa s[8:9], v4, v3 src0_sel:BYTE_3 src1_sel:DWORD
	s_andn2_b64 s[4:5], s[4:5], exec
	s_and_b64 s[8:9], s[8:9], exec
	s_or_b64 s[4:5], s[4:5], s[8:9]
	s_or_b64 exec, exec, s[6:7]
	s_and_saveexec_b64 s[6:7], s[4:5]
	s_cbranch_execz .LBB2_35311
; %bb.63455:
	s_getpc_b64 s[14:15]
.Lpost_getpc35311:
	s_add_u32 s14, s14, (.LBB2_13279-.Lpost_getpc35311)&4294967295
	s_addc_u32 s15, s15, (.LBB2_13279-.Lpost_getpc35311)>>32
	s_setpc_b64 s[14:15]
.LBB2_35311:
	s_getpc_b64 s[14:15]
.Lpost_getpc21239:
	s_add_u32 s14, s14, (.LBB2_13280-.Lpost_getpc21239)&4294967295
	s_addc_u32 s15, s15, (.LBB2_13280-.Lpost_getpc21239)>>32
	s_setpc_b64 s[14:15]
.LBB2_27617:
	s_movk_i32 s4, 0x80
	v_cmp_eq_u16_sdwa s[12:13], v9, s4 src0_sel:BYTE_0 src1_sel:DWORD
	s_mov_b64 s[4:5], -1
                                        ; implicit-def: $sgpr10
	s_and_saveexec_b64 s[8:9], s[12:13]
; %bb.27618:
	s_mov_b32 s10, 0x7f800001
	s_xor_b64 s[4:5], exec, -1
; %bb.27619:
	s_or_b64 exec, exec, s[8:9]
	s_and_b64 s[4:5], s[4:5], exec
	s_or_saveexec_b64 s[6:7], s[6:7]
	v_mov_b32_e32 v2, s10
	s_xor_b64 exec, exec, s[6:7]
	s_cbranch_execnz .LBB2_27620
; %bb.63457:
	s_getpc_b64 s[14:15]
.Lpost_getpc35312:
	s_add_u32 s14, s14, (.LBB2_13282-.Lpost_getpc35312)&4294967295
	s_addc_u32 s15, s15, (.LBB2_13282-.Lpost_getpc35312)>>32
	s_setpc_b64 s[14:15]
.LBB2_27620:
	v_mov_b32_e32 v2, 0
	v_cmp_ne_u16_sdwa s[8:9], v9, v2 src0_sel:BYTE_0 src1_sel:DWORD
	s_andn2_b64 s[4:5], s[4:5], exec
	s_and_b64 s[8:9], s[8:9], exec
	s_or_b64 s[4:5], s[4:5], s[8:9]
	s_or_b64 exec, exec, s[6:7]
	s_and_saveexec_b64 s[6:7], s[4:5]
	s_cbranch_execz .LBB2_35313
; %bb.63459:
	s_getpc_b64 s[14:15]
.Lpost_getpc35313:
	s_add_u32 s14, s14, (.LBB2_13283-.Lpost_getpc35313)&4294967295
	s_addc_u32 s15, s15, (.LBB2_13283-.Lpost_getpc35313)>>32
	s_setpc_b64 s[14:15]
.LBB2_35313:
	s_getpc_b64 s[14:15]
.Lpost_getpc21240:
	s_add_u32 s14, s14, (.LBB2_13284-.Lpost_getpc21240)&4294967295
	s_addc_u32 s15, s15, (.LBB2_13284-.Lpost_getpc21240)>>32
	s_setpc_b64 s[14:15]
.LBB2_27621:
	s_movk_i32 s4, 0x80
	v_cmp_eq_u16_sdwa s[12:13], v5, s4 src0_sel:BYTE_0 src1_sel:DWORD
	s_mov_b64 s[4:5], -1
                                        ; implicit-def: $sgpr10
	s_and_saveexec_b64 s[8:9], s[12:13]
; %bb.27622:
	s_mov_b32 s10, 0x7f800001
	s_xor_b64 s[4:5], exec, -1
; %bb.27623:
	s_or_b64 exec, exec, s[8:9]
	s_and_b64 s[4:5], s[4:5], exec
	s_or_saveexec_b64 s[6:7], s[6:7]
	v_mov_b32_e32 v3, s10
	s_xor_b64 exec, exec, s[6:7]
	s_cbranch_execnz .LBB2_27624
; %bb.63461:
	s_getpc_b64 s[14:15]
.Lpost_getpc35314:
	s_add_u32 s14, s14, (.LBB2_13286-.Lpost_getpc35314)&4294967295
	s_addc_u32 s15, s15, (.LBB2_13286-.Lpost_getpc35314)>>32
	s_setpc_b64 s[14:15]
.LBB2_27624:
	v_mov_b32_e32 v3, 0
	v_cmp_ne_u16_sdwa s[8:9], v5, v3 src0_sel:BYTE_0 src1_sel:DWORD
	s_andn2_b64 s[4:5], s[4:5], exec
	s_and_b64 s[8:9], s[8:9], exec
	s_or_b64 s[4:5], s[4:5], s[8:9]
	s_or_b64 exec, exec, s[6:7]
	s_and_saveexec_b64 s[6:7], s[4:5]
	s_cbranch_execz .LBB2_35315
; %bb.63463:
	s_getpc_b64 s[14:15]
.Lpost_getpc35315:
	s_add_u32 s14, s14, (.LBB2_13287-.Lpost_getpc35315)&4294967295
	s_addc_u32 s15, s15, (.LBB2_13287-.Lpost_getpc35315)>>32
	s_setpc_b64 s[14:15]
.LBB2_35315:
	s_getpc_b64 s[14:15]
.Lpost_getpc21241:
	s_add_u32 s14, s14, (.LBB2_13288-.Lpost_getpc21241)&4294967295
	s_addc_u32 s15, s15, (.LBB2_13288-.Lpost_getpc21241)>>32
	s_setpc_b64 s[14:15]
.LBB2_27625:
	s_movk_i32 s4, 0x80
	v_cmp_eq_u16_sdwa s[12:13], v3, s4 src0_sel:BYTE_0 src1_sel:DWORD
	s_mov_b64 s[4:5], -1
                                        ; implicit-def: $sgpr10
	s_and_saveexec_b64 s[8:9], s[12:13]
; %bb.27626:
	s_mov_b32 s10, 0x7f800001
	s_xor_b64 s[4:5], exec, -1
; %bb.27627:
	s_or_b64 exec, exec, s[8:9]
	s_and_b64 s[4:5], s[4:5], exec
	s_or_saveexec_b64 s[6:7], s[6:7]
	v_mov_b32_e32 v2, s10
	s_xor_b64 exec, exec, s[6:7]
	s_cbranch_execnz .LBB2_27628
; %bb.63465:
	s_getpc_b64 s[14:15]
.Lpost_getpc35316:
	s_add_u32 s14, s14, (.LBB2_13290-.Lpost_getpc35316)&4294967295
	s_addc_u32 s15, s15, (.LBB2_13290-.Lpost_getpc35316)>>32
	s_setpc_b64 s[14:15]
.LBB2_27628:
	v_mov_b32_e32 v2, 0
	v_cmp_ne_u16_sdwa s[8:9], v3, v2 src0_sel:BYTE_0 src1_sel:DWORD
	s_andn2_b64 s[4:5], s[4:5], exec
	s_and_b64 s[8:9], s[8:9], exec
	s_or_b64 s[4:5], s[4:5], s[8:9]
	s_or_b64 exec, exec, s[6:7]
	s_and_saveexec_b64 s[6:7], s[4:5]
	s_cbranch_execz .LBB2_35317
; %bb.63467:
	s_getpc_b64 s[14:15]
.Lpost_getpc35317:
	s_add_u32 s14, s14, (.LBB2_13291-.Lpost_getpc35317)&4294967295
	s_addc_u32 s15, s15, (.LBB2_13291-.Lpost_getpc35317)>>32
	s_setpc_b64 s[14:15]
.LBB2_35317:
	s_getpc_b64 s[14:15]
.Lpost_getpc21242:
	s_add_u32 s14, s14, (.LBB2_13292-.Lpost_getpc21242)&4294967295
	s_addc_u32 s15, s15, (.LBB2_13292-.Lpost_getpc21242)>>32
	s_setpc_b64 s[14:15]
.LBB2_27629:
	s_movk_i32 s4, 0x80
	v_cmp_eq_u16_sdwa s[12:13], v3, s4 src0_sel:BYTE_0 src1_sel:DWORD
	s_mov_b64 s[4:5], -1
                                        ; implicit-def: $sgpr10
	s_and_saveexec_b64 s[8:9], s[12:13]
; %bb.27630:
	s_mov_b32 s10, 0x7f800001
	s_xor_b64 s[4:5], exec, -1
; %bb.27631:
	s_or_b64 exec, exec, s[8:9]
	s_and_b64 s[4:5], s[4:5], exec
	s_or_saveexec_b64 s[6:7], s[6:7]
	v_mov_b32_e32 v4, s10
	s_xor_b64 exec, exec, s[6:7]
	s_cbranch_execnz .LBB2_27632
; %bb.63469:
	s_getpc_b64 s[14:15]
.Lpost_getpc35318:
	s_add_u32 s14, s14, (.LBB2_13294-.Lpost_getpc35318)&4294967295
	s_addc_u32 s15, s15, (.LBB2_13294-.Lpost_getpc35318)>>32
	s_setpc_b64 s[14:15]
.LBB2_27632:
	v_mov_b32_e32 v4, 0
	v_cmp_ne_u16_sdwa s[8:9], v3, v4 src0_sel:BYTE_0 src1_sel:DWORD
	s_andn2_b64 s[4:5], s[4:5], exec
	s_and_b64 s[8:9], s[8:9], exec
	s_or_b64 s[4:5], s[4:5], s[8:9]
	s_or_b64 exec, exec, s[6:7]
	s_and_saveexec_b64 s[6:7], s[4:5]
	s_cbranch_execz .LBB2_35319
; %bb.63471:
	s_getpc_b64 s[14:15]
.Lpost_getpc35319:
	s_add_u32 s14, s14, (.LBB2_13295-.Lpost_getpc35319)&4294967295
	s_addc_u32 s15, s15, (.LBB2_13295-.Lpost_getpc35319)>>32
	s_setpc_b64 s[14:15]
.LBB2_35319:
	s_getpc_b64 s[14:15]
.Lpost_getpc21243:
	s_add_u32 s14, s14, (.LBB2_13296-.Lpost_getpc21243)&4294967295
	s_addc_u32 s15, s15, (.LBB2_13296-.Lpost_getpc21243)>>32
	s_setpc_b64 s[14:15]
.LBB2_27633:
	s_movk_i32 s4, 0x80
	v_cmp_eq_u16_e32 vcc, s4, v3
	s_mov_b64 s[4:5], -1
                                        ; implicit-def: $sgpr10
	s_and_saveexec_b64 s[8:9], vcc
; %bb.27634:
	s_mov_b32 s10, 0x7f800001
	s_xor_b64 s[4:5], exec, -1
; %bb.27635:
	s_or_b64 exec, exec, s[8:9]
	s_and_b64 s[4:5], s[4:5], exec
                                        ; implicit-def: $vgpr3
	s_or_saveexec_b64 s[6:7], s[6:7]
	v_mov_b32_e32 v2, s10
	s_xor_b64 exec, exec, s[6:7]
	s_cbranch_execnz .LBB2_27636
; %bb.63473:
	s_getpc_b64 s[14:15]
.Lpost_getpc35320:
	s_add_u32 s14, s14, (.LBB2_13298-.Lpost_getpc35320)&4294967295
	s_addc_u32 s15, s15, (.LBB2_13298-.Lpost_getpc35320)>>32
	s_setpc_b64 s[14:15]
.LBB2_27636:
	v_cmp_ne_u16_e32 vcc, 0, v3
	s_andn2_b64 s[4:5], s[4:5], exec
	s_and_b64 s[8:9], vcc, exec
	v_mov_b32_e32 v2, 0
	s_or_b64 s[4:5], s[4:5], s[8:9]
	s_or_b64 exec, exec, s[6:7]
	s_and_saveexec_b64 s[6:7], s[4:5]
	s_cbranch_execz .LBB2_35321
; %bb.63475:
	s_getpc_b64 s[14:15]
.Lpost_getpc35321:
	s_add_u32 s14, s14, (.LBB2_13299-.Lpost_getpc35321)&4294967295
	s_addc_u32 s15, s15, (.LBB2_13299-.Lpost_getpc35321)>>32
	s_setpc_b64 s[14:15]
.LBB2_35321:
	s_getpc_b64 s[14:15]
.Lpost_getpc21244:
	s_add_u32 s14, s14, (.LBB2_13300-.Lpost_getpc21244)&4294967295
	s_addc_u32 s15, s15, (.LBB2_13300-.Lpost_getpc21244)>>32
	s_setpc_b64 s[14:15]
.LBB2_27637:
	s_movk_i32 s4, 0x80
	v_cmp_eq_u16_e32 vcc, s4, v3
	s_mov_b64 s[4:5], -1
                                        ; implicit-def: $sgpr10
	s_and_saveexec_b64 s[8:9], vcc
; %bb.27638:
	s_mov_b32 s10, 0x7f800001
	s_xor_b64 s[4:5], exec, -1
; %bb.27639:
	s_or_b64 exec, exec, s[8:9]
	s_and_b64 s[4:5], s[4:5], exec
                                        ; implicit-def: $vgpr3
	s_or_saveexec_b64 s[6:7], s[6:7]
	v_mov_b32_e32 v4, s10
	s_xor_b64 exec, exec, s[6:7]
	s_cbranch_execnz .LBB2_27640
; %bb.63477:
	s_getpc_b64 s[14:15]
.Lpost_getpc35322:
	s_add_u32 s14, s14, (.LBB2_13302-.Lpost_getpc35322)&4294967295
	s_addc_u32 s15, s15, (.LBB2_13302-.Lpost_getpc35322)>>32
	s_setpc_b64 s[14:15]
.LBB2_27640:
	v_cmp_ne_u16_e32 vcc, 0, v3
	s_andn2_b64 s[4:5], s[4:5], exec
	s_and_b64 s[8:9], vcc, exec
	v_mov_b32_e32 v4, 0
	s_or_b64 s[4:5], s[4:5], s[8:9]
	s_or_b64 exec, exec, s[6:7]
	s_and_saveexec_b64 s[6:7], s[4:5]
	s_cbranch_execz .LBB2_35323
; %bb.63479:
	s_getpc_b64 s[14:15]
.Lpost_getpc35323:
	s_add_u32 s14, s14, (.LBB2_13303-.Lpost_getpc35323)&4294967295
	s_addc_u32 s15, s15, (.LBB2_13303-.Lpost_getpc35323)>>32
	s_setpc_b64 s[14:15]
.LBB2_35323:
	s_getpc_b64 s[14:15]
.Lpost_getpc21245:
	s_add_u32 s14, s14, (.LBB2_13304-.Lpost_getpc21245)&4294967295
	s_addc_u32 s15, s15, (.LBB2_13304-.Lpost_getpc21245)>>32
	s_setpc_b64 s[14:15]
.LBB2_27641:
	s_movk_i32 s4, 0x80
	v_cmp_eq_u16_sdwa s[12:13], v9, s4 src0_sel:BYTE_3 src1_sel:DWORD
	s_mov_b64 s[4:5], -1
                                        ; implicit-def: $sgpr10
	s_and_saveexec_b64 s[8:9], s[12:13]
; %bb.27642:
	s_mov_b32 s10, 0x7f800001
	s_xor_b64 s[4:5], exec, -1
; %bb.27643:
	s_or_b64 exec, exec, s[8:9]
	s_and_b64 s[4:5], s[4:5], exec
	s_or_saveexec_b64 s[6:7], s[6:7]
	v_mov_b32_e32 v2, s10
	s_xor_b64 exec, exec, s[6:7]
	s_cbranch_execnz .LBB2_27644
; %bb.63481:
	s_getpc_b64 s[14:15]
.Lpost_getpc35324:
	s_add_u32 s14, s14, (.LBB2_13306-.Lpost_getpc35324)&4294967295
	s_addc_u32 s15, s15, (.LBB2_13306-.Lpost_getpc35324)>>32
	s_setpc_b64 s[14:15]
.LBB2_27644:
	v_mov_b32_e32 v2, 0
	v_cmp_ne_u16_sdwa s[8:9], v9, v2 src0_sel:BYTE_3 src1_sel:DWORD
	s_andn2_b64 s[4:5], s[4:5], exec
	s_and_b64 s[8:9], s[8:9], exec
	s_or_b64 s[4:5], s[4:5], s[8:9]
	s_or_b64 exec, exec, s[6:7]
	s_and_saveexec_b64 s[6:7], s[4:5]
	s_cbranch_execz .LBB2_35325
; %bb.63483:
	s_getpc_b64 s[14:15]
.Lpost_getpc35325:
	s_add_u32 s14, s14, (.LBB2_13307-.Lpost_getpc35325)&4294967295
	s_addc_u32 s15, s15, (.LBB2_13307-.Lpost_getpc35325)>>32
	s_setpc_b64 s[14:15]
.LBB2_35325:
	s_getpc_b64 s[14:15]
.Lpost_getpc21246:
	s_add_u32 s14, s14, (.LBB2_13308-.Lpost_getpc21246)&4294967295
	s_addc_u32 s15, s15, (.LBB2_13308-.Lpost_getpc21246)>>32
	s_setpc_b64 s[14:15]
.LBB2_27645:
	s_movk_i32 s4, 0x80
	v_cmp_eq_u16_sdwa s[12:13], v5, s4 src0_sel:BYTE_3 src1_sel:DWORD
	s_mov_b64 s[4:5], -1
                                        ; implicit-def: $sgpr10
	s_and_saveexec_b64 s[8:9], s[12:13]
; %bb.27646:
	s_mov_b32 s10, 0x7f800001
	s_xor_b64 s[4:5], exec, -1
; %bb.27647:
	s_or_b64 exec, exec, s[8:9]
	s_and_b64 s[4:5], s[4:5], exec
	s_or_saveexec_b64 s[6:7], s[6:7]
	v_mov_b32_e32 v3, s10
	s_xor_b64 exec, exec, s[6:7]
	s_cbranch_execnz .LBB2_27648
; %bb.63485:
	s_getpc_b64 s[14:15]
.Lpost_getpc35326:
	s_add_u32 s14, s14, (.LBB2_13310-.Lpost_getpc35326)&4294967295
	s_addc_u32 s15, s15, (.LBB2_13310-.Lpost_getpc35326)>>32
	s_setpc_b64 s[14:15]
.LBB2_27648:
	v_mov_b32_e32 v3, 0
	v_cmp_ne_u16_sdwa s[8:9], v5, v3 src0_sel:BYTE_3 src1_sel:DWORD
	s_andn2_b64 s[4:5], s[4:5], exec
	s_and_b64 s[8:9], s[8:9], exec
	s_or_b64 s[4:5], s[4:5], s[8:9]
	s_or_b64 exec, exec, s[6:7]
	s_and_saveexec_b64 s[6:7], s[4:5]
	s_cbranch_execz .LBB2_35327
; %bb.63487:
	s_getpc_b64 s[14:15]
.Lpost_getpc35327:
	s_add_u32 s14, s14, (.LBB2_13311-.Lpost_getpc35327)&4294967295
	s_addc_u32 s15, s15, (.LBB2_13311-.Lpost_getpc35327)>>32
	s_setpc_b64 s[14:15]
.LBB2_35327:
	s_getpc_b64 s[14:15]
.Lpost_getpc21247:
	s_add_u32 s14, s14, (.LBB2_13312-.Lpost_getpc21247)&4294967295
	s_addc_u32 s15, s15, (.LBB2_13312-.Lpost_getpc21247)>>32
	s_setpc_b64 s[14:15]
.LBB2_27649:
	s_movk_i32 s4, 0x80
	v_cmp_eq_u16_sdwa s[12:13], v6, s4 src0_sel:BYTE_0 src1_sel:DWORD
	s_mov_b64 s[4:5], -1
                                        ; implicit-def: $sgpr10
	s_and_saveexec_b64 s[8:9], s[12:13]
; %bb.27650:
	s_mov_b32 s10, 0x7f800001
	s_xor_b64 s[4:5], exec, -1
; %bb.27651:
	s_or_b64 exec, exec, s[8:9]
	s_and_b64 s[4:5], s[4:5], exec
	s_or_saveexec_b64 s[6:7], s[6:7]
	v_mov_b32_e32 v12, s10
	s_xor_b64 exec, exec, s[6:7]
	s_cbranch_execnz .LBB2_27652
; %bb.63489:
	s_getpc_b64 s[14:15]
.Lpost_getpc35328:
	s_add_u32 s14, s14, (.LBB2_13314-.Lpost_getpc35328)&4294967295
	s_addc_u32 s15, s15, (.LBB2_13314-.Lpost_getpc35328)>>32
	s_setpc_b64 s[14:15]
.LBB2_27652:
	v_mov_b32_e32 v12, 0
	v_cmp_ne_u16_sdwa s[8:9], v6, v12 src0_sel:BYTE_0 src1_sel:DWORD
	s_andn2_b64 s[4:5], s[4:5], exec
	s_and_b64 s[8:9], s[8:9], exec
	s_or_b64 s[4:5], s[4:5], s[8:9]
	s_or_b64 exec, exec, s[6:7]
	s_and_saveexec_b64 s[6:7], s[4:5]
	s_cbranch_execz .LBB2_35329
; %bb.63491:
	s_getpc_b64 s[14:15]
.Lpost_getpc35329:
	s_add_u32 s14, s14, (.LBB2_13315-.Lpost_getpc35329)&4294967295
	s_addc_u32 s15, s15, (.LBB2_13315-.Lpost_getpc35329)>>32
	s_setpc_b64 s[14:15]
.LBB2_35329:
	s_getpc_b64 s[14:15]
.Lpost_getpc21248:
	s_add_u32 s14, s14, (.LBB2_13316-.Lpost_getpc21248)&4294967295
	s_addc_u32 s15, s15, (.LBB2_13316-.Lpost_getpc21248)>>32
	s_setpc_b64 s[14:15]
.LBB2_27653:
	s_movk_i32 s4, 0x80
	v_cmp_eq_u16_sdwa s[12:13], v2, s4 src0_sel:BYTE_0 src1_sel:DWORD
	s_mov_b64 s[4:5], -1
                                        ; implicit-def: $sgpr10
	s_and_saveexec_b64 s[8:9], s[12:13]
; %bb.27654:
	s_mov_b32 s10, 0x7f800001
	s_xor_b64 s[4:5], exec, -1
; %bb.27655:
	s_or_b64 exec, exec, s[8:9]
	s_and_b64 s[4:5], s[4:5], exec
	s_or_saveexec_b64 s[6:7], s[6:7]
	v_mov_b32_e32 v13, s10
	s_xor_b64 exec, exec, s[6:7]
	s_cbranch_execnz .LBB2_27656
; %bb.63493:
	s_getpc_b64 s[14:15]
.Lpost_getpc35330:
	s_add_u32 s14, s14, (.LBB2_13318-.Lpost_getpc35330)&4294967295
	s_addc_u32 s15, s15, (.LBB2_13318-.Lpost_getpc35330)>>32
	s_setpc_b64 s[14:15]
.LBB2_27656:
	v_mov_b32_e32 v13, 0
	v_cmp_ne_u16_sdwa s[8:9], v2, v13 src0_sel:BYTE_0 src1_sel:DWORD
	s_andn2_b64 s[4:5], s[4:5], exec
	s_and_b64 s[8:9], s[8:9], exec
	s_or_b64 s[4:5], s[4:5], s[8:9]
	s_or_b64 exec, exec, s[6:7]
	s_and_saveexec_b64 s[6:7], s[4:5]
	s_cbranch_execz .LBB2_35331
; %bb.63495:
	s_getpc_b64 s[14:15]
.Lpost_getpc35331:
	s_add_u32 s14, s14, (.LBB2_13319-.Lpost_getpc35331)&4294967295
	s_addc_u32 s15, s15, (.LBB2_13319-.Lpost_getpc35331)>>32
	s_setpc_b64 s[14:15]
.LBB2_35331:
	s_getpc_b64 s[14:15]
.Lpost_getpc21249:
	s_add_u32 s14, s14, (.LBB2_13320-.Lpost_getpc21249)&4294967295
	s_addc_u32 s15, s15, (.LBB2_13320-.Lpost_getpc21249)>>32
	s_setpc_b64 s[14:15]
.LBB2_27657:
	s_movk_i32 s4, 0x80
	v_cmp_eq_u16_sdwa s[12:13], v13, s4 src0_sel:BYTE_0 src1_sel:DWORD
	s_mov_b64 s[4:5], -1
                                        ; implicit-def: $sgpr10
	s_and_saveexec_b64 s[8:9], s[12:13]
; %bb.27658:
	s_mov_b32 s10, 0x7f800001
	s_xor_b64 s[4:5], exec, -1
; %bb.27659:
	s_or_b64 exec, exec, s[8:9]
	s_and_b64 s[4:5], s[4:5], exec
	s_or_saveexec_b64 s[6:7], s[6:7]
	v_mov_b32_e32 v12, s10
	s_xor_b64 exec, exec, s[6:7]
	s_cbranch_execnz .LBB2_27660
; %bb.63497:
	s_getpc_b64 s[14:15]
.Lpost_getpc35332:
	s_add_u32 s14, s14, (.LBB2_13322-.Lpost_getpc35332)&4294967295
	s_addc_u32 s15, s15, (.LBB2_13322-.Lpost_getpc35332)>>32
	s_setpc_b64 s[14:15]
.LBB2_27660:
	v_mov_b32_e32 v12, 0
	v_cmp_ne_u16_sdwa s[8:9], v13, v12 src0_sel:BYTE_0 src1_sel:DWORD
	s_andn2_b64 s[4:5], s[4:5], exec
	s_and_b64 s[8:9], s[8:9], exec
	s_or_b64 s[4:5], s[4:5], s[8:9]
	s_or_b64 exec, exec, s[6:7]
	s_and_saveexec_b64 s[6:7], s[4:5]
	s_cbranch_execz .LBB2_35333
; %bb.63499:
	s_getpc_b64 s[14:15]
.Lpost_getpc35333:
	s_add_u32 s14, s14, (.LBB2_13323-.Lpost_getpc35333)&4294967295
	s_addc_u32 s15, s15, (.LBB2_13323-.Lpost_getpc35333)>>32
	s_setpc_b64 s[14:15]
.LBB2_35333:
	s_getpc_b64 s[14:15]
.Lpost_getpc21250:
	s_add_u32 s14, s14, (.LBB2_13324-.Lpost_getpc21250)&4294967295
	s_addc_u32 s15, s15, (.LBB2_13324-.Lpost_getpc21250)>>32
	s_setpc_b64 s[14:15]
.LBB2_27661:
	s_movk_i32 s4, 0x80
	v_cmp_eq_u16_sdwa s[12:13], v13, s4 src0_sel:BYTE_0 src1_sel:DWORD
	s_mov_b64 s[4:5], -1
                                        ; implicit-def: $sgpr10
	s_and_saveexec_b64 s[8:9], s[12:13]
; %bb.27662:
	s_mov_b32 s10, 0x7f800001
	s_xor_b64 s[4:5], exec, -1
; %bb.27663:
	s_or_b64 exec, exec, s[8:9]
	s_and_b64 s[4:5], s[4:5], exec
	s_or_saveexec_b64 s[6:7], s[6:7]
	v_mov_b32_e32 v14, s10
	s_xor_b64 exec, exec, s[6:7]
	s_cbranch_execnz .LBB2_27664
; %bb.63501:
	s_getpc_b64 s[14:15]
.Lpost_getpc35334:
	s_add_u32 s14, s14, (.LBB2_13326-.Lpost_getpc35334)&4294967295
	s_addc_u32 s15, s15, (.LBB2_13326-.Lpost_getpc35334)>>32
	s_setpc_b64 s[14:15]
.LBB2_27664:
	v_mov_b32_e32 v14, 0
	v_cmp_ne_u16_sdwa s[8:9], v13, v14 src0_sel:BYTE_0 src1_sel:DWORD
	s_andn2_b64 s[4:5], s[4:5], exec
	s_and_b64 s[8:9], s[8:9], exec
	s_or_b64 s[4:5], s[4:5], s[8:9]
	s_or_b64 exec, exec, s[6:7]
	s_and_saveexec_b64 s[6:7], s[4:5]
	s_cbranch_execz .LBB2_35335
; %bb.63503:
	s_getpc_b64 s[14:15]
.Lpost_getpc35335:
	s_add_u32 s14, s14, (.LBB2_13327-.Lpost_getpc35335)&4294967295
	s_addc_u32 s15, s15, (.LBB2_13327-.Lpost_getpc35335)>>32
	s_setpc_b64 s[14:15]
.LBB2_35335:
	s_getpc_b64 s[14:15]
.Lpost_getpc21251:
	s_add_u32 s14, s14, (.LBB2_13328-.Lpost_getpc21251)&4294967295
	s_addc_u32 s15, s15, (.LBB2_13328-.Lpost_getpc21251)>>32
	s_setpc_b64 s[14:15]
.LBB2_27665:
	s_movk_i32 s4, 0x80
	v_cmp_eq_u16_e32 vcc, s4, v13
	s_mov_b64 s[4:5], -1
                                        ; implicit-def: $sgpr10
	s_and_saveexec_b64 s[8:9], vcc
; %bb.27666:
	s_mov_b32 s10, 0x7f800001
	s_xor_b64 s[4:5], exec, -1
; %bb.27667:
	s_or_b64 exec, exec, s[8:9]
	s_and_b64 s[4:5], s[4:5], exec
                                        ; implicit-def: $vgpr13
	s_or_saveexec_b64 s[6:7], s[6:7]
	v_mov_b32_e32 v12, s10
	s_xor_b64 exec, exec, s[6:7]
	s_cbranch_execnz .LBB2_27668
; %bb.63505:
	s_getpc_b64 s[14:15]
.Lpost_getpc35336:
	s_add_u32 s14, s14, (.LBB2_13330-.Lpost_getpc35336)&4294967295
	s_addc_u32 s15, s15, (.LBB2_13330-.Lpost_getpc35336)>>32
	s_setpc_b64 s[14:15]
.LBB2_27668:
	v_cmp_ne_u16_e32 vcc, 0, v13
	s_andn2_b64 s[4:5], s[4:5], exec
	s_and_b64 s[8:9], vcc, exec
	v_mov_b32_e32 v12, 0
	s_or_b64 s[4:5], s[4:5], s[8:9]
	s_or_b64 exec, exec, s[6:7]
	s_and_saveexec_b64 s[6:7], s[4:5]
	s_cbranch_execz .LBB2_35337
; %bb.63507:
	s_getpc_b64 s[14:15]
.Lpost_getpc35337:
	s_add_u32 s14, s14, (.LBB2_13331-.Lpost_getpc35337)&4294967295
	s_addc_u32 s15, s15, (.LBB2_13331-.Lpost_getpc35337)>>32
	s_setpc_b64 s[14:15]
.LBB2_35337:
	s_getpc_b64 s[14:15]
.Lpost_getpc21252:
	s_add_u32 s14, s14, (.LBB2_13332-.Lpost_getpc21252)&4294967295
	s_addc_u32 s15, s15, (.LBB2_13332-.Lpost_getpc21252)>>32
	s_setpc_b64 s[14:15]
.LBB2_27669:
	s_movk_i32 s4, 0x80
	v_cmp_eq_u16_e32 vcc, s4, v13
	s_mov_b64 s[4:5], -1
                                        ; implicit-def: $sgpr10
	s_and_saveexec_b64 s[8:9], vcc
; %bb.27670:
	s_mov_b32 s10, 0x7f800001
	s_xor_b64 s[4:5], exec, -1
; %bb.27671:
	s_or_b64 exec, exec, s[8:9]
	s_and_b64 s[4:5], s[4:5], exec
                                        ; implicit-def: $vgpr13
	s_or_saveexec_b64 s[6:7], s[6:7]
	v_mov_b32_e32 v14, s10
	s_xor_b64 exec, exec, s[6:7]
	s_cbranch_execnz .LBB2_27672
; %bb.63509:
	s_getpc_b64 s[14:15]
.Lpost_getpc35338:
	s_add_u32 s14, s14, (.LBB2_13334-.Lpost_getpc35338)&4294967295
	s_addc_u32 s15, s15, (.LBB2_13334-.Lpost_getpc35338)>>32
	s_setpc_b64 s[14:15]
.LBB2_27672:
	v_cmp_ne_u16_e32 vcc, 0, v13
	s_andn2_b64 s[4:5], s[4:5], exec
	s_and_b64 s[8:9], vcc, exec
	v_mov_b32_e32 v14, 0
	s_or_b64 s[4:5], s[4:5], s[8:9]
	s_or_b64 exec, exec, s[6:7]
	s_and_saveexec_b64 s[6:7], s[4:5]
	s_cbranch_execz .LBB2_35339
; %bb.63511:
	s_getpc_b64 s[14:15]
.Lpost_getpc35339:
	s_add_u32 s14, s14, (.LBB2_13335-.Lpost_getpc35339)&4294967295
	s_addc_u32 s15, s15, (.LBB2_13335-.Lpost_getpc35339)>>32
	s_setpc_b64 s[14:15]
.LBB2_35339:
	s_getpc_b64 s[14:15]
.Lpost_getpc21253:
	s_add_u32 s14, s14, (.LBB2_13336-.Lpost_getpc21253)&4294967295
	s_addc_u32 s15, s15, (.LBB2_13336-.Lpost_getpc21253)>>32
	s_setpc_b64 s[14:15]
.LBB2_27673:
	s_movk_i32 s4, 0x80
	v_cmp_eq_u16_sdwa s[12:13], v6, s4 src0_sel:BYTE_3 src1_sel:DWORD
	s_mov_b64 s[4:5], -1
                                        ; implicit-def: $sgpr10
	s_and_saveexec_b64 s[8:9], s[12:13]
; %bb.27674:
	s_mov_b32 s10, 0x7f800001
	s_xor_b64 s[4:5], exec, -1
; %bb.27675:
	s_or_b64 exec, exec, s[8:9]
	s_and_b64 s[4:5], s[4:5], exec
	s_or_saveexec_b64 s[6:7], s[6:7]
	v_mov_b32_e32 v12, s10
	s_xor_b64 exec, exec, s[6:7]
	s_cbranch_execnz .LBB2_27676
; %bb.63513:
	s_getpc_b64 s[14:15]
.Lpost_getpc35340:
	s_add_u32 s14, s14, (.LBB2_13338-.Lpost_getpc35340)&4294967295
	s_addc_u32 s15, s15, (.LBB2_13338-.Lpost_getpc35340)>>32
	s_setpc_b64 s[14:15]
.LBB2_27676:
	v_mov_b32_e32 v12, 0
	v_cmp_ne_u16_sdwa s[8:9], v6, v12 src0_sel:BYTE_3 src1_sel:DWORD
	s_andn2_b64 s[4:5], s[4:5], exec
	s_and_b64 s[8:9], s[8:9], exec
	s_or_b64 s[4:5], s[4:5], s[8:9]
	s_or_b64 exec, exec, s[6:7]
	s_and_saveexec_b64 s[6:7], s[4:5]
	s_cbranch_execz .LBB2_35341
; %bb.63515:
	s_getpc_b64 s[14:15]
.Lpost_getpc35341:
	s_add_u32 s14, s14, (.LBB2_13339-.Lpost_getpc35341)&4294967295
	s_addc_u32 s15, s15, (.LBB2_13339-.Lpost_getpc35341)>>32
	s_setpc_b64 s[14:15]
.LBB2_35341:
	s_getpc_b64 s[14:15]
.Lpost_getpc21254:
	s_add_u32 s14, s14, (.LBB2_13340-.Lpost_getpc21254)&4294967295
	s_addc_u32 s15, s15, (.LBB2_13340-.Lpost_getpc21254)>>32
	s_setpc_b64 s[14:15]
.LBB2_27677:
	s_movk_i32 s4, 0x80
	v_cmp_eq_u16_sdwa s[12:13], v2, s4 src0_sel:BYTE_3 src1_sel:DWORD
	s_mov_b64 s[4:5], -1
                                        ; implicit-def: $sgpr10
	s_and_saveexec_b64 s[8:9], s[12:13]
; %bb.27678:
	s_mov_b32 s10, 0x7f800001
	s_xor_b64 s[4:5], exec, -1
; %bb.27679:
	s_or_b64 exec, exec, s[8:9]
	s_and_b64 s[4:5], s[4:5], exec
	s_or_saveexec_b64 s[6:7], s[6:7]
	v_mov_b32_e32 v6, s10
	s_xor_b64 exec, exec, s[6:7]
	s_cbranch_execnz .LBB2_27680
; %bb.63517:
	s_getpc_b64 s[14:15]
.Lpost_getpc35342:
	s_add_u32 s14, s14, (.LBB2_13342-.Lpost_getpc35342)&4294967295
	s_addc_u32 s15, s15, (.LBB2_13342-.Lpost_getpc35342)>>32
	s_setpc_b64 s[14:15]
.LBB2_27680:
	v_mov_b32_e32 v6, 0
	v_cmp_ne_u16_sdwa s[8:9], v2, v6 src0_sel:BYTE_3 src1_sel:DWORD
	s_andn2_b64 s[4:5], s[4:5], exec
	s_and_b64 s[8:9], s[8:9], exec
	s_or_b64 s[4:5], s[4:5], s[8:9]
	s_or_b64 exec, exec, s[6:7]
	s_and_saveexec_b64 s[6:7], s[4:5]
	s_cbranch_execz .LBB2_35343
; %bb.63519:
	s_getpc_b64 s[14:15]
.Lpost_getpc35343:
	s_add_u32 s14, s14, (.LBB2_13343-.Lpost_getpc35343)&4294967295
	s_addc_u32 s15, s15, (.LBB2_13343-.Lpost_getpc35343)>>32
	s_setpc_b64 s[14:15]
.LBB2_35343:
	s_getpc_b64 s[14:15]
.Lpost_getpc21255:
	s_add_u32 s14, s14, (.LBB2_13344-.Lpost_getpc21255)&4294967295
	s_addc_u32 s15, s15, (.LBB2_13344-.Lpost_getpc21255)>>32
	s_setpc_b64 s[14:15]
.LBB2_27681:
	s_movk_i32 s4, 0x80
	v_cmp_eq_u16_sdwa s[12:13], v7, s4 src0_sel:BYTE_0 src1_sel:DWORD
	s_mov_b64 s[4:5], -1
                                        ; implicit-def: $sgpr10
	s_and_saveexec_b64 s[8:9], s[12:13]
; %bb.27682:
	s_mov_b32 s10, 0x7f800001
	s_xor_b64 s[4:5], exec, -1
; %bb.27683:
	s_or_b64 exec, exec, s[8:9]
	s_and_b64 s[4:5], s[4:5], exec
	s_or_saveexec_b64 s[6:7], s[6:7]
	v_mov_b32_e32 v2, s10
	s_xor_b64 exec, exec, s[6:7]
	s_cbranch_execnz .LBB2_27684
; %bb.63521:
	s_getpc_b64 s[14:15]
.Lpost_getpc35344:
	s_add_u32 s14, s14, (.LBB2_13346-.Lpost_getpc35344)&4294967295
	s_addc_u32 s15, s15, (.LBB2_13346-.Lpost_getpc35344)>>32
	s_setpc_b64 s[14:15]
.LBB2_27684:
	v_mov_b32_e32 v2, 0
	v_cmp_ne_u16_sdwa s[8:9], v7, v2 src0_sel:BYTE_0 src1_sel:DWORD
	s_andn2_b64 s[4:5], s[4:5], exec
	s_and_b64 s[8:9], s[8:9], exec
	s_or_b64 s[4:5], s[4:5], s[8:9]
	s_or_b64 exec, exec, s[6:7]
	s_and_saveexec_b64 s[6:7], s[4:5]
	s_cbranch_execz .LBB2_35345
; %bb.63523:
	s_getpc_b64 s[14:15]
.Lpost_getpc35345:
	s_add_u32 s14, s14, (.LBB2_13347-.Lpost_getpc35345)&4294967295
	s_addc_u32 s15, s15, (.LBB2_13347-.Lpost_getpc35345)>>32
	s_setpc_b64 s[14:15]
.LBB2_35345:
	s_getpc_b64 s[14:15]
.Lpost_getpc21256:
	s_add_u32 s14, s14, (.LBB2_13348-.Lpost_getpc21256)&4294967295
	s_addc_u32 s15, s15, (.LBB2_13348-.Lpost_getpc21256)>>32
	s_setpc_b64 s[14:15]
.LBB2_27685:
	s_movk_i32 s4, 0x80
	v_cmp_eq_u16_sdwa s[12:13], v3, s4 src0_sel:BYTE_0 src1_sel:DWORD
	s_mov_b64 s[4:5], -1
                                        ; implicit-def: $sgpr10
	s_and_saveexec_b64 s[8:9], s[12:13]
; %bb.27686:
	s_mov_b32 s10, 0x7f800001
	s_xor_b64 s[4:5], exec, -1
; %bb.27687:
	s_or_b64 exec, exec, s[8:9]
	s_and_b64 s[4:5], s[4:5], exec
	s_or_saveexec_b64 s[6:7], s[6:7]
	v_mov_b32_e32 v6, s10
	s_xor_b64 exec, exec, s[6:7]
	s_cbranch_execnz .LBB2_27688
; %bb.63525:
	s_getpc_b64 s[14:15]
.Lpost_getpc35346:
	s_add_u32 s14, s14, (.LBB2_13350-.Lpost_getpc35346)&4294967295
	s_addc_u32 s15, s15, (.LBB2_13350-.Lpost_getpc35346)>>32
	s_setpc_b64 s[14:15]
.LBB2_27688:
	v_mov_b32_e32 v6, 0
	v_cmp_ne_u16_sdwa s[8:9], v3, v6 src0_sel:BYTE_0 src1_sel:DWORD
	s_andn2_b64 s[4:5], s[4:5], exec
	s_and_b64 s[8:9], s[8:9], exec
	s_or_b64 s[4:5], s[4:5], s[8:9]
	s_or_b64 exec, exec, s[6:7]
	s_and_saveexec_b64 s[6:7], s[4:5]
	s_cbranch_execz .LBB2_35347
; %bb.63527:
	s_getpc_b64 s[14:15]
.Lpost_getpc35347:
	s_add_u32 s14, s14, (.LBB2_13351-.Lpost_getpc35347)&4294967295
	s_addc_u32 s15, s15, (.LBB2_13351-.Lpost_getpc35347)>>32
	s_setpc_b64 s[14:15]
.LBB2_35347:
	s_getpc_b64 s[14:15]
.Lpost_getpc21257:
	s_add_u32 s14, s14, (.LBB2_13352-.Lpost_getpc21257)&4294967295
	s_addc_u32 s15, s15, (.LBB2_13352-.Lpost_getpc21257)>>32
	s_setpc_b64 s[14:15]
.LBB2_27689:
	s_movk_i32 s4, 0x80
	v_cmp_eq_u16_sdwa s[12:13], v6, s4 src0_sel:BYTE_0 src1_sel:DWORD
	s_mov_b64 s[4:5], -1
                                        ; implicit-def: $sgpr10
	s_and_saveexec_b64 s[8:9], s[12:13]
; %bb.27690:
	s_mov_b32 s10, 0x7f800001
	s_xor_b64 s[4:5], exec, -1
; %bb.27691:
	s_or_b64 exec, exec, s[8:9]
	s_and_b64 s[4:5], s[4:5], exec
	s_or_saveexec_b64 s[6:7], s[6:7]
	v_mov_b32_e32 v2, s10
	s_xor_b64 exec, exec, s[6:7]
	s_cbranch_execnz .LBB2_27692
; %bb.63529:
	s_getpc_b64 s[14:15]
.Lpost_getpc35348:
	s_add_u32 s14, s14, (.LBB2_13354-.Lpost_getpc35348)&4294967295
	s_addc_u32 s15, s15, (.LBB2_13354-.Lpost_getpc35348)>>32
	s_setpc_b64 s[14:15]
.LBB2_27692:
	v_mov_b32_e32 v2, 0
	v_cmp_ne_u16_sdwa s[8:9], v6, v2 src0_sel:BYTE_0 src1_sel:DWORD
	s_andn2_b64 s[4:5], s[4:5], exec
	s_and_b64 s[8:9], s[8:9], exec
	s_or_b64 s[4:5], s[4:5], s[8:9]
	s_or_b64 exec, exec, s[6:7]
	s_and_saveexec_b64 s[6:7], s[4:5]
	s_cbranch_execz .LBB2_35349
; %bb.63531:
	s_getpc_b64 s[14:15]
.Lpost_getpc35349:
	s_add_u32 s14, s14, (.LBB2_13355-.Lpost_getpc35349)&4294967295
	s_addc_u32 s15, s15, (.LBB2_13355-.Lpost_getpc35349)>>32
	s_setpc_b64 s[14:15]
.LBB2_35349:
	s_getpc_b64 s[14:15]
.Lpost_getpc21258:
	s_add_u32 s14, s14, (.LBB2_13356-.Lpost_getpc21258)&4294967295
	s_addc_u32 s15, s15, (.LBB2_13356-.Lpost_getpc21258)>>32
	s_setpc_b64 s[14:15]
.LBB2_27693:
	s_movk_i32 s4, 0x80
	v_cmp_eq_u16_sdwa s[12:13], v6, s4 src0_sel:BYTE_0 src1_sel:DWORD
	s_mov_b64 s[4:5], -1
                                        ; implicit-def: $sgpr10
	s_and_saveexec_b64 s[8:9], s[12:13]
; %bb.27694:
	s_mov_b32 s10, 0x7f800001
	s_xor_b64 s[4:5], exec, -1
; %bb.27695:
	s_or_b64 exec, exec, s[8:9]
	s_and_b64 s[4:5], s[4:5], exec
	s_or_saveexec_b64 s[6:7], s[6:7]
	v_mov_b32_e32 v12, s10
	s_xor_b64 exec, exec, s[6:7]
	s_cbranch_execnz .LBB2_27696
; %bb.63533:
	s_getpc_b64 s[14:15]
.Lpost_getpc35350:
	s_add_u32 s14, s14, (.LBB2_13358-.Lpost_getpc35350)&4294967295
	s_addc_u32 s15, s15, (.LBB2_13358-.Lpost_getpc35350)>>32
	s_setpc_b64 s[14:15]
.LBB2_27696:
	v_mov_b32_e32 v12, 0
	v_cmp_ne_u16_sdwa s[8:9], v6, v12 src0_sel:BYTE_0 src1_sel:DWORD
	s_andn2_b64 s[4:5], s[4:5], exec
	s_and_b64 s[8:9], s[8:9], exec
	s_or_b64 s[4:5], s[4:5], s[8:9]
	s_or_b64 exec, exec, s[6:7]
	s_and_saveexec_b64 s[6:7], s[4:5]
	s_cbranch_execz .LBB2_35351
; %bb.63535:
	s_getpc_b64 s[14:15]
.Lpost_getpc35351:
	s_add_u32 s14, s14, (.LBB2_13359-.Lpost_getpc35351)&4294967295
	s_addc_u32 s15, s15, (.LBB2_13359-.Lpost_getpc35351)>>32
	s_setpc_b64 s[14:15]
.LBB2_35351:
	s_getpc_b64 s[14:15]
.Lpost_getpc21259:
	s_add_u32 s14, s14, (.LBB2_13360-.Lpost_getpc21259)&4294967295
	s_addc_u32 s15, s15, (.LBB2_13360-.Lpost_getpc21259)>>32
	s_setpc_b64 s[14:15]
.LBB2_27697:
	s_movk_i32 s4, 0x80
	v_cmp_eq_u16_e32 vcc, s4, v6
	s_mov_b64 s[4:5], -1
                                        ; implicit-def: $sgpr10
	s_and_saveexec_b64 s[8:9], vcc
; %bb.27698:
	s_mov_b32 s10, 0x7f800001
	s_xor_b64 s[4:5], exec, -1
; %bb.27699:
	s_or_b64 exec, exec, s[8:9]
	s_and_b64 s[4:5], s[4:5], exec
                                        ; implicit-def: $vgpr6
	s_or_saveexec_b64 s[6:7], s[6:7]
	v_mov_b32_e32 v2, s10
	s_xor_b64 exec, exec, s[6:7]
	s_cbranch_execnz .LBB2_27700
; %bb.63537:
	s_getpc_b64 s[14:15]
.Lpost_getpc35352:
	s_add_u32 s14, s14, (.LBB2_13362-.Lpost_getpc35352)&4294967295
	s_addc_u32 s15, s15, (.LBB2_13362-.Lpost_getpc35352)>>32
	s_setpc_b64 s[14:15]
.LBB2_27700:
	v_cmp_ne_u16_e32 vcc, 0, v6
	s_andn2_b64 s[4:5], s[4:5], exec
	s_and_b64 s[8:9], vcc, exec
	v_mov_b32_e32 v2, 0
	s_or_b64 s[4:5], s[4:5], s[8:9]
	s_or_b64 exec, exec, s[6:7]
	s_and_saveexec_b64 s[6:7], s[4:5]
	s_cbranch_execz .LBB2_35353
; %bb.63539:
	s_getpc_b64 s[14:15]
.Lpost_getpc35353:
	s_add_u32 s14, s14, (.LBB2_13363-.Lpost_getpc35353)&4294967295
	s_addc_u32 s15, s15, (.LBB2_13363-.Lpost_getpc35353)>>32
	s_setpc_b64 s[14:15]
.LBB2_35353:
	s_getpc_b64 s[14:15]
.Lpost_getpc21260:
	s_add_u32 s14, s14, (.LBB2_13364-.Lpost_getpc21260)&4294967295
	s_addc_u32 s15, s15, (.LBB2_13364-.Lpost_getpc21260)>>32
	s_setpc_b64 s[14:15]
.LBB2_27701:
	s_movk_i32 s4, 0x80
	v_cmp_eq_u16_e32 vcc, s4, v6
	s_mov_b64 s[4:5], -1
                                        ; implicit-def: $sgpr10
	s_and_saveexec_b64 s[8:9], vcc
; %bb.27702:
	s_mov_b32 s10, 0x7f800001
	s_xor_b64 s[4:5], exec, -1
; %bb.27703:
	s_or_b64 exec, exec, s[8:9]
	s_and_b64 s[4:5], s[4:5], exec
                                        ; implicit-def: $vgpr6
	s_or_saveexec_b64 s[6:7], s[6:7]
	v_mov_b32_e32 v12, s10
	s_xor_b64 exec, exec, s[6:7]
	s_cbranch_execnz .LBB2_27704
; %bb.63541:
	s_getpc_b64 s[14:15]
.Lpost_getpc35354:
	s_add_u32 s14, s14, (.LBB2_13366-.Lpost_getpc35354)&4294967295
	s_addc_u32 s15, s15, (.LBB2_13366-.Lpost_getpc35354)>>32
	s_setpc_b64 s[14:15]
.LBB2_27704:
	v_cmp_ne_u16_e32 vcc, 0, v6
	s_andn2_b64 s[4:5], s[4:5], exec
	s_and_b64 s[8:9], vcc, exec
	v_mov_b32_e32 v12, 0
	s_or_b64 s[4:5], s[4:5], s[8:9]
	s_or_b64 exec, exec, s[6:7]
	s_and_saveexec_b64 s[6:7], s[4:5]
	s_cbranch_execz .LBB2_35355
; %bb.63543:
	s_getpc_b64 s[14:15]
.Lpost_getpc35355:
	s_add_u32 s14, s14, (.LBB2_13367-.Lpost_getpc35355)&4294967295
	s_addc_u32 s15, s15, (.LBB2_13367-.Lpost_getpc35355)>>32
	s_setpc_b64 s[14:15]
.LBB2_35355:
	s_getpc_b64 s[14:15]
.Lpost_getpc21261:
	s_add_u32 s14, s14, (.LBB2_13368-.Lpost_getpc21261)&4294967295
	s_addc_u32 s15, s15, (.LBB2_13368-.Lpost_getpc21261)>>32
	s_setpc_b64 s[14:15]
.LBB2_27705:
	s_movk_i32 s4, 0x80
	v_cmp_eq_u16_sdwa s[12:13], v7, s4 src0_sel:BYTE_3 src1_sel:DWORD
	s_mov_b64 s[4:5], -1
                                        ; implicit-def: $sgpr10
	s_and_saveexec_b64 s[8:9], s[12:13]
; %bb.27706:
	s_mov_b32 s10, 0x7f800001
	s_xor_b64 s[4:5], exec, -1
; %bb.27707:
	s_or_b64 exec, exec, s[8:9]
	s_and_b64 s[4:5], s[4:5], exec
	s_or_saveexec_b64 s[6:7], s[6:7]
	v_mov_b32_e32 v2, s10
	s_xor_b64 exec, exec, s[6:7]
	s_cbranch_execnz .LBB2_27708
; %bb.63545:
	s_getpc_b64 s[14:15]
.Lpost_getpc35356:
	s_add_u32 s14, s14, (.LBB2_13370-.Lpost_getpc35356)&4294967295
	s_addc_u32 s15, s15, (.LBB2_13370-.Lpost_getpc35356)>>32
	s_setpc_b64 s[14:15]
.LBB2_27708:
	v_mov_b32_e32 v2, 0
	v_cmp_ne_u16_sdwa s[8:9], v7, v2 src0_sel:BYTE_3 src1_sel:DWORD
	s_andn2_b64 s[4:5], s[4:5], exec
	s_and_b64 s[8:9], s[8:9], exec
	s_or_b64 s[4:5], s[4:5], s[8:9]
	s_or_b64 exec, exec, s[6:7]
	s_and_saveexec_b64 s[6:7], s[4:5]
	s_cbranch_execz .LBB2_35357
; %bb.63547:
	s_getpc_b64 s[14:15]
.Lpost_getpc35357:
	s_add_u32 s14, s14, (.LBB2_13371-.Lpost_getpc35357)&4294967295
	s_addc_u32 s15, s15, (.LBB2_13371-.Lpost_getpc35357)>>32
	s_setpc_b64 s[14:15]
.LBB2_35357:
	s_getpc_b64 s[14:15]
.Lpost_getpc21262:
	s_add_u32 s14, s14, (.LBB2_13372-.Lpost_getpc21262)&4294967295
	s_addc_u32 s15, s15, (.LBB2_13372-.Lpost_getpc21262)>>32
	s_setpc_b64 s[14:15]
.LBB2_27709:
	s_movk_i32 s4, 0x80
	v_cmp_eq_u16_sdwa s[12:13], v3, s4 src0_sel:BYTE_3 src1_sel:DWORD
	s_mov_b64 s[4:5], -1
                                        ; implicit-def: $sgpr10
	s_and_saveexec_b64 s[8:9], s[12:13]
; %bb.27710:
	s_mov_b32 s10, 0x7f800001
	s_xor_b64 s[4:5], exec, -1
; %bb.27711:
	s_or_b64 exec, exec, s[8:9]
	s_and_b64 s[4:5], s[4:5], exec
	s_or_saveexec_b64 s[6:7], s[6:7]
	v_mov_b32_e32 v6, s10
	s_xor_b64 exec, exec, s[6:7]
	s_cbranch_execnz .LBB2_27712
; %bb.63549:
	s_getpc_b64 s[14:15]
.Lpost_getpc35358:
	s_add_u32 s14, s14, (.LBB2_13374-.Lpost_getpc35358)&4294967295
	s_addc_u32 s15, s15, (.LBB2_13374-.Lpost_getpc35358)>>32
	s_setpc_b64 s[14:15]
.LBB2_27712:
	v_mov_b32_e32 v6, 0
	v_cmp_ne_u16_sdwa s[8:9], v3, v6 src0_sel:BYTE_3 src1_sel:DWORD
	s_andn2_b64 s[4:5], s[4:5], exec
	s_and_b64 s[8:9], s[8:9], exec
	s_or_b64 s[4:5], s[4:5], s[8:9]
	s_or_b64 exec, exec, s[6:7]
	s_and_saveexec_b64 s[6:7], s[4:5]
	s_cbranch_execz .LBB2_35359
; %bb.63551:
	s_getpc_b64 s[14:15]
.Lpost_getpc35359:
	s_add_u32 s14, s14, (.LBB2_13375-.Lpost_getpc35359)&4294967295
	s_addc_u32 s15, s15, (.LBB2_13375-.Lpost_getpc35359)>>32
	s_setpc_b64 s[14:15]
.LBB2_35359:
	s_getpc_b64 s[14:15]
.Lpost_getpc21263:
	s_add_u32 s14, s14, (.LBB2_13376-.Lpost_getpc21263)&4294967295
	s_addc_u32 s15, s15, (.LBB2_13376-.Lpost_getpc21263)>>32
	s_setpc_b64 s[14:15]
.LBB2_27713:
	s_movk_i32 s4, 0x80
	v_cmp_eq_u16_sdwa s[12:13], v8, s4 src0_sel:BYTE_0 src1_sel:DWORD
	s_mov_b64 s[4:5], -1
                                        ; implicit-def: $sgpr10
	s_and_saveexec_b64 s[8:9], s[12:13]
; %bb.27714:
	s_mov_b32 s10, 0x7f800001
	s_xor_b64 s[4:5], exec, -1
; %bb.27715:
	s_or_b64 exec, exec, s[8:9]
	s_and_b64 s[4:5], s[4:5], exec
	s_or_saveexec_b64 s[6:7], s[6:7]
	v_mov_b32_e32 v2, s10
	s_xor_b64 exec, exec, s[6:7]
	s_cbranch_execnz .LBB2_27716
; %bb.63553:
	s_getpc_b64 s[14:15]
.Lpost_getpc35360:
	s_add_u32 s14, s14, (.LBB2_13378-.Lpost_getpc35360)&4294967295
	s_addc_u32 s15, s15, (.LBB2_13378-.Lpost_getpc35360)>>32
	s_setpc_b64 s[14:15]
.LBB2_27716:
	v_mov_b32_e32 v2, 0
	v_cmp_ne_u16_sdwa s[8:9], v8, v2 src0_sel:BYTE_0 src1_sel:DWORD
	s_andn2_b64 s[4:5], s[4:5], exec
	s_and_b64 s[8:9], s[8:9], exec
	s_or_b64 s[4:5], s[4:5], s[8:9]
	s_or_b64 exec, exec, s[6:7]
	s_and_saveexec_b64 s[6:7], s[4:5]
	s_cbranch_execz .LBB2_35361
; %bb.63555:
	s_getpc_b64 s[14:15]
.Lpost_getpc35361:
	s_add_u32 s14, s14, (.LBB2_13379-.Lpost_getpc35361)&4294967295
	s_addc_u32 s15, s15, (.LBB2_13379-.Lpost_getpc35361)>>32
	s_setpc_b64 s[14:15]
.LBB2_35361:
	s_getpc_b64 s[14:15]
.Lpost_getpc21264:
	s_add_u32 s14, s14, (.LBB2_13380-.Lpost_getpc21264)&4294967295
	s_addc_u32 s15, s15, (.LBB2_13380-.Lpost_getpc21264)>>32
	s_setpc_b64 s[14:15]
.LBB2_27717:
	s_movk_i32 s4, 0x80
	v_cmp_eq_u16_sdwa s[12:13], v4, s4 src0_sel:BYTE_0 src1_sel:DWORD
	s_mov_b64 s[4:5], -1
                                        ; implicit-def: $sgpr10
	s_and_saveexec_b64 s[8:9], s[12:13]
; %bb.27718:
	s_mov_b32 s10, 0x7f800001
	s_xor_b64 s[4:5], exec, -1
; %bb.27719:
	s_or_b64 exec, exec, s[8:9]
	s_and_b64 s[4:5], s[4:5], exec
	s_or_saveexec_b64 s[6:7], s[6:7]
	v_mov_b32_e32 v3, s10
	s_xor_b64 exec, exec, s[6:7]
	s_cbranch_execnz .LBB2_27720
; %bb.63557:
	s_getpc_b64 s[14:15]
.Lpost_getpc35362:
	s_add_u32 s14, s14, (.LBB2_13382-.Lpost_getpc35362)&4294967295
	s_addc_u32 s15, s15, (.LBB2_13382-.Lpost_getpc35362)>>32
	s_setpc_b64 s[14:15]
.LBB2_27720:
	v_mov_b32_e32 v3, 0
	v_cmp_ne_u16_sdwa s[8:9], v4, v3 src0_sel:BYTE_0 src1_sel:DWORD
	s_andn2_b64 s[4:5], s[4:5], exec
	s_and_b64 s[8:9], s[8:9], exec
	s_or_b64 s[4:5], s[4:5], s[8:9]
	s_or_b64 exec, exec, s[6:7]
	s_and_saveexec_b64 s[6:7], s[4:5]
	s_cbranch_execz .LBB2_35363
; %bb.63559:
	s_getpc_b64 s[14:15]
.Lpost_getpc35363:
	s_add_u32 s14, s14, (.LBB2_13383-.Lpost_getpc35363)&4294967295
	s_addc_u32 s15, s15, (.LBB2_13383-.Lpost_getpc35363)>>32
	s_setpc_b64 s[14:15]
.LBB2_35363:
	s_getpc_b64 s[14:15]
.Lpost_getpc21265:
	s_add_u32 s14, s14, (.LBB2_13384-.Lpost_getpc21265)&4294967295
	s_addc_u32 s15, s15, (.LBB2_13384-.Lpost_getpc21265)>>32
	s_setpc_b64 s[14:15]
.LBB2_27721:
	s_movk_i32 s4, 0x80
	v_cmp_eq_u16_sdwa s[12:13], v3, s4 src0_sel:BYTE_0 src1_sel:DWORD
	s_mov_b64 s[4:5], -1
                                        ; implicit-def: $sgpr10
	s_and_saveexec_b64 s[8:9], s[12:13]
; %bb.27722:
	s_mov_b32 s10, 0x7f800001
	s_xor_b64 s[4:5], exec, -1
; %bb.27723:
	s_or_b64 exec, exec, s[8:9]
	s_and_b64 s[4:5], s[4:5], exec
	s_or_saveexec_b64 s[6:7], s[6:7]
	v_mov_b32_e32 v2, s10
	s_xor_b64 exec, exec, s[6:7]
	s_cbranch_execnz .LBB2_27724
; %bb.63561:
	s_getpc_b64 s[14:15]
.Lpost_getpc35364:
	s_add_u32 s14, s14, (.LBB2_13386-.Lpost_getpc35364)&4294967295
	s_addc_u32 s15, s15, (.LBB2_13386-.Lpost_getpc35364)>>32
	s_setpc_b64 s[14:15]
.LBB2_27724:
	v_mov_b32_e32 v2, 0
	v_cmp_ne_u16_sdwa s[8:9], v3, v2 src0_sel:BYTE_0 src1_sel:DWORD
	s_andn2_b64 s[4:5], s[4:5], exec
	s_and_b64 s[8:9], s[8:9], exec
	s_or_b64 s[4:5], s[4:5], s[8:9]
	s_or_b64 exec, exec, s[6:7]
	s_and_saveexec_b64 s[6:7], s[4:5]
	s_cbranch_execz .LBB2_35365
; %bb.63563:
	s_getpc_b64 s[14:15]
.Lpost_getpc35365:
	s_add_u32 s14, s14, (.LBB2_13387-.Lpost_getpc35365)&4294967295
	s_addc_u32 s15, s15, (.LBB2_13387-.Lpost_getpc35365)>>32
	s_setpc_b64 s[14:15]
.LBB2_35365:
	s_getpc_b64 s[14:15]
.Lpost_getpc21266:
	s_add_u32 s14, s14, (.LBB2_13388-.Lpost_getpc21266)&4294967295
	s_addc_u32 s15, s15, (.LBB2_13388-.Lpost_getpc21266)>>32
	s_setpc_b64 s[14:15]
.LBB2_27725:
	s_movk_i32 s4, 0x80
	v_cmp_eq_u16_sdwa s[12:13], v3, s4 src0_sel:BYTE_0 src1_sel:DWORD
	s_mov_b64 s[4:5], -1
                                        ; implicit-def: $sgpr10
	s_and_saveexec_b64 s[8:9], s[12:13]
; %bb.27726:
	s_mov_b32 s10, 0x7f800001
	s_xor_b64 s[4:5], exec, -1
; %bb.27727:
	s_or_b64 exec, exec, s[8:9]
	s_and_b64 s[4:5], s[4:5], exec
	s_or_saveexec_b64 s[6:7], s[6:7]
	v_mov_b32_e32 v6, s10
	s_xor_b64 exec, exec, s[6:7]
	s_cbranch_execnz .LBB2_27728
; %bb.63565:
	s_getpc_b64 s[14:15]
.Lpost_getpc35366:
	s_add_u32 s14, s14, (.LBB2_13390-.Lpost_getpc35366)&4294967295
	s_addc_u32 s15, s15, (.LBB2_13390-.Lpost_getpc35366)>>32
	s_setpc_b64 s[14:15]
.LBB2_27728:
	v_mov_b32_e32 v6, 0
	v_cmp_ne_u16_sdwa s[8:9], v3, v6 src0_sel:BYTE_0 src1_sel:DWORD
	s_andn2_b64 s[4:5], s[4:5], exec
	s_and_b64 s[8:9], s[8:9], exec
	s_or_b64 s[4:5], s[4:5], s[8:9]
	s_or_b64 exec, exec, s[6:7]
	s_and_saveexec_b64 s[6:7], s[4:5]
	s_cbranch_execz .LBB2_35367
; %bb.63567:
	s_getpc_b64 s[14:15]
.Lpost_getpc35367:
	s_add_u32 s14, s14, (.LBB2_13391-.Lpost_getpc35367)&4294967295
	s_addc_u32 s15, s15, (.LBB2_13391-.Lpost_getpc35367)>>32
	s_setpc_b64 s[14:15]
.LBB2_35367:
	s_getpc_b64 s[14:15]
.Lpost_getpc21267:
	s_add_u32 s14, s14, (.LBB2_13392-.Lpost_getpc21267)&4294967295
	s_addc_u32 s15, s15, (.LBB2_13392-.Lpost_getpc21267)>>32
	s_setpc_b64 s[14:15]
.LBB2_27729:
	s_movk_i32 s4, 0x80
	v_cmp_eq_u16_e32 vcc, s4, v3
	s_mov_b64 s[4:5], -1
                                        ; implicit-def: $sgpr10
	s_and_saveexec_b64 s[8:9], vcc
; %bb.27730:
	s_mov_b32 s10, 0x7f800001
	s_xor_b64 s[4:5], exec, -1
; %bb.27731:
	s_or_b64 exec, exec, s[8:9]
	s_and_b64 s[4:5], s[4:5], exec
                                        ; implicit-def: $vgpr3
	s_or_saveexec_b64 s[6:7], s[6:7]
	v_mov_b32_e32 v2, s10
	s_xor_b64 exec, exec, s[6:7]
	s_cbranch_execnz .LBB2_27732
; %bb.63569:
	s_getpc_b64 s[14:15]
.Lpost_getpc35368:
	s_add_u32 s14, s14, (.LBB2_13394-.Lpost_getpc35368)&4294967295
	s_addc_u32 s15, s15, (.LBB2_13394-.Lpost_getpc35368)>>32
	s_setpc_b64 s[14:15]
.LBB2_27732:
	v_cmp_ne_u16_e32 vcc, 0, v3
	s_andn2_b64 s[4:5], s[4:5], exec
	s_and_b64 s[8:9], vcc, exec
	v_mov_b32_e32 v2, 0
	s_or_b64 s[4:5], s[4:5], s[8:9]
	s_or_b64 exec, exec, s[6:7]
	s_and_saveexec_b64 s[6:7], s[4:5]
	s_cbranch_execz .LBB2_35369
; %bb.63571:
	s_getpc_b64 s[14:15]
.Lpost_getpc35369:
	s_add_u32 s14, s14, (.LBB2_13395-.Lpost_getpc35369)&4294967295
	s_addc_u32 s15, s15, (.LBB2_13395-.Lpost_getpc35369)>>32
	s_setpc_b64 s[14:15]
.LBB2_35369:
	s_getpc_b64 s[14:15]
.Lpost_getpc21268:
	s_add_u32 s14, s14, (.LBB2_13396-.Lpost_getpc21268)&4294967295
	s_addc_u32 s15, s15, (.LBB2_13396-.Lpost_getpc21268)>>32
	s_setpc_b64 s[14:15]
.LBB2_27733:
	s_movk_i32 s4, 0x80
	v_cmp_eq_u16_e32 vcc, s4, v3
	s_mov_b64 s[4:5], -1
                                        ; implicit-def: $sgpr10
	s_and_saveexec_b64 s[8:9], vcc
; %bb.27734:
	s_mov_b32 s10, 0x7f800001
	s_xor_b64 s[4:5], exec, -1
; %bb.27735:
	s_or_b64 exec, exec, s[8:9]
	s_and_b64 s[4:5], s[4:5], exec
                                        ; implicit-def: $vgpr3
	s_or_saveexec_b64 s[6:7], s[6:7]
	v_mov_b32_e32 v6, s10
	s_xor_b64 exec, exec, s[6:7]
	s_cbranch_execnz .LBB2_27736
; %bb.63573:
	s_getpc_b64 s[14:15]
.Lpost_getpc35370:
	s_add_u32 s14, s14, (.LBB2_13398-.Lpost_getpc35370)&4294967295
	s_addc_u32 s15, s15, (.LBB2_13398-.Lpost_getpc35370)>>32
	s_setpc_b64 s[14:15]
.LBB2_27736:
	v_cmp_ne_u16_e32 vcc, 0, v3
	s_andn2_b64 s[4:5], s[4:5], exec
	s_and_b64 s[8:9], vcc, exec
	v_mov_b32_e32 v6, 0
	s_or_b64 s[4:5], s[4:5], s[8:9]
	s_or_b64 exec, exec, s[6:7]
	s_and_saveexec_b64 s[6:7], s[4:5]
	s_cbranch_execz .LBB2_35371
; %bb.63575:
	s_getpc_b64 s[14:15]
.Lpost_getpc35371:
	s_add_u32 s14, s14, (.LBB2_13399-.Lpost_getpc35371)&4294967295
	s_addc_u32 s15, s15, (.LBB2_13399-.Lpost_getpc35371)>>32
	s_setpc_b64 s[14:15]
.LBB2_35371:
	s_getpc_b64 s[14:15]
.Lpost_getpc21269:
	s_add_u32 s14, s14, (.LBB2_13400-.Lpost_getpc21269)&4294967295
	s_addc_u32 s15, s15, (.LBB2_13400-.Lpost_getpc21269)>>32
	s_setpc_b64 s[14:15]
.LBB2_27737:
	s_movk_i32 s4, 0x80
	v_cmp_eq_u16_sdwa s[12:13], v8, s4 src0_sel:BYTE_3 src1_sel:DWORD
	s_mov_b64 s[4:5], -1
                                        ; implicit-def: $sgpr10
	s_and_saveexec_b64 s[8:9], s[12:13]
; %bb.27738:
	s_mov_b32 s10, 0x7f800001
	s_xor_b64 s[4:5], exec, -1
; %bb.27739:
	s_or_b64 exec, exec, s[8:9]
	s_and_b64 s[4:5], s[4:5], exec
	s_or_saveexec_b64 s[6:7], s[6:7]
	v_mov_b32_e32 v2, s10
	s_xor_b64 exec, exec, s[6:7]
	s_cbranch_execnz .LBB2_27740
; %bb.63577:
	s_getpc_b64 s[14:15]
.Lpost_getpc35372:
	s_add_u32 s14, s14, (.LBB2_13402-.Lpost_getpc35372)&4294967295
	s_addc_u32 s15, s15, (.LBB2_13402-.Lpost_getpc35372)>>32
	s_setpc_b64 s[14:15]
.LBB2_27740:
	v_mov_b32_e32 v2, 0
	v_cmp_ne_u16_sdwa s[8:9], v8, v2 src0_sel:BYTE_3 src1_sel:DWORD
	s_andn2_b64 s[4:5], s[4:5], exec
	s_and_b64 s[8:9], s[8:9], exec
	s_or_b64 s[4:5], s[4:5], s[8:9]
	s_or_b64 exec, exec, s[6:7]
	s_and_saveexec_b64 s[6:7], s[4:5]
	s_cbranch_execz .LBB2_35373
; %bb.63579:
	s_getpc_b64 s[14:15]
.Lpost_getpc35373:
	s_add_u32 s14, s14, (.LBB2_13403-.Lpost_getpc35373)&4294967295
	s_addc_u32 s15, s15, (.LBB2_13403-.Lpost_getpc35373)>>32
	s_setpc_b64 s[14:15]
.LBB2_35373:
	s_getpc_b64 s[14:15]
.Lpost_getpc21270:
	s_add_u32 s14, s14, (.LBB2_13404-.Lpost_getpc21270)&4294967295
	s_addc_u32 s15, s15, (.LBB2_13404-.Lpost_getpc21270)>>32
	s_setpc_b64 s[14:15]
.LBB2_27741:
	s_movk_i32 s4, 0x80
	v_cmp_eq_u16_sdwa s[12:13], v4, s4 src0_sel:BYTE_3 src1_sel:DWORD
	s_mov_b64 s[4:5], -1
                                        ; implicit-def: $sgpr10
	s_and_saveexec_b64 s[8:9], s[12:13]
; %bb.27742:
	s_mov_b32 s10, 0x7f800001
	s_xor_b64 s[4:5], exec, -1
; %bb.27743:
	s_or_b64 exec, exec, s[8:9]
	s_and_b64 s[4:5], s[4:5], exec
	s_or_saveexec_b64 s[6:7], s[6:7]
	v_mov_b32_e32 v3, s10
	s_xor_b64 exec, exec, s[6:7]
	s_cbranch_execnz .LBB2_27744
; %bb.63581:
	s_getpc_b64 s[14:15]
.Lpost_getpc35374:
	s_add_u32 s14, s14, (.LBB2_13406-.Lpost_getpc35374)&4294967295
	s_addc_u32 s15, s15, (.LBB2_13406-.Lpost_getpc35374)>>32
	s_setpc_b64 s[14:15]
.LBB2_27744:
	v_mov_b32_e32 v3, 0
	v_cmp_ne_u16_sdwa s[8:9], v4, v3 src0_sel:BYTE_3 src1_sel:DWORD
	s_andn2_b64 s[4:5], s[4:5], exec
	s_and_b64 s[8:9], s[8:9], exec
	s_or_b64 s[4:5], s[4:5], s[8:9]
	s_or_b64 exec, exec, s[6:7]
	s_and_saveexec_b64 s[6:7], s[4:5]
	s_cbranch_execz .LBB2_35375
; %bb.63583:
	s_getpc_b64 s[14:15]
.Lpost_getpc35375:
	s_add_u32 s14, s14, (.LBB2_13407-.Lpost_getpc35375)&4294967295
	s_addc_u32 s15, s15, (.LBB2_13407-.Lpost_getpc35375)>>32
	s_setpc_b64 s[14:15]
.LBB2_35375:
	s_getpc_b64 s[14:15]
.Lpost_getpc21271:
	s_add_u32 s14, s14, (.LBB2_13408-.Lpost_getpc21271)&4294967295
	s_addc_u32 s15, s15, (.LBB2_13408-.Lpost_getpc21271)>>32
	s_setpc_b64 s[14:15]
.LBB2_27745:
	s_movk_i32 s4, 0x80
	v_cmp_eq_u16_sdwa s[12:13], v9, s4 src0_sel:BYTE_0 src1_sel:DWORD
	s_mov_b64 s[4:5], -1
                                        ; implicit-def: $sgpr10
	s_and_saveexec_b64 s[8:9], s[12:13]
; %bb.27746:
	s_mov_b32 s10, 0x7f800001
	s_xor_b64 s[4:5], exec, -1
; %bb.27747:
	s_or_b64 exec, exec, s[8:9]
	s_and_b64 s[4:5], s[4:5], exec
	s_or_saveexec_b64 s[6:7], s[6:7]
	v_mov_b32_e32 v2, s10
	s_xor_b64 exec, exec, s[6:7]
	s_cbranch_execnz .LBB2_27748
; %bb.63585:
	s_getpc_b64 s[14:15]
.Lpost_getpc35376:
	s_add_u32 s14, s14, (.LBB2_13410-.Lpost_getpc35376)&4294967295
	s_addc_u32 s15, s15, (.LBB2_13410-.Lpost_getpc35376)>>32
	s_setpc_b64 s[14:15]
.LBB2_27748:
	v_mov_b32_e32 v2, 0
	v_cmp_ne_u16_sdwa s[8:9], v9, v2 src0_sel:BYTE_0 src1_sel:DWORD
	s_andn2_b64 s[4:5], s[4:5], exec
	s_and_b64 s[8:9], s[8:9], exec
	s_or_b64 s[4:5], s[4:5], s[8:9]
	s_or_b64 exec, exec, s[6:7]
	s_and_saveexec_b64 s[6:7], s[4:5]
	s_cbranch_execz .LBB2_35377
; %bb.63587:
	s_getpc_b64 s[14:15]
.Lpost_getpc35377:
	s_add_u32 s14, s14, (.LBB2_13411-.Lpost_getpc35377)&4294967295
	s_addc_u32 s15, s15, (.LBB2_13411-.Lpost_getpc35377)>>32
	s_setpc_b64 s[14:15]
.LBB2_35377:
	s_getpc_b64 s[14:15]
.Lpost_getpc21272:
	s_add_u32 s14, s14, (.LBB2_13412-.Lpost_getpc21272)&4294967295
	s_addc_u32 s15, s15, (.LBB2_13412-.Lpost_getpc21272)>>32
	s_setpc_b64 s[14:15]
.LBB2_27749:
	s_movk_i32 s4, 0x80
	v_cmp_eq_u16_sdwa s[12:13], v5, s4 src0_sel:BYTE_0 src1_sel:DWORD
	s_mov_b64 s[4:5], -1
                                        ; implicit-def: $sgpr10
	s_and_saveexec_b64 s[8:9], s[12:13]
; %bb.27750:
	s_mov_b32 s10, 0x7f800001
	s_xor_b64 s[4:5], exec, -1
; %bb.27751:
	s_or_b64 exec, exec, s[8:9]
	s_and_b64 s[4:5], s[4:5], exec
	s_or_saveexec_b64 s[6:7], s[6:7]
	v_mov_b32_e32 v3, s10
	s_xor_b64 exec, exec, s[6:7]
	s_cbranch_execnz .LBB2_27752
; %bb.63589:
	s_getpc_b64 s[14:15]
.Lpost_getpc35378:
	s_add_u32 s14, s14, (.LBB2_13414-.Lpost_getpc35378)&4294967295
	s_addc_u32 s15, s15, (.LBB2_13414-.Lpost_getpc35378)>>32
	s_setpc_b64 s[14:15]
.LBB2_27752:
	v_mov_b32_e32 v3, 0
	v_cmp_ne_u16_sdwa s[8:9], v5, v3 src0_sel:BYTE_0 src1_sel:DWORD
	s_andn2_b64 s[4:5], s[4:5], exec
	s_and_b64 s[8:9], s[8:9], exec
	s_or_b64 s[4:5], s[4:5], s[8:9]
	s_or_b64 exec, exec, s[6:7]
	s_and_saveexec_b64 s[6:7], s[4:5]
	s_cbranch_execz .LBB2_35379
; %bb.63591:
	s_getpc_b64 s[14:15]
.Lpost_getpc35379:
	s_add_u32 s14, s14, (.LBB2_13415-.Lpost_getpc35379)&4294967295
	s_addc_u32 s15, s15, (.LBB2_13415-.Lpost_getpc35379)>>32
	s_setpc_b64 s[14:15]
.LBB2_35379:
	s_getpc_b64 s[14:15]
.Lpost_getpc21273:
	s_add_u32 s14, s14, (.LBB2_13416-.Lpost_getpc21273)&4294967295
	s_addc_u32 s15, s15, (.LBB2_13416-.Lpost_getpc21273)>>32
	s_setpc_b64 s[14:15]
.LBB2_27753:
	s_movk_i32 s4, 0x80
	v_cmp_eq_u16_sdwa s[12:13], v3, s4 src0_sel:BYTE_0 src1_sel:DWORD
	s_mov_b64 s[4:5], -1
                                        ; implicit-def: $sgpr10
	s_and_saveexec_b64 s[8:9], s[12:13]
; %bb.27754:
	s_mov_b32 s10, 0x7f800001
	s_xor_b64 s[4:5], exec, -1
; %bb.27755:
	s_or_b64 exec, exec, s[8:9]
	s_and_b64 s[4:5], s[4:5], exec
	s_or_saveexec_b64 s[6:7], s[6:7]
	v_mov_b32_e32 v2, s10
	s_xor_b64 exec, exec, s[6:7]
	s_cbranch_execnz .LBB2_27756
; %bb.63593:
	s_getpc_b64 s[14:15]
.Lpost_getpc35380:
	s_add_u32 s14, s14, (.LBB2_13418-.Lpost_getpc35380)&4294967295
	s_addc_u32 s15, s15, (.LBB2_13418-.Lpost_getpc35380)>>32
	s_setpc_b64 s[14:15]
.LBB2_27756:
	v_mov_b32_e32 v2, 0
	v_cmp_ne_u16_sdwa s[8:9], v3, v2 src0_sel:BYTE_0 src1_sel:DWORD
	s_andn2_b64 s[4:5], s[4:5], exec
	s_and_b64 s[8:9], s[8:9], exec
	s_or_b64 s[4:5], s[4:5], s[8:9]
	s_or_b64 exec, exec, s[6:7]
	s_and_saveexec_b64 s[6:7], s[4:5]
	s_cbranch_execz .LBB2_35381
; %bb.63595:
	s_getpc_b64 s[14:15]
.Lpost_getpc35381:
	s_add_u32 s14, s14, (.LBB2_13419-.Lpost_getpc35381)&4294967295
	s_addc_u32 s15, s15, (.LBB2_13419-.Lpost_getpc35381)>>32
	s_setpc_b64 s[14:15]
.LBB2_35381:
	s_getpc_b64 s[14:15]
.Lpost_getpc21274:
	s_add_u32 s14, s14, (.LBB2_13420-.Lpost_getpc21274)&4294967295
	s_addc_u32 s15, s15, (.LBB2_13420-.Lpost_getpc21274)>>32
	s_setpc_b64 s[14:15]
.LBB2_27757:
	s_movk_i32 s4, 0x80
	v_cmp_eq_u16_sdwa s[12:13], v3, s4 src0_sel:BYTE_0 src1_sel:DWORD
	s_mov_b64 s[4:5], -1
                                        ; implicit-def: $sgpr10
	s_and_saveexec_b64 s[8:9], s[12:13]
; %bb.27758:
	s_mov_b32 s10, 0x7f800001
	s_xor_b64 s[4:5], exec, -1
; %bb.27759:
	s_or_b64 exec, exec, s[8:9]
	s_and_b64 s[4:5], s[4:5], exec
	s_or_saveexec_b64 s[6:7], s[6:7]
	v_mov_b32_e32 v4, s10
	s_xor_b64 exec, exec, s[6:7]
	s_cbranch_execnz .LBB2_27760
; %bb.63597:
	s_getpc_b64 s[14:15]
.Lpost_getpc35382:
	s_add_u32 s14, s14, (.LBB2_13422-.Lpost_getpc35382)&4294967295
	s_addc_u32 s15, s15, (.LBB2_13422-.Lpost_getpc35382)>>32
	s_setpc_b64 s[14:15]
.LBB2_27760:
	v_mov_b32_e32 v4, 0
	v_cmp_ne_u16_sdwa s[8:9], v3, v4 src0_sel:BYTE_0 src1_sel:DWORD
	s_andn2_b64 s[4:5], s[4:5], exec
	s_and_b64 s[8:9], s[8:9], exec
	s_or_b64 s[4:5], s[4:5], s[8:9]
	s_or_b64 exec, exec, s[6:7]
	s_and_saveexec_b64 s[6:7], s[4:5]
	s_cbranch_execz .LBB2_35383
; %bb.63599:
	s_getpc_b64 s[14:15]
.Lpost_getpc35383:
	s_add_u32 s14, s14, (.LBB2_13423-.Lpost_getpc35383)&4294967295
	s_addc_u32 s15, s15, (.LBB2_13423-.Lpost_getpc35383)>>32
	s_setpc_b64 s[14:15]
.LBB2_35383:
	s_getpc_b64 s[14:15]
.Lpost_getpc21275:
	s_add_u32 s14, s14, (.LBB2_13424-.Lpost_getpc21275)&4294967295
	s_addc_u32 s15, s15, (.LBB2_13424-.Lpost_getpc21275)>>32
	s_setpc_b64 s[14:15]
.LBB2_27761:
	s_movk_i32 s4, 0x80
	v_cmp_eq_u16_e32 vcc, s4, v3
	s_mov_b64 s[4:5], -1
                                        ; implicit-def: $sgpr10
	s_and_saveexec_b64 s[8:9], vcc
; %bb.27762:
	s_mov_b32 s10, 0x7f800001
	s_xor_b64 s[4:5], exec, -1
; %bb.27763:
	s_or_b64 exec, exec, s[8:9]
	s_and_b64 s[4:5], s[4:5], exec
                                        ; implicit-def: $vgpr3
	s_or_saveexec_b64 s[6:7], s[6:7]
	v_mov_b32_e32 v2, s10
	s_xor_b64 exec, exec, s[6:7]
	s_cbranch_execnz .LBB2_27764
; %bb.63601:
	s_getpc_b64 s[14:15]
.Lpost_getpc35384:
	s_add_u32 s14, s14, (.LBB2_13426-.Lpost_getpc35384)&4294967295
	s_addc_u32 s15, s15, (.LBB2_13426-.Lpost_getpc35384)>>32
	s_setpc_b64 s[14:15]
.LBB2_27764:
	v_cmp_ne_u16_e32 vcc, 0, v3
	s_andn2_b64 s[4:5], s[4:5], exec
	s_and_b64 s[8:9], vcc, exec
	v_mov_b32_e32 v2, 0
	s_or_b64 s[4:5], s[4:5], s[8:9]
	s_or_b64 exec, exec, s[6:7]
	s_and_saveexec_b64 s[6:7], s[4:5]
	s_cbranch_execz .LBB2_35385
; %bb.63603:
	s_getpc_b64 s[14:15]
.Lpost_getpc35385:
	s_add_u32 s14, s14, (.LBB2_13427-.Lpost_getpc35385)&4294967295
	s_addc_u32 s15, s15, (.LBB2_13427-.Lpost_getpc35385)>>32
	s_setpc_b64 s[14:15]
.LBB2_35385:
	s_getpc_b64 s[14:15]
.Lpost_getpc21276:
	s_add_u32 s14, s14, (.LBB2_13428-.Lpost_getpc21276)&4294967295
	s_addc_u32 s15, s15, (.LBB2_13428-.Lpost_getpc21276)>>32
	s_setpc_b64 s[14:15]
.LBB2_27765:
	s_movk_i32 s4, 0x80
	v_cmp_eq_u16_e32 vcc, s4, v3
	s_mov_b64 s[4:5], -1
                                        ; implicit-def: $sgpr10
	s_and_saveexec_b64 s[8:9], vcc
; %bb.27766:
	s_mov_b32 s10, 0x7f800001
	s_xor_b64 s[4:5], exec, -1
; %bb.27767:
	s_or_b64 exec, exec, s[8:9]
	s_and_b64 s[4:5], s[4:5], exec
                                        ; implicit-def: $vgpr3
	s_or_saveexec_b64 s[6:7], s[6:7]
	v_mov_b32_e32 v4, s10
	s_xor_b64 exec, exec, s[6:7]
	s_cbranch_execnz .LBB2_27768
; %bb.63605:
	s_getpc_b64 s[14:15]
.Lpost_getpc35386:
	s_add_u32 s14, s14, (.LBB2_13430-.Lpost_getpc35386)&4294967295
	s_addc_u32 s15, s15, (.LBB2_13430-.Lpost_getpc35386)>>32
	s_setpc_b64 s[14:15]
.LBB2_27768:
	v_cmp_ne_u16_e32 vcc, 0, v3
	s_andn2_b64 s[4:5], s[4:5], exec
	s_and_b64 s[8:9], vcc, exec
	v_mov_b32_e32 v4, 0
	s_or_b64 s[4:5], s[4:5], s[8:9]
	s_or_b64 exec, exec, s[6:7]
	s_and_saveexec_b64 s[6:7], s[4:5]
	s_cbranch_execz .LBB2_35387
; %bb.63607:
	s_getpc_b64 s[14:15]
.Lpost_getpc35387:
	s_add_u32 s14, s14, (.LBB2_13431-.Lpost_getpc35387)&4294967295
	s_addc_u32 s15, s15, (.LBB2_13431-.Lpost_getpc35387)>>32
	s_setpc_b64 s[14:15]
.LBB2_35387:
	s_getpc_b64 s[14:15]
.Lpost_getpc21277:
	s_add_u32 s14, s14, (.LBB2_13432-.Lpost_getpc21277)&4294967295
	s_addc_u32 s15, s15, (.LBB2_13432-.Lpost_getpc21277)>>32
	s_setpc_b64 s[14:15]
.LBB2_27769:
	s_movk_i32 s4, 0x80
	v_cmp_eq_u16_sdwa s[12:13], v9, s4 src0_sel:BYTE_3 src1_sel:DWORD
	s_mov_b64 s[4:5], -1
                                        ; implicit-def: $sgpr10
	s_and_saveexec_b64 s[8:9], s[12:13]
; %bb.27770:
	s_mov_b32 s10, 0x7f800001
	s_xor_b64 s[4:5], exec, -1
; %bb.27771:
	s_or_b64 exec, exec, s[8:9]
	s_and_b64 s[4:5], s[4:5], exec
	s_or_saveexec_b64 s[6:7], s[6:7]
	v_mov_b32_e32 v2, s10
	s_xor_b64 exec, exec, s[6:7]
	s_cbranch_execnz .LBB2_27772
; %bb.63609:
	s_getpc_b64 s[14:15]
.Lpost_getpc35388:
	s_add_u32 s14, s14, (.LBB2_13434-.Lpost_getpc35388)&4294967295
	s_addc_u32 s15, s15, (.LBB2_13434-.Lpost_getpc35388)>>32
	s_setpc_b64 s[14:15]
.LBB2_27772:
	v_mov_b32_e32 v2, 0
	v_cmp_ne_u16_sdwa s[8:9], v9, v2 src0_sel:BYTE_3 src1_sel:DWORD
	s_andn2_b64 s[4:5], s[4:5], exec
	s_and_b64 s[8:9], s[8:9], exec
	s_or_b64 s[4:5], s[4:5], s[8:9]
	s_or_b64 exec, exec, s[6:7]
	s_and_saveexec_b64 s[6:7], s[4:5]
	s_cbranch_execz .LBB2_35389
; %bb.63611:
	s_getpc_b64 s[14:15]
.Lpost_getpc35389:
	s_add_u32 s14, s14, (.LBB2_13435-.Lpost_getpc35389)&4294967295
	s_addc_u32 s15, s15, (.LBB2_13435-.Lpost_getpc35389)>>32
	s_setpc_b64 s[14:15]
.LBB2_35389:
	s_getpc_b64 s[14:15]
.Lpost_getpc21278:
	s_add_u32 s14, s14, (.LBB2_13436-.Lpost_getpc21278)&4294967295
	s_addc_u32 s15, s15, (.LBB2_13436-.Lpost_getpc21278)>>32
	s_setpc_b64 s[14:15]
.LBB2_27773:
	s_movk_i32 s4, 0x80
	v_cmp_eq_u16_sdwa s[12:13], v5, s4 src0_sel:BYTE_3 src1_sel:DWORD
	s_mov_b64 s[4:5], -1
                                        ; implicit-def: $sgpr10
	s_and_saveexec_b64 s[8:9], s[12:13]
; %bb.27774:
	s_mov_b32 s10, 0x7f800001
	s_xor_b64 s[4:5], exec, -1
; %bb.27775:
	s_or_b64 exec, exec, s[8:9]
	s_and_b64 s[4:5], s[4:5], exec
	s_or_saveexec_b64 s[6:7], s[6:7]
	v_mov_b32_e32 v3, s10
	s_xor_b64 exec, exec, s[6:7]
	s_cbranch_execnz .LBB2_27776
; %bb.63613:
	s_getpc_b64 s[14:15]
.Lpost_getpc35390:
	s_add_u32 s14, s14, (.LBB2_13438-.Lpost_getpc35390)&4294967295
	s_addc_u32 s15, s15, (.LBB2_13438-.Lpost_getpc35390)>>32
	s_setpc_b64 s[14:15]
.LBB2_27776:
	v_mov_b32_e32 v3, 0
	v_cmp_ne_u16_sdwa s[8:9], v5, v3 src0_sel:BYTE_3 src1_sel:DWORD
	s_andn2_b64 s[4:5], s[4:5], exec
	s_and_b64 s[8:9], s[8:9], exec
	s_or_b64 s[4:5], s[4:5], s[8:9]
	s_or_b64 exec, exec, s[6:7]
	s_and_saveexec_b64 s[6:7], s[4:5]
	s_cbranch_execz .LBB2_35391
; %bb.63615:
	s_getpc_b64 s[14:15]
.Lpost_getpc35391:
	s_add_u32 s14, s14, (.LBB2_13439-.Lpost_getpc35391)&4294967295
	s_addc_u32 s15, s15, (.LBB2_13439-.Lpost_getpc35391)>>32
	s_setpc_b64 s[14:15]
.LBB2_35391:
	s_getpc_b64 s[14:15]
.Lpost_getpc21279:
	s_add_u32 s14, s14, (.LBB2_13440-.Lpost_getpc21279)&4294967295
	s_addc_u32 s15, s15, (.LBB2_13440-.Lpost_getpc21279)>>32
	s_setpc_b64 s[14:15]
.LBB2_27777:
	s_movk_i32 s4, 0x80
	v_cmp_eq_u16_sdwa s[12:13], v6, s4 src0_sel:BYTE_0 src1_sel:DWORD
	s_mov_b64 s[4:5], -1
                                        ; implicit-def: $sgpr10
	s_and_saveexec_b64 s[8:9], s[12:13]
; %bb.27778:
	s_mov_b32 s10, 0x7f800001
	s_xor_b64 s[4:5], exec, -1
; %bb.27779:
	s_or_b64 exec, exec, s[8:9]
	s_and_b64 s[4:5], s[4:5], exec
	s_or_saveexec_b64 s[6:7], s[6:7]
	v_mov_b32_e32 v12, s10
	s_xor_b64 exec, exec, s[6:7]
	s_cbranch_execnz .LBB2_27780
; %bb.63617:
	s_getpc_b64 s[14:15]
.Lpost_getpc35392:
	s_add_u32 s14, s14, (.LBB2_13442-.Lpost_getpc35392)&4294967295
	s_addc_u32 s15, s15, (.LBB2_13442-.Lpost_getpc35392)>>32
	s_setpc_b64 s[14:15]
.LBB2_27780:
	v_mov_b32_e32 v12, 0
	v_cmp_ne_u16_sdwa s[8:9], v6, v12 src0_sel:BYTE_0 src1_sel:DWORD
	s_andn2_b64 s[4:5], s[4:5], exec
	s_and_b64 s[8:9], s[8:9], exec
	s_or_b64 s[4:5], s[4:5], s[8:9]
	s_or_b64 exec, exec, s[6:7]
	s_and_saveexec_b64 s[6:7], s[4:5]
	s_cbranch_execz .LBB2_35393
; %bb.63619:
	s_getpc_b64 s[14:15]
.Lpost_getpc35393:
	s_add_u32 s14, s14, (.LBB2_13443-.Lpost_getpc35393)&4294967295
	s_addc_u32 s15, s15, (.LBB2_13443-.Lpost_getpc35393)>>32
	s_setpc_b64 s[14:15]
.LBB2_35393:
	s_getpc_b64 s[14:15]
.Lpost_getpc21280:
	s_add_u32 s14, s14, (.LBB2_13444-.Lpost_getpc21280)&4294967295
	s_addc_u32 s15, s15, (.LBB2_13444-.Lpost_getpc21280)>>32
	s_setpc_b64 s[14:15]
.LBB2_27781:
	s_movk_i32 s4, 0x80
	v_cmp_eq_u16_sdwa s[12:13], v2, s4 src0_sel:BYTE_0 src1_sel:DWORD
	s_mov_b64 s[4:5], -1
                                        ; implicit-def: $sgpr10
	s_and_saveexec_b64 s[8:9], s[12:13]
; %bb.27782:
	s_mov_b32 s10, 0x7f800001
	s_xor_b64 s[4:5], exec, -1
; %bb.27783:
	s_or_b64 exec, exec, s[8:9]
	s_and_b64 s[4:5], s[4:5], exec
	s_or_saveexec_b64 s[6:7], s[6:7]
	v_mov_b32_e32 v13, s10
	s_xor_b64 exec, exec, s[6:7]
	s_cbranch_execnz .LBB2_27784
; %bb.63621:
	s_getpc_b64 s[14:15]
.Lpost_getpc35394:
	s_add_u32 s14, s14, (.LBB2_13446-.Lpost_getpc35394)&4294967295
	s_addc_u32 s15, s15, (.LBB2_13446-.Lpost_getpc35394)>>32
	s_setpc_b64 s[14:15]
.LBB2_27784:
	v_mov_b32_e32 v13, 0
	v_cmp_ne_u16_sdwa s[8:9], v2, v13 src0_sel:BYTE_0 src1_sel:DWORD
	s_andn2_b64 s[4:5], s[4:5], exec
	s_and_b64 s[8:9], s[8:9], exec
	s_or_b64 s[4:5], s[4:5], s[8:9]
	s_or_b64 exec, exec, s[6:7]
	s_and_saveexec_b64 s[6:7], s[4:5]
	s_cbranch_execz .LBB2_35395
; %bb.63623:
	s_getpc_b64 s[14:15]
.Lpost_getpc35395:
	s_add_u32 s14, s14, (.LBB2_13447-.Lpost_getpc35395)&4294967295
	s_addc_u32 s15, s15, (.LBB2_13447-.Lpost_getpc35395)>>32
	s_setpc_b64 s[14:15]
.LBB2_35395:
	s_getpc_b64 s[14:15]
.Lpost_getpc21281:
	s_add_u32 s14, s14, (.LBB2_13448-.Lpost_getpc21281)&4294967295
	s_addc_u32 s15, s15, (.LBB2_13448-.Lpost_getpc21281)>>32
	s_setpc_b64 s[14:15]
.LBB2_27785:
	s_movk_i32 s4, 0x80
	v_cmp_eq_u16_sdwa s[12:13], v13, s4 src0_sel:BYTE_0 src1_sel:DWORD
	s_mov_b64 s[4:5], -1
                                        ; implicit-def: $sgpr10
	s_and_saveexec_b64 s[8:9], s[12:13]
; %bb.27786:
	s_mov_b32 s10, 0x7f800001
	s_xor_b64 s[4:5], exec, -1
; %bb.27787:
	s_or_b64 exec, exec, s[8:9]
	s_and_b64 s[4:5], s[4:5], exec
	s_or_saveexec_b64 s[6:7], s[6:7]
	v_mov_b32_e32 v12, s10
	s_xor_b64 exec, exec, s[6:7]
	s_cbranch_execnz .LBB2_27788
; %bb.63625:
	s_getpc_b64 s[14:15]
.Lpost_getpc35396:
	s_add_u32 s14, s14, (.LBB2_13450-.Lpost_getpc35396)&4294967295
	s_addc_u32 s15, s15, (.LBB2_13450-.Lpost_getpc35396)>>32
	s_setpc_b64 s[14:15]
.LBB2_27788:
	v_mov_b32_e32 v12, 0
	v_cmp_ne_u16_sdwa s[8:9], v13, v12 src0_sel:BYTE_0 src1_sel:DWORD
	s_andn2_b64 s[4:5], s[4:5], exec
	s_and_b64 s[8:9], s[8:9], exec
	s_or_b64 s[4:5], s[4:5], s[8:9]
	s_or_b64 exec, exec, s[6:7]
	s_and_saveexec_b64 s[6:7], s[4:5]
	s_cbranch_execz .LBB2_35397
; %bb.63627:
	s_getpc_b64 s[14:15]
.Lpost_getpc35397:
	s_add_u32 s14, s14, (.LBB2_13451-.Lpost_getpc35397)&4294967295
	s_addc_u32 s15, s15, (.LBB2_13451-.Lpost_getpc35397)>>32
	s_setpc_b64 s[14:15]
.LBB2_35397:
	s_getpc_b64 s[14:15]
.Lpost_getpc21282:
	s_add_u32 s14, s14, (.LBB2_13452-.Lpost_getpc21282)&4294967295
	s_addc_u32 s15, s15, (.LBB2_13452-.Lpost_getpc21282)>>32
	s_setpc_b64 s[14:15]
.LBB2_27789:
	s_movk_i32 s4, 0x80
	v_cmp_eq_u16_sdwa s[12:13], v13, s4 src0_sel:BYTE_0 src1_sel:DWORD
	s_mov_b64 s[4:5], -1
                                        ; implicit-def: $sgpr10
	s_and_saveexec_b64 s[8:9], s[12:13]
; %bb.27790:
	s_mov_b32 s10, 0x7f800001
	s_xor_b64 s[4:5], exec, -1
; %bb.27791:
	s_or_b64 exec, exec, s[8:9]
	s_and_b64 s[4:5], s[4:5], exec
	s_or_saveexec_b64 s[6:7], s[6:7]
	v_mov_b32_e32 v14, s10
	s_xor_b64 exec, exec, s[6:7]
	s_cbranch_execnz .LBB2_27792
; %bb.63629:
	s_getpc_b64 s[14:15]
.Lpost_getpc35398:
	s_add_u32 s14, s14, (.LBB2_13454-.Lpost_getpc35398)&4294967295
	s_addc_u32 s15, s15, (.LBB2_13454-.Lpost_getpc35398)>>32
	s_setpc_b64 s[14:15]
.LBB2_27792:
	v_mov_b32_e32 v14, 0
	v_cmp_ne_u16_sdwa s[8:9], v13, v14 src0_sel:BYTE_0 src1_sel:DWORD
	s_andn2_b64 s[4:5], s[4:5], exec
	s_and_b64 s[8:9], s[8:9], exec
	s_or_b64 s[4:5], s[4:5], s[8:9]
	s_or_b64 exec, exec, s[6:7]
	s_and_saveexec_b64 s[6:7], s[4:5]
	s_cbranch_execz .LBB2_35399
; %bb.63631:
	s_getpc_b64 s[14:15]
.Lpost_getpc35399:
	s_add_u32 s14, s14, (.LBB2_13455-.Lpost_getpc35399)&4294967295
	s_addc_u32 s15, s15, (.LBB2_13455-.Lpost_getpc35399)>>32
	s_setpc_b64 s[14:15]
.LBB2_35399:
	s_getpc_b64 s[14:15]
.Lpost_getpc21283:
	s_add_u32 s14, s14, (.LBB2_13456-.Lpost_getpc21283)&4294967295
	s_addc_u32 s15, s15, (.LBB2_13456-.Lpost_getpc21283)>>32
	s_setpc_b64 s[14:15]
.LBB2_27793:
	s_movk_i32 s4, 0x80
	v_cmp_eq_u16_e32 vcc, s4, v13
	s_mov_b64 s[4:5], -1
                                        ; implicit-def: $sgpr10
	s_and_saveexec_b64 s[8:9], vcc
; %bb.27794:
	s_mov_b32 s10, 0x7f800001
	s_xor_b64 s[4:5], exec, -1
; %bb.27795:
	s_or_b64 exec, exec, s[8:9]
	s_and_b64 s[4:5], s[4:5], exec
                                        ; implicit-def: $vgpr13
	s_or_saveexec_b64 s[6:7], s[6:7]
	v_mov_b32_e32 v12, s10
	s_xor_b64 exec, exec, s[6:7]
	s_cbranch_execnz .LBB2_27796
; %bb.63633:
	s_getpc_b64 s[14:15]
.Lpost_getpc35400:
	s_add_u32 s14, s14, (.LBB2_13458-.Lpost_getpc35400)&4294967295
	s_addc_u32 s15, s15, (.LBB2_13458-.Lpost_getpc35400)>>32
	s_setpc_b64 s[14:15]
.LBB2_27796:
	v_cmp_ne_u16_e32 vcc, 0, v13
	s_andn2_b64 s[4:5], s[4:5], exec
	s_and_b64 s[8:9], vcc, exec
	v_mov_b32_e32 v12, 0
	s_or_b64 s[4:5], s[4:5], s[8:9]
	s_or_b64 exec, exec, s[6:7]
	s_and_saveexec_b64 s[6:7], s[4:5]
	s_cbranch_execz .LBB2_35401
; %bb.63635:
	s_getpc_b64 s[14:15]
.Lpost_getpc35401:
	s_add_u32 s14, s14, (.LBB2_13459-.Lpost_getpc35401)&4294967295
	s_addc_u32 s15, s15, (.LBB2_13459-.Lpost_getpc35401)>>32
	s_setpc_b64 s[14:15]
.LBB2_35401:
	s_getpc_b64 s[14:15]
.Lpost_getpc21284:
	s_add_u32 s14, s14, (.LBB2_13460-.Lpost_getpc21284)&4294967295
	s_addc_u32 s15, s15, (.LBB2_13460-.Lpost_getpc21284)>>32
	s_setpc_b64 s[14:15]
.LBB2_27797:
	s_movk_i32 s4, 0x80
	v_cmp_eq_u16_e32 vcc, s4, v13
	s_mov_b64 s[4:5], -1
                                        ; implicit-def: $sgpr10
	s_and_saveexec_b64 s[8:9], vcc
; %bb.27798:
	s_mov_b32 s10, 0x7f800001
	s_xor_b64 s[4:5], exec, -1
; %bb.27799:
	s_or_b64 exec, exec, s[8:9]
	s_and_b64 s[4:5], s[4:5], exec
                                        ; implicit-def: $vgpr13
	s_or_saveexec_b64 s[6:7], s[6:7]
	v_mov_b32_e32 v14, s10
	s_xor_b64 exec, exec, s[6:7]
	s_cbranch_execnz .LBB2_27800
; %bb.63637:
	s_getpc_b64 s[14:15]
.Lpost_getpc35402:
	s_add_u32 s14, s14, (.LBB2_13462-.Lpost_getpc35402)&4294967295
	s_addc_u32 s15, s15, (.LBB2_13462-.Lpost_getpc35402)>>32
	s_setpc_b64 s[14:15]
.LBB2_27800:
	v_cmp_ne_u16_e32 vcc, 0, v13
	s_andn2_b64 s[4:5], s[4:5], exec
	s_and_b64 s[8:9], vcc, exec
	v_mov_b32_e32 v14, 0
	s_or_b64 s[4:5], s[4:5], s[8:9]
	s_or_b64 exec, exec, s[6:7]
	s_and_saveexec_b64 s[6:7], s[4:5]
	s_cbranch_execz .LBB2_35403
; %bb.63639:
	s_getpc_b64 s[14:15]
.Lpost_getpc35403:
	s_add_u32 s14, s14, (.LBB2_13463-.Lpost_getpc35403)&4294967295
	s_addc_u32 s15, s15, (.LBB2_13463-.Lpost_getpc35403)>>32
	s_setpc_b64 s[14:15]
.LBB2_35403:
	s_getpc_b64 s[14:15]
.Lpost_getpc21285:
	s_add_u32 s14, s14, (.LBB2_13464-.Lpost_getpc21285)&4294967295
	s_addc_u32 s15, s15, (.LBB2_13464-.Lpost_getpc21285)>>32
	s_setpc_b64 s[14:15]
.LBB2_27801:
	s_movk_i32 s4, 0x80
	v_cmp_eq_u16_sdwa s[12:13], v6, s4 src0_sel:BYTE_3 src1_sel:DWORD
	s_mov_b64 s[4:5], -1
                                        ; implicit-def: $sgpr10
	s_and_saveexec_b64 s[8:9], s[12:13]
; %bb.27802:
	s_mov_b32 s10, 0x7f800001
	s_xor_b64 s[4:5], exec, -1
; %bb.27803:
	s_or_b64 exec, exec, s[8:9]
	s_and_b64 s[4:5], s[4:5], exec
	s_or_saveexec_b64 s[6:7], s[6:7]
	v_mov_b32_e32 v12, s10
	s_xor_b64 exec, exec, s[6:7]
	s_cbranch_execnz .LBB2_27804
; %bb.63641:
	s_getpc_b64 s[14:15]
.Lpost_getpc35404:
	s_add_u32 s14, s14, (.LBB2_13466-.Lpost_getpc35404)&4294967295
	s_addc_u32 s15, s15, (.LBB2_13466-.Lpost_getpc35404)>>32
	s_setpc_b64 s[14:15]
.LBB2_27804:
	v_mov_b32_e32 v12, 0
	v_cmp_ne_u16_sdwa s[8:9], v6, v12 src0_sel:BYTE_3 src1_sel:DWORD
	s_andn2_b64 s[4:5], s[4:5], exec
	s_and_b64 s[8:9], s[8:9], exec
	s_or_b64 s[4:5], s[4:5], s[8:9]
	s_or_b64 exec, exec, s[6:7]
	s_and_saveexec_b64 s[6:7], s[4:5]
	s_cbranch_execz .LBB2_35405
; %bb.63643:
	s_getpc_b64 s[14:15]
.Lpost_getpc35405:
	s_add_u32 s14, s14, (.LBB2_13467-.Lpost_getpc35405)&4294967295
	s_addc_u32 s15, s15, (.LBB2_13467-.Lpost_getpc35405)>>32
	s_setpc_b64 s[14:15]
.LBB2_35405:
	s_getpc_b64 s[14:15]
.Lpost_getpc21286:
	s_add_u32 s14, s14, (.LBB2_13468-.Lpost_getpc21286)&4294967295
	s_addc_u32 s15, s15, (.LBB2_13468-.Lpost_getpc21286)>>32
	s_setpc_b64 s[14:15]
.LBB2_27805:
	s_movk_i32 s4, 0x80
	v_cmp_eq_u16_sdwa s[12:13], v2, s4 src0_sel:BYTE_3 src1_sel:DWORD
	s_mov_b64 s[4:5], -1
                                        ; implicit-def: $sgpr10
	s_and_saveexec_b64 s[8:9], s[12:13]
; %bb.27806:
	s_mov_b32 s10, 0x7f800001
	s_xor_b64 s[4:5], exec, -1
; %bb.27807:
	s_or_b64 exec, exec, s[8:9]
	s_and_b64 s[4:5], s[4:5], exec
	s_or_saveexec_b64 s[6:7], s[6:7]
	v_mov_b32_e32 v6, s10
	s_xor_b64 exec, exec, s[6:7]
	s_cbranch_execnz .LBB2_27808
; %bb.63645:
	s_getpc_b64 s[14:15]
.Lpost_getpc35406:
	s_add_u32 s14, s14, (.LBB2_13470-.Lpost_getpc35406)&4294967295
	s_addc_u32 s15, s15, (.LBB2_13470-.Lpost_getpc35406)>>32
	s_setpc_b64 s[14:15]
.LBB2_27808:
	v_mov_b32_e32 v6, 0
	v_cmp_ne_u16_sdwa s[8:9], v2, v6 src0_sel:BYTE_3 src1_sel:DWORD
	s_andn2_b64 s[4:5], s[4:5], exec
	s_and_b64 s[8:9], s[8:9], exec
	s_or_b64 s[4:5], s[4:5], s[8:9]
	s_or_b64 exec, exec, s[6:7]
	s_and_saveexec_b64 s[6:7], s[4:5]
	s_cbranch_execz .LBB2_35407
; %bb.63647:
	s_getpc_b64 s[14:15]
.Lpost_getpc35407:
	s_add_u32 s14, s14, (.LBB2_13471-.Lpost_getpc35407)&4294967295
	s_addc_u32 s15, s15, (.LBB2_13471-.Lpost_getpc35407)>>32
	s_setpc_b64 s[14:15]
.LBB2_35407:
	s_getpc_b64 s[14:15]
.Lpost_getpc21287:
	s_add_u32 s14, s14, (.LBB2_13472-.Lpost_getpc21287)&4294967295
	s_addc_u32 s15, s15, (.LBB2_13472-.Lpost_getpc21287)>>32
	s_setpc_b64 s[14:15]
.LBB2_27809:
	s_movk_i32 s4, 0x80
	v_cmp_eq_u16_sdwa s[12:13], v7, s4 src0_sel:BYTE_0 src1_sel:DWORD
	s_mov_b64 s[4:5], -1
                                        ; implicit-def: $sgpr10
	s_and_saveexec_b64 s[8:9], s[12:13]
; %bb.27810:
	s_mov_b32 s10, 0x7f800001
	s_xor_b64 s[4:5], exec, -1
; %bb.27811:
	s_or_b64 exec, exec, s[8:9]
	s_and_b64 s[4:5], s[4:5], exec
	s_or_saveexec_b64 s[6:7], s[6:7]
	v_mov_b32_e32 v2, s10
	s_xor_b64 exec, exec, s[6:7]
	s_cbranch_execnz .LBB2_27812
; %bb.63649:
	s_getpc_b64 s[14:15]
.Lpost_getpc35408:
	s_add_u32 s14, s14, (.LBB2_13474-.Lpost_getpc35408)&4294967295
	s_addc_u32 s15, s15, (.LBB2_13474-.Lpost_getpc35408)>>32
	s_setpc_b64 s[14:15]
.LBB2_27812:
	v_mov_b32_e32 v2, 0
	v_cmp_ne_u16_sdwa s[8:9], v7, v2 src0_sel:BYTE_0 src1_sel:DWORD
	s_andn2_b64 s[4:5], s[4:5], exec
	s_and_b64 s[8:9], s[8:9], exec
	s_or_b64 s[4:5], s[4:5], s[8:9]
	s_or_b64 exec, exec, s[6:7]
	s_and_saveexec_b64 s[6:7], s[4:5]
	s_cbranch_execz .LBB2_35409
; %bb.63651:
	s_getpc_b64 s[14:15]
.Lpost_getpc35409:
	s_add_u32 s14, s14, (.LBB2_13475-.Lpost_getpc35409)&4294967295
	s_addc_u32 s15, s15, (.LBB2_13475-.Lpost_getpc35409)>>32
	s_setpc_b64 s[14:15]
.LBB2_35409:
	s_getpc_b64 s[14:15]
.Lpost_getpc21288:
	s_add_u32 s14, s14, (.LBB2_13476-.Lpost_getpc21288)&4294967295
	s_addc_u32 s15, s15, (.LBB2_13476-.Lpost_getpc21288)>>32
	s_setpc_b64 s[14:15]
.LBB2_27813:
	s_movk_i32 s4, 0x80
	v_cmp_eq_u16_sdwa s[12:13], v3, s4 src0_sel:BYTE_0 src1_sel:DWORD
	s_mov_b64 s[4:5], -1
                                        ; implicit-def: $sgpr10
	s_and_saveexec_b64 s[8:9], s[12:13]
; %bb.27814:
	s_mov_b32 s10, 0x7f800001
	s_xor_b64 s[4:5], exec, -1
; %bb.27815:
	s_or_b64 exec, exec, s[8:9]
	s_and_b64 s[4:5], s[4:5], exec
	s_or_saveexec_b64 s[6:7], s[6:7]
	v_mov_b32_e32 v6, s10
	s_xor_b64 exec, exec, s[6:7]
	s_cbranch_execnz .LBB2_27816
; %bb.63653:
	s_getpc_b64 s[14:15]
.Lpost_getpc35410:
	s_add_u32 s14, s14, (.LBB2_13478-.Lpost_getpc35410)&4294967295
	s_addc_u32 s15, s15, (.LBB2_13478-.Lpost_getpc35410)>>32
	s_setpc_b64 s[14:15]
.LBB2_27816:
	v_mov_b32_e32 v6, 0
	v_cmp_ne_u16_sdwa s[8:9], v3, v6 src0_sel:BYTE_0 src1_sel:DWORD
	s_andn2_b64 s[4:5], s[4:5], exec
	s_and_b64 s[8:9], s[8:9], exec
	s_or_b64 s[4:5], s[4:5], s[8:9]
	s_or_b64 exec, exec, s[6:7]
	s_and_saveexec_b64 s[6:7], s[4:5]
	s_cbranch_execz .LBB2_35411
; %bb.63655:
	s_getpc_b64 s[14:15]
.Lpost_getpc35411:
	s_add_u32 s14, s14, (.LBB2_13479-.Lpost_getpc35411)&4294967295
	s_addc_u32 s15, s15, (.LBB2_13479-.Lpost_getpc35411)>>32
	s_setpc_b64 s[14:15]
.LBB2_35411:
	s_getpc_b64 s[14:15]
.Lpost_getpc21289:
	s_add_u32 s14, s14, (.LBB2_13480-.Lpost_getpc21289)&4294967295
	s_addc_u32 s15, s15, (.LBB2_13480-.Lpost_getpc21289)>>32
	s_setpc_b64 s[14:15]
.LBB2_27817:
	s_movk_i32 s4, 0x80
	v_cmp_eq_u16_sdwa s[12:13], v6, s4 src0_sel:BYTE_0 src1_sel:DWORD
	s_mov_b64 s[4:5], -1
                                        ; implicit-def: $sgpr10
	s_and_saveexec_b64 s[8:9], s[12:13]
; %bb.27818:
	s_mov_b32 s10, 0x7f800001
	s_xor_b64 s[4:5], exec, -1
; %bb.27819:
	s_or_b64 exec, exec, s[8:9]
	s_and_b64 s[4:5], s[4:5], exec
	s_or_saveexec_b64 s[6:7], s[6:7]
	v_mov_b32_e32 v2, s10
	s_xor_b64 exec, exec, s[6:7]
	s_cbranch_execnz .LBB2_27820
; %bb.63657:
	s_getpc_b64 s[14:15]
.Lpost_getpc35412:
	s_add_u32 s14, s14, (.LBB2_13482-.Lpost_getpc35412)&4294967295
	s_addc_u32 s15, s15, (.LBB2_13482-.Lpost_getpc35412)>>32
	s_setpc_b64 s[14:15]
.LBB2_27820:
	v_mov_b32_e32 v2, 0
	v_cmp_ne_u16_sdwa s[8:9], v6, v2 src0_sel:BYTE_0 src1_sel:DWORD
	s_andn2_b64 s[4:5], s[4:5], exec
	s_and_b64 s[8:9], s[8:9], exec
	s_or_b64 s[4:5], s[4:5], s[8:9]
	s_or_b64 exec, exec, s[6:7]
	s_and_saveexec_b64 s[6:7], s[4:5]
	s_cbranch_execz .LBB2_35413
; %bb.63659:
	s_getpc_b64 s[14:15]
.Lpost_getpc35413:
	s_add_u32 s14, s14, (.LBB2_13483-.Lpost_getpc35413)&4294967295
	s_addc_u32 s15, s15, (.LBB2_13483-.Lpost_getpc35413)>>32
	s_setpc_b64 s[14:15]
.LBB2_35413:
	s_getpc_b64 s[14:15]
.Lpost_getpc21290:
	s_add_u32 s14, s14, (.LBB2_13484-.Lpost_getpc21290)&4294967295
	s_addc_u32 s15, s15, (.LBB2_13484-.Lpost_getpc21290)>>32
	s_setpc_b64 s[14:15]
.LBB2_27821:
	s_movk_i32 s4, 0x80
	v_cmp_eq_u16_sdwa s[12:13], v6, s4 src0_sel:BYTE_0 src1_sel:DWORD
	s_mov_b64 s[4:5], -1
                                        ; implicit-def: $sgpr10
	s_and_saveexec_b64 s[8:9], s[12:13]
; %bb.27822:
	s_mov_b32 s10, 0x7f800001
	s_xor_b64 s[4:5], exec, -1
; %bb.27823:
	s_or_b64 exec, exec, s[8:9]
	s_and_b64 s[4:5], s[4:5], exec
	s_or_saveexec_b64 s[6:7], s[6:7]
	v_mov_b32_e32 v12, s10
	s_xor_b64 exec, exec, s[6:7]
	s_cbranch_execnz .LBB2_27824
; %bb.63661:
	s_getpc_b64 s[14:15]
.Lpost_getpc35414:
	s_add_u32 s14, s14, (.LBB2_13486-.Lpost_getpc35414)&4294967295
	s_addc_u32 s15, s15, (.LBB2_13486-.Lpost_getpc35414)>>32
	s_setpc_b64 s[14:15]
.LBB2_27824:
	v_mov_b32_e32 v12, 0
	v_cmp_ne_u16_sdwa s[8:9], v6, v12 src0_sel:BYTE_0 src1_sel:DWORD
	s_andn2_b64 s[4:5], s[4:5], exec
	s_and_b64 s[8:9], s[8:9], exec
	s_or_b64 s[4:5], s[4:5], s[8:9]
	s_or_b64 exec, exec, s[6:7]
	s_and_saveexec_b64 s[6:7], s[4:5]
	s_cbranch_execz .LBB2_35415
; %bb.63663:
	s_getpc_b64 s[14:15]
.Lpost_getpc35415:
	s_add_u32 s14, s14, (.LBB2_13487-.Lpost_getpc35415)&4294967295
	s_addc_u32 s15, s15, (.LBB2_13487-.Lpost_getpc35415)>>32
	s_setpc_b64 s[14:15]
.LBB2_35415:
	s_getpc_b64 s[14:15]
.Lpost_getpc21291:
	s_add_u32 s14, s14, (.LBB2_13488-.Lpost_getpc21291)&4294967295
	s_addc_u32 s15, s15, (.LBB2_13488-.Lpost_getpc21291)>>32
	s_setpc_b64 s[14:15]
.LBB2_27825:
	s_movk_i32 s4, 0x80
	v_cmp_eq_u16_e32 vcc, s4, v6
	s_mov_b64 s[4:5], -1
                                        ; implicit-def: $sgpr10
	s_and_saveexec_b64 s[8:9], vcc
; %bb.27826:
	s_mov_b32 s10, 0x7f800001
	s_xor_b64 s[4:5], exec, -1
; %bb.27827:
	s_or_b64 exec, exec, s[8:9]
	s_and_b64 s[4:5], s[4:5], exec
                                        ; implicit-def: $vgpr6
	s_or_saveexec_b64 s[6:7], s[6:7]
	v_mov_b32_e32 v2, s10
	s_xor_b64 exec, exec, s[6:7]
	s_cbranch_execnz .LBB2_27828
; %bb.63665:
	s_getpc_b64 s[14:15]
.Lpost_getpc35416:
	s_add_u32 s14, s14, (.LBB2_13490-.Lpost_getpc35416)&4294967295
	s_addc_u32 s15, s15, (.LBB2_13490-.Lpost_getpc35416)>>32
	s_setpc_b64 s[14:15]
.LBB2_27828:
	v_cmp_ne_u16_e32 vcc, 0, v6
	s_andn2_b64 s[4:5], s[4:5], exec
	s_and_b64 s[8:9], vcc, exec
	v_mov_b32_e32 v2, 0
	s_or_b64 s[4:5], s[4:5], s[8:9]
	s_or_b64 exec, exec, s[6:7]
	s_and_saveexec_b64 s[6:7], s[4:5]
	s_cbranch_execz .LBB2_35417
; %bb.63667:
	s_getpc_b64 s[14:15]
.Lpost_getpc35417:
	s_add_u32 s14, s14, (.LBB2_13491-.Lpost_getpc35417)&4294967295
	s_addc_u32 s15, s15, (.LBB2_13491-.Lpost_getpc35417)>>32
	s_setpc_b64 s[14:15]
.LBB2_35417:
	s_getpc_b64 s[14:15]
.Lpost_getpc21292:
	s_add_u32 s14, s14, (.LBB2_13492-.Lpost_getpc21292)&4294967295
	s_addc_u32 s15, s15, (.LBB2_13492-.Lpost_getpc21292)>>32
	s_setpc_b64 s[14:15]
.LBB2_27829:
	s_movk_i32 s4, 0x80
	v_cmp_eq_u16_e32 vcc, s4, v6
	s_mov_b64 s[4:5], -1
                                        ; implicit-def: $sgpr10
	s_and_saveexec_b64 s[8:9], vcc
; %bb.27830:
	s_mov_b32 s10, 0x7f800001
	s_xor_b64 s[4:5], exec, -1
; %bb.27831:
	s_or_b64 exec, exec, s[8:9]
	s_and_b64 s[4:5], s[4:5], exec
                                        ; implicit-def: $vgpr6
	s_or_saveexec_b64 s[6:7], s[6:7]
	v_mov_b32_e32 v12, s10
	s_xor_b64 exec, exec, s[6:7]
	s_cbranch_execnz .LBB2_27832
; %bb.63669:
	s_getpc_b64 s[14:15]
.Lpost_getpc35418:
	s_add_u32 s14, s14, (.LBB2_13494-.Lpost_getpc35418)&4294967295
	s_addc_u32 s15, s15, (.LBB2_13494-.Lpost_getpc35418)>>32
	s_setpc_b64 s[14:15]
.LBB2_27832:
	v_cmp_ne_u16_e32 vcc, 0, v6
	s_andn2_b64 s[4:5], s[4:5], exec
	s_and_b64 s[8:9], vcc, exec
	v_mov_b32_e32 v12, 0
	s_or_b64 s[4:5], s[4:5], s[8:9]
	s_or_b64 exec, exec, s[6:7]
	s_and_saveexec_b64 s[6:7], s[4:5]
	s_cbranch_execz .LBB2_35419
; %bb.63671:
	s_getpc_b64 s[14:15]
.Lpost_getpc35419:
	s_add_u32 s14, s14, (.LBB2_13495-.Lpost_getpc35419)&4294967295
	s_addc_u32 s15, s15, (.LBB2_13495-.Lpost_getpc35419)>>32
	s_setpc_b64 s[14:15]
.LBB2_35419:
	s_getpc_b64 s[14:15]
.Lpost_getpc21293:
	s_add_u32 s14, s14, (.LBB2_13496-.Lpost_getpc21293)&4294967295
	s_addc_u32 s15, s15, (.LBB2_13496-.Lpost_getpc21293)>>32
	s_setpc_b64 s[14:15]
.LBB2_27833:
	s_movk_i32 s4, 0x80
	v_cmp_eq_u16_sdwa s[12:13], v7, s4 src0_sel:BYTE_3 src1_sel:DWORD
	s_mov_b64 s[4:5], -1
                                        ; implicit-def: $sgpr10
	s_and_saveexec_b64 s[8:9], s[12:13]
; %bb.27834:
	s_mov_b32 s10, 0x7f800001
	s_xor_b64 s[4:5], exec, -1
; %bb.27835:
	s_or_b64 exec, exec, s[8:9]
	s_and_b64 s[4:5], s[4:5], exec
	s_or_saveexec_b64 s[6:7], s[6:7]
	v_mov_b32_e32 v2, s10
	s_xor_b64 exec, exec, s[6:7]
	s_cbranch_execnz .LBB2_27836
; %bb.63673:
	s_getpc_b64 s[14:15]
.Lpost_getpc35420:
	s_add_u32 s14, s14, (.LBB2_13498-.Lpost_getpc35420)&4294967295
	s_addc_u32 s15, s15, (.LBB2_13498-.Lpost_getpc35420)>>32
	s_setpc_b64 s[14:15]
.LBB2_27836:
	v_mov_b32_e32 v2, 0
	v_cmp_ne_u16_sdwa s[8:9], v7, v2 src0_sel:BYTE_3 src1_sel:DWORD
	s_andn2_b64 s[4:5], s[4:5], exec
	s_and_b64 s[8:9], s[8:9], exec
	s_or_b64 s[4:5], s[4:5], s[8:9]
	s_or_b64 exec, exec, s[6:7]
	s_and_saveexec_b64 s[6:7], s[4:5]
	s_cbranch_execz .LBB2_35421
; %bb.63675:
	s_getpc_b64 s[14:15]
.Lpost_getpc35421:
	s_add_u32 s14, s14, (.LBB2_13499-.Lpost_getpc35421)&4294967295
	s_addc_u32 s15, s15, (.LBB2_13499-.Lpost_getpc35421)>>32
	s_setpc_b64 s[14:15]
.LBB2_35421:
	s_getpc_b64 s[14:15]
.Lpost_getpc21294:
	s_add_u32 s14, s14, (.LBB2_13500-.Lpost_getpc21294)&4294967295
	s_addc_u32 s15, s15, (.LBB2_13500-.Lpost_getpc21294)>>32
	s_setpc_b64 s[14:15]
.LBB2_27837:
	s_movk_i32 s4, 0x80
	v_cmp_eq_u16_sdwa s[12:13], v3, s4 src0_sel:BYTE_3 src1_sel:DWORD
	s_mov_b64 s[4:5], -1
                                        ; implicit-def: $sgpr10
	s_and_saveexec_b64 s[8:9], s[12:13]
; %bb.27838:
	s_mov_b32 s10, 0x7f800001
	s_xor_b64 s[4:5], exec, -1
; %bb.27839:
	s_or_b64 exec, exec, s[8:9]
	s_and_b64 s[4:5], s[4:5], exec
	s_or_saveexec_b64 s[6:7], s[6:7]
	v_mov_b32_e32 v6, s10
	s_xor_b64 exec, exec, s[6:7]
	s_cbranch_execnz .LBB2_27840
; %bb.63677:
	s_getpc_b64 s[14:15]
.Lpost_getpc35422:
	s_add_u32 s14, s14, (.LBB2_13502-.Lpost_getpc35422)&4294967295
	s_addc_u32 s15, s15, (.LBB2_13502-.Lpost_getpc35422)>>32
	s_setpc_b64 s[14:15]
.LBB2_27840:
	v_mov_b32_e32 v6, 0
	v_cmp_ne_u16_sdwa s[8:9], v3, v6 src0_sel:BYTE_3 src1_sel:DWORD
	s_andn2_b64 s[4:5], s[4:5], exec
	s_and_b64 s[8:9], s[8:9], exec
	s_or_b64 s[4:5], s[4:5], s[8:9]
	s_or_b64 exec, exec, s[6:7]
	s_and_saveexec_b64 s[6:7], s[4:5]
	s_cbranch_execz .LBB2_35423
; %bb.63679:
	s_getpc_b64 s[14:15]
.Lpost_getpc35423:
	s_add_u32 s14, s14, (.LBB2_13503-.Lpost_getpc35423)&4294967295
	s_addc_u32 s15, s15, (.LBB2_13503-.Lpost_getpc35423)>>32
	s_setpc_b64 s[14:15]
.LBB2_35423:
	s_getpc_b64 s[14:15]
.Lpost_getpc21295:
	s_add_u32 s14, s14, (.LBB2_13504-.Lpost_getpc21295)&4294967295
	s_addc_u32 s15, s15, (.LBB2_13504-.Lpost_getpc21295)>>32
	s_setpc_b64 s[14:15]
.LBB2_27841:
	s_movk_i32 s4, 0x80
	v_cmp_eq_u16_sdwa s[12:13], v8, s4 src0_sel:BYTE_0 src1_sel:DWORD
	s_mov_b64 s[4:5], -1
                                        ; implicit-def: $sgpr10
	s_and_saveexec_b64 s[8:9], s[12:13]
; %bb.27842:
	s_mov_b32 s10, 0x7f800001
	s_xor_b64 s[4:5], exec, -1
; %bb.27843:
	s_or_b64 exec, exec, s[8:9]
	s_and_b64 s[4:5], s[4:5], exec
	s_or_saveexec_b64 s[6:7], s[6:7]
	v_mov_b32_e32 v2, s10
	s_xor_b64 exec, exec, s[6:7]
	s_cbranch_execnz .LBB2_27844
; %bb.63681:
	s_getpc_b64 s[14:15]
.Lpost_getpc35424:
	s_add_u32 s14, s14, (.LBB2_13506-.Lpost_getpc35424)&4294967295
	s_addc_u32 s15, s15, (.LBB2_13506-.Lpost_getpc35424)>>32
	s_setpc_b64 s[14:15]
.LBB2_27844:
	v_mov_b32_e32 v2, 0
	v_cmp_ne_u16_sdwa s[8:9], v8, v2 src0_sel:BYTE_0 src1_sel:DWORD
	s_andn2_b64 s[4:5], s[4:5], exec
	s_and_b64 s[8:9], s[8:9], exec
	s_or_b64 s[4:5], s[4:5], s[8:9]
	s_or_b64 exec, exec, s[6:7]
	s_and_saveexec_b64 s[6:7], s[4:5]
	s_cbranch_execz .LBB2_35425
; %bb.63683:
	s_getpc_b64 s[14:15]
.Lpost_getpc35425:
	s_add_u32 s14, s14, (.LBB2_13507-.Lpost_getpc35425)&4294967295
	s_addc_u32 s15, s15, (.LBB2_13507-.Lpost_getpc35425)>>32
	s_setpc_b64 s[14:15]
.LBB2_35425:
	s_getpc_b64 s[14:15]
.Lpost_getpc21296:
	s_add_u32 s14, s14, (.LBB2_13508-.Lpost_getpc21296)&4294967295
	s_addc_u32 s15, s15, (.LBB2_13508-.Lpost_getpc21296)>>32
	s_setpc_b64 s[14:15]
.LBB2_27845:
	s_movk_i32 s4, 0x80
	v_cmp_eq_u16_sdwa s[12:13], v4, s4 src0_sel:BYTE_0 src1_sel:DWORD
	s_mov_b64 s[4:5], -1
                                        ; implicit-def: $sgpr10
	s_and_saveexec_b64 s[8:9], s[12:13]
; %bb.27846:
	s_mov_b32 s10, 0x7f800001
	s_xor_b64 s[4:5], exec, -1
; %bb.27847:
	s_or_b64 exec, exec, s[8:9]
	s_and_b64 s[4:5], s[4:5], exec
	s_or_saveexec_b64 s[6:7], s[6:7]
	v_mov_b32_e32 v3, s10
	s_xor_b64 exec, exec, s[6:7]
	s_cbranch_execnz .LBB2_27848
; %bb.63685:
	s_getpc_b64 s[14:15]
.Lpost_getpc35426:
	s_add_u32 s14, s14, (.LBB2_13510-.Lpost_getpc35426)&4294967295
	s_addc_u32 s15, s15, (.LBB2_13510-.Lpost_getpc35426)>>32
	s_setpc_b64 s[14:15]
.LBB2_27848:
	v_mov_b32_e32 v3, 0
	v_cmp_ne_u16_sdwa s[8:9], v4, v3 src0_sel:BYTE_0 src1_sel:DWORD
	s_andn2_b64 s[4:5], s[4:5], exec
	s_and_b64 s[8:9], s[8:9], exec
	s_or_b64 s[4:5], s[4:5], s[8:9]
	s_or_b64 exec, exec, s[6:7]
	s_and_saveexec_b64 s[6:7], s[4:5]
	s_cbranch_execz .LBB2_35427
; %bb.63687:
	s_getpc_b64 s[14:15]
.Lpost_getpc35427:
	s_add_u32 s14, s14, (.LBB2_13511-.Lpost_getpc35427)&4294967295
	s_addc_u32 s15, s15, (.LBB2_13511-.Lpost_getpc35427)>>32
	s_setpc_b64 s[14:15]
.LBB2_35427:
	s_getpc_b64 s[14:15]
.Lpost_getpc21297:
	s_add_u32 s14, s14, (.LBB2_13512-.Lpost_getpc21297)&4294967295
	s_addc_u32 s15, s15, (.LBB2_13512-.Lpost_getpc21297)>>32
	s_setpc_b64 s[14:15]
.LBB2_27849:
	s_movk_i32 s4, 0x80
	v_cmp_eq_u16_sdwa s[12:13], v3, s4 src0_sel:BYTE_0 src1_sel:DWORD
	s_mov_b64 s[4:5], -1
                                        ; implicit-def: $sgpr10
	s_and_saveexec_b64 s[8:9], s[12:13]
; %bb.27850:
	s_mov_b32 s10, 0x7f800001
	s_xor_b64 s[4:5], exec, -1
; %bb.27851:
	s_or_b64 exec, exec, s[8:9]
	s_and_b64 s[4:5], s[4:5], exec
	s_or_saveexec_b64 s[6:7], s[6:7]
	v_mov_b32_e32 v2, s10
	s_xor_b64 exec, exec, s[6:7]
	s_cbranch_execnz .LBB2_27852
; %bb.63689:
	s_getpc_b64 s[14:15]
.Lpost_getpc35428:
	s_add_u32 s14, s14, (.LBB2_13514-.Lpost_getpc35428)&4294967295
	s_addc_u32 s15, s15, (.LBB2_13514-.Lpost_getpc35428)>>32
	s_setpc_b64 s[14:15]
.LBB2_27852:
	v_mov_b32_e32 v2, 0
	v_cmp_ne_u16_sdwa s[8:9], v3, v2 src0_sel:BYTE_0 src1_sel:DWORD
	s_andn2_b64 s[4:5], s[4:5], exec
	s_and_b64 s[8:9], s[8:9], exec
	s_or_b64 s[4:5], s[4:5], s[8:9]
	s_or_b64 exec, exec, s[6:7]
	s_and_saveexec_b64 s[6:7], s[4:5]
	s_cbranch_execz .LBB2_35429
; %bb.63691:
	s_getpc_b64 s[14:15]
.Lpost_getpc35429:
	s_add_u32 s14, s14, (.LBB2_13515-.Lpost_getpc35429)&4294967295
	s_addc_u32 s15, s15, (.LBB2_13515-.Lpost_getpc35429)>>32
	s_setpc_b64 s[14:15]
.LBB2_35429:
	s_getpc_b64 s[14:15]
.Lpost_getpc21298:
	s_add_u32 s14, s14, (.LBB2_13516-.Lpost_getpc21298)&4294967295
	s_addc_u32 s15, s15, (.LBB2_13516-.Lpost_getpc21298)>>32
	s_setpc_b64 s[14:15]
.LBB2_27853:
	s_movk_i32 s4, 0x80
	v_cmp_eq_u16_sdwa s[12:13], v3, s4 src0_sel:BYTE_0 src1_sel:DWORD
	s_mov_b64 s[4:5], -1
                                        ; implicit-def: $sgpr10
	s_and_saveexec_b64 s[8:9], s[12:13]
; %bb.27854:
	s_mov_b32 s10, 0x7f800001
	s_xor_b64 s[4:5], exec, -1
; %bb.27855:
	s_or_b64 exec, exec, s[8:9]
	s_and_b64 s[4:5], s[4:5], exec
	s_or_saveexec_b64 s[6:7], s[6:7]
	v_mov_b32_e32 v6, s10
	s_xor_b64 exec, exec, s[6:7]
	s_cbranch_execnz .LBB2_27856
; %bb.63693:
	s_getpc_b64 s[14:15]
.Lpost_getpc35430:
	s_add_u32 s14, s14, (.LBB2_13518-.Lpost_getpc35430)&4294967295
	s_addc_u32 s15, s15, (.LBB2_13518-.Lpost_getpc35430)>>32
	s_setpc_b64 s[14:15]
.LBB2_27856:
	v_mov_b32_e32 v6, 0
	v_cmp_ne_u16_sdwa s[8:9], v3, v6 src0_sel:BYTE_0 src1_sel:DWORD
	s_andn2_b64 s[4:5], s[4:5], exec
	s_and_b64 s[8:9], s[8:9], exec
	s_or_b64 s[4:5], s[4:5], s[8:9]
	s_or_b64 exec, exec, s[6:7]
	s_and_saveexec_b64 s[6:7], s[4:5]
	s_cbranch_execz .LBB2_35431
; %bb.63695:
	s_getpc_b64 s[14:15]
.Lpost_getpc35431:
	s_add_u32 s14, s14, (.LBB2_13519-.Lpost_getpc35431)&4294967295
	s_addc_u32 s15, s15, (.LBB2_13519-.Lpost_getpc35431)>>32
	s_setpc_b64 s[14:15]
.LBB2_35431:
	s_getpc_b64 s[14:15]
.Lpost_getpc21299:
	s_add_u32 s14, s14, (.LBB2_13520-.Lpost_getpc21299)&4294967295
	s_addc_u32 s15, s15, (.LBB2_13520-.Lpost_getpc21299)>>32
	s_setpc_b64 s[14:15]
.LBB2_27857:
	s_movk_i32 s4, 0x80
	v_cmp_eq_u16_e32 vcc, s4, v3
	s_mov_b64 s[4:5], -1
                                        ; implicit-def: $sgpr10
	s_and_saveexec_b64 s[8:9], vcc
; %bb.27858:
	s_mov_b32 s10, 0x7f800001
	s_xor_b64 s[4:5], exec, -1
; %bb.27859:
	s_or_b64 exec, exec, s[8:9]
	s_and_b64 s[4:5], s[4:5], exec
                                        ; implicit-def: $vgpr3
	s_or_saveexec_b64 s[6:7], s[6:7]
	v_mov_b32_e32 v2, s10
	s_xor_b64 exec, exec, s[6:7]
	s_cbranch_execnz .LBB2_27860
; %bb.63697:
	s_getpc_b64 s[14:15]
.Lpost_getpc35432:
	s_add_u32 s14, s14, (.LBB2_13522-.Lpost_getpc35432)&4294967295
	s_addc_u32 s15, s15, (.LBB2_13522-.Lpost_getpc35432)>>32
	s_setpc_b64 s[14:15]
.LBB2_27860:
	v_cmp_ne_u16_e32 vcc, 0, v3
	s_andn2_b64 s[4:5], s[4:5], exec
	s_and_b64 s[8:9], vcc, exec
	v_mov_b32_e32 v2, 0
	s_or_b64 s[4:5], s[4:5], s[8:9]
	s_or_b64 exec, exec, s[6:7]
	s_and_saveexec_b64 s[6:7], s[4:5]
	s_cbranch_execz .LBB2_35433
; %bb.63699:
	s_getpc_b64 s[14:15]
.Lpost_getpc35433:
	s_add_u32 s14, s14, (.LBB2_13523-.Lpost_getpc35433)&4294967295
	s_addc_u32 s15, s15, (.LBB2_13523-.Lpost_getpc35433)>>32
	s_setpc_b64 s[14:15]
.LBB2_35433:
	s_getpc_b64 s[14:15]
.Lpost_getpc21300:
	s_add_u32 s14, s14, (.LBB2_13524-.Lpost_getpc21300)&4294967295
	s_addc_u32 s15, s15, (.LBB2_13524-.Lpost_getpc21300)>>32
	s_setpc_b64 s[14:15]
.LBB2_27861:
	s_movk_i32 s4, 0x80
	v_cmp_eq_u16_e32 vcc, s4, v3
	s_mov_b64 s[4:5], -1
                                        ; implicit-def: $sgpr10
	s_and_saveexec_b64 s[8:9], vcc
; %bb.27862:
	s_mov_b32 s10, 0x7f800001
	s_xor_b64 s[4:5], exec, -1
; %bb.27863:
	s_or_b64 exec, exec, s[8:9]
	s_and_b64 s[4:5], s[4:5], exec
                                        ; implicit-def: $vgpr3
	s_or_saveexec_b64 s[6:7], s[6:7]
	v_mov_b32_e32 v6, s10
	s_xor_b64 exec, exec, s[6:7]
	s_cbranch_execnz .LBB2_27864
; %bb.63701:
	s_getpc_b64 s[14:15]
.Lpost_getpc35434:
	s_add_u32 s14, s14, (.LBB2_13526-.Lpost_getpc35434)&4294967295
	s_addc_u32 s15, s15, (.LBB2_13526-.Lpost_getpc35434)>>32
	s_setpc_b64 s[14:15]
.LBB2_27864:
	v_cmp_ne_u16_e32 vcc, 0, v3
	s_andn2_b64 s[4:5], s[4:5], exec
	s_and_b64 s[8:9], vcc, exec
	v_mov_b32_e32 v6, 0
	s_or_b64 s[4:5], s[4:5], s[8:9]
	s_or_b64 exec, exec, s[6:7]
	s_and_saveexec_b64 s[6:7], s[4:5]
	s_cbranch_execz .LBB2_35435
; %bb.63703:
	s_getpc_b64 s[14:15]
.Lpost_getpc35435:
	s_add_u32 s14, s14, (.LBB2_13527-.Lpost_getpc35435)&4294967295
	s_addc_u32 s15, s15, (.LBB2_13527-.Lpost_getpc35435)>>32
	s_setpc_b64 s[14:15]
.LBB2_35435:
	s_getpc_b64 s[14:15]
.Lpost_getpc21301:
	s_add_u32 s14, s14, (.LBB2_13528-.Lpost_getpc21301)&4294967295
	s_addc_u32 s15, s15, (.LBB2_13528-.Lpost_getpc21301)>>32
	s_setpc_b64 s[14:15]
.LBB2_27865:
	s_movk_i32 s4, 0x80
	v_cmp_eq_u16_sdwa s[12:13], v8, s4 src0_sel:BYTE_3 src1_sel:DWORD
	s_mov_b64 s[4:5], -1
                                        ; implicit-def: $sgpr10
	s_and_saveexec_b64 s[8:9], s[12:13]
; %bb.27866:
	s_mov_b32 s10, 0x7f800001
	s_xor_b64 s[4:5], exec, -1
; %bb.27867:
	s_or_b64 exec, exec, s[8:9]
	s_and_b64 s[4:5], s[4:5], exec
	s_or_saveexec_b64 s[6:7], s[6:7]
	v_mov_b32_e32 v2, s10
	s_xor_b64 exec, exec, s[6:7]
	s_cbranch_execnz .LBB2_27868
; %bb.63705:
	s_getpc_b64 s[14:15]
.Lpost_getpc35436:
	s_add_u32 s14, s14, (.LBB2_13530-.Lpost_getpc35436)&4294967295
	s_addc_u32 s15, s15, (.LBB2_13530-.Lpost_getpc35436)>>32
	s_setpc_b64 s[14:15]
.LBB2_27868:
	v_mov_b32_e32 v2, 0
	v_cmp_ne_u16_sdwa s[8:9], v8, v2 src0_sel:BYTE_3 src1_sel:DWORD
	s_andn2_b64 s[4:5], s[4:5], exec
	s_and_b64 s[8:9], s[8:9], exec
	s_or_b64 s[4:5], s[4:5], s[8:9]
	s_or_b64 exec, exec, s[6:7]
	s_and_saveexec_b64 s[6:7], s[4:5]
	s_cbranch_execz .LBB2_35437
; %bb.63707:
	s_getpc_b64 s[14:15]
.Lpost_getpc35437:
	s_add_u32 s14, s14, (.LBB2_13531-.Lpost_getpc35437)&4294967295
	s_addc_u32 s15, s15, (.LBB2_13531-.Lpost_getpc35437)>>32
	s_setpc_b64 s[14:15]
.LBB2_35437:
	s_getpc_b64 s[14:15]
.Lpost_getpc21302:
	s_add_u32 s14, s14, (.LBB2_13532-.Lpost_getpc21302)&4294967295
	s_addc_u32 s15, s15, (.LBB2_13532-.Lpost_getpc21302)>>32
	s_setpc_b64 s[14:15]
.LBB2_27869:
	s_movk_i32 s4, 0x80
	v_cmp_eq_u16_sdwa s[12:13], v4, s4 src0_sel:BYTE_3 src1_sel:DWORD
	s_mov_b64 s[4:5], -1
                                        ; implicit-def: $sgpr10
	s_and_saveexec_b64 s[8:9], s[12:13]
; %bb.27870:
	s_mov_b32 s10, 0x7f800001
	s_xor_b64 s[4:5], exec, -1
; %bb.27871:
	s_or_b64 exec, exec, s[8:9]
	s_and_b64 s[4:5], s[4:5], exec
	s_or_saveexec_b64 s[6:7], s[6:7]
	v_mov_b32_e32 v3, s10
	s_xor_b64 exec, exec, s[6:7]
	s_cbranch_execnz .LBB2_27872
; %bb.63709:
	s_getpc_b64 s[14:15]
.Lpost_getpc35438:
	s_add_u32 s14, s14, (.LBB2_13534-.Lpost_getpc35438)&4294967295
	s_addc_u32 s15, s15, (.LBB2_13534-.Lpost_getpc35438)>>32
	s_setpc_b64 s[14:15]
.LBB2_27872:
	v_mov_b32_e32 v3, 0
	v_cmp_ne_u16_sdwa s[8:9], v4, v3 src0_sel:BYTE_3 src1_sel:DWORD
	s_andn2_b64 s[4:5], s[4:5], exec
	s_and_b64 s[8:9], s[8:9], exec
	s_or_b64 s[4:5], s[4:5], s[8:9]
	s_or_b64 exec, exec, s[6:7]
	s_and_saveexec_b64 s[6:7], s[4:5]
	s_cbranch_execz .LBB2_35439
; %bb.63711:
	s_getpc_b64 s[14:15]
.Lpost_getpc35439:
	s_add_u32 s14, s14, (.LBB2_13535-.Lpost_getpc35439)&4294967295
	s_addc_u32 s15, s15, (.LBB2_13535-.Lpost_getpc35439)>>32
	s_setpc_b64 s[14:15]
.LBB2_35439:
	s_getpc_b64 s[14:15]
.Lpost_getpc21303:
	s_add_u32 s14, s14, (.LBB2_13536-.Lpost_getpc21303)&4294967295
	s_addc_u32 s15, s15, (.LBB2_13536-.Lpost_getpc21303)>>32
	s_setpc_b64 s[14:15]
.LBB2_27873:
	s_movk_i32 s4, 0x80
	v_cmp_eq_u16_sdwa s[12:13], v9, s4 src0_sel:BYTE_0 src1_sel:DWORD
	s_mov_b64 s[4:5], -1
                                        ; implicit-def: $sgpr10
	s_and_saveexec_b64 s[8:9], s[12:13]
; %bb.27874:
	s_mov_b32 s10, 0x7f800001
	s_xor_b64 s[4:5], exec, -1
; %bb.27875:
	s_or_b64 exec, exec, s[8:9]
	s_and_b64 s[4:5], s[4:5], exec
	s_or_saveexec_b64 s[6:7], s[6:7]
	v_mov_b32_e32 v2, s10
	s_xor_b64 exec, exec, s[6:7]
	s_cbranch_execnz .LBB2_27876
; %bb.63713:
	s_getpc_b64 s[14:15]
.Lpost_getpc35440:
	s_add_u32 s14, s14, (.LBB2_13538-.Lpost_getpc35440)&4294967295
	s_addc_u32 s15, s15, (.LBB2_13538-.Lpost_getpc35440)>>32
	s_setpc_b64 s[14:15]
.LBB2_27876:
	v_mov_b32_e32 v2, 0
	v_cmp_ne_u16_sdwa s[8:9], v9, v2 src0_sel:BYTE_0 src1_sel:DWORD
	s_andn2_b64 s[4:5], s[4:5], exec
	s_and_b64 s[8:9], s[8:9], exec
	s_or_b64 s[4:5], s[4:5], s[8:9]
	s_or_b64 exec, exec, s[6:7]
	s_and_saveexec_b64 s[6:7], s[4:5]
	s_cbranch_execz .LBB2_35441
; %bb.63715:
	s_getpc_b64 s[14:15]
.Lpost_getpc35441:
	s_add_u32 s14, s14, (.LBB2_13539-.Lpost_getpc35441)&4294967295
	s_addc_u32 s15, s15, (.LBB2_13539-.Lpost_getpc35441)>>32
	s_setpc_b64 s[14:15]
.LBB2_35441:
	s_getpc_b64 s[14:15]
.Lpost_getpc21304:
	s_add_u32 s14, s14, (.LBB2_13540-.Lpost_getpc21304)&4294967295
	s_addc_u32 s15, s15, (.LBB2_13540-.Lpost_getpc21304)>>32
	s_setpc_b64 s[14:15]
.LBB2_27877:
	s_movk_i32 s4, 0x80
	v_cmp_eq_u16_sdwa s[12:13], v5, s4 src0_sel:BYTE_0 src1_sel:DWORD
	s_mov_b64 s[4:5], -1
                                        ; implicit-def: $sgpr10
	s_and_saveexec_b64 s[8:9], s[12:13]
; %bb.27878:
	s_mov_b32 s10, 0x7f800001
	s_xor_b64 s[4:5], exec, -1
; %bb.27879:
	s_or_b64 exec, exec, s[8:9]
	s_and_b64 s[4:5], s[4:5], exec
	s_or_saveexec_b64 s[6:7], s[6:7]
	v_mov_b32_e32 v3, s10
	s_xor_b64 exec, exec, s[6:7]
	s_cbranch_execnz .LBB2_27880
; %bb.63717:
	s_getpc_b64 s[14:15]
.Lpost_getpc35442:
	s_add_u32 s14, s14, (.LBB2_13542-.Lpost_getpc35442)&4294967295
	s_addc_u32 s15, s15, (.LBB2_13542-.Lpost_getpc35442)>>32
	s_setpc_b64 s[14:15]
.LBB2_27880:
	v_mov_b32_e32 v3, 0
	v_cmp_ne_u16_sdwa s[8:9], v5, v3 src0_sel:BYTE_0 src1_sel:DWORD
	s_andn2_b64 s[4:5], s[4:5], exec
	s_and_b64 s[8:9], s[8:9], exec
	s_or_b64 s[4:5], s[4:5], s[8:9]
	s_or_b64 exec, exec, s[6:7]
	s_and_saveexec_b64 s[6:7], s[4:5]
	s_cbranch_execz .LBB2_35443
; %bb.63719:
	s_getpc_b64 s[14:15]
.Lpost_getpc35443:
	s_add_u32 s14, s14, (.LBB2_13543-.Lpost_getpc35443)&4294967295
	s_addc_u32 s15, s15, (.LBB2_13543-.Lpost_getpc35443)>>32
	s_setpc_b64 s[14:15]
.LBB2_35443:
	s_getpc_b64 s[14:15]
.Lpost_getpc21305:
	s_add_u32 s14, s14, (.LBB2_13544-.Lpost_getpc21305)&4294967295
	s_addc_u32 s15, s15, (.LBB2_13544-.Lpost_getpc21305)>>32
	s_setpc_b64 s[14:15]
.LBB2_27881:
	s_movk_i32 s4, 0x80
	v_cmp_eq_u16_sdwa s[12:13], v3, s4 src0_sel:BYTE_0 src1_sel:DWORD
	s_mov_b64 s[4:5], -1
                                        ; implicit-def: $sgpr10
	s_and_saveexec_b64 s[8:9], s[12:13]
; %bb.27882:
	s_mov_b32 s10, 0x7f800001
	s_xor_b64 s[4:5], exec, -1
; %bb.27883:
	s_or_b64 exec, exec, s[8:9]
	s_and_b64 s[4:5], s[4:5], exec
	s_or_saveexec_b64 s[6:7], s[6:7]
	v_mov_b32_e32 v2, s10
	s_xor_b64 exec, exec, s[6:7]
	s_cbranch_execnz .LBB2_27884
; %bb.63721:
	s_getpc_b64 s[14:15]
.Lpost_getpc35444:
	s_add_u32 s14, s14, (.LBB2_13546-.Lpost_getpc35444)&4294967295
	s_addc_u32 s15, s15, (.LBB2_13546-.Lpost_getpc35444)>>32
	s_setpc_b64 s[14:15]
.LBB2_27884:
	v_mov_b32_e32 v2, 0
	v_cmp_ne_u16_sdwa s[8:9], v3, v2 src0_sel:BYTE_0 src1_sel:DWORD
	s_andn2_b64 s[4:5], s[4:5], exec
	s_and_b64 s[8:9], s[8:9], exec
	s_or_b64 s[4:5], s[4:5], s[8:9]
	s_or_b64 exec, exec, s[6:7]
	s_and_saveexec_b64 s[6:7], s[4:5]
	s_cbranch_execz .LBB2_35445
; %bb.63723:
	s_getpc_b64 s[14:15]
.Lpost_getpc35445:
	s_add_u32 s14, s14, (.LBB2_13547-.Lpost_getpc35445)&4294967295
	s_addc_u32 s15, s15, (.LBB2_13547-.Lpost_getpc35445)>>32
	s_setpc_b64 s[14:15]
.LBB2_35445:
	s_getpc_b64 s[14:15]
.Lpost_getpc21306:
	s_add_u32 s14, s14, (.LBB2_13548-.Lpost_getpc21306)&4294967295
	s_addc_u32 s15, s15, (.LBB2_13548-.Lpost_getpc21306)>>32
	s_setpc_b64 s[14:15]
.LBB2_27885:
	s_movk_i32 s4, 0x80
	v_cmp_eq_u16_sdwa s[12:13], v3, s4 src0_sel:BYTE_0 src1_sel:DWORD
	s_mov_b64 s[4:5], -1
                                        ; implicit-def: $sgpr10
	s_and_saveexec_b64 s[8:9], s[12:13]
; %bb.27886:
	s_mov_b32 s10, 0x7f800001
	s_xor_b64 s[4:5], exec, -1
; %bb.27887:
	s_or_b64 exec, exec, s[8:9]
	s_and_b64 s[4:5], s[4:5], exec
	s_or_saveexec_b64 s[6:7], s[6:7]
	v_mov_b32_e32 v4, s10
	s_xor_b64 exec, exec, s[6:7]
	s_cbranch_execnz .LBB2_27888
; %bb.63725:
	s_getpc_b64 s[14:15]
.Lpost_getpc35446:
	s_add_u32 s14, s14, (.LBB2_13550-.Lpost_getpc35446)&4294967295
	s_addc_u32 s15, s15, (.LBB2_13550-.Lpost_getpc35446)>>32
	s_setpc_b64 s[14:15]
.LBB2_27888:
	v_mov_b32_e32 v4, 0
	v_cmp_ne_u16_sdwa s[8:9], v3, v4 src0_sel:BYTE_0 src1_sel:DWORD
	s_andn2_b64 s[4:5], s[4:5], exec
	s_and_b64 s[8:9], s[8:9], exec
	s_or_b64 s[4:5], s[4:5], s[8:9]
	s_or_b64 exec, exec, s[6:7]
	s_and_saveexec_b64 s[6:7], s[4:5]
	s_cbranch_execz .LBB2_35447
; %bb.63727:
	s_getpc_b64 s[14:15]
.Lpost_getpc35447:
	s_add_u32 s14, s14, (.LBB2_13551-.Lpost_getpc35447)&4294967295
	s_addc_u32 s15, s15, (.LBB2_13551-.Lpost_getpc35447)>>32
	s_setpc_b64 s[14:15]
.LBB2_35447:
	s_getpc_b64 s[14:15]
.Lpost_getpc21307:
	s_add_u32 s14, s14, (.LBB2_13552-.Lpost_getpc21307)&4294967295
	s_addc_u32 s15, s15, (.LBB2_13552-.Lpost_getpc21307)>>32
	s_setpc_b64 s[14:15]
.LBB2_27889:
	s_movk_i32 s4, 0x80
	v_cmp_eq_u16_e32 vcc, s4, v3
	s_mov_b64 s[4:5], -1
                                        ; implicit-def: $sgpr10
	s_and_saveexec_b64 s[8:9], vcc
; %bb.27890:
	s_mov_b32 s10, 0x7f800001
	s_xor_b64 s[4:5], exec, -1
; %bb.27891:
	s_or_b64 exec, exec, s[8:9]
	s_and_b64 s[4:5], s[4:5], exec
                                        ; implicit-def: $vgpr3
	s_or_saveexec_b64 s[6:7], s[6:7]
	v_mov_b32_e32 v2, s10
	s_xor_b64 exec, exec, s[6:7]
	s_cbranch_execnz .LBB2_27892
; %bb.63729:
	s_getpc_b64 s[14:15]
.Lpost_getpc35448:
	s_add_u32 s14, s14, (.LBB2_13554-.Lpost_getpc35448)&4294967295
	s_addc_u32 s15, s15, (.LBB2_13554-.Lpost_getpc35448)>>32
	s_setpc_b64 s[14:15]
.LBB2_27892:
	v_cmp_ne_u16_e32 vcc, 0, v3
	s_andn2_b64 s[4:5], s[4:5], exec
	s_and_b64 s[8:9], vcc, exec
	v_mov_b32_e32 v2, 0
	s_or_b64 s[4:5], s[4:5], s[8:9]
	s_or_b64 exec, exec, s[6:7]
	s_and_saveexec_b64 s[6:7], s[4:5]
	s_cbranch_execz .LBB2_35449
; %bb.63731:
	s_getpc_b64 s[14:15]
.Lpost_getpc35449:
	s_add_u32 s14, s14, (.LBB2_13555-.Lpost_getpc35449)&4294967295
	s_addc_u32 s15, s15, (.LBB2_13555-.Lpost_getpc35449)>>32
	s_setpc_b64 s[14:15]
.LBB2_35449:
	s_getpc_b64 s[14:15]
.Lpost_getpc21308:
	s_add_u32 s14, s14, (.LBB2_13556-.Lpost_getpc21308)&4294967295
	s_addc_u32 s15, s15, (.LBB2_13556-.Lpost_getpc21308)>>32
	s_setpc_b64 s[14:15]
.LBB2_27893:
	s_movk_i32 s4, 0x80
	v_cmp_eq_u16_e32 vcc, s4, v3
	s_mov_b64 s[4:5], -1
                                        ; implicit-def: $sgpr10
	s_and_saveexec_b64 s[8:9], vcc
; %bb.27894:
	s_mov_b32 s10, 0x7f800001
	s_xor_b64 s[4:5], exec, -1
; %bb.27895:
	s_or_b64 exec, exec, s[8:9]
	s_and_b64 s[4:5], s[4:5], exec
                                        ; implicit-def: $vgpr3
	s_or_saveexec_b64 s[6:7], s[6:7]
	v_mov_b32_e32 v4, s10
	s_xor_b64 exec, exec, s[6:7]
	s_cbranch_execnz .LBB2_27896
; %bb.63733:
	s_getpc_b64 s[14:15]
.Lpost_getpc35450:
	s_add_u32 s14, s14, (.LBB2_13558-.Lpost_getpc35450)&4294967295
	s_addc_u32 s15, s15, (.LBB2_13558-.Lpost_getpc35450)>>32
	s_setpc_b64 s[14:15]
.LBB2_27896:
	v_cmp_ne_u16_e32 vcc, 0, v3
	s_andn2_b64 s[4:5], s[4:5], exec
	s_and_b64 s[8:9], vcc, exec
	v_mov_b32_e32 v4, 0
	s_or_b64 s[4:5], s[4:5], s[8:9]
	s_or_b64 exec, exec, s[6:7]
	s_and_saveexec_b64 s[6:7], s[4:5]
	s_cbranch_execz .LBB2_35451
; %bb.63735:
	s_getpc_b64 s[14:15]
.Lpost_getpc35451:
	s_add_u32 s14, s14, (.LBB2_13559-.Lpost_getpc35451)&4294967295
	s_addc_u32 s15, s15, (.LBB2_13559-.Lpost_getpc35451)>>32
	s_setpc_b64 s[14:15]
.LBB2_35451:
	s_getpc_b64 s[14:15]
.Lpost_getpc21309:
	s_add_u32 s14, s14, (.LBB2_13560-.Lpost_getpc21309)&4294967295
	s_addc_u32 s15, s15, (.LBB2_13560-.Lpost_getpc21309)>>32
	s_setpc_b64 s[14:15]
.LBB2_27897:
	s_movk_i32 s4, 0x80
	v_cmp_eq_u16_sdwa s[12:13], v9, s4 src0_sel:BYTE_3 src1_sel:DWORD
	s_mov_b64 s[4:5], -1
                                        ; implicit-def: $sgpr10
	s_and_saveexec_b64 s[8:9], s[12:13]
; %bb.27898:
	s_mov_b32 s10, 0x7f800001
	s_xor_b64 s[4:5], exec, -1
; %bb.27899:
	s_or_b64 exec, exec, s[8:9]
	s_and_b64 s[4:5], s[4:5], exec
	s_or_saveexec_b64 s[6:7], s[6:7]
	v_mov_b32_e32 v2, s10
	s_xor_b64 exec, exec, s[6:7]
	s_cbranch_execnz .LBB2_27900
; %bb.63737:
	s_getpc_b64 s[14:15]
.Lpost_getpc35452:
	s_add_u32 s14, s14, (.LBB2_13562-.Lpost_getpc35452)&4294967295
	s_addc_u32 s15, s15, (.LBB2_13562-.Lpost_getpc35452)>>32
	s_setpc_b64 s[14:15]
.LBB2_27900:
	v_mov_b32_e32 v2, 0
	v_cmp_ne_u16_sdwa s[8:9], v9, v2 src0_sel:BYTE_3 src1_sel:DWORD
	s_andn2_b64 s[4:5], s[4:5], exec
	s_and_b64 s[8:9], s[8:9], exec
	s_or_b64 s[4:5], s[4:5], s[8:9]
	s_or_b64 exec, exec, s[6:7]
	s_and_saveexec_b64 s[6:7], s[4:5]
	s_cbranch_execz .LBB2_35453
; %bb.63739:
	s_getpc_b64 s[14:15]
.Lpost_getpc35453:
	s_add_u32 s14, s14, (.LBB2_13563-.Lpost_getpc35453)&4294967295
	s_addc_u32 s15, s15, (.LBB2_13563-.Lpost_getpc35453)>>32
	s_setpc_b64 s[14:15]
.LBB2_35453:
	s_getpc_b64 s[14:15]
.Lpost_getpc21310:
	s_add_u32 s14, s14, (.LBB2_13564-.Lpost_getpc21310)&4294967295
	s_addc_u32 s15, s15, (.LBB2_13564-.Lpost_getpc21310)>>32
	s_setpc_b64 s[14:15]
.LBB2_27901:
	s_movk_i32 s4, 0x80
	v_cmp_eq_u16_sdwa s[12:13], v5, s4 src0_sel:BYTE_3 src1_sel:DWORD
	s_mov_b64 s[4:5], -1
                                        ; implicit-def: $sgpr10
	s_and_saveexec_b64 s[8:9], s[12:13]
; %bb.27902:
	s_mov_b32 s10, 0x7f800001
	s_xor_b64 s[4:5], exec, -1
; %bb.27903:
	s_or_b64 exec, exec, s[8:9]
	s_and_b64 s[4:5], s[4:5], exec
	s_or_saveexec_b64 s[6:7], s[6:7]
	v_mov_b32_e32 v3, s10
	s_xor_b64 exec, exec, s[6:7]
	s_cbranch_execnz .LBB2_27904
; %bb.63741:
	s_getpc_b64 s[14:15]
.Lpost_getpc35454:
	s_add_u32 s14, s14, (.LBB2_13566-.Lpost_getpc35454)&4294967295
	s_addc_u32 s15, s15, (.LBB2_13566-.Lpost_getpc35454)>>32
	s_setpc_b64 s[14:15]
.LBB2_27904:
	v_mov_b32_e32 v3, 0
	v_cmp_ne_u16_sdwa s[8:9], v5, v3 src0_sel:BYTE_3 src1_sel:DWORD
	s_andn2_b64 s[4:5], s[4:5], exec
	s_and_b64 s[8:9], s[8:9], exec
	s_or_b64 s[4:5], s[4:5], s[8:9]
	s_or_b64 exec, exec, s[6:7]
	s_and_saveexec_b64 s[6:7], s[4:5]
	s_cbranch_execz .LBB2_35455
; %bb.63743:
	s_getpc_b64 s[14:15]
.Lpost_getpc35455:
	s_add_u32 s14, s14, (.LBB2_13567-.Lpost_getpc35455)&4294967295
	s_addc_u32 s15, s15, (.LBB2_13567-.Lpost_getpc35455)>>32
	s_setpc_b64 s[14:15]
.LBB2_35455:
	s_getpc_b64 s[14:15]
.Lpost_getpc21311:
	s_add_u32 s14, s14, (.LBB2_13568-.Lpost_getpc21311)&4294967295
	s_addc_u32 s15, s15, (.LBB2_13568-.Lpost_getpc21311)>>32
	s_setpc_b64 s[14:15]
.LBB2_27905:
	s_movk_i32 s4, 0x80
	v_cmp_eq_u16_sdwa s[12:13], v6, s4 src0_sel:BYTE_0 src1_sel:DWORD
	s_mov_b64 s[4:5], -1
                                        ; implicit-def: $sgpr10
	s_and_saveexec_b64 s[8:9], s[12:13]
; %bb.27906:
	s_mov_b32 s10, 0x7f800001
	s_xor_b64 s[4:5], exec, -1
; %bb.27907:
	s_or_b64 exec, exec, s[8:9]
	s_and_b64 s[4:5], s[4:5], exec
	s_or_saveexec_b64 s[6:7], s[6:7]
	v_mov_b32_e32 v12, s10
	s_xor_b64 exec, exec, s[6:7]
	s_cbranch_execnz .LBB2_27908
; %bb.63745:
	s_getpc_b64 s[14:15]
.Lpost_getpc35456:
	s_add_u32 s14, s14, (.LBB2_13570-.Lpost_getpc35456)&4294967295
	s_addc_u32 s15, s15, (.LBB2_13570-.Lpost_getpc35456)>>32
	s_setpc_b64 s[14:15]
.LBB2_27908:
	v_mov_b32_e32 v12, 0
	v_cmp_ne_u16_sdwa s[8:9], v6, v12 src0_sel:BYTE_0 src1_sel:DWORD
	s_andn2_b64 s[4:5], s[4:5], exec
	s_and_b64 s[8:9], s[8:9], exec
	s_or_b64 s[4:5], s[4:5], s[8:9]
	s_or_b64 exec, exec, s[6:7]
	s_and_saveexec_b64 s[6:7], s[4:5]
	s_cbranch_execz .LBB2_35457
; %bb.63747:
	s_getpc_b64 s[14:15]
.Lpost_getpc35457:
	s_add_u32 s14, s14, (.LBB2_13571-.Lpost_getpc35457)&4294967295
	s_addc_u32 s15, s15, (.LBB2_13571-.Lpost_getpc35457)>>32
	s_setpc_b64 s[14:15]
.LBB2_35457:
	s_getpc_b64 s[14:15]
.Lpost_getpc21312:
	s_add_u32 s14, s14, (.LBB2_13572-.Lpost_getpc21312)&4294967295
	s_addc_u32 s15, s15, (.LBB2_13572-.Lpost_getpc21312)>>32
	s_setpc_b64 s[14:15]
.LBB2_27909:
	s_movk_i32 s4, 0x80
	v_cmp_eq_u16_sdwa s[12:13], v2, s4 src0_sel:BYTE_0 src1_sel:DWORD
	s_mov_b64 s[4:5], -1
                                        ; implicit-def: $sgpr10
	s_and_saveexec_b64 s[8:9], s[12:13]
; %bb.27910:
	s_mov_b32 s10, 0x7f800001
	s_xor_b64 s[4:5], exec, -1
; %bb.27911:
	s_or_b64 exec, exec, s[8:9]
	s_and_b64 s[4:5], s[4:5], exec
	s_or_saveexec_b64 s[6:7], s[6:7]
	v_mov_b32_e32 v13, s10
	s_xor_b64 exec, exec, s[6:7]
	s_cbranch_execnz .LBB2_27912
; %bb.63749:
	s_getpc_b64 s[14:15]
.Lpost_getpc35458:
	s_add_u32 s14, s14, (.LBB2_13574-.Lpost_getpc35458)&4294967295
	s_addc_u32 s15, s15, (.LBB2_13574-.Lpost_getpc35458)>>32
	s_setpc_b64 s[14:15]
.LBB2_27912:
	v_mov_b32_e32 v13, 0
	v_cmp_ne_u16_sdwa s[8:9], v2, v13 src0_sel:BYTE_0 src1_sel:DWORD
	s_andn2_b64 s[4:5], s[4:5], exec
	s_and_b64 s[8:9], s[8:9], exec
	s_or_b64 s[4:5], s[4:5], s[8:9]
	s_or_b64 exec, exec, s[6:7]
	s_and_saveexec_b64 s[6:7], s[4:5]
	s_cbranch_execz .LBB2_35459
; %bb.63751:
	s_getpc_b64 s[14:15]
.Lpost_getpc35459:
	s_add_u32 s14, s14, (.LBB2_13575-.Lpost_getpc35459)&4294967295
	s_addc_u32 s15, s15, (.LBB2_13575-.Lpost_getpc35459)>>32
	s_setpc_b64 s[14:15]
.LBB2_35459:
	s_getpc_b64 s[14:15]
.Lpost_getpc21313:
	s_add_u32 s14, s14, (.LBB2_13576-.Lpost_getpc21313)&4294967295
	s_addc_u32 s15, s15, (.LBB2_13576-.Lpost_getpc21313)>>32
	s_setpc_b64 s[14:15]
.LBB2_27913:
	s_movk_i32 s4, 0x80
	v_cmp_eq_u16_sdwa s[12:13], v13, s4 src0_sel:BYTE_0 src1_sel:DWORD
	s_mov_b64 s[4:5], -1
                                        ; implicit-def: $sgpr10
	s_and_saveexec_b64 s[8:9], s[12:13]
; %bb.27914:
	s_mov_b32 s10, 0x7f800001
	s_xor_b64 s[4:5], exec, -1
; %bb.27915:
	s_or_b64 exec, exec, s[8:9]
	s_and_b64 s[4:5], s[4:5], exec
	s_or_saveexec_b64 s[6:7], s[6:7]
	v_mov_b32_e32 v12, s10
	s_xor_b64 exec, exec, s[6:7]
	s_cbranch_execnz .LBB2_27916
; %bb.63753:
	s_getpc_b64 s[14:15]
.Lpost_getpc35460:
	s_add_u32 s14, s14, (.LBB2_13578-.Lpost_getpc35460)&4294967295
	s_addc_u32 s15, s15, (.LBB2_13578-.Lpost_getpc35460)>>32
	s_setpc_b64 s[14:15]
.LBB2_27916:
	v_mov_b32_e32 v12, 0
	v_cmp_ne_u16_sdwa s[8:9], v13, v12 src0_sel:BYTE_0 src1_sel:DWORD
	s_andn2_b64 s[4:5], s[4:5], exec
	s_and_b64 s[8:9], s[8:9], exec
	s_or_b64 s[4:5], s[4:5], s[8:9]
	s_or_b64 exec, exec, s[6:7]
	s_and_saveexec_b64 s[6:7], s[4:5]
	s_cbranch_execz .LBB2_35461
; %bb.63755:
	s_getpc_b64 s[14:15]
.Lpost_getpc35461:
	s_add_u32 s14, s14, (.LBB2_13579-.Lpost_getpc35461)&4294967295
	s_addc_u32 s15, s15, (.LBB2_13579-.Lpost_getpc35461)>>32
	s_setpc_b64 s[14:15]
.LBB2_35461:
	s_getpc_b64 s[14:15]
.Lpost_getpc21314:
	s_add_u32 s14, s14, (.LBB2_13580-.Lpost_getpc21314)&4294967295
	s_addc_u32 s15, s15, (.LBB2_13580-.Lpost_getpc21314)>>32
	s_setpc_b64 s[14:15]
.LBB2_27917:
	s_movk_i32 s4, 0x80
	v_cmp_eq_u16_sdwa s[12:13], v13, s4 src0_sel:BYTE_0 src1_sel:DWORD
	s_mov_b64 s[4:5], -1
                                        ; implicit-def: $sgpr10
	s_and_saveexec_b64 s[8:9], s[12:13]
; %bb.27918:
	s_mov_b32 s10, 0x7f800001
	s_xor_b64 s[4:5], exec, -1
; %bb.27919:
	s_or_b64 exec, exec, s[8:9]
	s_and_b64 s[4:5], s[4:5], exec
	s_or_saveexec_b64 s[6:7], s[6:7]
	v_mov_b32_e32 v14, s10
	s_xor_b64 exec, exec, s[6:7]
	s_cbranch_execnz .LBB2_27920
; %bb.63757:
	s_getpc_b64 s[14:15]
.Lpost_getpc35462:
	s_add_u32 s14, s14, (.LBB2_13582-.Lpost_getpc35462)&4294967295
	s_addc_u32 s15, s15, (.LBB2_13582-.Lpost_getpc35462)>>32
	s_setpc_b64 s[14:15]
.LBB2_27920:
	v_mov_b32_e32 v14, 0
	v_cmp_ne_u16_sdwa s[8:9], v13, v14 src0_sel:BYTE_0 src1_sel:DWORD
	s_andn2_b64 s[4:5], s[4:5], exec
	s_and_b64 s[8:9], s[8:9], exec
	s_or_b64 s[4:5], s[4:5], s[8:9]
	s_or_b64 exec, exec, s[6:7]
	s_and_saveexec_b64 s[6:7], s[4:5]
	s_cbranch_execz .LBB2_35463
; %bb.63759:
	s_getpc_b64 s[14:15]
.Lpost_getpc35463:
	s_add_u32 s14, s14, (.LBB2_13583-.Lpost_getpc35463)&4294967295
	s_addc_u32 s15, s15, (.LBB2_13583-.Lpost_getpc35463)>>32
	s_setpc_b64 s[14:15]
.LBB2_35463:
	s_getpc_b64 s[14:15]
.Lpost_getpc21315:
	s_add_u32 s14, s14, (.LBB2_13584-.Lpost_getpc21315)&4294967295
	s_addc_u32 s15, s15, (.LBB2_13584-.Lpost_getpc21315)>>32
	s_setpc_b64 s[14:15]
.LBB2_27921:
	s_movk_i32 s4, 0x80
	v_cmp_eq_u16_e32 vcc, s4, v13
	s_mov_b64 s[4:5], -1
                                        ; implicit-def: $sgpr10
	s_and_saveexec_b64 s[8:9], vcc
; %bb.27922:
	s_mov_b32 s10, 0x7f800001
	s_xor_b64 s[4:5], exec, -1
; %bb.27923:
	s_or_b64 exec, exec, s[8:9]
	s_and_b64 s[4:5], s[4:5], exec
                                        ; implicit-def: $vgpr13
	s_or_saveexec_b64 s[6:7], s[6:7]
	v_mov_b32_e32 v12, s10
	s_xor_b64 exec, exec, s[6:7]
	s_cbranch_execnz .LBB2_27924
; %bb.63761:
	s_getpc_b64 s[14:15]
.Lpost_getpc35464:
	s_add_u32 s14, s14, (.LBB2_13586-.Lpost_getpc35464)&4294967295
	s_addc_u32 s15, s15, (.LBB2_13586-.Lpost_getpc35464)>>32
	s_setpc_b64 s[14:15]
.LBB2_27924:
	v_cmp_ne_u16_e32 vcc, 0, v13
	s_andn2_b64 s[4:5], s[4:5], exec
	s_and_b64 s[8:9], vcc, exec
	v_mov_b32_e32 v12, 0
	s_or_b64 s[4:5], s[4:5], s[8:9]
	s_or_b64 exec, exec, s[6:7]
	s_and_saveexec_b64 s[6:7], s[4:5]
	s_cbranch_execz .LBB2_35465
; %bb.63763:
	s_getpc_b64 s[14:15]
.Lpost_getpc35465:
	s_add_u32 s14, s14, (.LBB2_13587-.Lpost_getpc35465)&4294967295
	s_addc_u32 s15, s15, (.LBB2_13587-.Lpost_getpc35465)>>32
	s_setpc_b64 s[14:15]
.LBB2_35465:
	s_getpc_b64 s[14:15]
.Lpost_getpc21316:
	s_add_u32 s14, s14, (.LBB2_13588-.Lpost_getpc21316)&4294967295
	s_addc_u32 s15, s15, (.LBB2_13588-.Lpost_getpc21316)>>32
	s_setpc_b64 s[14:15]
.LBB2_27925:
	s_movk_i32 s4, 0x80
	v_cmp_eq_u16_e32 vcc, s4, v13
	s_mov_b64 s[4:5], -1
                                        ; implicit-def: $sgpr10
	s_and_saveexec_b64 s[8:9], vcc
; %bb.27926:
	s_mov_b32 s10, 0x7f800001
	s_xor_b64 s[4:5], exec, -1
; %bb.27927:
	s_or_b64 exec, exec, s[8:9]
	s_and_b64 s[4:5], s[4:5], exec
                                        ; implicit-def: $vgpr13
	s_or_saveexec_b64 s[6:7], s[6:7]
	v_mov_b32_e32 v14, s10
	s_xor_b64 exec, exec, s[6:7]
	s_cbranch_execnz .LBB2_27928
; %bb.63765:
	s_getpc_b64 s[14:15]
.Lpost_getpc35466:
	s_add_u32 s14, s14, (.LBB2_13590-.Lpost_getpc35466)&4294967295
	s_addc_u32 s15, s15, (.LBB2_13590-.Lpost_getpc35466)>>32
	s_setpc_b64 s[14:15]
.LBB2_27928:
	v_cmp_ne_u16_e32 vcc, 0, v13
	s_andn2_b64 s[4:5], s[4:5], exec
	s_and_b64 s[8:9], vcc, exec
	v_mov_b32_e32 v14, 0
	s_or_b64 s[4:5], s[4:5], s[8:9]
	s_or_b64 exec, exec, s[6:7]
	s_and_saveexec_b64 s[6:7], s[4:5]
	s_cbranch_execz .LBB2_35467
; %bb.63767:
	s_getpc_b64 s[14:15]
.Lpost_getpc35467:
	s_add_u32 s14, s14, (.LBB2_13591-.Lpost_getpc35467)&4294967295
	s_addc_u32 s15, s15, (.LBB2_13591-.Lpost_getpc35467)>>32
	s_setpc_b64 s[14:15]
.LBB2_35467:
	s_getpc_b64 s[14:15]
.Lpost_getpc21317:
	s_add_u32 s14, s14, (.LBB2_13592-.Lpost_getpc21317)&4294967295
	s_addc_u32 s15, s15, (.LBB2_13592-.Lpost_getpc21317)>>32
	s_setpc_b64 s[14:15]
.LBB2_27929:
	s_movk_i32 s4, 0x80
	v_cmp_eq_u16_sdwa s[12:13], v6, s4 src0_sel:BYTE_3 src1_sel:DWORD
	s_mov_b64 s[4:5], -1
                                        ; implicit-def: $sgpr10
	s_and_saveexec_b64 s[8:9], s[12:13]
; %bb.27930:
	s_mov_b32 s10, 0x7f800001
	s_xor_b64 s[4:5], exec, -1
; %bb.27931:
	s_or_b64 exec, exec, s[8:9]
	s_and_b64 s[4:5], s[4:5], exec
	s_or_saveexec_b64 s[6:7], s[6:7]
	v_mov_b32_e32 v12, s10
	s_xor_b64 exec, exec, s[6:7]
	s_cbranch_execnz .LBB2_27932
; %bb.63769:
	s_getpc_b64 s[14:15]
.Lpost_getpc35468:
	s_add_u32 s14, s14, (.LBB2_13594-.Lpost_getpc35468)&4294967295
	s_addc_u32 s15, s15, (.LBB2_13594-.Lpost_getpc35468)>>32
	s_setpc_b64 s[14:15]
.LBB2_27932:
	v_mov_b32_e32 v12, 0
	v_cmp_ne_u16_sdwa s[8:9], v6, v12 src0_sel:BYTE_3 src1_sel:DWORD
	s_andn2_b64 s[4:5], s[4:5], exec
	s_and_b64 s[8:9], s[8:9], exec
	s_or_b64 s[4:5], s[4:5], s[8:9]
	s_or_b64 exec, exec, s[6:7]
	s_and_saveexec_b64 s[6:7], s[4:5]
	s_cbranch_execz .LBB2_35469
; %bb.63771:
	s_getpc_b64 s[14:15]
.Lpost_getpc35469:
	s_add_u32 s14, s14, (.LBB2_13595-.Lpost_getpc35469)&4294967295
	s_addc_u32 s15, s15, (.LBB2_13595-.Lpost_getpc35469)>>32
	s_setpc_b64 s[14:15]
.LBB2_35469:
	s_getpc_b64 s[14:15]
.Lpost_getpc21318:
	s_add_u32 s14, s14, (.LBB2_13596-.Lpost_getpc21318)&4294967295
	s_addc_u32 s15, s15, (.LBB2_13596-.Lpost_getpc21318)>>32
	s_setpc_b64 s[14:15]
.LBB2_27933:
	s_movk_i32 s4, 0x80
	v_cmp_eq_u16_sdwa s[12:13], v2, s4 src0_sel:BYTE_3 src1_sel:DWORD
	s_mov_b64 s[4:5], -1
                                        ; implicit-def: $sgpr10
	s_and_saveexec_b64 s[8:9], s[12:13]
; %bb.27934:
	s_mov_b32 s10, 0x7f800001
	s_xor_b64 s[4:5], exec, -1
; %bb.27935:
	s_or_b64 exec, exec, s[8:9]
	s_and_b64 s[4:5], s[4:5], exec
	s_or_saveexec_b64 s[6:7], s[6:7]
	v_mov_b32_e32 v6, s10
	s_xor_b64 exec, exec, s[6:7]
	s_cbranch_execnz .LBB2_27936
; %bb.63773:
	s_getpc_b64 s[14:15]
.Lpost_getpc35470:
	s_add_u32 s14, s14, (.LBB2_13598-.Lpost_getpc35470)&4294967295
	s_addc_u32 s15, s15, (.LBB2_13598-.Lpost_getpc35470)>>32
	s_setpc_b64 s[14:15]
.LBB2_27936:
	v_mov_b32_e32 v6, 0
	v_cmp_ne_u16_sdwa s[8:9], v2, v6 src0_sel:BYTE_3 src1_sel:DWORD
	s_andn2_b64 s[4:5], s[4:5], exec
	s_and_b64 s[8:9], s[8:9], exec
	s_or_b64 s[4:5], s[4:5], s[8:9]
	s_or_b64 exec, exec, s[6:7]
	s_and_saveexec_b64 s[6:7], s[4:5]
	s_cbranch_execz .LBB2_35471
; %bb.63775:
	s_getpc_b64 s[14:15]
.Lpost_getpc35471:
	s_add_u32 s14, s14, (.LBB2_13599-.Lpost_getpc35471)&4294967295
	s_addc_u32 s15, s15, (.LBB2_13599-.Lpost_getpc35471)>>32
	s_setpc_b64 s[14:15]
.LBB2_35471:
	s_getpc_b64 s[14:15]
.Lpost_getpc21319:
	s_add_u32 s14, s14, (.LBB2_13600-.Lpost_getpc21319)&4294967295
	s_addc_u32 s15, s15, (.LBB2_13600-.Lpost_getpc21319)>>32
	s_setpc_b64 s[14:15]
.LBB2_27937:
	s_movk_i32 s4, 0x80
	v_cmp_eq_u16_sdwa s[12:13], v7, s4 src0_sel:BYTE_0 src1_sel:DWORD
	s_mov_b64 s[4:5], -1
                                        ; implicit-def: $sgpr10
	s_and_saveexec_b64 s[8:9], s[12:13]
; %bb.27938:
	s_mov_b32 s10, 0x7f800001
	s_xor_b64 s[4:5], exec, -1
; %bb.27939:
	s_or_b64 exec, exec, s[8:9]
	s_and_b64 s[4:5], s[4:5], exec
	s_or_saveexec_b64 s[6:7], s[6:7]
	v_mov_b32_e32 v2, s10
	s_xor_b64 exec, exec, s[6:7]
	s_cbranch_execnz .LBB2_27940
; %bb.63777:
	s_getpc_b64 s[14:15]
.Lpost_getpc35472:
	s_add_u32 s14, s14, (.LBB2_13602-.Lpost_getpc35472)&4294967295
	s_addc_u32 s15, s15, (.LBB2_13602-.Lpost_getpc35472)>>32
	s_setpc_b64 s[14:15]
.LBB2_27940:
	v_mov_b32_e32 v2, 0
	v_cmp_ne_u16_sdwa s[8:9], v7, v2 src0_sel:BYTE_0 src1_sel:DWORD
	s_andn2_b64 s[4:5], s[4:5], exec
	s_and_b64 s[8:9], s[8:9], exec
	s_or_b64 s[4:5], s[4:5], s[8:9]
	s_or_b64 exec, exec, s[6:7]
	s_and_saveexec_b64 s[6:7], s[4:5]
	s_cbranch_execz .LBB2_35473
; %bb.63779:
	s_getpc_b64 s[14:15]
.Lpost_getpc35473:
	s_add_u32 s14, s14, (.LBB2_13603-.Lpost_getpc35473)&4294967295
	s_addc_u32 s15, s15, (.LBB2_13603-.Lpost_getpc35473)>>32
	s_setpc_b64 s[14:15]
.LBB2_35473:
	s_getpc_b64 s[14:15]
.Lpost_getpc21320:
	s_add_u32 s14, s14, (.LBB2_13604-.Lpost_getpc21320)&4294967295
	s_addc_u32 s15, s15, (.LBB2_13604-.Lpost_getpc21320)>>32
	s_setpc_b64 s[14:15]
.LBB2_27941:
	s_movk_i32 s4, 0x80
	v_cmp_eq_u16_sdwa s[12:13], v3, s4 src0_sel:BYTE_0 src1_sel:DWORD
	s_mov_b64 s[4:5], -1
                                        ; implicit-def: $sgpr10
	s_and_saveexec_b64 s[8:9], s[12:13]
; %bb.27942:
	s_mov_b32 s10, 0x7f800001
	s_xor_b64 s[4:5], exec, -1
; %bb.27943:
	s_or_b64 exec, exec, s[8:9]
	s_and_b64 s[4:5], s[4:5], exec
	s_or_saveexec_b64 s[6:7], s[6:7]
	v_mov_b32_e32 v6, s10
	s_xor_b64 exec, exec, s[6:7]
	s_cbranch_execnz .LBB2_27944
; %bb.63781:
	s_getpc_b64 s[14:15]
.Lpost_getpc35474:
	s_add_u32 s14, s14, (.LBB2_13606-.Lpost_getpc35474)&4294967295
	s_addc_u32 s15, s15, (.LBB2_13606-.Lpost_getpc35474)>>32
	s_setpc_b64 s[14:15]
.LBB2_27944:
	v_mov_b32_e32 v6, 0
	v_cmp_ne_u16_sdwa s[8:9], v3, v6 src0_sel:BYTE_0 src1_sel:DWORD
	s_andn2_b64 s[4:5], s[4:5], exec
	s_and_b64 s[8:9], s[8:9], exec
	s_or_b64 s[4:5], s[4:5], s[8:9]
	s_or_b64 exec, exec, s[6:7]
	s_and_saveexec_b64 s[6:7], s[4:5]
	s_cbranch_execz .LBB2_35475
; %bb.63783:
	s_getpc_b64 s[14:15]
.Lpost_getpc35475:
	s_add_u32 s14, s14, (.LBB2_13607-.Lpost_getpc35475)&4294967295
	s_addc_u32 s15, s15, (.LBB2_13607-.Lpost_getpc35475)>>32
	s_setpc_b64 s[14:15]
.LBB2_35475:
	s_getpc_b64 s[14:15]
.Lpost_getpc21321:
	s_add_u32 s14, s14, (.LBB2_13608-.Lpost_getpc21321)&4294967295
	s_addc_u32 s15, s15, (.LBB2_13608-.Lpost_getpc21321)>>32
	s_setpc_b64 s[14:15]
.LBB2_27945:
	s_movk_i32 s4, 0x80
	v_cmp_eq_u16_sdwa s[12:13], v6, s4 src0_sel:BYTE_0 src1_sel:DWORD
	s_mov_b64 s[4:5], -1
                                        ; implicit-def: $sgpr10
	s_and_saveexec_b64 s[8:9], s[12:13]
; %bb.27946:
	s_mov_b32 s10, 0x7f800001
	s_xor_b64 s[4:5], exec, -1
; %bb.27947:
	s_or_b64 exec, exec, s[8:9]
	s_and_b64 s[4:5], s[4:5], exec
	s_or_saveexec_b64 s[6:7], s[6:7]
	v_mov_b32_e32 v2, s10
	s_xor_b64 exec, exec, s[6:7]
	s_cbranch_execnz .LBB2_27948
; %bb.63785:
	s_getpc_b64 s[14:15]
.Lpost_getpc35476:
	s_add_u32 s14, s14, (.LBB2_13610-.Lpost_getpc35476)&4294967295
	s_addc_u32 s15, s15, (.LBB2_13610-.Lpost_getpc35476)>>32
	s_setpc_b64 s[14:15]
.LBB2_27948:
	v_mov_b32_e32 v2, 0
	v_cmp_ne_u16_sdwa s[8:9], v6, v2 src0_sel:BYTE_0 src1_sel:DWORD
	s_andn2_b64 s[4:5], s[4:5], exec
	s_and_b64 s[8:9], s[8:9], exec
	s_or_b64 s[4:5], s[4:5], s[8:9]
	s_or_b64 exec, exec, s[6:7]
	s_and_saveexec_b64 s[6:7], s[4:5]
	s_cbranch_execz .LBB2_35477
; %bb.63787:
	s_getpc_b64 s[14:15]
.Lpost_getpc35477:
	s_add_u32 s14, s14, (.LBB2_13611-.Lpost_getpc35477)&4294967295
	s_addc_u32 s15, s15, (.LBB2_13611-.Lpost_getpc35477)>>32
	s_setpc_b64 s[14:15]
.LBB2_35477:
	s_getpc_b64 s[14:15]
.Lpost_getpc21322:
	s_add_u32 s14, s14, (.LBB2_13612-.Lpost_getpc21322)&4294967295
	s_addc_u32 s15, s15, (.LBB2_13612-.Lpost_getpc21322)>>32
	s_setpc_b64 s[14:15]
.LBB2_27949:
	s_movk_i32 s4, 0x80
	v_cmp_eq_u16_sdwa s[12:13], v6, s4 src0_sel:BYTE_0 src1_sel:DWORD
	s_mov_b64 s[4:5], -1
                                        ; implicit-def: $sgpr10
	s_and_saveexec_b64 s[8:9], s[12:13]
; %bb.27950:
	s_mov_b32 s10, 0x7f800001
	s_xor_b64 s[4:5], exec, -1
; %bb.27951:
	s_or_b64 exec, exec, s[8:9]
	s_and_b64 s[4:5], s[4:5], exec
	s_or_saveexec_b64 s[6:7], s[6:7]
	v_mov_b32_e32 v12, s10
	s_xor_b64 exec, exec, s[6:7]
	s_cbranch_execnz .LBB2_27952
; %bb.63789:
	s_getpc_b64 s[14:15]
.Lpost_getpc35478:
	s_add_u32 s14, s14, (.LBB2_13614-.Lpost_getpc35478)&4294967295
	s_addc_u32 s15, s15, (.LBB2_13614-.Lpost_getpc35478)>>32
	s_setpc_b64 s[14:15]
.LBB2_27952:
	v_mov_b32_e32 v12, 0
	v_cmp_ne_u16_sdwa s[8:9], v6, v12 src0_sel:BYTE_0 src1_sel:DWORD
	s_andn2_b64 s[4:5], s[4:5], exec
	s_and_b64 s[8:9], s[8:9], exec
	s_or_b64 s[4:5], s[4:5], s[8:9]
	s_or_b64 exec, exec, s[6:7]
	s_and_saveexec_b64 s[6:7], s[4:5]
	s_cbranch_execz .LBB2_35479
; %bb.63791:
	s_getpc_b64 s[14:15]
.Lpost_getpc35479:
	s_add_u32 s14, s14, (.LBB2_13615-.Lpost_getpc35479)&4294967295
	s_addc_u32 s15, s15, (.LBB2_13615-.Lpost_getpc35479)>>32
	s_setpc_b64 s[14:15]
.LBB2_35479:
	s_getpc_b64 s[14:15]
.Lpost_getpc21323:
	s_add_u32 s14, s14, (.LBB2_13616-.Lpost_getpc21323)&4294967295
	s_addc_u32 s15, s15, (.LBB2_13616-.Lpost_getpc21323)>>32
	s_setpc_b64 s[14:15]
.LBB2_27953:
	s_movk_i32 s4, 0x80
	v_cmp_eq_u16_e32 vcc, s4, v6
	s_mov_b64 s[4:5], -1
                                        ; implicit-def: $sgpr10
	s_and_saveexec_b64 s[8:9], vcc
; %bb.27954:
	s_mov_b32 s10, 0x7f800001
	s_xor_b64 s[4:5], exec, -1
; %bb.27955:
	s_or_b64 exec, exec, s[8:9]
	s_and_b64 s[4:5], s[4:5], exec
                                        ; implicit-def: $vgpr6
	s_or_saveexec_b64 s[6:7], s[6:7]
	v_mov_b32_e32 v2, s10
	s_xor_b64 exec, exec, s[6:7]
	s_cbranch_execnz .LBB2_27956
; %bb.63793:
	s_getpc_b64 s[14:15]
.Lpost_getpc35480:
	s_add_u32 s14, s14, (.LBB2_13618-.Lpost_getpc35480)&4294967295
	s_addc_u32 s15, s15, (.LBB2_13618-.Lpost_getpc35480)>>32
	s_setpc_b64 s[14:15]
.LBB2_27956:
	v_cmp_ne_u16_e32 vcc, 0, v6
	s_andn2_b64 s[4:5], s[4:5], exec
	s_and_b64 s[8:9], vcc, exec
	v_mov_b32_e32 v2, 0
	s_or_b64 s[4:5], s[4:5], s[8:9]
	s_or_b64 exec, exec, s[6:7]
	s_and_saveexec_b64 s[6:7], s[4:5]
	s_cbranch_execz .LBB2_35481
; %bb.63795:
	s_getpc_b64 s[14:15]
.Lpost_getpc35481:
	s_add_u32 s14, s14, (.LBB2_13619-.Lpost_getpc35481)&4294967295
	s_addc_u32 s15, s15, (.LBB2_13619-.Lpost_getpc35481)>>32
	s_setpc_b64 s[14:15]
.LBB2_35481:
	s_getpc_b64 s[14:15]
.Lpost_getpc21324:
	s_add_u32 s14, s14, (.LBB2_13620-.Lpost_getpc21324)&4294967295
	s_addc_u32 s15, s15, (.LBB2_13620-.Lpost_getpc21324)>>32
	s_setpc_b64 s[14:15]
.LBB2_27957:
	s_movk_i32 s4, 0x80
	v_cmp_eq_u16_e32 vcc, s4, v6
	s_mov_b64 s[4:5], -1
                                        ; implicit-def: $sgpr10
	s_and_saveexec_b64 s[8:9], vcc
; %bb.27958:
	s_mov_b32 s10, 0x7f800001
	s_xor_b64 s[4:5], exec, -1
; %bb.27959:
	s_or_b64 exec, exec, s[8:9]
	s_and_b64 s[4:5], s[4:5], exec
                                        ; implicit-def: $vgpr6
	s_or_saveexec_b64 s[6:7], s[6:7]
	v_mov_b32_e32 v12, s10
	s_xor_b64 exec, exec, s[6:7]
	s_cbranch_execnz .LBB2_27960
; %bb.63797:
	s_getpc_b64 s[14:15]
.Lpost_getpc35482:
	s_add_u32 s14, s14, (.LBB2_13622-.Lpost_getpc35482)&4294967295
	s_addc_u32 s15, s15, (.LBB2_13622-.Lpost_getpc35482)>>32
	s_setpc_b64 s[14:15]
.LBB2_27960:
	v_cmp_ne_u16_e32 vcc, 0, v6
	s_andn2_b64 s[4:5], s[4:5], exec
	s_and_b64 s[8:9], vcc, exec
	v_mov_b32_e32 v12, 0
	s_or_b64 s[4:5], s[4:5], s[8:9]
	s_or_b64 exec, exec, s[6:7]
	s_and_saveexec_b64 s[6:7], s[4:5]
	s_cbranch_execz .LBB2_35483
; %bb.63799:
	s_getpc_b64 s[14:15]
.Lpost_getpc35483:
	s_add_u32 s14, s14, (.LBB2_13623-.Lpost_getpc35483)&4294967295
	s_addc_u32 s15, s15, (.LBB2_13623-.Lpost_getpc35483)>>32
	s_setpc_b64 s[14:15]
.LBB2_35483:
	s_getpc_b64 s[14:15]
.Lpost_getpc21325:
	s_add_u32 s14, s14, (.LBB2_13624-.Lpost_getpc21325)&4294967295
	s_addc_u32 s15, s15, (.LBB2_13624-.Lpost_getpc21325)>>32
	s_setpc_b64 s[14:15]
.LBB2_27961:
	s_movk_i32 s4, 0x80
	v_cmp_eq_u16_sdwa s[12:13], v7, s4 src0_sel:BYTE_3 src1_sel:DWORD
	s_mov_b64 s[4:5], -1
                                        ; implicit-def: $sgpr10
	s_and_saveexec_b64 s[8:9], s[12:13]
; %bb.27962:
	s_mov_b32 s10, 0x7f800001
	s_xor_b64 s[4:5], exec, -1
; %bb.27963:
	s_or_b64 exec, exec, s[8:9]
	s_and_b64 s[4:5], s[4:5], exec
	s_or_saveexec_b64 s[6:7], s[6:7]
	v_mov_b32_e32 v2, s10
	s_xor_b64 exec, exec, s[6:7]
	s_cbranch_execnz .LBB2_27964
; %bb.63801:
	s_getpc_b64 s[14:15]
.Lpost_getpc35484:
	s_add_u32 s14, s14, (.LBB2_13626-.Lpost_getpc35484)&4294967295
	s_addc_u32 s15, s15, (.LBB2_13626-.Lpost_getpc35484)>>32
	s_setpc_b64 s[14:15]
.LBB2_27964:
	v_mov_b32_e32 v2, 0
	v_cmp_ne_u16_sdwa s[8:9], v7, v2 src0_sel:BYTE_3 src1_sel:DWORD
	s_andn2_b64 s[4:5], s[4:5], exec
	s_and_b64 s[8:9], s[8:9], exec
	s_or_b64 s[4:5], s[4:5], s[8:9]
	s_or_b64 exec, exec, s[6:7]
	s_and_saveexec_b64 s[6:7], s[4:5]
	s_cbranch_execz .LBB2_35485
; %bb.63803:
	s_getpc_b64 s[14:15]
.Lpost_getpc35485:
	s_add_u32 s14, s14, (.LBB2_13627-.Lpost_getpc35485)&4294967295
	s_addc_u32 s15, s15, (.LBB2_13627-.Lpost_getpc35485)>>32
	s_setpc_b64 s[14:15]
.LBB2_35485:
	s_getpc_b64 s[14:15]
.Lpost_getpc21326:
	s_add_u32 s14, s14, (.LBB2_13628-.Lpost_getpc21326)&4294967295
	s_addc_u32 s15, s15, (.LBB2_13628-.Lpost_getpc21326)>>32
	s_setpc_b64 s[14:15]
.LBB2_27965:
	s_movk_i32 s4, 0x80
	v_cmp_eq_u16_sdwa s[12:13], v3, s4 src0_sel:BYTE_3 src1_sel:DWORD
	s_mov_b64 s[4:5], -1
                                        ; implicit-def: $sgpr10
	s_and_saveexec_b64 s[8:9], s[12:13]
; %bb.27966:
	s_mov_b32 s10, 0x7f800001
	s_xor_b64 s[4:5], exec, -1
; %bb.27967:
	s_or_b64 exec, exec, s[8:9]
	s_and_b64 s[4:5], s[4:5], exec
	s_or_saveexec_b64 s[6:7], s[6:7]
	v_mov_b32_e32 v6, s10
	s_xor_b64 exec, exec, s[6:7]
	s_cbranch_execnz .LBB2_27968
; %bb.63805:
	s_getpc_b64 s[14:15]
.Lpost_getpc35486:
	s_add_u32 s14, s14, (.LBB2_13630-.Lpost_getpc35486)&4294967295
	s_addc_u32 s15, s15, (.LBB2_13630-.Lpost_getpc35486)>>32
	s_setpc_b64 s[14:15]
.LBB2_27968:
	v_mov_b32_e32 v6, 0
	v_cmp_ne_u16_sdwa s[8:9], v3, v6 src0_sel:BYTE_3 src1_sel:DWORD
	s_andn2_b64 s[4:5], s[4:5], exec
	s_and_b64 s[8:9], s[8:9], exec
	s_or_b64 s[4:5], s[4:5], s[8:9]
	s_or_b64 exec, exec, s[6:7]
	s_and_saveexec_b64 s[6:7], s[4:5]
	s_cbranch_execz .LBB2_35487
; %bb.63807:
	s_getpc_b64 s[14:15]
.Lpost_getpc35487:
	s_add_u32 s14, s14, (.LBB2_13631-.Lpost_getpc35487)&4294967295
	s_addc_u32 s15, s15, (.LBB2_13631-.Lpost_getpc35487)>>32
	s_setpc_b64 s[14:15]
.LBB2_35487:
	s_getpc_b64 s[14:15]
.Lpost_getpc21327:
	s_add_u32 s14, s14, (.LBB2_13632-.Lpost_getpc21327)&4294967295
	s_addc_u32 s15, s15, (.LBB2_13632-.Lpost_getpc21327)>>32
	s_setpc_b64 s[14:15]
.LBB2_27969:
	s_movk_i32 s4, 0x80
	v_cmp_eq_u16_sdwa s[12:13], v8, s4 src0_sel:BYTE_0 src1_sel:DWORD
	s_mov_b64 s[4:5], -1
                                        ; implicit-def: $sgpr10
	s_and_saveexec_b64 s[8:9], s[12:13]
; %bb.27970:
	s_mov_b32 s10, 0x7f800001
	s_xor_b64 s[4:5], exec, -1
; %bb.27971:
	s_or_b64 exec, exec, s[8:9]
	s_and_b64 s[4:5], s[4:5], exec
	s_or_saveexec_b64 s[6:7], s[6:7]
	v_mov_b32_e32 v2, s10
	s_xor_b64 exec, exec, s[6:7]
	s_cbranch_execnz .LBB2_27972
; %bb.63809:
	s_getpc_b64 s[14:15]
.Lpost_getpc35488:
	s_add_u32 s14, s14, (.LBB2_13634-.Lpost_getpc35488)&4294967295
	s_addc_u32 s15, s15, (.LBB2_13634-.Lpost_getpc35488)>>32
	s_setpc_b64 s[14:15]
.LBB2_27972:
	v_mov_b32_e32 v2, 0
	v_cmp_ne_u16_sdwa s[8:9], v8, v2 src0_sel:BYTE_0 src1_sel:DWORD
	s_andn2_b64 s[4:5], s[4:5], exec
	s_and_b64 s[8:9], s[8:9], exec
	s_or_b64 s[4:5], s[4:5], s[8:9]
	s_or_b64 exec, exec, s[6:7]
	s_and_saveexec_b64 s[6:7], s[4:5]
	s_cbranch_execz .LBB2_35489
; %bb.63811:
	s_getpc_b64 s[14:15]
.Lpost_getpc35489:
	s_add_u32 s14, s14, (.LBB2_13635-.Lpost_getpc35489)&4294967295
	s_addc_u32 s15, s15, (.LBB2_13635-.Lpost_getpc35489)>>32
	s_setpc_b64 s[14:15]
.LBB2_35489:
	s_getpc_b64 s[14:15]
.Lpost_getpc21328:
	s_add_u32 s14, s14, (.LBB2_13636-.Lpost_getpc21328)&4294967295
	s_addc_u32 s15, s15, (.LBB2_13636-.Lpost_getpc21328)>>32
	s_setpc_b64 s[14:15]
.LBB2_27973:
	s_movk_i32 s4, 0x80
	v_cmp_eq_u16_sdwa s[12:13], v4, s4 src0_sel:BYTE_0 src1_sel:DWORD
	s_mov_b64 s[4:5], -1
                                        ; implicit-def: $sgpr10
	s_and_saveexec_b64 s[8:9], s[12:13]
; %bb.27974:
	s_mov_b32 s10, 0x7f800001
	s_xor_b64 s[4:5], exec, -1
; %bb.27975:
	s_or_b64 exec, exec, s[8:9]
	s_and_b64 s[4:5], s[4:5], exec
	s_or_saveexec_b64 s[6:7], s[6:7]
	v_mov_b32_e32 v3, s10
	s_xor_b64 exec, exec, s[6:7]
	s_cbranch_execnz .LBB2_27976
; %bb.63813:
	s_getpc_b64 s[14:15]
.Lpost_getpc35490:
	s_add_u32 s14, s14, (.LBB2_13638-.Lpost_getpc35490)&4294967295
	s_addc_u32 s15, s15, (.LBB2_13638-.Lpost_getpc35490)>>32
	s_setpc_b64 s[14:15]
.LBB2_27976:
	v_mov_b32_e32 v3, 0
	v_cmp_ne_u16_sdwa s[8:9], v4, v3 src0_sel:BYTE_0 src1_sel:DWORD
	s_andn2_b64 s[4:5], s[4:5], exec
	s_and_b64 s[8:9], s[8:9], exec
	s_or_b64 s[4:5], s[4:5], s[8:9]
	s_or_b64 exec, exec, s[6:7]
	s_and_saveexec_b64 s[6:7], s[4:5]
	s_cbranch_execz .LBB2_35491
; %bb.63815:
	s_getpc_b64 s[14:15]
.Lpost_getpc35491:
	s_add_u32 s14, s14, (.LBB2_13639-.Lpost_getpc35491)&4294967295
	s_addc_u32 s15, s15, (.LBB2_13639-.Lpost_getpc35491)>>32
	s_setpc_b64 s[14:15]
.LBB2_35491:
	s_getpc_b64 s[14:15]
.Lpost_getpc21329:
	s_add_u32 s14, s14, (.LBB2_13640-.Lpost_getpc21329)&4294967295
	s_addc_u32 s15, s15, (.LBB2_13640-.Lpost_getpc21329)>>32
	s_setpc_b64 s[14:15]
.LBB2_27977:
	s_movk_i32 s4, 0x80
	v_cmp_eq_u16_sdwa s[12:13], v3, s4 src0_sel:BYTE_0 src1_sel:DWORD
	s_mov_b64 s[4:5], -1
                                        ; implicit-def: $sgpr10
	s_and_saveexec_b64 s[8:9], s[12:13]
; %bb.27978:
	s_mov_b32 s10, 0x7f800001
	s_xor_b64 s[4:5], exec, -1
; %bb.27979:
	s_or_b64 exec, exec, s[8:9]
	s_and_b64 s[4:5], s[4:5], exec
	s_or_saveexec_b64 s[6:7], s[6:7]
	v_mov_b32_e32 v2, s10
	s_xor_b64 exec, exec, s[6:7]
	s_cbranch_execnz .LBB2_27980
; %bb.63817:
	s_getpc_b64 s[14:15]
.Lpost_getpc35492:
	s_add_u32 s14, s14, (.LBB2_13642-.Lpost_getpc35492)&4294967295
	s_addc_u32 s15, s15, (.LBB2_13642-.Lpost_getpc35492)>>32
	s_setpc_b64 s[14:15]
.LBB2_27980:
	v_mov_b32_e32 v2, 0
	v_cmp_ne_u16_sdwa s[8:9], v3, v2 src0_sel:BYTE_0 src1_sel:DWORD
	s_andn2_b64 s[4:5], s[4:5], exec
	s_and_b64 s[8:9], s[8:9], exec
	s_or_b64 s[4:5], s[4:5], s[8:9]
	s_or_b64 exec, exec, s[6:7]
	s_and_saveexec_b64 s[6:7], s[4:5]
	s_cbranch_execz .LBB2_35493
; %bb.63819:
	s_getpc_b64 s[14:15]
.Lpost_getpc35493:
	s_add_u32 s14, s14, (.LBB2_13643-.Lpost_getpc35493)&4294967295
	s_addc_u32 s15, s15, (.LBB2_13643-.Lpost_getpc35493)>>32
	s_setpc_b64 s[14:15]
.LBB2_35493:
	s_getpc_b64 s[14:15]
.Lpost_getpc21330:
	s_add_u32 s14, s14, (.LBB2_13644-.Lpost_getpc21330)&4294967295
	s_addc_u32 s15, s15, (.LBB2_13644-.Lpost_getpc21330)>>32
	s_setpc_b64 s[14:15]
.LBB2_27981:
	s_movk_i32 s4, 0x80
	v_cmp_eq_u16_sdwa s[12:13], v3, s4 src0_sel:BYTE_0 src1_sel:DWORD
	s_mov_b64 s[4:5], -1
                                        ; implicit-def: $sgpr10
	s_and_saveexec_b64 s[8:9], s[12:13]
; %bb.27982:
	s_mov_b32 s10, 0x7f800001
	s_xor_b64 s[4:5], exec, -1
; %bb.27983:
	s_or_b64 exec, exec, s[8:9]
	s_and_b64 s[4:5], s[4:5], exec
	s_or_saveexec_b64 s[6:7], s[6:7]
	v_mov_b32_e32 v6, s10
	s_xor_b64 exec, exec, s[6:7]
	s_cbranch_execnz .LBB2_27984
; %bb.63821:
	s_getpc_b64 s[14:15]
.Lpost_getpc35494:
	s_add_u32 s14, s14, (.LBB2_13646-.Lpost_getpc35494)&4294967295
	s_addc_u32 s15, s15, (.LBB2_13646-.Lpost_getpc35494)>>32
	s_setpc_b64 s[14:15]
.LBB2_27984:
	v_mov_b32_e32 v6, 0
	v_cmp_ne_u16_sdwa s[8:9], v3, v6 src0_sel:BYTE_0 src1_sel:DWORD
	s_andn2_b64 s[4:5], s[4:5], exec
	s_and_b64 s[8:9], s[8:9], exec
	s_or_b64 s[4:5], s[4:5], s[8:9]
	s_or_b64 exec, exec, s[6:7]
	s_and_saveexec_b64 s[6:7], s[4:5]
	s_cbranch_execz .LBB2_35495
; %bb.63823:
	s_getpc_b64 s[14:15]
.Lpost_getpc35495:
	s_add_u32 s14, s14, (.LBB2_13647-.Lpost_getpc35495)&4294967295
	s_addc_u32 s15, s15, (.LBB2_13647-.Lpost_getpc35495)>>32
	s_setpc_b64 s[14:15]
.LBB2_35495:
	s_getpc_b64 s[14:15]
.Lpost_getpc21331:
	s_add_u32 s14, s14, (.LBB2_13648-.Lpost_getpc21331)&4294967295
	s_addc_u32 s15, s15, (.LBB2_13648-.Lpost_getpc21331)>>32
	s_setpc_b64 s[14:15]
.LBB2_27985:
	s_movk_i32 s4, 0x80
	v_cmp_eq_u16_e32 vcc, s4, v3
	s_mov_b64 s[4:5], -1
                                        ; implicit-def: $sgpr10
	s_and_saveexec_b64 s[8:9], vcc
; %bb.27986:
	s_mov_b32 s10, 0x7f800001
	s_xor_b64 s[4:5], exec, -1
; %bb.27987:
	s_or_b64 exec, exec, s[8:9]
	s_and_b64 s[4:5], s[4:5], exec
                                        ; implicit-def: $vgpr3
	s_or_saveexec_b64 s[6:7], s[6:7]
	v_mov_b32_e32 v2, s10
	s_xor_b64 exec, exec, s[6:7]
	s_cbranch_execnz .LBB2_27988
; %bb.63825:
	s_getpc_b64 s[14:15]
.Lpost_getpc35496:
	s_add_u32 s14, s14, (.LBB2_13650-.Lpost_getpc35496)&4294967295
	s_addc_u32 s15, s15, (.LBB2_13650-.Lpost_getpc35496)>>32
	s_setpc_b64 s[14:15]
.LBB2_27988:
	v_cmp_ne_u16_e32 vcc, 0, v3
	s_andn2_b64 s[4:5], s[4:5], exec
	s_and_b64 s[8:9], vcc, exec
	v_mov_b32_e32 v2, 0
	s_or_b64 s[4:5], s[4:5], s[8:9]
	s_or_b64 exec, exec, s[6:7]
	s_and_saveexec_b64 s[6:7], s[4:5]
	s_cbranch_execz .LBB2_35497
; %bb.63827:
	s_getpc_b64 s[14:15]
.Lpost_getpc35497:
	s_add_u32 s14, s14, (.LBB2_13651-.Lpost_getpc35497)&4294967295
	s_addc_u32 s15, s15, (.LBB2_13651-.Lpost_getpc35497)>>32
	s_setpc_b64 s[14:15]
.LBB2_35497:
	s_getpc_b64 s[14:15]
.Lpost_getpc21332:
	s_add_u32 s14, s14, (.LBB2_13652-.Lpost_getpc21332)&4294967295
	s_addc_u32 s15, s15, (.LBB2_13652-.Lpost_getpc21332)>>32
	s_setpc_b64 s[14:15]
.LBB2_27989:
	s_movk_i32 s4, 0x80
	v_cmp_eq_u16_e32 vcc, s4, v3
	s_mov_b64 s[4:5], -1
                                        ; implicit-def: $sgpr10
	s_and_saveexec_b64 s[8:9], vcc
; %bb.27990:
	s_mov_b32 s10, 0x7f800001
	s_xor_b64 s[4:5], exec, -1
; %bb.27991:
	s_or_b64 exec, exec, s[8:9]
	s_and_b64 s[4:5], s[4:5], exec
                                        ; implicit-def: $vgpr3
	s_or_saveexec_b64 s[6:7], s[6:7]
	v_mov_b32_e32 v6, s10
	s_xor_b64 exec, exec, s[6:7]
	s_cbranch_execnz .LBB2_27992
; %bb.63829:
	s_getpc_b64 s[14:15]
.Lpost_getpc35498:
	s_add_u32 s14, s14, (.LBB2_13654-.Lpost_getpc35498)&4294967295
	s_addc_u32 s15, s15, (.LBB2_13654-.Lpost_getpc35498)>>32
	s_setpc_b64 s[14:15]
.LBB2_27992:
	v_cmp_ne_u16_e32 vcc, 0, v3
	s_andn2_b64 s[4:5], s[4:5], exec
	s_and_b64 s[8:9], vcc, exec
	v_mov_b32_e32 v6, 0
	s_or_b64 s[4:5], s[4:5], s[8:9]
	s_or_b64 exec, exec, s[6:7]
	s_and_saveexec_b64 s[6:7], s[4:5]
	s_cbranch_execz .LBB2_35499
; %bb.63831:
	s_getpc_b64 s[14:15]
.Lpost_getpc35499:
	s_add_u32 s14, s14, (.LBB2_13655-.Lpost_getpc35499)&4294967295
	s_addc_u32 s15, s15, (.LBB2_13655-.Lpost_getpc35499)>>32
	s_setpc_b64 s[14:15]
.LBB2_35499:
	s_getpc_b64 s[14:15]
.Lpost_getpc21333:
	s_add_u32 s14, s14, (.LBB2_13656-.Lpost_getpc21333)&4294967295
	s_addc_u32 s15, s15, (.LBB2_13656-.Lpost_getpc21333)>>32
	s_setpc_b64 s[14:15]
.LBB2_27993:
	s_movk_i32 s4, 0x80
	v_cmp_eq_u16_sdwa s[12:13], v8, s4 src0_sel:BYTE_3 src1_sel:DWORD
	s_mov_b64 s[4:5], -1
                                        ; implicit-def: $sgpr10
	s_and_saveexec_b64 s[8:9], s[12:13]
; %bb.27994:
	s_mov_b32 s10, 0x7f800001
	s_xor_b64 s[4:5], exec, -1
; %bb.27995:
	s_or_b64 exec, exec, s[8:9]
	s_and_b64 s[4:5], s[4:5], exec
	s_or_saveexec_b64 s[6:7], s[6:7]
	v_mov_b32_e32 v2, s10
	s_xor_b64 exec, exec, s[6:7]
	s_cbranch_execnz .LBB2_27996
; %bb.63833:
	s_getpc_b64 s[14:15]
.Lpost_getpc35500:
	s_add_u32 s14, s14, (.LBB2_13658-.Lpost_getpc35500)&4294967295
	s_addc_u32 s15, s15, (.LBB2_13658-.Lpost_getpc35500)>>32
	s_setpc_b64 s[14:15]
.LBB2_27996:
	v_mov_b32_e32 v2, 0
	v_cmp_ne_u16_sdwa s[8:9], v8, v2 src0_sel:BYTE_3 src1_sel:DWORD
	s_andn2_b64 s[4:5], s[4:5], exec
	s_and_b64 s[8:9], s[8:9], exec
	s_or_b64 s[4:5], s[4:5], s[8:9]
	s_or_b64 exec, exec, s[6:7]
	s_and_saveexec_b64 s[6:7], s[4:5]
	s_cbranch_execz .LBB2_35501
; %bb.63835:
	s_getpc_b64 s[14:15]
.Lpost_getpc35501:
	s_add_u32 s14, s14, (.LBB2_13659-.Lpost_getpc35501)&4294967295
	s_addc_u32 s15, s15, (.LBB2_13659-.Lpost_getpc35501)>>32
	s_setpc_b64 s[14:15]
.LBB2_35501:
	s_getpc_b64 s[14:15]
.Lpost_getpc21334:
	s_add_u32 s14, s14, (.LBB2_13660-.Lpost_getpc21334)&4294967295
	s_addc_u32 s15, s15, (.LBB2_13660-.Lpost_getpc21334)>>32
	s_setpc_b64 s[14:15]
.LBB2_27997:
	s_movk_i32 s4, 0x80
	v_cmp_eq_u16_sdwa s[12:13], v4, s4 src0_sel:BYTE_3 src1_sel:DWORD
	s_mov_b64 s[4:5], -1
                                        ; implicit-def: $sgpr10
	s_and_saveexec_b64 s[8:9], s[12:13]
; %bb.27998:
	s_mov_b32 s10, 0x7f800001
	s_xor_b64 s[4:5], exec, -1
; %bb.27999:
	s_or_b64 exec, exec, s[8:9]
	s_and_b64 s[4:5], s[4:5], exec
	s_or_saveexec_b64 s[6:7], s[6:7]
	v_mov_b32_e32 v3, s10
	s_xor_b64 exec, exec, s[6:7]
	s_cbranch_execnz .LBB2_28000
; %bb.63837:
	s_getpc_b64 s[14:15]
.Lpost_getpc35502:
	s_add_u32 s14, s14, (.LBB2_13662-.Lpost_getpc35502)&4294967295
	s_addc_u32 s15, s15, (.LBB2_13662-.Lpost_getpc35502)>>32
	s_setpc_b64 s[14:15]
.LBB2_28000:
	v_mov_b32_e32 v3, 0
	v_cmp_ne_u16_sdwa s[8:9], v4, v3 src0_sel:BYTE_3 src1_sel:DWORD
	s_andn2_b64 s[4:5], s[4:5], exec
	s_and_b64 s[8:9], s[8:9], exec
	s_or_b64 s[4:5], s[4:5], s[8:9]
	s_or_b64 exec, exec, s[6:7]
	s_and_saveexec_b64 s[6:7], s[4:5]
	s_cbranch_execz .LBB2_35503
; %bb.63839:
	s_getpc_b64 s[14:15]
.Lpost_getpc35503:
	s_add_u32 s14, s14, (.LBB2_13663-.Lpost_getpc35503)&4294967295
	s_addc_u32 s15, s15, (.LBB2_13663-.Lpost_getpc35503)>>32
	s_setpc_b64 s[14:15]
.LBB2_35503:
	s_getpc_b64 s[14:15]
.Lpost_getpc21335:
	s_add_u32 s14, s14, (.LBB2_13664-.Lpost_getpc21335)&4294967295
	s_addc_u32 s15, s15, (.LBB2_13664-.Lpost_getpc21335)>>32
	s_setpc_b64 s[14:15]
.LBB2_28001:
	s_movk_i32 s4, 0x80
	v_cmp_eq_u16_sdwa s[12:13], v9, s4 src0_sel:BYTE_0 src1_sel:DWORD
	s_mov_b64 s[4:5], -1
                                        ; implicit-def: $sgpr10
	s_and_saveexec_b64 s[8:9], s[12:13]
; %bb.28002:
	s_mov_b32 s10, 0x7f800001
	s_xor_b64 s[4:5], exec, -1
; %bb.28003:
	s_or_b64 exec, exec, s[8:9]
	s_and_b64 s[4:5], s[4:5], exec
	s_or_saveexec_b64 s[6:7], s[6:7]
	v_mov_b32_e32 v2, s10
	s_xor_b64 exec, exec, s[6:7]
	s_cbranch_execnz .LBB2_28004
; %bb.63841:
	s_getpc_b64 s[14:15]
.Lpost_getpc35504:
	s_add_u32 s14, s14, (.LBB2_13666-.Lpost_getpc35504)&4294967295
	s_addc_u32 s15, s15, (.LBB2_13666-.Lpost_getpc35504)>>32
	s_setpc_b64 s[14:15]
.LBB2_28004:
	v_mov_b32_e32 v2, 0
	v_cmp_ne_u16_sdwa s[8:9], v9, v2 src0_sel:BYTE_0 src1_sel:DWORD
	s_andn2_b64 s[4:5], s[4:5], exec
	s_and_b64 s[8:9], s[8:9], exec
	s_or_b64 s[4:5], s[4:5], s[8:9]
	s_or_b64 exec, exec, s[6:7]
	s_and_saveexec_b64 s[6:7], s[4:5]
	s_cbranch_execz .LBB2_35505
; %bb.63843:
	s_getpc_b64 s[14:15]
.Lpost_getpc35505:
	s_add_u32 s14, s14, (.LBB2_13667-.Lpost_getpc35505)&4294967295
	s_addc_u32 s15, s15, (.LBB2_13667-.Lpost_getpc35505)>>32
	s_setpc_b64 s[14:15]
.LBB2_35505:
	s_getpc_b64 s[14:15]
.Lpost_getpc21336:
	s_add_u32 s14, s14, (.LBB2_13668-.Lpost_getpc21336)&4294967295
	s_addc_u32 s15, s15, (.LBB2_13668-.Lpost_getpc21336)>>32
	s_setpc_b64 s[14:15]
.LBB2_28005:
	s_movk_i32 s4, 0x80
	v_cmp_eq_u16_sdwa s[12:13], v5, s4 src0_sel:BYTE_0 src1_sel:DWORD
	s_mov_b64 s[4:5], -1
                                        ; implicit-def: $sgpr10
	s_and_saveexec_b64 s[8:9], s[12:13]
; %bb.28006:
	s_mov_b32 s10, 0x7f800001
	s_xor_b64 s[4:5], exec, -1
; %bb.28007:
	s_or_b64 exec, exec, s[8:9]
	s_and_b64 s[4:5], s[4:5], exec
	s_or_saveexec_b64 s[6:7], s[6:7]
	v_mov_b32_e32 v3, s10
	s_xor_b64 exec, exec, s[6:7]
	s_cbranch_execnz .LBB2_28008
; %bb.63845:
	s_getpc_b64 s[14:15]
.Lpost_getpc35506:
	s_add_u32 s14, s14, (.LBB2_13670-.Lpost_getpc35506)&4294967295
	s_addc_u32 s15, s15, (.LBB2_13670-.Lpost_getpc35506)>>32
	s_setpc_b64 s[14:15]
.LBB2_28008:
	v_mov_b32_e32 v3, 0
	v_cmp_ne_u16_sdwa s[8:9], v5, v3 src0_sel:BYTE_0 src1_sel:DWORD
	s_andn2_b64 s[4:5], s[4:5], exec
	s_and_b64 s[8:9], s[8:9], exec
	s_or_b64 s[4:5], s[4:5], s[8:9]
	s_or_b64 exec, exec, s[6:7]
	s_and_saveexec_b64 s[6:7], s[4:5]
	s_cbranch_execz .LBB2_35507
; %bb.63847:
	s_getpc_b64 s[14:15]
.Lpost_getpc35507:
	s_add_u32 s14, s14, (.LBB2_13671-.Lpost_getpc35507)&4294967295
	s_addc_u32 s15, s15, (.LBB2_13671-.Lpost_getpc35507)>>32
	s_setpc_b64 s[14:15]
.LBB2_35507:
	s_getpc_b64 s[14:15]
.Lpost_getpc21337:
	s_add_u32 s14, s14, (.LBB2_13672-.Lpost_getpc21337)&4294967295
	s_addc_u32 s15, s15, (.LBB2_13672-.Lpost_getpc21337)>>32
	s_setpc_b64 s[14:15]
.LBB2_28009:
	s_movk_i32 s4, 0x80
	v_cmp_eq_u16_sdwa s[12:13], v3, s4 src0_sel:BYTE_0 src1_sel:DWORD
	s_mov_b64 s[4:5], -1
                                        ; implicit-def: $sgpr10
	s_and_saveexec_b64 s[8:9], s[12:13]
; %bb.28010:
	s_mov_b32 s10, 0x7f800001
	s_xor_b64 s[4:5], exec, -1
; %bb.28011:
	s_or_b64 exec, exec, s[8:9]
	s_and_b64 s[4:5], s[4:5], exec
	s_or_saveexec_b64 s[6:7], s[6:7]
	v_mov_b32_e32 v2, s10
	s_xor_b64 exec, exec, s[6:7]
	s_cbranch_execnz .LBB2_28012
; %bb.63849:
	s_getpc_b64 s[14:15]
.Lpost_getpc35508:
	s_add_u32 s14, s14, (.LBB2_13674-.Lpost_getpc35508)&4294967295
	s_addc_u32 s15, s15, (.LBB2_13674-.Lpost_getpc35508)>>32
	s_setpc_b64 s[14:15]
.LBB2_28012:
	v_mov_b32_e32 v2, 0
	v_cmp_ne_u16_sdwa s[8:9], v3, v2 src0_sel:BYTE_0 src1_sel:DWORD
	s_andn2_b64 s[4:5], s[4:5], exec
	s_and_b64 s[8:9], s[8:9], exec
	s_or_b64 s[4:5], s[4:5], s[8:9]
	s_or_b64 exec, exec, s[6:7]
	s_and_saveexec_b64 s[6:7], s[4:5]
	s_cbranch_execz .LBB2_35509
; %bb.63851:
	s_getpc_b64 s[14:15]
.Lpost_getpc35509:
	s_add_u32 s14, s14, (.LBB2_13675-.Lpost_getpc35509)&4294967295
	s_addc_u32 s15, s15, (.LBB2_13675-.Lpost_getpc35509)>>32
	s_setpc_b64 s[14:15]
.LBB2_35509:
	s_getpc_b64 s[14:15]
.Lpost_getpc21338:
	s_add_u32 s14, s14, (.LBB2_13676-.Lpost_getpc21338)&4294967295
	s_addc_u32 s15, s15, (.LBB2_13676-.Lpost_getpc21338)>>32
	s_setpc_b64 s[14:15]
.LBB2_28013:
	s_movk_i32 s4, 0x80
	v_cmp_eq_u16_sdwa s[12:13], v3, s4 src0_sel:BYTE_0 src1_sel:DWORD
	s_mov_b64 s[4:5], -1
                                        ; implicit-def: $sgpr10
	s_and_saveexec_b64 s[8:9], s[12:13]
; %bb.28014:
	s_mov_b32 s10, 0x7f800001
	s_xor_b64 s[4:5], exec, -1
; %bb.28015:
	s_or_b64 exec, exec, s[8:9]
	s_and_b64 s[4:5], s[4:5], exec
	s_or_saveexec_b64 s[6:7], s[6:7]
	v_mov_b32_e32 v4, s10
	s_xor_b64 exec, exec, s[6:7]
	s_cbranch_execnz .LBB2_28016
; %bb.63853:
	s_getpc_b64 s[14:15]
.Lpost_getpc35510:
	s_add_u32 s14, s14, (.LBB2_13678-.Lpost_getpc35510)&4294967295
	s_addc_u32 s15, s15, (.LBB2_13678-.Lpost_getpc35510)>>32
	s_setpc_b64 s[14:15]
.LBB2_28016:
	v_mov_b32_e32 v4, 0
	v_cmp_ne_u16_sdwa s[8:9], v3, v4 src0_sel:BYTE_0 src1_sel:DWORD
	s_andn2_b64 s[4:5], s[4:5], exec
	s_and_b64 s[8:9], s[8:9], exec
	s_or_b64 s[4:5], s[4:5], s[8:9]
	s_or_b64 exec, exec, s[6:7]
	s_and_saveexec_b64 s[6:7], s[4:5]
	s_cbranch_execz .LBB2_35511
; %bb.63855:
	s_getpc_b64 s[14:15]
.Lpost_getpc35511:
	s_add_u32 s14, s14, (.LBB2_13679-.Lpost_getpc35511)&4294967295
	s_addc_u32 s15, s15, (.LBB2_13679-.Lpost_getpc35511)>>32
	s_setpc_b64 s[14:15]
.LBB2_35511:
	s_getpc_b64 s[14:15]
.Lpost_getpc21339:
	s_add_u32 s14, s14, (.LBB2_13680-.Lpost_getpc21339)&4294967295
	s_addc_u32 s15, s15, (.LBB2_13680-.Lpost_getpc21339)>>32
	s_setpc_b64 s[14:15]
.LBB2_28017:
	s_movk_i32 s4, 0x80
	v_cmp_eq_u16_e32 vcc, s4, v3
	s_mov_b64 s[4:5], -1
                                        ; implicit-def: $sgpr10
	s_and_saveexec_b64 s[8:9], vcc
; %bb.28018:
	s_mov_b32 s10, 0x7f800001
	s_xor_b64 s[4:5], exec, -1
; %bb.28019:
	s_or_b64 exec, exec, s[8:9]
	s_and_b64 s[4:5], s[4:5], exec
                                        ; implicit-def: $vgpr3
	s_or_saveexec_b64 s[6:7], s[6:7]
	v_mov_b32_e32 v2, s10
	s_xor_b64 exec, exec, s[6:7]
	s_cbranch_execnz .LBB2_28020
; %bb.63857:
	s_getpc_b64 s[14:15]
.Lpost_getpc35512:
	s_add_u32 s14, s14, (.LBB2_13682-.Lpost_getpc35512)&4294967295
	s_addc_u32 s15, s15, (.LBB2_13682-.Lpost_getpc35512)>>32
	s_setpc_b64 s[14:15]
.LBB2_28020:
	v_cmp_ne_u16_e32 vcc, 0, v3
	s_andn2_b64 s[4:5], s[4:5], exec
	s_and_b64 s[8:9], vcc, exec
	v_mov_b32_e32 v2, 0
	s_or_b64 s[4:5], s[4:5], s[8:9]
	s_or_b64 exec, exec, s[6:7]
	s_and_saveexec_b64 s[6:7], s[4:5]
	s_cbranch_execz .LBB2_35513
; %bb.63859:
	s_getpc_b64 s[14:15]
.Lpost_getpc35513:
	s_add_u32 s14, s14, (.LBB2_13683-.Lpost_getpc35513)&4294967295
	s_addc_u32 s15, s15, (.LBB2_13683-.Lpost_getpc35513)>>32
	s_setpc_b64 s[14:15]
.LBB2_35513:
	s_getpc_b64 s[14:15]
.Lpost_getpc21340:
	s_add_u32 s14, s14, (.LBB2_13684-.Lpost_getpc21340)&4294967295
	s_addc_u32 s15, s15, (.LBB2_13684-.Lpost_getpc21340)>>32
	s_setpc_b64 s[14:15]
.LBB2_28021:
	s_movk_i32 s4, 0x80
	v_cmp_eq_u16_e32 vcc, s4, v3
	s_mov_b64 s[4:5], -1
                                        ; implicit-def: $sgpr10
	s_and_saveexec_b64 s[8:9], vcc
; %bb.28022:
	s_mov_b32 s10, 0x7f800001
	s_xor_b64 s[4:5], exec, -1
; %bb.28023:
	s_or_b64 exec, exec, s[8:9]
	s_and_b64 s[4:5], s[4:5], exec
                                        ; implicit-def: $vgpr3
	s_or_saveexec_b64 s[6:7], s[6:7]
	v_mov_b32_e32 v4, s10
	s_xor_b64 exec, exec, s[6:7]
	s_cbranch_execnz .LBB2_28024
; %bb.63861:
	s_getpc_b64 s[14:15]
.Lpost_getpc35514:
	s_add_u32 s14, s14, (.LBB2_13686-.Lpost_getpc35514)&4294967295
	s_addc_u32 s15, s15, (.LBB2_13686-.Lpost_getpc35514)>>32
	s_setpc_b64 s[14:15]
.LBB2_28024:
	v_cmp_ne_u16_e32 vcc, 0, v3
	s_andn2_b64 s[4:5], s[4:5], exec
	s_and_b64 s[8:9], vcc, exec
	v_mov_b32_e32 v4, 0
	s_or_b64 s[4:5], s[4:5], s[8:9]
	s_or_b64 exec, exec, s[6:7]
	s_and_saveexec_b64 s[6:7], s[4:5]
	s_cbranch_execz .LBB2_35515
; %bb.63863:
	s_getpc_b64 s[14:15]
.Lpost_getpc35515:
	s_add_u32 s14, s14, (.LBB2_13687-.Lpost_getpc35515)&4294967295
	s_addc_u32 s15, s15, (.LBB2_13687-.Lpost_getpc35515)>>32
	s_setpc_b64 s[14:15]
.LBB2_35515:
	s_getpc_b64 s[14:15]
.Lpost_getpc21341:
	s_add_u32 s14, s14, (.LBB2_13688-.Lpost_getpc21341)&4294967295
	s_addc_u32 s15, s15, (.LBB2_13688-.Lpost_getpc21341)>>32
	s_setpc_b64 s[14:15]
.LBB2_28025:
	s_movk_i32 s4, 0x80
	v_cmp_eq_u16_sdwa s[12:13], v9, s4 src0_sel:BYTE_3 src1_sel:DWORD
	s_mov_b64 s[4:5], -1
                                        ; implicit-def: $sgpr10
	s_and_saveexec_b64 s[8:9], s[12:13]
; %bb.28026:
	s_mov_b32 s10, 0x7f800001
	s_xor_b64 s[4:5], exec, -1
; %bb.28027:
	s_or_b64 exec, exec, s[8:9]
	s_and_b64 s[4:5], s[4:5], exec
	s_or_saveexec_b64 s[6:7], s[6:7]
	v_mov_b32_e32 v2, s10
	s_xor_b64 exec, exec, s[6:7]
	s_cbranch_execnz .LBB2_28028
; %bb.63865:
	s_getpc_b64 s[14:15]
.Lpost_getpc35516:
	s_add_u32 s14, s14, (.LBB2_13690-.Lpost_getpc35516)&4294967295
	s_addc_u32 s15, s15, (.LBB2_13690-.Lpost_getpc35516)>>32
	s_setpc_b64 s[14:15]
.LBB2_28028:
	v_mov_b32_e32 v2, 0
	v_cmp_ne_u16_sdwa s[8:9], v9, v2 src0_sel:BYTE_3 src1_sel:DWORD
	s_andn2_b64 s[4:5], s[4:5], exec
	s_and_b64 s[8:9], s[8:9], exec
	s_or_b64 s[4:5], s[4:5], s[8:9]
	s_or_b64 exec, exec, s[6:7]
	s_and_saveexec_b64 s[6:7], s[4:5]
	s_cbranch_execz .LBB2_35517
; %bb.63867:
	s_getpc_b64 s[14:15]
.Lpost_getpc35517:
	s_add_u32 s14, s14, (.LBB2_13691-.Lpost_getpc35517)&4294967295
	s_addc_u32 s15, s15, (.LBB2_13691-.Lpost_getpc35517)>>32
	s_setpc_b64 s[14:15]
.LBB2_35517:
	s_getpc_b64 s[14:15]
.Lpost_getpc21342:
	s_add_u32 s14, s14, (.LBB2_13692-.Lpost_getpc21342)&4294967295
	s_addc_u32 s15, s15, (.LBB2_13692-.Lpost_getpc21342)>>32
	s_setpc_b64 s[14:15]
.LBB2_28029:
	s_movk_i32 s4, 0x80
	v_cmp_eq_u16_sdwa s[12:13], v5, s4 src0_sel:BYTE_3 src1_sel:DWORD
	s_mov_b64 s[4:5], -1
                                        ; implicit-def: $sgpr10
	s_and_saveexec_b64 s[8:9], s[12:13]
; %bb.28030:
	s_mov_b32 s10, 0x7f800001
	s_xor_b64 s[4:5], exec, -1
; %bb.28031:
	s_or_b64 exec, exec, s[8:9]
	s_and_b64 s[4:5], s[4:5], exec
	s_or_saveexec_b64 s[6:7], s[6:7]
	v_mov_b32_e32 v3, s10
	s_xor_b64 exec, exec, s[6:7]
	s_cbranch_execnz .LBB2_28032
; %bb.63869:
	s_getpc_b64 s[14:15]
.Lpost_getpc35518:
	s_add_u32 s14, s14, (.LBB2_13694-.Lpost_getpc35518)&4294967295
	s_addc_u32 s15, s15, (.LBB2_13694-.Lpost_getpc35518)>>32
	s_setpc_b64 s[14:15]
.LBB2_28032:
	v_mov_b32_e32 v3, 0
	v_cmp_ne_u16_sdwa s[8:9], v5, v3 src0_sel:BYTE_3 src1_sel:DWORD
	s_andn2_b64 s[4:5], s[4:5], exec
	s_and_b64 s[8:9], s[8:9], exec
	s_or_b64 s[4:5], s[4:5], s[8:9]
	s_or_b64 exec, exec, s[6:7]
	s_and_saveexec_b64 s[6:7], s[4:5]
	s_cbranch_execz .LBB2_35519
; %bb.63871:
	s_getpc_b64 s[14:15]
.Lpost_getpc35519:
	s_add_u32 s14, s14, (.LBB2_13695-.Lpost_getpc35519)&4294967295
	s_addc_u32 s15, s15, (.LBB2_13695-.Lpost_getpc35519)>>32
	s_setpc_b64 s[14:15]
.LBB2_35519:
	s_getpc_b64 s[14:15]
.Lpost_getpc21343:
	s_add_u32 s14, s14, (.LBB2_13696-.Lpost_getpc21343)&4294967295
	s_addc_u32 s15, s15, (.LBB2_13696-.Lpost_getpc21343)>>32
	s_setpc_b64 s[14:15]
.LBB2_28033:
	s_movk_i32 s4, 0x80
	v_cmp_eq_u16_sdwa s[12:13], v6, s4 src0_sel:BYTE_0 src1_sel:DWORD
	s_mov_b64 s[4:5], -1
                                        ; implicit-def: $sgpr10
	s_and_saveexec_b64 s[8:9], s[12:13]
; %bb.28034:
	s_mov_b32 s10, 0x7f800001
	s_xor_b64 s[4:5], exec, -1
; %bb.28035:
	s_or_b64 exec, exec, s[8:9]
	s_and_b64 s[4:5], s[4:5], exec
	s_or_saveexec_b64 s[6:7], s[6:7]
	v_mov_b32_e32 v12, s10
	s_xor_b64 exec, exec, s[6:7]
	s_cbranch_execnz .LBB2_28036
; %bb.63873:
	s_getpc_b64 s[14:15]
.Lpost_getpc35520:
	s_add_u32 s14, s14, (.LBB2_13698-.Lpost_getpc35520)&4294967295
	s_addc_u32 s15, s15, (.LBB2_13698-.Lpost_getpc35520)>>32
	s_setpc_b64 s[14:15]
.LBB2_28036:
	v_mov_b32_e32 v12, 0
	v_cmp_ne_u16_sdwa s[8:9], v6, v12 src0_sel:BYTE_0 src1_sel:DWORD
	s_andn2_b64 s[4:5], s[4:5], exec
	s_and_b64 s[8:9], s[8:9], exec
	s_or_b64 s[4:5], s[4:5], s[8:9]
	s_or_b64 exec, exec, s[6:7]
	s_and_saveexec_b64 s[6:7], s[4:5]
	s_cbranch_execz .LBB2_35521
; %bb.63875:
	s_getpc_b64 s[14:15]
.Lpost_getpc35521:
	s_add_u32 s14, s14, (.LBB2_13699-.Lpost_getpc35521)&4294967295
	s_addc_u32 s15, s15, (.LBB2_13699-.Lpost_getpc35521)>>32
	s_setpc_b64 s[14:15]
.LBB2_35521:
	s_getpc_b64 s[14:15]
.Lpost_getpc21344:
	s_add_u32 s14, s14, (.LBB2_13700-.Lpost_getpc21344)&4294967295
	s_addc_u32 s15, s15, (.LBB2_13700-.Lpost_getpc21344)>>32
	s_setpc_b64 s[14:15]
.LBB2_28037:
	s_movk_i32 s4, 0x80
	v_cmp_eq_u16_sdwa s[12:13], v2, s4 src0_sel:BYTE_0 src1_sel:DWORD
	s_mov_b64 s[4:5], -1
                                        ; implicit-def: $sgpr10
	s_and_saveexec_b64 s[8:9], s[12:13]
; %bb.28038:
	s_mov_b32 s10, 0x7f800001
	s_xor_b64 s[4:5], exec, -1
; %bb.28039:
	s_or_b64 exec, exec, s[8:9]
	s_and_b64 s[4:5], s[4:5], exec
	s_or_saveexec_b64 s[6:7], s[6:7]
	v_mov_b32_e32 v13, s10
	s_xor_b64 exec, exec, s[6:7]
	s_cbranch_execnz .LBB2_28040
; %bb.63877:
	s_getpc_b64 s[14:15]
.Lpost_getpc35522:
	s_add_u32 s14, s14, (.LBB2_13702-.Lpost_getpc35522)&4294967295
	s_addc_u32 s15, s15, (.LBB2_13702-.Lpost_getpc35522)>>32
	s_setpc_b64 s[14:15]
.LBB2_28040:
	v_mov_b32_e32 v13, 0
	v_cmp_ne_u16_sdwa s[8:9], v2, v13 src0_sel:BYTE_0 src1_sel:DWORD
	s_andn2_b64 s[4:5], s[4:5], exec
	s_and_b64 s[8:9], s[8:9], exec
	s_or_b64 s[4:5], s[4:5], s[8:9]
	s_or_b64 exec, exec, s[6:7]
	s_and_saveexec_b64 s[6:7], s[4:5]
	s_cbranch_execz .LBB2_35523
; %bb.63879:
	s_getpc_b64 s[14:15]
.Lpost_getpc35523:
	s_add_u32 s14, s14, (.LBB2_13703-.Lpost_getpc35523)&4294967295
	s_addc_u32 s15, s15, (.LBB2_13703-.Lpost_getpc35523)>>32
	s_setpc_b64 s[14:15]
.LBB2_35523:
	s_getpc_b64 s[14:15]
.Lpost_getpc21345:
	s_add_u32 s14, s14, (.LBB2_13704-.Lpost_getpc21345)&4294967295
	s_addc_u32 s15, s15, (.LBB2_13704-.Lpost_getpc21345)>>32
	s_setpc_b64 s[14:15]
.LBB2_28041:
	s_movk_i32 s4, 0x80
	v_cmp_eq_u16_sdwa s[12:13], v13, s4 src0_sel:BYTE_0 src1_sel:DWORD
	s_mov_b64 s[4:5], -1
                                        ; implicit-def: $sgpr10
	s_and_saveexec_b64 s[8:9], s[12:13]
; %bb.28042:
	s_mov_b32 s10, 0x7f800001
	s_xor_b64 s[4:5], exec, -1
; %bb.28043:
	s_or_b64 exec, exec, s[8:9]
	s_and_b64 s[4:5], s[4:5], exec
	s_or_saveexec_b64 s[6:7], s[6:7]
	v_mov_b32_e32 v12, s10
	s_xor_b64 exec, exec, s[6:7]
	s_cbranch_execnz .LBB2_28044
; %bb.63881:
	s_getpc_b64 s[14:15]
.Lpost_getpc35524:
	s_add_u32 s14, s14, (.LBB2_13706-.Lpost_getpc35524)&4294967295
	s_addc_u32 s15, s15, (.LBB2_13706-.Lpost_getpc35524)>>32
	s_setpc_b64 s[14:15]
.LBB2_28044:
	v_mov_b32_e32 v12, 0
	v_cmp_ne_u16_sdwa s[8:9], v13, v12 src0_sel:BYTE_0 src1_sel:DWORD
	s_andn2_b64 s[4:5], s[4:5], exec
	s_and_b64 s[8:9], s[8:9], exec
	s_or_b64 s[4:5], s[4:5], s[8:9]
	s_or_b64 exec, exec, s[6:7]
	s_and_saveexec_b64 s[6:7], s[4:5]
	s_cbranch_execz .LBB2_35525
; %bb.63883:
	s_getpc_b64 s[14:15]
.Lpost_getpc35525:
	s_add_u32 s14, s14, (.LBB2_13707-.Lpost_getpc35525)&4294967295
	s_addc_u32 s15, s15, (.LBB2_13707-.Lpost_getpc35525)>>32
	s_setpc_b64 s[14:15]
.LBB2_35525:
	s_getpc_b64 s[14:15]
.Lpost_getpc21346:
	s_add_u32 s14, s14, (.LBB2_13708-.Lpost_getpc21346)&4294967295
	s_addc_u32 s15, s15, (.LBB2_13708-.Lpost_getpc21346)>>32
	s_setpc_b64 s[14:15]
.LBB2_28045:
	s_movk_i32 s4, 0x80
	v_cmp_eq_u16_sdwa s[12:13], v13, s4 src0_sel:BYTE_0 src1_sel:DWORD
	s_mov_b64 s[4:5], -1
                                        ; implicit-def: $sgpr10
	s_and_saveexec_b64 s[8:9], s[12:13]
; %bb.28046:
	s_mov_b32 s10, 0x7f800001
	s_xor_b64 s[4:5], exec, -1
; %bb.28047:
	s_or_b64 exec, exec, s[8:9]
	s_and_b64 s[4:5], s[4:5], exec
	s_or_saveexec_b64 s[6:7], s[6:7]
	v_mov_b32_e32 v14, s10
	s_xor_b64 exec, exec, s[6:7]
	s_cbranch_execnz .LBB2_28048
; %bb.63885:
	s_getpc_b64 s[14:15]
.Lpost_getpc35526:
	s_add_u32 s14, s14, (.LBB2_13710-.Lpost_getpc35526)&4294967295
	s_addc_u32 s15, s15, (.LBB2_13710-.Lpost_getpc35526)>>32
	s_setpc_b64 s[14:15]
.LBB2_28048:
	v_mov_b32_e32 v14, 0
	v_cmp_ne_u16_sdwa s[8:9], v13, v14 src0_sel:BYTE_0 src1_sel:DWORD
	s_andn2_b64 s[4:5], s[4:5], exec
	s_and_b64 s[8:9], s[8:9], exec
	s_or_b64 s[4:5], s[4:5], s[8:9]
	s_or_b64 exec, exec, s[6:7]
	s_and_saveexec_b64 s[6:7], s[4:5]
	s_cbranch_execz .LBB2_35527
; %bb.63887:
	s_getpc_b64 s[14:15]
.Lpost_getpc35527:
	s_add_u32 s14, s14, (.LBB2_13711-.Lpost_getpc35527)&4294967295
	s_addc_u32 s15, s15, (.LBB2_13711-.Lpost_getpc35527)>>32
	s_setpc_b64 s[14:15]
.LBB2_35527:
	s_getpc_b64 s[14:15]
.Lpost_getpc21347:
	s_add_u32 s14, s14, (.LBB2_13712-.Lpost_getpc21347)&4294967295
	s_addc_u32 s15, s15, (.LBB2_13712-.Lpost_getpc21347)>>32
	s_setpc_b64 s[14:15]
.LBB2_28049:
	s_movk_i32 s4, 0x80
	v_cmp_eq_u16_e32 vcc, s4, v13
	s_mov_b64 s[4:5], -1
                                        ; implicit-def: $sgpr10
	s_and_saveexec_b64 s[8:9], vcc
; %bb.28050:
	s_mov_b32 s10, 0x7f800001
	s_xor_b64 s[4:5], exec, -1
; %bb.28051:
	s_or_b64 exec, exec, s[8:9]
	s_and_b64 s[4:5], s[4:5], exec
                                        ; implicit-def: $vgpr13
	s_or_saveexec_b64 s[6:7], s[6:7]
	v_mov_b32_e32 v12, s10
	s_xor_b64 exec, exec, s[6:7]
	s_cbranch_execnz .LBB2_28052
; %bb.63889:
	s_getpc_b64 s[14:15]
.Lpost_getpc35528:
	s_add_u32 s14, s14, (.LBB2_13714-.Lpost_getpc35528)&4294967295
	s_addc_u32 s15, s15, (.LBB2_13714-.Lpost_getpc35528)>>32
	s_setpc_b64 s[14:15]
.LBB2_28052:
	v_cmp_ne_u16_e32 vcc, 0, v13
	s_andn2_b64 s[4:5], s[4:5], exec
	s_and_b64 s[8:9], vcc, exec
	v_mov_b32_e32 v12, 0
	s_or_b64 s[4:5], s[4:5], s[8:9]
	s_or_b64 exec, exec, s[6:7]
	s_and_saveexec_b64 s[6:7], s[4:5]
	s_cbranch_execz .LBB2_35529
; %bb.63891:
	s_getpc_b64 s[14:15]
.Lpost_getpc35529:
	s_add_u32 s14, s14, (.LBB2_13715-.Lpost_getpc35529)&4294967295
	s_addc_u32 s15, s15, (.LBB2_13715-.Lpost_getpc35529)>>32
	s_setpc_b64 s[14:15]
.LBB2_35529:
	s_getpc_b64 s[14:15]
.Lpost_getpc21348:
	s_add_u32 s14, s14, (.LBB2_13716-.Lpost_getpc21348)&4294967295
	s_addc_u32 s15, s15, (.LBB2_13716-.Lpost_getpc21348)>>32
	s_setpc_b64 s[14:15]
.LBB2_28053:
	s_movk_i32 s4, 0x80
	v_cmp_eq_u16_e32 vcc, s4, v13
	s_mov_b64 s[4:5], -1
                                        ; implicit-def: $sgpr10
	s_and_saveexec_b64 s[8:9], vcc
; %bb.28054:
	s_mov_b32 s10, 0x7f800001
	s_xor_b64 s[4:5], exec, -1
; %bb.28055:
	s_or_b64 exec, exec, s[8:9]
	s_and_b64 s[4:5], s[4:5], exec
                                        ; implicit-def: $vgpr13
	s_or_saveexec_b64 s[6:7], s[6:7]
	v_mov_b32_e32 v14, s10
	s_xor_b64 exec, exec, s[6:7]
	s_cbranch_execnz .LBB2_28056
; %bb.63893:
	s_getpc_b64 s[14:15]
.Lpost_getpc35530:
	s_add_u32 s14, s14, (.LBB2_13718-.Lpost_getpc35530)&4294967295
	s_addc_u32 s15, s15, (.LBB2_13718-.Lpost_getpc35530)>>32
	s_setpc_b64 s[14:15]
.LBB2_28056:
	v_cmp_ne_u16_e32 vcc, 0, v13
	s_andn2_b64 s[4:5], s[4:5], exec
	s_and_b64 s[8:9], vcc, exec
	v_mov_b32_e32 v14, 0
	s_or_b64 s[4:5], s[4:5], s[8:9]
	s_or_b64 exec, exec, s[6:7]
	s_and_saveexec_b64 s[6:7], s[4:5]
	s_cbranch_execz .LBB2_35531
; %bb.63895:
	s_getpc_b64 s[14:15]
.Lpost_getpc35531:
	s_add_u32 s14, s14, (.LBB2_13719-.Lpost_getpc35531)&4294967295
	s_addc_u32 s15, s15, (.LBB2_13719-.Lpost_getpc35531)>>32
	s_setpc_b64 s[14:15]
.LBB2_35531:
	s_getpc_b64 s[14:15]
.Lpost_getpc21349:
	s_add_u32 s14, s14, (.LBB2_13720-.Lpost_getpc21349)&4294967295
	s_addc_u32 s15, s15, (.LBB2_13720-.Lpost_getpc21349)>>32
	s_setpc_b64 s[14:15]
.LBB2_28057:
	s_movk_i32 s4, 0x80
	v_cmp_eq_u16_sdwa s[12:13], v6, s4 src0_sel:BYTE_3 src1_sel:DWORD
	s_mov_b64 s[4:5], -1
                                        ; implicit-def: $sgpr10
	s_and_saveexec_b64 s[8:9], s[12:13]
; %bb.28058:
	s_mov_b32 s10, 0x7f800001
	s_xor_b64 s[4:5], exec, -1
; %bb.28059:
	s_or_b64 exec, exec, s[8:9]
	s_and_b64 s[4:5], s[4:5], exec
	s_or_saveexec_b64 s[6:7], s[6:7]
	v_mov_b32_e32 v12, s10
	s_xor_b64 exec, exec, s[6:7]
	s_cbranch_execnz .LBB2_28060
; %bb.63897:
	s_getpc_b64 s[14:15]
.Lpost_getpc35532:
	s_add_u32 s14, s14, (.LBB2_13722-.Lpost_getpc35532)&4294967295
	s_addc_u32 s15, s15, (.LBB2_13722-.Lpost_getpc35532)>>32
	s_setpc_b64 s[14:15]
.LBB2_28060:
	v_mov_b32_e32 v12, 0
	v_cmp_ne_u16_sdwa s[8:9], v6, v12 src0_sel:BYTE_3 src1_sel:DWORD
	s_andn2_b64 s[4:5], s[4:5], exec
	s_and_b64 s[8:9], s[8:9], exec
	s_or_b64 s[4:5], s[4:5], s[8:9]
	s_or_b64 exec, exec, s[6:7]
	s_and_saveexec_b64 s[6:7], s[4:5]
	s_cbranch_execz .LBB2_35533
; %bb.63899:
	s_getpc_b64 s[14:15]
.Lpost_getpc35533:
	s_add_u32 s14, s14, (.LBB2_13723-.Lpost_getpc35533)&4294967295
	s_addc_u32 s15, s15, (.LBB2_13723-.Lpost_getpc35533)>>32
	s_setpc_b64 s[14:15]
.LBB2_35533:
	s_getpc_b64 s[14:15]
.Lpost_getpc21350:
	s_add_u32 s14, s14, (.LBB2_13724-.Lpost_getpc21350)&4294967295
	s_addc_u32 s15, s15, (.LBB2_13724-.Lpost_getpc21350)>>32
	s_setpc_b64 s[14:15]
.LBB2_28061:
	s_movk_i32 s4, 0x80
	v_cmp_eq_u16_sdwa s[12:13], v2, s4 src0_sel:BYTE_3 src1_sel:DWORD
	s_mov_b64 s[4:5], -1
                                        ; implicit-def: $sgpr10
	s_and_saveexec_b64 s[8:9], s[12:13]
; %bb.28062:
	s_mov_b32 s10, 0x7f800001
	s_xor_b64 s[4:5], exec, -1
; %bb.28063:
	s_or_b64 exec, exec, s[8:9]
	s_and_b64 s[4:5], s[4:5], exec
	s_or_saveexec_b64 s[6:7], s[6:7]
	v_mov_b32_e32 v6, s10
	s_xor_b64 exec, exec, s[6:7]
	s_cbranch_execnz .LBB2_28064
; %bb.63901:
	s_getpc_b64 s[14:15]
.Lpost_getpc35534:
	s_add_u32 s14, s14, (.LBB2_13726-.Lpost_getpc35534)&4294967295
	s_addc_u32 s15, s15, (.LBB2_13726-.Lpost_getpc35534)>>32
	s_setpc_b64 s[14:15]
.LBB2_28064:
	v_mov_b32_e32 v6, 0
	v_cmp_ne_u16_sdwa s[8:9], v2, v6 src0_sel:BYTE_3 src1_sel:DWORD
	s_andn2_b64 s[4:5], s[4:5], exec
	s_and_b64 s[8:9], s[8:9], exec
	s_or_b64 s[4:5], s[4:5], s[8:9]
	s_or_b64 exec, exec, s[6:7]
	s_and_saveexec_b64 s[6:7], s[4:5]
	s_cbranch_execz .LBB2_35535
; %bb.63903:
	s_getpc_b64 s[14:15]
.Lpost_getpc35535:
	s_add_u32 s14, s14, (.LBB2_13727-.Lpost_getpc35535)&4294967295
	s_addc_u32 s15, s15, (.LBB2_13727-.Lpost_getpc35535)>>32
	s_setpc_b64 s[14:15]
.LBB2_35535:
	s_getpc_b64 s[14:15]
.Lpost_getpc21351:
	s_add_u32 s14, s14, (.LBB2_13728-.Lpost_getpc21351)&4294967295
	s_addc_u32 s15, s15, (.LBB2_13728-.Lpost_getpc21351)>>32
	s_setpc_b64 s[14:15]
.LBB2_28065:
	s_movk_i32 s4, 0x80
	v_cmp_eq_u16_sdwa s[12:13], v7, s4 src0_sel:BYTE_0 src1_sel:DWORD
	s_mov_b64 s[4:5], -1
                                        ; implicit-def: $sgpr10
	s_and_saveexec_b64 s[8:9], s[12:13]
; %bb.28066:
	s_mov_b32 s10, 0x7f800001
	s_xor_b64 s[4:5], exec, -1
; %bb.28067:
	s_or_b64 exec, exec, s[8:9]
	s_and_b64 s[4:5], s[4:5], exec
	s_or_saveexec_b64 s[6:7], s[6:7]
	v_mov_b32_e32 v2, s10
	s_xor_b64 exec, exec, s[6:7]
	s_cbranch_execnz .LBB2_28068
; %bb.63905:
	s_getpc_b64 s[14:15]
.Lpost_getpc35536:
	s_add_u32 s14, s14, (.LBB2_13730-.Lpost_getpc35536)&4294967295
	s_addc_u32 s15, s15, (.LBB2_13730-.Lpost_getpc35536)>>32
	s_setpc_b64 s[14:15]
.LBB2_28068:
	v_mov_b32_e32 v2, 0
	v_cmp_ne_u16_sdwa s[8:9], v7, v2 src0_sel:BYTE_0 src1_sel:DWORD
	s_andn2_b64 s[4:5], s[4:5], exec
	s_and_b64 s[8:9], s[8:9], exec
	s_or_b64 s[4:5], s[4:5], s[8:9]
	s_or_b64 exec, exec, s[6:7]
	s_and_saveexec_b64 s[6:7], s[4:5]
	s_cbranch_execz .LBB2_35537
; %bb.63907:
	s_getpc_b64 s[14:15]
.Lpost_getpc35537:
	s_add_u32 s14, s14, (.LBB2_13731-.Lpost_getpc35537)&4294967295
	s_addc_u32 s15, s15, (.LBB2_13731-.Lpost_getpc35537)>>32
	s_setpc_b64 s[14:15]
.LBB2_35537:
	s_getpc_b64 s[14:15]
.Lpost_getpc21352:
	s_add_u32 s14, s14, (.LBB2_13732-.Lpost_getpc21352)&4294967295
	s_addc_u32 s15, s15, (.LBB2_13732-.Lpost_getpc21352)>>32
	s_setpc_b64 s[14:15]
.LBB2_28069:
	s_movk_i32 s4, 0x80
	v_cmp_eq_u16_sdwa s[12:13], v3, s4 src0_sel:BYTE_0 src1_sel:DWORD
	s_mov_b64 s[4:5], -1
                                        ; implicit-def: $sgpr10
	s_and_saveexec_b64 s[8:9], s[12:13]
; %bb.28070:
	s_mov_b32 s10, 0x7f800001
	s_xor_b64 s[4:5], exec, -1
; %bb.28071:
	s_or_b64 exec, exec, s[8:9]
	s_and_b64 s[4:5], s[4:5], exec
	s_or_saveexec_b64 s[6:7], s[6:7]
	v_mov_b32_e32 v6, s10
	s_xor_b64 exec, exec, s[6:7]
	s_cbranch_execnz .LBB2_28072
; %bb.63909:
	s_getpc_b64 s[14:15]
.Lpost_getpc35538:
	s_add_u32 s14, s14, (.LBB2_13734-.Lpost_getpc35538)&4294967295
	s_addc_u32 s15, s15, (.LBB2_13734-.Lpost_getpc35538)>>32
	s_setpc_b64 s[14:15]
.LBB2_28072:
	v_mov_b32_e32 v6, 0
	v_cmp_ne_u16_sdwa s[8:9], v3, v6 src0_sel:BYTE_0 src1_sel:DWORD
	s_andn2_b64 s[4:5], s[4:5], exec
	s_and_b64 s[8:9], s[8:9], exec
	s_or_b64 s[4:5], s[4:5], s[8:9]
	s_or_b64 exec, exec, s[6:7]
	s_and_saveexec_b64 s[6:7], s[4:5]
	s_cbranch_execz .LBB2_35539
; %bb.63911:
	s_getpc_b64 s[14:15]
.Lpost_getpc35539:
	s_add_u32 s14, s14, (.LBB2_13735-.Lpost_getpc35539)&4294967295
	s_addc_u32 s15, s15, (.LBB2_13735-.Lpost_getpc35539)>>32
	s_setpc_b64 s[14:15]
.LBB2_35539:
	s_getpc_b64 s[14:15]
.Lpost_getpc21353:
	s_add_u32 s14, s14, (.LBB2_13736-.Lpost_getpc21353)&4294967295
	s_addc_u32 s15, s15, (.LBB2_13736-.Lpost_getpc21353)>>32
	s_setpc_b64 s[14:15]
.LBB2_28073:
	s_movk_i32 s4, 0x80
	v_cmp_eq_u16_sdwa s[12:13], v6, s4 src0_sel:BYTE_0 src1_sel:DWORD
	s_mov_b64 s[4:5], -1
                                        ; implicit-def: $sgpr10
	s_and_saveexec_b64 s[8:9], s[12:13]
; %bb.28074:
	s_mov_b32 s10, 0x7f800001
	s_xor_b64 s[4:5], exec, -1
; %bb.28075:
	s_or_b64 exec, exec, s[8:9]
	s_and_b64 s[4:5], s[4:5], exec
	s_or_saveexec_b64 s[6:7], s[6:7]
	v_mov_b32_e32 v2, s10
	s_xor_b64 exec, exec, s[6:7]
	s_cbranch_execnz .LBB2_28076
; %bb.63913:
	s_getpc_b64 s[14:15]
.Lpost_getpc35540:
	s_add_u32 s14, s14, (.LBB2_13738-.Lpost_getpc35540)&4294967295
	s_addc_u32 s15, s15, (.LBB2_13738-.Lpost_getpc35540)>>32
	s_setpc_b64 s[14:15]
.LBB2_28076:
	v_mov_b32_e32 v2, 0
	v_cmp_ne_u16_sdwa s[8:9], v6, v2 src0_sel:BYTE_0 src1_sel:DWORD
	s_andn2_b64 s[4:5], s[4:5], exec
	s_and_b64 s[8:9], s[8:9], exec
	s_or_b64 s[4:5], s[4:5], s[8:9]
	s_or_b64 exec, exec, s[6:7]
	s_and_saveexec_b64 s[6:7], s[4:5]
	s_cbranch_execz .LBB2_35541
; %bb.63915:
	s_getpc_b64 s[14:15]
.Lpost_getpc35541:
	s_add_u32 s14, s14, (.LBB2_13739-.Lpost_getpc35541)&4294967295
	s_addc_u32 s15, s15, (.LBB2_13739-.Lpost_getpc35541)>>32
	s_setpc_b64 s[14:15]
.LBB2_35541:
	s_getpc_b64 s[14:15]
.Lpost_getpc21354:
	s_add_u32 s14, s14, (.LBB2_13740-.Lpost_getpc21354)&4294967295
	s_addc_u32 s15, s15, (.LBB2_13740-.Lpost_getpc21354)>>32
	s_setpc_b64 s[14:15]
.LBB2_28077:
	s_movk_i32 s4, 0x80
	v_cmp_eq_u16_sdwa s[12:13], v6, s4 src0_sel:BYTE_0 src1_sel:DWORD
	s_mov_b64 s[4:5], -1
                                        ; implicit-def: $sgpr10
	s_and_saveexec_b64 s[8:9], s[12:13]
; %bb.28078:
	s_mov_b32 s10, 0x7f800001
	s_xor_b64 s[4:5], exec, -1
; %bb.28079:
	s_or_b64 exec, exec, s[8:9]
	s_and_b64 s[4:5], s[4:5], exec
	s_or_saveexec_b64 s[6:7], s[6:7]
	v_mov_b32_e32 v12, s10
	s_xor_b64 exec, exec, s[6:7]
	s_cbranch_execnz .LBB2_28080
; %bb.63917:
	s_getpc_b64 s[14:15]
.Lpost_getpc35542:
	s_add_u32 s14, s14, (.LBB2_13742-.Lpost_getpc35542)&4294967295
	s_addc_u32 s15, s15, (.LBB2_13742-.Lpost_getpc35542)>>32
	s_setpc_b64 s[14:15]
.LBB2_28080:
	v_mov_b32_e32 v12, 0
	v_cmp_ne_u16_sdwa s[8:9], v6, v12 src0_sel:BYTE_0 src1_sel:DWORD
	s_andn2_b64 s[4:5], s[4:5], exec
	s_and_b64 s[8:9], s[8:9], exec
	s_or_b64 s[4:5], s[4:5], s[8:9]
	s_or_b64 exec, exec, s[6:7]
	s_and_saveexec_b64 s[6:7], s[4:5]
	s_cbranch_execz .LBB2_35543
; %bb.63919:
	s_getpc_b64 s[14:15]
.Lpost_getpc35543:
	s_add_u32 s14, s14, (.LBB2_13743-.Lpost_getpc35543)&4294967295
	s_addc_u32 s15, s15, (.LBB2_13743-.Lpost_getpc35543)>>32
	s_setpc_b64 s[14:15]
.LBB2_35543:
	s_getpc_b64 s[14:15]
.Lpost_getpc21355:
	s_add_u32 s14, s14, (.LBB2_13744-.Lpost_getpc21355)&4294967295
	s_addc_u32 s15, s15, (.LBB2_13744-.Lpost_getpc21355)>>32
	s_setpc_b64 s[14:15]
.LBB2_28081:
	s_movk_i32 s4, 0x80
	v_cmp_eq_u16_e32 vcc, s4, v6
	s_mov_b64 s[4:5], -1
                                        ; implicit-def: $sgpr10
	s_and_saveexec_b64 s[8:9], vcc
; %bb.28082:
	s_mov_b32 s10, 0x7f800001
	s_xor_b64 s[4:5], exec, -1
; %bb.28083:
	s_or_b64 exec, exec, s[8:9]
	s_and_b64 s[4:5], s[4:5], exec
                                        ; implicit-def: $vgpr6
	s_or_saveexec_b64 s[6:7], s[6:7]
	v_mov_b32_e32 v2, s10
	s_xor_b64 exec, exec, s[6:7]
	s_cbranch_execnz .LBB2_28084
; %bb.63921:
	s_getpc_b64 s[14:15]
.Lpost_getpc35544:
	s_add_u32 s14, s14, (.LBB2_13746-.Lpost_getpc35544)&4294967295
	s_addc_u32 s15, s15, (.LBB2_13746-.Lpost_getpc35544)>>32
	s_setpc_b64 s[14:15]
.LBB2_28084:
	v_cmp_ne_u16_e32 vcc, 0, v6
	s_andn2_b64 s[4:5], s[4:5], exec
	s_and_b64 s[8:9], vcc, exec
	v_mov_b32_e32 v2, 0
	s_or_b64 s[4:5], s[4:5], s[8:9]
	s_or_b64 exec, exec, s[6:7]
	s_and_saveexec_b64 s[6:7], s[4:5]
	s_cbranch_execz .LBB2_35545
; %bb.63923:
	s_getpc_b64 s[14:15]
.Lpost_getpc35545:
	s_add_u32 s14, s14, (.LBB2_13747-.Lpost_getpc35545)&4294967295
	s_addc_u32 s15, s15, (.LBB2_13747-.Lpost_getpc35545)>>32
	s_setpc_b64 s[14:15]
.LBB2_35545:
	s_getpc_b64 s[14:15]
.Lpost_getpc21356:
	s_add_u32 s14, s14, (.LBB2_13748-.Lpost_getpc21356)&4294967295
	s_addc_u32 s15, s15, (.LBB2_13748-.Lpost_getpc21356)>>32
	s_setpc_b64 s[14:15]
.LBB2_28085:
	s_movk_i32 s4, 0x80
	v_cmp_eq_u16_e32 vcc, s4, v6
	s_mov_b64 s[4:5], -1
                                        ; implicit-def: $sgpr10
	s_and_saveexec_b64 s[8:9], vcc
; %bb.28086:
	s_mov_b32 s10, 0x7f800001
	s_xor_b64 s[4:5], exec, -1
; %bb.28087:
	s_or_b64 exec, exec, s[8:9]
	s_and_b64 s[4:5], s[4:5], exec
                                        ; implicit-def: $vgpr6
	s_or_saveexec_b64 s[6:7], s[6:7]
	v_mov_b32_e32 v12, s10
	s_xor_b64 exec, exec, s[6:7]
	s_cbranch_execnz .LBB2_28088
; %bb.63925:
	s_getpc_b64 s[14:15]
.Lpost_getpc35546:
	s_add_u32 s14, s14, (.LBB2_13750-.Lpost_getpc35546)&4294967295
	s_addc_u32 s15, s15, (.LBB2_13750-.Lpost_getpc35546)>>32
	s_setpc_b64 s[14:15]
.LBB2_28088:
	v_cmp_ne_u16_e32 vcc, 0, v6
	s_andn2_b64 s[4:5], s[4:5], exec
	s_and_b64 s[8:9], vcc, exec
	v_mov_b32_e32 v12, 0
	s_or_b64 s[4:5], s[4:5], s[8:9]
	s_or_b64 exec, exec, s[6:7]
	s_and_saveexec_b64 s[6:7], s[4:5]
	s_cbranch_execz .LBB2_35547
; %bb.63927:
	s_getpc_b64 s[14:15]
.Lpost_getpc35547:
	s_add_u32 s14, s14, (.LBB2_13751-.Lpost_getpc35547)&4294967295
	s_addc_u32 s15, s15, (.LBB2_13751-.Lpost_getpc35547)>>32
	s_setpc_b64 s[14:15]
.LBB2_35547:
	s_getpc_b64 s[14:15]
.Lpost_getpc21357:
	s_add_u32 s14, s14, (.LBB2_13752-.Lpost_getpc21357)&4294967295
	s_addc_u32 s15, s15, (.LBB2_13752-.Lpost_getpc21357)>>32
	s_setpc_b64 s[14:15]
.LBB2_28089:
	s_movk_i32 s4, 0x80
	v_cmp_eq_u16_sdwa s[12:13], v7, s4 src0_sel:BYTE_3 src1_sel:DWORD
	s_mov_b64 s[4:5], -1
                                        ; implicit-def: $sgpr10
	s_and_saveexec_b64 s[8:9], s[12:13]
; %bb.28090:
	s_mov_b32 s10, 0x7f800001
	s_xor_b64 s[4:5], exec, -1
; %bb.28091:
	s_or_b64 exec, exec, s[8:9]
	s_and_b64 s[4:5], s[4:5], exec
	s_or_saveexec_b64 s[6:7], s[6:7]
	v_mov_b32_e32 v2, s10
	s_xor_b64 exec, exec, s[6:7]
	s_cbranch_execnz .LBB2_28092
; %bb.63929:
	s_getpc_b64 s[14:15]
.Lpost_getpc35548:
	s_add_u32 s14, s14, (.LBB2_13754-.Lpost_getpc35548)&4294967295
	s_addc_u32 s15, s15, (.LBB2_13754-.Lpost_getpc35548)>>32
	s_setpc_b64 s[14:15]
.LBB2_28092:
	v_mov_b32_e32 v2, 0
	v_cmp_ne_u16_sdwa s[8:9], v7, v2 src0_sel:BYTE_3 src1_sel:DWORD
	s_andn2_b64 s[4:5], s[4:5], exec
	s_and_b64 s[8:9], s[8:9], exec
	s_or_b64 s[4:5], s[4:5], s[8:9]
	s_or_b64 exec, exec, s[6:7]
	s_and_saveexec_b64 s[6:7], s[4:5]
	s_cbranch_execz .LBB2_35549
; %bb.63931:
	s_getpc_b64 s[14:15]
.Lpost_getpc35549:
	s_add_u32 s14, s14, (.LBB2_13755-.Lpost_getpc35549)&4294967295
	s_addc_u32 s15, s15, (.LBB2_13755-.Lpost_getpc35549)>>32
	s_setpc_b64 s[14:15]
.LBB2_35549:
	s_getpc_b64 s[14:15]
.Lpost_getpc21358:
	s_add_u32 s14, s14, (.LBB2_13756-.Lpost_getpc21358)&4294967295
	s_addc_u32 s15, s15, (.LBB2_13756-.Lpost_getpc21358)>>32
	s_setpc_b64 s[14:15]
.LBB2_28093:
	s_movk_i32 s4, 0x80
	v_cmp_eq_u16_sdwa s[12:13], v3, s4 src0_sel:BYTE_3 src1_sel:DWORD
	s_mov_b64 s[4:5], -1
                                        ; implicit-def: $sgpr10
	s_and_saveexec_b64 s[8:9], s[12:13]
; %bb.28094:
	s_mov_b32 s10, 0x7f800001
	s_xor_b64 s[4:5], exec, -1
; %bb.28095:
	s_or_b64 exec, exec, s[8:9]
	s_and_b64 s[4:5], s[4:5], exec
	s_or_saveexec_b64 s[6:7], s[6:7]
	v_mov_b32_e32 v6, s10
	s_xor_b64 exec, exec, s[6:7]
	s_cbranch_execnz .LBB2_28096
; %bb.63933:
	s_getpc_b64 s[14:15]
.Lpost_getpc35550:
	s_add_u32 s14, s14, (.LBB2_13758-.Lpost_getpc35550)&4294967295
	s_addc_u32 s15, s15, (.LBB2_13758-.Lpost_getpc35550)>>32
	s_setpc_b64 s[14:15]
.LBB2_28096:
	v_mov_b32_e32 v6, 0
	v_cmp_ne_u16_sdwa s[8:9], v3, v6 src0_sel:BYTE_3 src1_sel:DWORD
	s_andn2_b64 s[4:5], s[4:5], exec
	s_and_b64 s[8:9], s[8:9], exec
	s_or_b64 s[4:5], s[4:5], s[8:9]
	s_or_b64 exec, exec, s[6:7]
	s_and_saveexec_b64 s[6:7], s[4:5]
	s_cbranch_execz .LBB2_35551
; %bb.63935:
	s_getpc_b64 s[14:15]
.Lpost_getpc35551:
	s_add_u32 s14, s14, (.LBB2_13759-.Lpost_getpc35551)&4294967295
	s_addc_u32 s15, s15, (.LBB2_13759-.Lpost_getpc35551)>>32
	s_setpc_b64 s[14:15]
.LBB2_35551:
	s_getpc_b64 s[14:15]
.Lpost_getpc21359:
	s_add_u32 s14, s14, (.LBB2_13760-.Lpost_getpc21359)&4294967295
	s_addc_u32 s15, s15, (.LBB2_13760-.Lpost_getpc21359)>>32
	s_setpc_b64 s[14:15]
.LBB2_28097:
	s_movk_i32 s4, 0x80
	v_cmp_eq_u16_sdwa s[12:13], v8, s4 src0_sel:BYTE_0 src1_sel:DWORD
	s_mov_b64 s[4:5], -1
                                        ; implicit-def: $sgpr10
	s_and_saveexec_b64 s[8:9], s[12:13]
; %bb.28098:
	s_mov_b32 s10, 0x7f800001
	s_xor_b64 s[4:5], exec, -1
; %bb.28099:
	s_or_b64 exec, exec, s[8:9]
	s_and_b64 s[4:5], s[4:5], exec
	s_or_saveexec_b64 s[6:7], s[6:7]
	v_mov_b32_e32 v2, s10
	s_xor_b64 exec, exec, s[6:7]
	s_cbranch_execnz .LBB2_28100
; %bb.63937:
	s_getpc_b64 s[14:15]
.Lpost_getpc35552:
	s_add_u32 s14, s14, (.LBB2_13762-.Lpost_getpc35552)&4294967295
	s_addc_u32 s15, s15, (.LBB2_13762-.Lpost_getpc35552)>>32
	s_setpc_b64 s[14:15]
.LBB2_28100:
	v_mov_b32_e32 v2, 0
	v_cmp_ne_u16_sdwa s[8:9], v8, v2 src0_sel:BYTE_0 src1_sel:DWORD
	s_andn2_b64 s[4:5], s[4:5], exec
	s_and_b64 s[8:9], s[8:9], exec
	s_or_b64 s[4:5], s[4:5], s[8:9]
	s_or_b64 exec, exec, s[6:7]
	s_and_saveexec_b64 s[6:7], s[4:5]
	s_cbranch_execz .LBB2_35553
; %bb.63939:
	s_getpc_b64 s[14:15]
.Lpost_getpc35553:
	s_add_u32 s14, s14, (.LBB2_13763-.Lpost_getpc35553)&4294967295
	s_addc_u32 s15, s15, (.LBB2_13763-.Lpost_getpc35553)>>32
	s_setpc_b64 s[14:15]
.LBB2_35553:
	s_getpc_b64 s[14:15]
.Lpost_getpc21360:
	s_add_u32 s14, s14, (.LBB2_13764-.Lpost_getpc21360)&4294967295
	s_addc_u32 s15, s15, (.LBB2_13764-.Lpost_getpc21360)>>32
	s_setpc_b64 s[14:15]
.LBB2_28101:
	s_movk_i32 s4, 0x80
	v_cmp_eq_u16_sdwa s[12:13], v4, s4 src0_sel:BYTE_0 src1_sel:DWORD
	s_mov_b64 s[4:5], -1
                                        ; implicit-def: $sgpr10
	s_and_saveexec_b64 s[8:9], s[12:13]
; %bb.28102:
	s_mov_b32 s10, 0x7f800001
	s_xor_b64 s[4:5], exec, -1
; %bb.28103:
	s_or_b64 exec, exec, s[8:9]
	s_and_b64 s[4:5], s[4:5], exec
	s_or_saveexec_b64 s[6:7], s[6:7]
	v_mov_b32_e32 v3, s10
	s_xor_b64 exec, exec, s[6:7]
	s_cbranch_execnz .LBB2_28104
; %bb.63941:
	s_getpc_b64 s[14:15]
.Lpost_getpc35554:
	s_add_u32 s14, s14, (.LBB2_13766-.Lpost_getpc35554)&4294967295
	s_addc_u32 s15, s15, (.LBB2_13766-.Lpost_getpc35554)>>32
	s_setpc_b64 s[14:15]
.LBB2_28104:
	v_mov_b32_e32 v3, 0
	v_cmp_ne_u16_sdwa s[8:9], v4, v3 src0_sel:BYTE_0 src1_sel:DWORD
	s_andn2_b64 s[4:5], s[4:5], exec
	s_and_b64 s[8:9], s[8:9], exec
	s_or_b64 s[4:5], s[4:5], s[8:9]
	s_or_b64 exec, exec, s[6:7]
	s_and_saveexec_b64 s[6:7], s[4:5]
	s_cbranch_execz .LBB2_35555
; %bb.63943:
	s_getpc_b64 s[14:15]
.Lpost_getpc35555:
	s_add_u32 s14, s14, (.LBB2_13767-.Lpost_getpc35555)&4294967295
	s_addc_u32 s15, s15, (.LBB2_13767-.Lpost_getpc35555)>>32
	s_setpc_b64 s[14:15]
.LBB2_35555:
	s_getpc_b64 s[14:15]
.Lpost_getpc21361:
	s_add_u32 s14, s14, (.LBB2_13768-.Lpost_getpc21361)&4294967295
	s_addc_u32 s15, s15, (.LBB2_13768-.Lpost_getpc21361)>>32
	s_setpc_b64 s[14:15]
.LBB2_28105:
	s_movk_i32 s4, 0x80
	v_cmp_eq_u16_sdwa s[12:13], v3, s4 src0_sel:BYTE_0 src1_sel:DWORD
	s_mov_b64 s[4:5], -1
                                        ; implicit-def: $sgpr10
	s_and_saveexec_b64 s[8:9], s[12:13]
; %bb.28106:
	s_mov_b32 s10, 0x7f800001
	s_xor_b64 s[4:5], exec, -1
; %bb.28107:
	s_or_b64 exec, exec, s[8:9]
	s_and_b64 s[4:5], s[4:5], exec
	s_or_saveexec_b64 s[6:7], s[6:7]
	v_mov_b32_e32 v2, s10
	s_xor_b64 exec, exec, s[6:7]
	s_cbranch_execnz .LBB2_28108
; %bb.63945:
	s_getpc_b64 s[14:15]
.Lpost_getpc35556:
	s_add_u32 s14, s14, (.LBB2_13770-.Lpost_getpc35556)&4294967295
	s_addc_u32 s15, s15, (.LBB2_13770-.Lpost_getpc35556)>>32
	s_setpc_b64 s[14:15]
.LBB2_28108:
	v_mov_b32_e32 v2, 0
	v_cmp_ne_u16_sdwa s[8:9], v3, v2 src0_sel:BYTE_0 src1_sel:DWORD
	s_andn2_b64 s[4:5], s[4:5], exec
	s_and_b64 s[8:9], s[8:9], exec
	s_or_b64 s[4:5], s[4:5], s[8:9]
	s_or_b64 exec, exec, s[6:7]
	s_and_saveexec_b64 s[6:7], s[4:5]
	s_cbranch_execz .LBB2_35557
; %bb.63947:
	s_getpc_b64 s[14:15]
.Lpost_getpc35557:
	s_add_u32 s14, s14, (.LBB2_13771-.Lpost_getpc35557)&4294967295
	s_addc_u32 s15, s15, (.LBB2_13771-.Lpost_getpc35557)>>32
	s_setpc_b64 s[14:15]
.LBB2_35557:
	s_getpc_b64 s[14:15]
.Lpost_getpc21362:
	s_add_u32 s14, s14, (.LBB2_13772-.Lpost_getpc21362)&4294967295
	s_addc_u32 s15, s15, (.LBB2_13772-.Lpost_getpc21362)>>32
	s_setpc_b64 s[14:15]
.LBB2_28109:
	s_movk_i32 s4, 0x80
	v_cmp_eq_u16_sdwa s[12:13], v3, s4 src0_sel:BYTE_0 src1_sel:DWORD
	s_mov_b64 s[4:5], -1
                                        ; implicit-def: $sgpr10
	s_and_saveexec_b64 s[8:9], s[12:13]
; %bb.28110:
	s_mov_b32 s10, 0x7f800001
	s_xor_b64 s[4:5], exec, -1
; %bb.28111:
	s_or_b64 exec, exec, s[8:9]
	s_and_b64 s[4:5], s[4:5], exec
	s_or_saveexec_b64 s[6:7], s[6:7]
	v_mov_b32_e32 v6, s10
	s_xor_b64 exec, exec, s[6:7]
	s_cbranch_execnz .LBB2_28112
; %bb.63949:
	s_getpc_b64 s[14:15]
.Lpost_getpc35558:
	s_add_u32 s14, s14, (.LBB2_13774-.Lpost_getpc35558)&4294967295
	s_addc_u32 s15, s15, (.LBB2_13774-.Lpost_getpc35558)>>32
	s_setpc_b64 s[14:15]
.LBB2_28112:
	v_mov_b32_e32 v6, 0
	v_cmp_ne_u16_sdwa s[8:9], v3, v6 src0_sel:BYTE_0 src1_sel:DWORD
	s_andn2_b64 s[4:5], s[4:5], exec
	s_and_b64 s[8:9], s[8:9], exec
	s_or_b64 s[4:5], s[4:5], s[8:9]
	s_or_b64 exec, exec, s[6:7]
	s_and_saveexec_b64 s[6:7], s[4:5]
	s_cbranch_execz .LBB2_35559
; %bb.63951:
	s_getpc_b64 s[14:15]
.Lpost_getpc35559:
	s_add_u32 s14, s14, (.LBB2_13775-.Lpost_getpc35559)&4294967295
	s_addc_u32 s15, s15, (.LBB2_13775-.Lpost_getpc35559)>>32
	s_setpc_b64 s[14:15]
.LBB2_35559:
	s_getpc_b64 s[14:15]
.Lpost_getpc21363:
	s_add_u32 s14, s14, (.LBB2_13776-.Lpost_getpc21363)&4294967295
	s_addc_u32 s15, s15, (.LBB2_13776-.Lpost_getpc21363)>>32
	s_setpc_b64 s[14:15]
.LBB2_28113:
	s_movk_i32 s4, 0x80
	v_cmp_eq_u16_e32 vcc, s4, v3
	s_mov_b64 s[4:5], -1
                                        ; implicit-def: $sgpr10
	s_and_saveexec_b64 s[8:9], vcc
; %bb.28114:
	s_mov_b32 s10, 0x7f800001
	s_xor_b64 s[4:5], exec, -1
; %bb.28115:
	s_or_b64 exec, exec, s[8:9]
	s_and_b64 s[4:5], s[4:5], exec
                                        ; implicit-def: $vgpr3
	s_or_saveexec_b64 s[6:7], s[6:7]
	v_mov_b32_e32 v2, s10
	s_xor_b64 exec, exec, s[6:7]
	s_cbranch_execnz .LBB2_28116
; %bb.63953:
	s_getpc_b64 s[14:15]
.Lpost_getpc35560:
	s_add_u32 s14, s14, (.LBB2_13778-.Lpost_getpc35560)&4294967295
	s_addc_u32 s15, s15, (.LBB2_13778-.Lpost_getpc35560)>>32
	s_setpc_b64 s[14:15]
.LBB2_28116:
	v_cmp_ne_u16_e32 vcc, 0, v3
	s_andn2_b64 s[4:5], s[4:5], exec
	s_and_b64 s[8:9], vcc, exec
	v_mov_b32_e32 v2, 0
	s_or_b64 s[4:5], s[4:5], s[8:9]
	s_or_b64 exec, exec, s[6:7]
	s_and_saveexec_b64 s[6:7], s[4:5]
	s_cbranch_execz .LBB2_35561
; %bb.63955:
	s_getpc_b64 s[14:15]
.Lpost_getpc35561:
	s_add_u32 s14, s14, (.LBB2_13779-.Lpost_getpc35561)&4294967295
	s_addc_u32 s15, s15, (.LBB2_13779-.Lpost_getpc35561)>>32
	s_setpc_b64 s[14:15]
.LBB2_35561:
	s_getpc_b64 s[14:15]
.Lpost_getpc21364:
	s_add_u32 s14, s14, (.LBB2_13780-.Lpost_getpc21364)&4294967295
	s_addc_u32 s15, s15, (.LBB2_13780-.Lpost_getpc21364)>>32
	s_setpc_b64 s[14:15]
.LBB2_28117:
	s_movk_i32 s4, 0x80
	v_cmp_eq_u16_e32 vcc, s4, v3
	s_mov_b64 s[4:5], -1
                                        ; implicit-def: $sgpr10
	s_and_saveexec_b64 s[8:9], vcc
; %bb.28118:
	s_mov_b32 s10, 0x7f800001
	s_xor_b64 s[4:5], exec, -1
; %bb.28119:
	s_or_b64 exec, exec, s[8:9]
	s_and_b64 s[4:5], s[4:5], exec
                                        ; implicit-def: $vgpr3
	s_or_saveexec_b64 s[6:7], s[6:7]
	v_mov_b32_e32 v6, s10
	s_xor_b64 exec, exec, s[6:7]
	s_cbranch_execnz .LBB2_28120
; %bb.63957:
	s_getpc_b64 s[14:15]
.Lpost_getpc35562:
	s_add_u32 s14, s14, (.LBB2_13782-.Lpost_getpc35562)&4294967295
	s_addc_u32 s15, s15, (.LBB2_13782-.Lpost_getpc35562)>>32
	s_setpc_b64 s[14:15]
.LBB2_28120:
	v_cmp_ne_u16_e32 vcc, 0, v3
	s_andn2_b64 s[4:5], s[4:5], exec
	s_and_b64 s[8:9], vcc, exec
	v_mov_b32_e32 v6, 0
	s_or_b64 s[4:5], s[4:5], s[8:9]
	s_or_b64 exec, exec, s[6:7]
	s_and_saveexec_b64 s[6:7], s[4:5]
	s_cbranch_execz .LBB2_35563
; %bb.63959:
	s_getpc_b64 s[14:15]
.Lpost_getpc35563:
	s_add_u32 s14, s14, (.LBB2_13783-.Lpost_getpc35563)&4294967295
	s_addc_u32 s15, s15, (.LBB2_13783-.Lpost_getpc35563)>>32
	s_setpc_b64 s[14:15]
.LBB2_35563:
	s_getpc_b64 s[14:15]
.Lpost_getpc21365:
	s_add_u32 s14, s14, (.LBB2_13784-.Lpost_getpc21365)&4294967295
	s_addc_u32 s15, s15, (.LBB2_13784-.Lpost_getpc21365)>>32
	s_setpc_b64 s[14:15]
.LBB2_28121:
	s_movk_i32 s4, 0x80
	v_cmp_eq_u16_sdwa s[12:13], v8, s4 src0_sel:BYTE_3 src1_sel:DWORD
	s_mov_b64 s[4:5], -1
                                        ; implicit-def: $sgpr10
	s_and_saveexec_b64 s[8:9], s[12:13]
; %bb.28122:
	s_mov_b32 s10, 0x7f800001
	s_xor_b64 s[4:5], exec, -1
; %bb.28123:
	s_or_b64 exec, exec, s[8:9]
	s_and_b64 s[4:5], s[4:5], exec
	s_or_saveexec_b64 s[6:7], s[6:7]
	v_mov_b32_e32 v2, s10
	s_xor_b64 exec, exec, s[6:7]
	s_cbranch_execnz .LBB2_28124
; %bb.63961:
	s_getpc_b64 s[14:15]
.Lpost_getpc35564:
	s_add_u32 s14, s14, (.LBB2_13786-.Lpost_getpc35564)&4294967295
	s_addc_u32 s15, s15, (.LBB2_13786-.Lpost_getpc35564)>>32
	s_setpc_b64 s[14:15]
.LBB2_28124:
	v_mov_b32_e32 v2, 0
	v_cmp_ne_u16_sdwa s[8:9], v8, v2 src0_sel:BYTE_3 src1_sel:DWORD
	s_andn2_b64 s[4:5], s[4:5], exec
	s_and_b64 s[8:9], s[8:9], exec
	s_or_b64 s[4:5], s[4:5], s[8:9]
	s_or_b64 exec, exec, s[6:7]
	s_and_saveexec_b64 s[6:7], s[4:5]
	s_cbranch_execz .LBB2_35565
; %bb.63963:
	s_getpc_b64 s[14:15]
.Lpost_getpc35565:
	s_add_u32 s14, s14, (.LBB2_13787-.Lpost_getpc35565)&4294967295
	s_addc_u32 s15, s15, (.LBB2_13787-.Lpost_getpc35565)>>32
	s_setpc_b64 s[14:15]
.LBB2_35565:
	s_getpc_b64 s[14:15]
.Lpost_getpc21366:
	s_add_u32 s14, s14, (.LBB2_13788-.Lpost_getpc21366)&4294967295
	s_addc_u32 s15, s15, (.LBB2_13788-.Lpost_getpc21366)>>32
	s_setpc_b64 s[14:15]
.LBB2_28125:
	s_movk_i32 s4, 0x80
	v_cmp_eq_u16_sdwa s[12:13], v4, s4 src0_sel:BYTE_3 src1_sel:DWORD
	s_mov_b64 s[4:5], -1
                                        ; implicit-def: $sgpr10
	s_and_saveexec_b64 s[8:9], s[12:13]
; %bb.28126:
	s_mov_b32 s10, 0x7f800001
	s_xor_b64 s[4:5], exec, -1
; %bb.28127:
	s_or_b64 exec, exec, s[8:9]
	s_and_b64 s[4:5], s[4:5], exec
	s_or_saveexec_b64 s[6:7], s[6:7]
	v_mov_b32_e32 v3, s10
	s_xor_b64 exec, exec, s[6:7]
	s_cbranch_execnz .LBB2_28128
; %bb.63965:
	s_getpc_b64 s[14:15]
.Lpost_getpc35566:
	s_add_u32 s14, s14, (.LBB2_13790-.Lpost_getpc35566)&4294967295
	s_addc_u32 s15, s15, (.LBB2_13790-.Lpost_getpc35566)>>32
	s_setpc_b64 s[14:15]
.LBB2_28128:
	v_mov_b32_e32 v3, 0
	v_cmp_ne_u16_sdwa s[8:9], v4, v3 src0_sel:BYTE_3 src1_sel:DWORD
	s_andn2_b64 s[4:5], s[4:5], exec
	s_and_b64 s[8:9], s[8:9], exec
	s_or_b64 s[4:5], s[4:5], s[8:9]
	s_or_b64 exec, exec, s[6:7]
	s_and_saveexec_b64 s[6:7], s[4:5]
	s_cbranch_execz .LBB2_35567
; %bb.63967:
	s_getpc_b64 s[14:15]
.Lpost_getpc35567:
	s_add_u32 s14, s14, (.LBB2_13791-.Lpost_getpc35567)&4294967295
	s_addc_u32 s15, s15, (.LBB2_13791-.Lpost_getpc35567)>>32
	s_setpc_b64 s[14:15]
.LBB2_35567:
	s_getpc_b64 s[14:15]
.Lpost_getpc21367:
	s_add_u32 s14, s14, (.LBB2_13792-.Lpost_getpc21367)&4294967295
	s_addc_u32 s15, s15, (.LBB2_13792-.Lpost_getpc21367)>>32
	s_setpc_b64 s[14:15]
.LBB2_28129:
	s_movk_i32 s4, 0x80
	v_cmp_eq_u16_sdwa s[12:13], v9, s4 src0_sel:BYTE_0 src1_sel:DWORD
	s_mov_b64 s[4:5], -1
                                        ; implicit-def: $sgpr10
	s_and_saveexec_b64 s[8:9], s[12:13]
; %bb.28130:
	s_mov_b32 s10, 0x7f800001
	s_xor_b64 s[4:5], exec, -1
; %bb.28131:
	s_or_b64 exec, exec, s[8:9]
	s_and_b64 s[4:5], s[4:5], exec
	s_or_saveexec_b64 s[6:7], s[6:7]
	v_mov_b32_e32 v2, s10
	s_xor_b64 exec, exec, s[6:7]
	s_cbranch_execnz .LBB2_28132
; %bb.63969:
	s_getpc_b64 s[14:15]
.Lpost_getpc35568:
	s_add_u32 s14, s14, (.LBB2_13794-.Lpost_getpc35568)&4294967295
	s_addc_u32 s15, s15, (.LBB2_13794-.Lpost_getpc35568)>>32
	s_setpc_b64 s[14:15]
.LBB2_28132:
	v_mov_b32_e32 v2, 0
	v_cmp_ne_u16_sdwa s[8:9], v9, v2 src0_sel:BYTE_0 src1_sel:DWORD
	s_andn2_b64 s[4:5], s[4:5], exec
	s_and_b64 s[8:9], s[8:9], exec
	s_or_b64 s[4:5], s[4:5], s[8:9]
	s_or_b64 exec, exec, s[6:7]
	s_and_saveexec_b64 s[6:7], s[4:5]
	s_cbranch_execz .LBB2_35569
; %bb.63971:
	s_getpc_b64 s[14:15]
.Lpost_getpc35569:
	s_add_u32 s14, s14, (.LBB2_13795-.Lpost_getpc35569)&4294967295
	s_addc_u32 s15, s15, (.LBB2_13795-.Lpost_getpc35569)>>32
	s_setpc_b64 s[14:15]
.LBB2_35569:
	s_getpc_b64 s[14:15]
.Lpost_getpc21368:
	s_add_u32 s14, s14, (.LBB2_13796-.Lpost_getpc21368)&4294967295
	s_addc_u32 s15, s15, (.LBB2_13796-.Lpost_getpc21368)>>32
	s_setpc_b64 s[14:15]
.LBB2_28133:
	s_movk_i32 s4, 0x80
	v_cmp_eq_u16_sdwa s[12:13], v5, s4 src0_sel:BYTE_0 src1_sel:DWORD
	s_mov_b64 s[4:5], -1
                                        ; implicit-def: $sgpr10
	s_and_saveexec_b64 s[8:9], s[12:13]
; %bb.28134:
	s_mov_b32 s10, 0x7f800001
	s_xor_b64 s[4:5], exec, -1
; %bb.28135:
	s_or_b64 exec, exec, s[8:9]
	s_and_b64 s[4:5], s[4:5], exec
	s_or_saveexec_b64 s[6:7], s[6:7]
	v_mov_b32_e32 v3, s10
	s_xor_b64 exec, exec, s[6:7]
	s_cbranch_execnz .LBB2_28136
; %bb.63973:
	s_getpc_b64 s[14:15]
.Lpost_getpc35570:
	s_add_u32 s14, s14, (.LBB2_13798-.Lpost_getpc35570)&4294967295
	s_addc_u32 s15, s15, (.LBB2_13798-.Lpost_getpc35570)>>32
	s_setpc_b64 s[14:15]
.LBB2_28136:
	v_mov_b32_e32 v3, 0
	v_cmp_ne_u16_sdwa s[8:9], v5, v3 src0_sel:BYTE_0 src1_sel:DWORD
	s_andn2_b64 s[4:5], s[4:5], exec
	s_and_b64 s[8:9], s[8:9], exec
	s_or_b64 s[4:5], s[4:5], s[8:9]
	s_or_b64 exec, exec, s[6:7]
	s_and_saveexec_b64 s[6:7], s[4:5]
	s_cbranch_execz .LBB2_35571
; %bb.63975:
	s_getpc_b64 s[14:15]
.Lpost_getpc35571:
	s_add_u32 s14, s14, (.LBB2_13799-.Lpost_getpc35571)&4294967295
	s_addc_u32 s15, s15, (.LBB2_13799-.Lpost_getpc35571)>>32
	s_setpc_b64 s[14:15]
.LBB2_35571:
	s_getpc_b64 s[14:15]
.Lpost_getpc21369:
	s_add_u32 s14, s14, (.LBB2_13800-.Lpost_getpc21369)&4294967295
	s_addc_u32 s15, s15, (.LBB2_13800-.Lpost_getpc21369)>>32
	s_setpc_b64 s[14:15]
.LBB2_28137:
	s_movk_i32 s4, 0x80
	v_cmp_eq_u16_sdwa s[12:13], v3, s4 src0_sel:BYTE_0 src1_sel:DWORD
	s_mov_b64 s[4:5], -1
                                        ; implicit-def: $sgpr10
	s_and_saveexec_b64 s[8:9], s[12:13]
; %bb.28138:
	s_mov_b32 s10, 0x7f800001
	s_xor_b64 s[4:5], exec, -1
; %bb.28139:
	s_or_b64 exec, exec, s[8:9]
	s_and_b64 s[4:5], s[4:5], exec
	s_or_saveexec_b64 s[6:7], s[6:7]
	v_mov_b32_e32 v2, s10
	s_xor_b64 exec, exec, s[6:7]
	s_cbranch_execnz .LBB2_28140
; %bb.63977:
	s_getpc_b64 s[14:15]
.Lpost_getpc35572:
	s_add_u32 s14, s14, (.LBB2_13802-.Lpost_getpc35572)&4294967295
	s_addc_u32 s15, s15, (.LBB2_13802-.Lpost_getpc35572)>>32
	s_setpc_b64 s[14:15]
.LBB2_28140:
	v_mov_b32_e32 v2, 0
	v_cmp_ne_u16_sdwa s[8:9], v3, v2 src0_sel:BYTE_0 src1_sel:DWORD
	s_andn2_b64 s[4:5], s[4:5], exec
	s_and_b64 s[8:9], s[8:9], exec
	s_or_b64 s[4:5], s[4:5], s[8:9]
	s_or_b64 exec, exec, s[6:7]
	s_and_saveexec_b64 s[6:7], s[4:5]
	s_cbranch_execz .LBB2_35573
; %bb.63979:
	s_getpc_b64 s[14:15]
.Lpost_getpc35573:
	s_add_u32 s14, s14, (.LBB2_13803-.Lpost_getpc35573)&4294967295
	s_addc_u32 s15, s15, (.LBB2_13803-.Lpost_getpc35573)>>32
	s_setpc_b64 s[14:15]
.LBB2_35573:
	s_getpc_b64 s[14:15]
.Lpost_getpc21370:
	s_add_u32 s14, s14, (.LBB2_13804-.Lpost_getpc21370)&4294967295
	s_addc_u32 s15, s15, (.LBB2_13804-.Lpost_getpc21370)>>32
	s_setpc_b64 s[14:15]
.LBB2_28141:
	s_movk_i32 s4, 0x80
	v_cmp_eq_u16_sdwa s[12:13], v3, s4 src0_sel:BYTE_0 src1_sel:DWORD
	s_mov_b64 s[4:5], -1
                                        ; implicit-def: $sgpr10
	s_and_saveexec_b64 s[8:9], s[12:13]
; %bb.28142:
	s_mov_b32 s10, 0x7f800001
	s_xor_b64 s[4:5], exec, -1
; %bb.28143:
	s_or_b64 exec, exec, s[8:9]
	s_and_b64 s[4:5], s[4:5], exec
	s_or_saveexec_b64 s[6:7], s[6:7]
	v_mov_b32_e32 v4, s10
	s_xor_b64 exec, exec, s[6:7]
	s_cbranch_execnz .LBB2_28144
; %bb.63981:
	s_getpc_b64 s[14:15]
.Lpost_getpc35574:
	s_add_u32 s14, s14, (.LBB2_13806-.Lpost_getpc35574)&4294967295
	s_addc_u32 s15, s15, (.LBB2_13806-.Lpost_getpc35574)>>32
	s_setpc_b64 s[14:15]
.LBB2_28144:
	v_mov_b32_e32 v4, 0
	v_cmp_ne_u16_sdwa s[8:9], v3, v4 src0_sel:BYTE_0 src1_sel:DWORD
	s_andn2_b64 s[4:5], s[4:5], exec
	s_and_b64 s[8:9], s[8:9], exec
	s_or_b64 s[4:5], s[4:5], s[8:9]
	s_or_b64 exec, exec, s[6:7]
	s_and_saveexec_b64 s[6:7], s[4:5]
	s_cbranch_execz .LBB2_35575
; %bb.63983:
	s_getpc_b64 s[14:15]
.Lpost_getpc35575:
	s_add_u32 s14, s14, (.LBB2_13807-.Lpost_getpc35575)&4294967295
	s_addc_u32 s15, s15, (.LBB2_13807-.Lpost_getpc35575)>>32
	s_setpc_b64 s[14:15]
.LBB2_35575:
	s_getpc_b64 s[14:15]
.Lpost_getpc21371:
	s_add_u32 s14, s14, (.LBB2_13808-.Lpost_getpc21371)&4294967295
	s_addc_u32 s15, s15, (.LBB2_13808-.Lpost_getpc21371)>>32
	s_setpc_b64 s[14:15]
.LBB2_28145:
	s_movk_i32 s4, 0x80
	v_cmp_eq_u16_e32 vcc, s4, v3
	s_mov_b64 s[4:5], -1
                                        ; implicit-def: $sgpr10
	s_and_saveexec_b64 s[8:9], vcc
; %bb.28146:
	s_mov_b32 s10, 0x7f800001
	s_xor_b64 s[4:5], exec, -1
; %bb.28147:
	s_or_b64 exec, exec, s[8:9]
	s_and_b64 s[4:5], s[4:5], exec
                                        ; implicit-def: $vgpr3
	s_or_saveexec_b64 s[6:7], s[6:7]
	v_mov_b32_e32 v2, s10
	s_xor_b64 exec, exec, s[6:7]
	s_cbranch_execnz .LBB2_28148
; %bb.63985:
	s_getpc_b64 s[14:15]
.Lpost_getpc35576:
	s_add_u32 s14, s14, (.LBB2_13810-.Lpost_getpc35576)&4294967295
	s_addc_u32 s15, s15, (.LBB2_13810-.Lpost_getpc35576)>>32
	s_setpc_b64 s[14:15]
.LBB2_28148:
	v_cmp_ne_u16_e32 vcc, 0, v3
	s_andn2_b64 s[4:5], s[4:5], exec
	s_and_b64 s[8:9], vcc, exec
	v_mov_b32_e32 v2, 0
	s_or_b64 s[4:5], s[4:5], s[8:9]
	s_or_b64 exec, exec, s[6:7]
	s_and_saveexec_b64 s[6:7], s[4:5]
	s_cbranch_execz .LBB2_35577
; %bb.63987:
	s_getpc_b64 s[14:15]
.Lpost_getpc35577:
	s_add_u32 s14, s14, (.LBB2_13811-.Lpost_getpc35577)&4294967295
	s_addc_u32 s15, s15, (.LBB2_13811-.Lpost_getpc35577)>>32
	s_setpc_b64 s[14:15]
.LBB2_35577:
	s_getpc_b64 s[14:15]
.Lpost_getpc21372:
	s_add_u32 s14, s14, (.LBB2_13812-.Lpost_getpc21372)&4294967295
	s_addc_u32 s15, s15, (.LBB2_13812-.Lpost_getpc21372)>>32
	s_setpc_b64 s[14:15]
.LBB2_28149:
	s_movk_i32 s4, 0x80
	v_cmp_eq_u16_e32 vcc, s4, v3
	s_mov_b64 s[4:5], -1
                                        ; implicit-def: $sgpr10
	s_and_saveexec_b64 s[8:9], vcc
; %bb.28150:
	s_mov_b32 s10, 0x7f800001
	s_xor_b64 s[4:5], exec, -1
; %bb.28151:
	s_or_b64 exec, exec, s[8:9]
	s_and_b64 s[4:5], s[4:5], exec
                                        ; implicit-def: $vgpr3
	s_or_saveexec_b64 s[6:7], s[6:7]
	v_mov_b32_e32 v4, s10
	s_xor_b64 exec, exec, s[6:7]
	s_cbranch_execnz .LBB2_28152
; %bb.63989:
	s_getpc_b64 s[14:15]
.Lpost_getpc35578:
	s_add_u32 s14, s14, (.LBB2_13814-.Lpost_getpc35578)&4294967295
	s_addc_u32 s15, s15, (.LBB2_13814-.Lpost_getpc35578)>>32
	s_setpc_b64 s[14:15]
.LBB2_28152:
	v_cmp_ne_u16_e32 vcc, 0, v3
	s_andn2_b64 s[4:5], s[4:5], exec
	s_and_b64 s[8:9], vcc, exec
	v_mov_b32_e32 v4, 0
	s_or_b64 s[4:5], s[4:5], s[8:9]
	s_or_b64 exec, exec, s[6:7]
	s_and_saveexec_b64 s[6:7], s[4:5]
	s_cbranch_execz .LBB2_35579
; %bb.63991:
	s_getpc_b64 s[14:15]
.Lpost_getpc35579:
	s_add_u32 s14, s14, (.LBB2_13815-.Lpost_getpc35579)&4294967295
	s_addc_u32 s15, s15, (.LBB2_13815-.Lpost_getpc35579)>>32
	s_setpc_b64 s[14:15]
.LBB2_35579:
	s_getpc_b64 s[14:15]
.Lpost_getpc21373:
	s_add_u32 s14, s14, (.LBB2_13816-.Lpost_getpc21373)&4294967295
	s_addc_u32 s15, s15, (.LBB2_13816-.Lpost_getpc21373)>>32
	s_setpc_b64 s[14:15]
.LBB2_28153:
	s_movk_i32 s4, 0x80
	v_cmp_eq_u16_sdwa s[12:13], v9, s4 src0_sel:BYTE_3 src1_sel:DWORD
	s_mov_b64 s[4:5], -1
                                        ; implicit-def: $sgpr10
	s_and_saveexec_b64 s[8:9], s[12:13]
; %bb.28154:
	s_mov_b32 s10, 0x7f800001
	s_xor_b64 s[4:5], exec, -1
; %bb.28155:
	s_or_b64 exec, exec, s[8:9]
	s_and_b64 s[4:5], s[4:5], exec
	s_or_saveexec_b64 s[6:7], s[6:7]
	v_mov_b32_e32 v2, s10
	s_xor_b64 exec, exec, s[6:7]
	s_cbranch_execnz .LBB2_28156
; %bb.63993:
	s_getpc_b64 s[14:15]
.Lpost_getpc35580:
	s_add_u32 s14, s14, (.LBB2_13818-.Lpost_getpc35580)&4294967295
	s_addc_u32 s15, s15, (.LBB2_13818-.Lpost_getpc35580)>>32
	s_setpc_b64 s[14:15]
.LBB2_28156:
	v_mov_b32_e32 v2, 0
	v_cmp_ne_u16_sdwa s[8:9], v9, v2 src0_sel:BYTE_3 src1_sel:DWORD
	s_andn2_b64 s[4:5], s[4:5], exec
	s_and_b64 s[8:9], s[8:9], exec
	s_or_b64 s[4:5], s[4:5], s[8:9]
	s_or_b64 exec, exec, s[6:7]
	s_and_saveexec_b64 s[6:7], s[4:5]
	s_cbranch_execz .LBB2_35581
; %bb.63995:
	s_getpc_b64 s[14:15]
.Lpost_getpc35581:
	s_add_u32 s14, s14, (.LBB2_13819-.Lpost_getpc35581)&4294967295
	s_addc_u32 s15, s15, (.LBB2_13819-.Lpost_getpc35581)>>32
	s_setpc_b64 s[14:15]
.LBB2_35581:
	s_getpc_b64 s[14:15]
.Lpost_getpc21374:
	s_add_u32 s14, s14, (.LBB2_13820-.Lpost_getpc21374)&4294967295
	s_addc_u32 s15, s15, (.LBB2_13820-.Lpost_getpc21374)>>32
	s_setpc_b64 s[14:15]
.LBB2_28157:
	s_movk_i32 s4, 0x80
	v_cmp_eq_u16_sdwa s[12:13], v5, s4 src0_sel:BYTE_3 src1_sel:DWORD
	s_mov_b64 s[4:5], -1
                                        ; implicit-def: $sgpr10
	s_and_saveexec_b64 s[8:9], s[12:13]
; %bb.28158:
	s_mov_b32 s10, 0x7f800001
	s_xor_b64 s[4:5], exec, -1
; %bb.28159:
	s_or_b64 exec, exec, s[8:9]
	s_and_b64 s[4:5], s[4:5], exec
	s_or_saveexec_b64 s[6:7], s[6:7]
	v_mov_b32_e32 v3, s10
	s_xor_b64 exec, exec, s[6:7]
	s_cbranch_execnz .LBB2_28160
; %bb.63997:
	s_getpc_b64 s[14:15]
.Lpost_getpc35582:
	s_add_u32 s14, s14, (.LBB2_13822-.Lpost_getpc35582)&4294967295
	s_addc_u32 s15, s15, (.LBB2_13822-.Lpost_getpc35582)>>32
	s_setpc_b64 s[14:15]
.LBB2_28160:
	v_mov_b32_e32 v3, 0
	v_cmp_ne_u16_sdwa s[8:9], v5, v3 src0_sel:BYTE_3 src1_sel:DWORD
	s_andn2_b64 s[4:5], s[4:5], exec
	s_and_b64 s[8:9], s[8:9], exec
	s_or_b64 s[4:5], s[4:5], s[8:9]
	s_or_b64 exec, exec, s[6:7]
	s_and_saveexec_b64 s[6:7], s[4:5]
	s_cbranch_execz .LBB2_35583
; %bb.63999:
	s_getpc_b64 s[14:15]
.Lpost_getpc35583:
	s_add_u32 s14, s14, (.LBB2_13823-.Lpost_getpc35583)&4294967295
	s_addc_u32 s15, s15, (.LBB2_13823-.Lpost_getpc35583)>>32
	s_setpc_b64 s[14:15]
.LBB2_35583:
	s_getpc_b64 s[14:15]
.Lpost_getpc21375:
	s_add_u32 s14, s14, (.LBB2_13824-.Lpost_getpc21375)&4294967295
	s_addc_u32 s15, s15, (.LBB2_13824-.Lpost_getpc21375)>>32
	s_setpc_b64 s[14:15]
.LBB2_28161:
	s_movk_i32 s4, 0x80
	v_cmp_eq_u16_sdwa s[12:13], v6, s4 src0_sel:BYTE_0 src1_sel:DWORD
	s_mov_b64 s[4:5], -1
                                        ; implicit-def: $sgpr10
	s_and_saveexec_b64 s[8:9], s[12:13]
; %bb.28162:
	s_mov_b32 s10, 0x7f800001
	s_xor_b64 s[4:5], exec, -1
; %bb.28163:
	s_or_b64 exec, exec, s[8:9]
	s_and_b64 s[4:5], s[4:5], exec
	s_or_saveexec_b64 s[6:7], s[6:7]
	v_mov_b32_e32 v12, s10
	s_xor_b64 exec, exec, s[6:7]
	s_cbranch_execnz .LBB2_28164
; %bb.64001:
	s_getpc_b64 s[14:15]
.Lpost_getpc35584:
	s_add_u32 s14, s14, (.LBB2_13826-.Lpost_getpc35584)&4294967295
	s_addc_u32 s15, s15, (.LBB2_13826-.Lpost_getpc35584)>>32
	s_setpc_b64 s[14:15]
.LBB2_28164:
	v_mov_b32_e32 v12, 0
	v_cmp_ne_u16_sdwa s[8:9], v6, v12 src0_sel:BYTE_0 src1_sel:DWORD
	s_andn2_b64 s[4:5], s[4:5], exec
	s_and_b64 s[8:9], s[8:9], exec
	s_or_b64 s[4:5], s[4:5], s[8:9]
	s_or_b64 exec, exec, s[6:7]
	s_and_saveexec_b64 s[6:7], s[4:5]
	s_cbranch_execz .LBB2_35585
; %bb.64003:
	s_getpc_b64 s[14:15]
.Lpost_getpc35585:
	s_add_u32 s14, s14, (.LBB2_13827-.Lpost_getpc35585)&4294967295
	s_addc_u32 s15, s15, (.LBB2_13827-.Lpost_getpc35585)>>32
	s_setpc_b64 s[14:15]
.LBB2_35585:
	s_getpc_b64 s[14:15]
.Lpost_getpc21376:
	s_add_u32 s14, s14, (.LBB2_13828-.Lpost_getpc21376)&4294967295
	s_addc_u32 s15, s15, (.LBB2_13828-.Lpost_getpc21376)>>32
	s_setpc_b64 s[14:15]
.LBB2_28165:
	s_movk_i32 s4, 0x80
	v_cmp_eq_u16_sdwa s[12:13], v2, s4 src0_sel:BYTE_0 src1_sel:DWORD
	s_mov_b64 s[4:5], -1
                                        ; implicit-def: $sgpr10
	s_and_saveexec_b64 s[8:9], s[12:13]
; %bb.28166:
	s_mov_b32 s10, 0x7f800001
	s_xor_b64 s[4:5], exec, -1
; %bb.28167:
	s_or_b64 exec, exec, s[8:9]
	s_and_b64 s[4:5], s[4:5], exec
	s_or_saveexec_b64 s[6:7], s[6:7]
	v_mov_b32_e32 v13, s10
	s_xor_b64 exec, exec, s[6:7]
	s_cbranch_execnz .LBB2_28168
; %bb.64005:
	s_getpc_b64 s[14:15]
.Lpost_getpc35586:
	s_add_u32 s14, s14, (.LBB2_13830-.Lpost_getpc35586)&4294967295
	s_addc_u32 s15, s15, (.LBB2_13830-.Lpost_getpc35586)>>32
	s_setpc_b64 s[14:15]
.LBB2_28168:
	v_mov_b32_e32 v13, 0
	v_cmp_ne_u16_sdwa s[8:9], v2, v13 src0_sel:BYTE_0 src1_sel:DWORD
	s_andn2_b64 s[4:5], s[4:5], exec
	s_and_b64 s[8:9], s[8:9], exec
	s_or_b64 s[4:5], s[4:5], s[8:9]
	s_or_b64 exec, exec, s[6:7]
	s_and_saveexec_b64 s[6:7], s[4:5]
	s_cbranch_execz .LBB2_35587
; %bb.64007:
	s_getpc_b64 s[14:15]
.Lpost_getpc35587:
	s_add_u32 s14, s14, (.LBB2_13831-.Lpost_getpc35587)&4294967295
	s_addc_u32 s15, s15, (.LBB2_13831-.Lpost_getpc35587)>>32
	s_setpc_b64 s[14:15]
.LBB2_35587:
	s_getpc_b64 s[14:15]
.Lpost_getpc21377:
	s_add_u32 s14, s14, (.LBB2_13832-.Lpost_getpc21377)&4294967295
	s_addc_u32 s15, s15, (.LBB2_13832-.Lpost_getpc21377)>>32
	s_setpc_b64 s[14:15]
.LBB2_28169:
	s_movk_i32 s4, 0x80
	v_cmp_eq_u16_sdwa s[12:13], v13, s4 src0_sel:BYTE_0 src1_sel:DWORD
	s_mov_b64 s[4:5], -1
                                        ; implicit-def: $sgpr10
	s_and_saveexec_b64 s[8:9], s[12:13]
; %bb.28170:
	s_mov_b32 s10, 0x7f800001
	s_xor_b64 s[4:5], exec, -1
; %bb.28171:
	s_or_b64 exec, exec, s[8:9]
	s_and_b64 s[4:5], s[4:5], exec
	s_or_saveexec_b64 s[6:7], s[6:7]
	v_mov_b32_e32 v12, s10
	s_xor_b64 exec, exec, s[6:7]
	s_cbranch_execnz .LBB2_28172
; %bb.64009:
	s_getpc_b64 s[14:15]
.Lpost_getpc35588:
	s_add_u32 s14, s14, (.LBB2_13834-.Lpost_getpc35588)&4294967295
	s_addc_u32 s15, s15, (.LBB2_13834-.Lpost_getpc35588)>>32
	s_setpc_b64 s[14:15]
.LBB2_28172:
	v_mov_b32_e32 v12, 0
	v_cmp_ne_u16_sdwa s[8:9], v13, v12 src0_sel:BYTE_0 src1_sel:DWORD
	s_andn2_b64 s[4:5], s[4:5], exec
	s_and_b64 s[8:9], s[8:9], exec
	s_or_b64 s[4:5], s[4:5], s[8:9]
	s_or_b64 exec, exec, s[6:7]
	s_and_saveexec_b64 s[6:7], s[4:5]
	s_cbranch_execz .LBB2_35589
; %bb.64011:
	s_getpc_b64 s[14:15]
.Lpost_getpc35589:
	s_add_u32 s14, s14, (.LBB2_13835-.Lpost_getpc35589)&4294967295
	s_addc_u32 s15, s15, (.LBB2_13835-.Lpost_getpc35589)>>32
	s_setpc_b64 s[14:15]
.LBB2_35589:
	s_getpc_b64 s[14:15]
.Lpost_getpc21378:
	s_add_u32 s14, s14, (.LBB2_13836-.Lpost_getpc21378)&4294967295
	s_addc_u32 s15, s15, (.LBB2_13836-.Lpost_getpc21378)>>32
	s_setpc_b64 s[14:15]
.LBB2_28173:
	s_movk_i32 s4, 0x80
	v_cmp_eq_u16_sdwa s[12:13], v13, s4 src0_sel:BYTE_0 src1_sel:DWORD
	s_mov_b64 s[4:5], -1
                                        ; implicit-def: $sgpr10
	s_and_saveexec_b64 s[8:9], s[12:13]
; %bb.28174:
	s_mov_b32 s10, 0x7f800001
	s_xor_b64 s[4:5], exec, -1
; %bb.28175:
	s_or_b64 exec, exec, s[8:9]
	s_and_b64 s[4:5], s[4:5], exec
	s_or_saveexec_b64 s[6:7], s[6:7]
	v_mov_b32_e32 v14, s10
	s_xor_b64 exec, exec, s[6:7]
	s_cbranch_execnz .LBB2_28176
; %bb.64013:
	s_getpc_b64 s[14:15]
.Lpost_getpc35590:
	s_add_u32 s14, s14, (.LBB2_13838-.Lpost_getpc35590)&4294967295
	s_addc_u32 s15, s15, (.LBB2_13838-.Lpost_getpc35590)>>32
	s_setpc_b64 s[14:15]
.LBB2_28176:
	v_mov_b32_e32 v14, 0
	v_cmp_ne_u16_sdwa s[8:9], v13, v14 src0_sel:BYTE_0 src1_sel:DWORD
	s_andn2_b64 s[4:5], s[4:5], exec
	s_and_b64 s[8:9], s[8:9], exec
	s_or_b64 s[4:5], s[4:5], s[8:9]
	s_or_b64 exec, exec, s[6:7]
	s_and_saveexec_b64 s[6:7], s[4:5]
	s_cbranch_execz .LBB2_35591
; %bb.64015:
	s_getpc_b64 s[14:15]
.Lpost_getpc35591:
	s_add_u32 s14, s14, (.LBB2_13839-.Lpost_getpc35591)&4294967295
	s_addc_u32 s15, s15, (.LBB2_13839-.Lpost_getpc35591)>>32
	s_setpc_b64 s[14:15]
.LBB2_35591:
	s_getpc_b64 s[14:15]
.Lpost_getpc21379:
	s_add_u32 s14, s14, (.LBB2_13840-.Lpost_getpc21379)&4294967295
	s_addc_u32 s15, s15, (.LBB2_13840-.Lpost_getpc21379)>>32
	s_setpc_b64 s[14:15]
.LBB2_28177:
	s_movk_i32 s4, 0x80
	v_cmp_eq_u16_e32 vcc, s4, v13
	s_mov_b64 s[4:5], -1
                                        ; implicit-def: $sgpr10
	s_and_saveexec_b64 s[8:9], vcc
; %bb.28178:
	s_mov_b32 s10, 0x7f800001
	s_xor_b64 s[4:5], exec, -1
; %bb.28179:
	s_or_b64 exec, exec, s[8:9]
	s_and_b64 s[4:5], s[4:5], exec
                                        ; implicit-def: $vgpr13
	s_or_saveexec_b64 s[6:7], s[6:7]
	v_mov_b32_e32 v12, s10
	s_xor_b64 exec, exec, s[6:7]
	s_cbranch_execnz .LBB2_28180
; %bb.64017:
	s_getpc_b64 s[14:15]
.Lpost_getpc35592:
	s_add_u32 s14, s14, (.LBB2_13842-.Lpost_getpc35592)&4294967295
	s_addc_u32 s15, s15, (.LBB2_13842-.Lpost_getpc35592)>>32
	s_setpc_b64 s[14:15]
.LBB2_28180:
	v_cmp_ne_u16_e32 vcc, 0, v13
	s_andn2_b64 s[4:5], s[4:5], exec
	s_and_b64 s[8:9], vcc, exec
	v_mov_b32_e32 v12, 0
	s_or_b64 s[4:5], s[4:5], s[8:9]
	s_or_b64 exec, exec, s[6:7]
	s_and_saveexec_b64 s[6:7], s[4:5]
	s_cbranch_execz .LBB2_35593
; %bb.64019:
	s_getpc_b64 s[14:15]
.Lpost_getpc35593:
	s_add_u32 s14, s14, (.LBB2_13843-.Lpost_getpc35593)&4294967295
	s_addc_u32 s15, s15, (.LBB2_13843-.Lpost_getpc35593)>>32
	s_setpc_b64 s[14:15]
.LBB2_35593:
	s_getpc_b64 s[14:15]
.Lpost_getpc21380:
	s_add_u32 s14, s14, (.LBB2_13844-.Lpost_getpc21380)&4294967295
	s_addc_u32 s15, s15, (.LBB2_13844-.Lpost_getpc21380)>>32
	s_setpc_b64 s[14:15]
.LBB2_28181:
	s_movk_i32 s4, 0x80
	v_cmp_eq_u16_e32 vcc, s4, v13
	s_mov_b64 s[4:5], -1
                                        ; implicit-def: $sgpr10
	s_and_saveexec_b64 s[8:9], vcc
; %bb.28182:
	s_mov_b32 s10, 0x7f800001
	s_xor_b64 s[4:5], exec, -1
; %bb.28183:
	s_or_b64 exec, exec, s[8:9]
	s_and_b64 s[4:5], s[4:5], exec
                                        ; implicit-def: $vgpr13
	s_or_saveexec_b64 s[6:7], s[6:7]
	v_mov_b32_e32 v14, s10
	s_xor_b64 exec, exec, s[6:7]
	s_cbranch_execnz .LBB2_28184
; %bb.64021:
	s_getpc_b64 s[14:15]
.Lpost_getpc35594:
	s_add_u32 s14, s14, (.LBB2_13846-.Lpost_getpc35594)&4294967295
	s_addc_u32 s15, s15, (.LBB2_13846-.Lpost_getpc35594)>>32
	s_setpc_b64 s[14:15]
.LBB2_28184:
	v_cmp_ne_u16_e32 vcc, 0, v13
	s_andn2_b64 s[4:5], s[4:5], exec
	s_and_b64 s[8:9], vcc, exec
	v_mov_b32_e32 v14, 0
	s_or_b64 s[4:5], s[4:5], s[8:9]
	s_or_b64 exec, exec, s[6:7]
	s_and_saveexec_b64 s[6:7], s[4:5]
	s_cbranch_execz .LBB2_35595
; %bb.64023:
	s_getpc_b64 s[14:15]
.Lpost_getpc35595:
	s_add_u32 s14, s14, (.LBB2_13847-.Lpost_getpc35595)&4294967295
	s_addc_u32 s15, s15, (.LBB2_13847-.Lpost_getpc35595)>>32
	s_setpc_b64 s[14:15]
.LBB2_35595:
	s_getpc_b64 s[14:15]
.Lpost_getpc21381:
	s_add_u32 s14, s14, (.LBB2_13848-.Lpost_getpc21381)&4294967295
	s_addc_u32 s15, s15, (.LBB2_13848-.Lpost_getpc21381)>>32
	s_setpc_b64 s[14:15]
.LBB2_28185:
	s_movk_i32 s4, 0x80
	v_cmp_eq_u16_sdwa s[12:13], v6, s4 src0_sel:BYTE_3 src1_sel:DWORD
	s_mov_b64 s[4:5], -1
                                        ; implicit-def: $sgpr10
	s_and_saveexec_b64 s[8:9], s[12:13]
; %bb.28186:
	s_mov_b32 s10, 0x7f800001
	s_xor_b64 s[4:5], exec, -1
; %bb.28187:
	s_or_b64 exec, exec, s[8:9]
	s_and_b64 s[4:5], s[4:5], exec
	s_or_saveexec_b64 s[6:7], s[6:7]
	v_mov_b32_e32 v12, s10
	s_xor_b64 exec, exec, s[6:7]
	s_cbranch_execnz .LBB2_28188
; %bb.64025:
	s_getpc_b64 s[14:15]
.Lpost_getpc35596:
	s_add_u32 s14, s14, (.LBB2_13850-.Lpost_getpc35596)&4294967295
	s_addc_u32 s15, s15, (.LBB2_13850-.Lpost_getpc35596)>>32
	s_setpc_b64 s[14:15]
.LBB2_28188:
	v_mov_b32_e32 v12, 0
	v_cmp_ne_u16_sdwa s[8:9], v6, v12 src0_sel:BYTE_3 src1_sel:DWORD
	s_andn2_b64 s[4:5], s[4:5], exec
	s_and_b64 s[8:9], s[8:9], exec
	s_or_b64 s[4:5], s[4:5], s[8:9]
	s_or_b64 exec, exec, s[6:7]
	s_and_saveexec_b64 s[6:7], s[4:5]
	s_cbranch_execz .LBB2_35597
; %bb.64027:
	s_getpc_b64 s[14:15]
.Lpost_getpc35597:
	s_add_u32 s14, s14, (.LBB2_13851-.Lpost_getpc35597)&4294967295
	s_addc_u32 s15, s15, (.LBB2_13851-.Lpost_getpc35597)>>32
	s_setpc_b64 s[14:15]
.LBB2_35597:
	s_getpc_b64 s[14:15]
.Lpost_getpc21382:
	s_add_u32 s14, s14, (.LBB2_13852-.Lpost_getpc21382)&4294967295
	s_addc_u32 s15, s15, (.LBB2_13852-.Lpost_getpc21382)>>32
	s_setpc_b64 s[14:15]
.LBB2_28189:
	s_movk_i32 s4, 0x80
	v_cmp_eq_u16_sdwa s[12:13], v2, s4 src0_sel:BYTE_3 src1_sel:DWORD
	s_mov_b64 s[4:5], -1
                                        ; implicit-def: $sgpr10
	s_and_saveexec_b64 s[8:9], s[12:13]
; %bb.28190:
	s_mov_b32 s10, 0x7f800001
	s_xor_b64 s[4:5], exec, -1
; %bb.28191:
	s_or_b64 exec, exec, s[8:9]
	s_and_b64 s[4:5], s[4:5], exec
	s_or_saveexec_b64 s[6:7], s[6:7]
	v_mov_b32_e32 v6, s10
	s_xor_b64 exec, exec, s[6:7]
	s_cbranch_execnz .LBB2_28192
; %bb.64029:
	s_getpc_b64 s[14:15]
.Lpost_getpc35598:
	s_add_u32 s14, s14, (.LBB2_13854-.Lpost_getpc35598)&4294967295
	s_addc_u32 s15, s15, (.LBB2_13854-.Lpost_getpc35598)>>32
	s_setpc_b64 s[14:15]
.LBB2_28192:
	v_mov_b32_e32 v6, 0
	v_cmp_ne_u16_sdwa s[8:9], v2, v6 src0_sel:BYTE_3 src1_sel:DWORD
	s_andn2_b64 s[4:5], s[4:5], exec
	s_and_b64 s[8:9], s[8:9], exec
	s_or_b64 s[4:5], s[4:5], s[8:9]
	s_or_b64 exec, exec, s[6:7]
	s_and_saveexec_b64 s[6:7], s[4:5]
	s_cbranch_execz .LBB2_35599
; %bb.64031:
	s_getpc_b64 s[14:15]
.Lpost_getpc35599:
	s_add_u32 s14, s14, (.LBB2_13855-.Lpost_getpc35599)&4294967295
	s_addc_u32 s15, s15, (.LBB2_13855-.Lpost_getpc35599)>>32
	s_setpc_b64 s[14:15]
.LBB2_35599:
	s_getpc_b64 s[14:15]
.Lpost_getpc21383:
	s_add_u32 s14, s14, (.LBB2_13856-.Lpost_getpc21383)&4294967295
	s_addc_u32 s15, s15, (.LBB2_13856-.Lpost_getpc21383)>>32
	s_setpc_b64 s[14:15]
.LBB2_28193:
	s_movk_i32 s4, 0x80
	v_cmp_eq_u16_sdwa s[12:13], v7, s4 src0_sel:BYTE_0 src1_sel:DWORD
	s_mov_b64 s[4:5], -1
                                        ; implicit-def: $sgpr10
	s_and_saveexec_b64 s[8:9], s[12:13]
; %bb.28194:
	s_mov_b32 s10, 0x7f800001
	s_xor_b64 s[4:5], exec, -1
; %bb.28195:
	s_or_b64 exec, exec, s[8:9]
	s_and_b64 s[4:5], s[4:5], exec
	s_or_saveexec_b64 s[6:7], s[6:7]
	v_mov_b32_e32 v2, s10
	s_xor_b64 exec, exec, s[6:7]
	s_cbranch_execnz .LBB2_28196
; %bb.64033:
	s_getpc_b64 s[14:15]
.Lpost_getpc35600:
	s_add_u32 s14, s14, (.LBB2_13858-.Lpost_getpc35600)&4294967295
	s_addc_u32 s15, s15, (.LBB2_13858-.Lpost_getpc35600)>>32
	s_setpc_b64 s[14:15]
.LBB2_28196:
	v_mov_b32_e32 v2, 0
	v_cmp_ne_u16_sdwa s[8:9], v7, v2 src0_sel:BYTE_0 src1_sel:DWORD
	s_andn2_b64 s[4:5], s[4:5], exec
	s_and_b64 s[8:9], s[8:9], exec
	s_or_b64 s[4:5], s[4:5], s[8:9]
	s_or_b64 exec, exec, s[6:7]
	s_and_saveexec_b64 s[6:7], s[4:5]
	s_cbranch_execz .LBB2_35601
; %bb.64035:
	s_getpc_b64 s[14:15]
.Lpost_getpc35601:
	s_add_u32 s14, s14, (.LBB2_13859-.Lpost_getpc35601)&4294967295
	s_addc_u32 s15, s15, (.LBB2_13859-.Lpost_getpc35601)>>32
	s_setpc_b64 s[14:15]
.LBB2_35601:
	s_getpc_b64 s[14:15]
.Lpost_getpc21384:
	s_add_u32 s14, s14, (.LBB2_13860-.Lpost_getpc21384)&4294967295
	s_addc_u32 s15, s15, (.LBB2_13860-.Lpost_getpc21384)>>32
	s_setpc_b64 s[14:15]
.LBB2_28197:
	s_movk_i32 s4, 0x80
	v_cmp_eq_u16_sdwa s[12:13], v3, s4 src0_sel:BYTE_0 src1_sel:DWORD
	s_mov_b64 s[4:5], -1
                                        ; implicit-def: $sgpr10
	s_and_saveexec_b64 s[8:9], s[12:13]
; %bb.28198:
	s_mov_b32 s10, 0x7f800001
	s_xor_b64 s[4:5], exec, -1
; %bb.28199:
	s_or_b64 exec, exec, s[8:9]
	s_and_b64 s[4:5], s[4:5], exec
	s_or_saveexec_b64 s[6:7], s[6:7]
	v_mov_b32_e32 v6, s10
	s_xor_b64 exec, exec, s[6:7]
	s_cbranch_execnz .LBB2_28200
; %bb.64037:
	s_getpc_b64 s[14:15]
.Lpost_getpc35602:
	s_add_u32 s14, s14, (.LBB2_13862-.Lpost_getpc35602)&4294967295
	s_addc_u32 s15, s15, (.LBB2_13862-.Lpost_getpc35602)>>32
	s_setpc_b64 s[14:15]
.LBB2_28200:
	v_mov_b32_e32 v6, 0
	v_cmp_ne_u16_sdwa s[8:9], v3, v6 src0_sel:BYTE_0 src1_sel:DWORD
	s_andn2_b64 s[4:5], s[4:5], exec
	s_and_b64 s[8:9], s[8:9], exec
	s_or_b64 s[4:5], s[4:5], s[8:9]
	s_or_b64 exec, exec, s[6:7]
	s_and_saveexec_b64 s[6:7], s[4:5]
	s_cbranch_execz .LBB2_35603
; %bb.64039:
	s_getpc_b64 s[14:15]
.Lpost_getpc35603:
	s_add_u32 s14, s14, (.LBB2_13863-.Lpost_getpc35603)&4294967295
	s_addc_u32 s15, s15, (.LBB2_13863-.Lpost_getpc35603)>>32
	s_setpc_b64 s[14:15]
.LBB2_35603:
	s_getpc_b64 s[14:15]
.Lpost_getpc21385:
	s_add_u32 s14, s14, (.LBB2_13864-.Lpost_getpc21385)&4294967295
	s_addc_u32 s15, s15, (.LBB2_13864-.Lpost_getpc21385)>>32
	s_setpc_b64 s[14:15]
.LBB2_28201:
	s_movk_i32 s4, 0x80
	v_cmp_eq_u16_sdwa s[12:13], v6, s4 src0_sel:BYTE_0 src1_sel:DWORD
	s_mov_b64 s[4:5], -1
                                        ; implicit-def: $sgpr10
	s_and_saveexec_b64 s[8:9], s[12:13]
; %bb.28202:
	s_mov_b32 s10, 0x7f800001
	s_xor_b64 s[4:5], exec, -1
; %bb.28203:
	s_or_b64 exec, exec, s[8:9]
	s_and_b64 s[4:5], s[4:5], exec
	s_or_saveexec_b64 s[6:7], s[6:7]
	v_mov_b32_e32 v2, s10
	s_xor_b64 exec, exec, s[6:7]
	s_cbranch_execnz .LBB2_28204
; %bb.64041:
	s_getpc_b64 s[14:15]
.Lpost_getpc35604:
	s_add_u32 s14, s14, (.LBB2_13866-.Lpost_getpc35604)&4294967295
	s_addc_u32 s15, s15, (.LBB2_13866-.Lpost_getpc35604)>>32
	s_setpc_b64 s[14:15]
.LBB2_28204:
	v_mov_b32_e32 v2, 0
	v_cmp_ne_u16_sdwa s[8:9], v6, v2 src0_sel:BYTE_0 src1_sel:DWORD
	s_andn2_b64 s[4:5], s[4:5], exec
	s_and_b64 s[8:9], s[8:9], exec
	s_or_b64 s[4:5], s[4:5], s[8:9]
	s_or_b64 exec, exec, s[6:7]
	s_and_saveexec_b64 s[6:7], s[4:5]
	s_cbranch_execz .LBB2_35605
; %bb.64043:
	s_getpc_b64 s[14:15]
.Lpost_getpc35605:
	s_add_u32 s14, s14, (.LBB2_13867-.Lpost_getpc35605)&4294967295
	s_addc_u32 s15, s15, (.LBB2_13867-.Lpost_getpc35605)>>32
	s_setpc_b64 s[14:15]
.LBB2_35605:
	s_getpc_b64 s[14:15]
.Lpost_getpc21386:
	s_add_u32 s14, s14, (.LBB2_13868-.Lpost_getpc21386)&4294967295
	s_addc_u32 s15, s15, (.LBB2_13868-.Lpost_getpc21386)>>32
	s_setpc_b64 s[14:15]
.LBB2_28205:
	s_movk_i32 s4, 0x80
	v_cmp_eq_u16_sdwa s[12:13], v6, s4 src0_sel:BYTE_0 src1_sel:DWORD
	s_mov_b64 s[4:5], -1
                                        ; implicit-def: $sgpr10
	s_and_saveexec_b64 s[8:9], s[12:13]
; %bb.28206:
	s_mov_b32 s10, 0x7f800001
	s_xor_b64 s[4:5], exec, -1
; %bb.28207:
	s_or_b64 exec, exec, s[8:9]
	s_and_b64 s[4:5], s[4:5], exec
	s_or_saveexec_b64 s[6:7], s[6:7]
	v_mov_b32_e32 v12, s10
	s_xor_b64 exec, exec, s[6:7]
	s_cbranch_execnz .LBB2_28208
; %bb.64045:
	s_getpc_b64 s[14:15]
.Lpost_getpc35606:
	s_add_u32 s14, s14, (.LBB2_13870-.Lpost_getpc35606)&4294967295
	s_addc_u32 s15, s15, (.LBB2_13870-.Lpost_getpc35606)>>32
	s_setpc_b64 s[14:15]
.LBB2_28208:
	v_mov_b32_e32 v12, 0
	v_cmp_ne_u16_sdwa s[8:9], v6, v12 src0_sel:BYTE_0 src1_sel:DWORD
	s_andn2_b64 s[4:5], s[4:5], exec
	s_and_b64 s[8:9], s[8:9], exec
	s_or_b64 s[4:5], s[4:5], s[8:9]
	s_or_b64 exec, exec, s[6:7]
	s_and_saveexec_b64 s[6:7], s[4:5]
	s_cbranch_execz .LBB2_35607
; %bb.64047:
	s_getpc_b64 s[14:15]
.Lpost_getpc35607:
	s_add_u32 s14, s14, (.LBB2_13871-.Lpost_getpc35607)&4294967295
	s_addc_u32 s15, s15, (.LBB2_13871-.Lpost_getpc35607)>>32
	s_setpc_b64 s[14:15]
.LBB2_35607:
	s_getpc_b64 s[14:15]
.Lpost_getpc21387:
	s_add_u32 s14, s14, (.LBB2_13872-.Lpost_getpc21387)&4294967295
	s_addc_u32 s15, s15, (.LBB2_13872-.Lpost_getpc21387)>>32
	s_setpc_b64 s[14:15]
.LBB2_28209:
	s_movk_i32 s4, 0x80
	v_cmp_eq_u16_e32 vcc, s4, v6
	s_mov_b64 s[4:5], -1
                                        ; implicit-def: $sgpr10
	s_and_saveexec_b64 s[8:9], vcc
; %bb.28210:
	s_mov_b32 s10, 0x7f800001
	s_xor_b64 s[4:5], exec, -1
; %bb.28211:
	s_or_b64 exec, exec, s[8:9]
	s_and_b64 s[4:5], s[4:5], exec
                                        ; implicit-def: $vgpr6
	s_or_saveexec_b64 s[6:7], s[6:7]
	v_mov_b32_e32 v2, s10
	s_xor_b64 exec, exec, s[6:7]
	s_cbranch_execnz .LBB2_28212
; %bb.64049:
	s_getpc_b64 s[14:15]
.Lpost_getpc35608:
	s_add_u32 s14, s14, (.LBB2_13874-.Lpost_getpc35608)&4294967295
	s_addc_u32 s15, s15, (.LBB2_13874-.Lpost_getpc35608)>>32
	s_setpc_b64 s[14:15]
.LBB2_28212:
	v_cmp_ne_u16_e32 vcc, 0, v6
	s_andn2_b64 s[4:5], s[4:5], exec
	s_and_b64 s[8:9], vcc, exec
	v_mov_b32_e32 v2, 0
	s_or_b64 s[4:5], s[4:5], s[8:9]
	s_or_b64 exec, exec, s[6:7]
	s_and_saveexec_b64 s[6:7], s[4:5]
	s_cbranch_execz .LBB2_35609
; %bb.64051:
	s_getpc_b64 s[14:15]
.Lpost_getpc35609:
	s_add_u32 s14, s14, (.LBB2_13875-.Lpost_getpc35609)&4294967295
	s_addc_u32 s15, s15, (.LBB2_13875-.Lpost_getpc35609)>>32
	s_setpc_b64 s[14:15]
.LBB2_35609:
	s_getpc_b64 s[14:15]
.Lpost_getpc21388:
	s_add_u32 s14, s14, (.LBB2_13876-.Lpost_getpc21388)&4294967295
	s_addc_u32 s15, s15, (.LBB2_13876-.Lpost_getpc21388)>>32
	s_setpc_b64 s[14:15]
.LBB2_28213:
	s_movk_i32 s4, 0x80
	v_cmp_eq_u16_e32 vcc, s4, v6
	s_mov_b64 s[4:5], -1
                                        ; implicit-def: $sgpr10
	s_and_saveexec_b64 s[8:9], vcc
; %bb.28214:
	s_mov_b32 s10, 0x7f800001
	s_xor_b64 s[4:5], exec, -1
; %bb.28215:
	s_or_b64 exec, exec, s[8:9]
	s_and_b64 s[4:5], s[4:5], exec
                                        ; implicit-def: $vgpr6
	s_or_saveexec_b64 s[6:7], s[6:7]
	v_mov_b32_e32 v12, s10
	s_xor_b64 exec, exec, s[6:7]
	s_cbranch_execnz .LBB2_28216
; %bb.64053:
	s_getpc_b64 s[14:15]
.Lpost_getpc35610:
	s_add_u32 s14, s14, (.LBB2_13878-.Lpost_getpc35610)&4294967295
	s_addc_u32 s15, s15, (.LBB2_13878-.Lpost_getpc35610)>>32
	s_setpc_b64 s[14:15]
.LBB2_28216:
	v_cmp_ne_u16_e32 vcc, 0, v6
	s_andn2_b64 s[4:5], s[4:5], exec
	s_and_b64 s[8:9], vcc, exec
	v_mov_b32_e32 v12, 0
	s_or_b64 s[4:5], s[4:5], s[8:9]
	s_or_b64 exec, exec, s[6:7]
	s_and_saveexec_b64 s[6:7], s[4:5]
	s_cbranch_execz .LBB2_35611
; %bb.64055:
	s_getpc_b64 s[14:15]
.Lpost_getpc35611:
	s_add_u32 s14, s14, (.LBB2_13879-.Lpost_getpc35611)&4294967295
	s_addc_u32 s15, s15, (.LBB2_13879-.Lpost_getpc35611)>>32
	s_setpc_b64 s[14:15]
.LBB2_35611:
	s_getpc_b64 s[14:15]
.Lpost_getpc21389:
	s_add_u32 s14, s14, (.LBB2_13880-.Lpost_getpc21389)&4294967295
	s_addc_u32 s15, s15, (.LBB2_13880-.Lpost_getpc21389)>>32
	s_setpc_b64 s[14:15]
.LBB2_28217:
	s_movk_i32 s4, 0x80
	v_cmp_eq_u16_sdwa s[12:13], v7, s4 src0_sel:BYTE_3 src1_sel:DWORD
	s_mov_b64 s[4:5], -1
                                        ; implicit-def: $sgpr10
	s_and_saveexec_b64 s[8:9], s[12:13]
; %bb.28218:
	s_mov_b32 s10, 0x7f800001
	s_xor_b64 s[4:5], exec, -1
; %bb.28219:
	s_or_b64 exec, exec, s[8:9]
	s_and_b64 s[4:5], s[4:5], exec
	s_or_saveexec_b64 s[6:7], s[6:7]
	v_mov_b32_e32 v2, s10
	s_xor_b64 exec, exec, s[6:7]
	s_cbranch_execnz .LBB2_28220
; %bb.64057:
	s_getpc_b64 s[14:15]
.Lpost_getpc35612:
	s_add_u32 s14, s14, (.LBB2_13882-.Lpost_getpc35612)&4294967295
	s_addc_u32 s15, s15, (.LBB2_13882-.Lpost_getpc35612)>>32
	s_setpc_b64 s[14:15]
.LBB2_28220:
	v_mov_b32_e32 v2, 0
	v_cmp_ne_u16_sdwa s[8:9], v7, v2 src0_sel:BYTE_3 src1_sel:DWORD
	s_andn2_b64 s[4:5], s[4:5], exec
	s_and_b64 s[8:9], s[8:9], exec
	s_or_b64 s[4:5], s[4:5], s[8:9]
	s_or_b64 exec, exec, s[6:7]
	s_and_saveexec_b64 s[6:7], s[4:5]
	s_cbranch_execz .LBB2_35613
; %bb.64059:
	s_getpc_b64 s[14:15]
.Lpost_getpc35613:
	s_add_u32 s14, s14, (.LBB2_13883-.Lpost_getpc35613)&4294967295
	s_addc_u32 s15, s15, (.LBB2_13883-.Lpost_getpc35613)>>32
	s_setpc_b64 s[14:15]
.LBB2_35613:
	s_getpc_b64 s[14:15]
.Lpost_getpc21390:
	s_add_u32 s14, s14, (.LBB2_13884-.Lpost_getpc21390)&4294967295
	s_addc_u32 s15, s15, (.LBB2_13884-.Lpost_getpc21390)>>32
	s_setpc_b64 s[14:15]
.LBB2_28221:
	s_movk_i32 s4, 0x80
	v_cmp_eq_u16_sdwa s[12:13], v3, s4 src0_sel:BYTE_3 src1_sel:DWORD
	s_mov_b64 s[4:5], -1
                                        ; implicit-def: $sgpr10
	s_and_saveexec_b64 s[8:9], s[12:13]
; %bb.28222:
	s_mov_b32 s10, 0x7f800001
	s_xor_b64 s[4:5], exec, -1
; %bb.28223:
	s_or_b64 exec, exec, s[8:9]
	s_and_b64 s[4:5], s[4:5], exec
	s_or_saveexec_b64 s[6:7], s[6:7]
	v_mov_b32_e32 v6, s10
	s_xor_b64 exec, exec, s[6:7]
	s_cbranch_execnz .LBB2_28224
; %bb.64061:
	s_getpc_b64 s[14:15]
.Lpost_getpc35614:
	s_add_u32 s14, s14, (.LBB2_13886-.Lpost_getpc35614)&4294967295
	s_addc_u32 s15, s15, (.LBB2_13886-.Lpost_getpc35614)>>32
	s_setpc_b64 s[14:15]
.LBB2_28224:
	v_mov_b32_e32 v6, 0
	v_cmp_ne_u16_sdwa s[8:9], v3, v6 src0_sel:BYTE_3 src1_sel:DWORD
	s_andn2_b64 s[4:5], s[4:5], exec
	s_and_b64 s[8:9], s[8:9], exec
	s_or_b64 s[4:5], s[4:5], s[8:9]
	s_or_b64 exec, exec, s[6:7]
	s_and_saveexec_b64 s[6:7], s[4:5]
	s_cbranch_execz .LBB2_35615
; %bb.64063:
	s_getpc_b64 s[14:15]
.Lpost_getpc35615:
	s_add_u32 s14, s14, (.LBB2_13887-.Lpost_getpc35615)&4294967295
	s_addc_u32 s15, s15, (.LBB2_13887-.Lpost_getpc35615)>>32
	s_setpc_b64 s[14:15]
.LBB2_35615:
	s_getpc_b64 s[14:15]
.Lpost_getpc21391:
	s_add_u32 s14, s14, (.LBB2_13888-.Lpost_getpc21391)&4294967295
	s_addc_u32 s15, s15, (.LBB2_13888-.Lpost_getpc21391)>>32
	s_setpc_b64 s[14:15]
.LBB2_28225:
	s_movk_i32 s4, 0x80
	v_cmp_eq_u16_sdwa s[12:13], v8, s4 src0_sel:BYTE_0 src1_sel:DWORD
	s_mov_b64 s[4:5], -1
                                        ; implicit-def: $sgpr10
	s_and_saveexec_b64 s[8:9], s[12:13]
; %bb.28226:
	s_mov_b32 s10, 0x7f800001
	s_xor_b64 s[4:5], exec, -1
; %bb.28227:
	s_or_b64 exec, exec, s[8:9]
	s_and_b64 s[4:5], s[4:5], exec
	s_or_saveexec_b64 s[6:7], s[6:7]
	v_mov_b32_e32 v2, s10
	s_xor_b64 exec, exec, s[6:7]
	s_cbranch_execnz .LBB2_28228
; %bb.64065:
	s_getpc_b64 s[14:15]
.Lpost_getpc35616:
	s_add_u32 s14, s14, (.LBB2_13890-.Lpost_getpc35616)&4294967295
	s_addc_u32 s15, s15, (.LBB2_13890-.Lpost_getpc35616)>>32
	s_setpc_b64 s[14:15]
.LBB2_28228:
	v_mov_b32_e32 v2, 0
	v_cmp_ne_u16_sdwa s[8:9], v8, v2 src0_sel:BYTE_0 src1_sel:DWORD
	s_andn2_b64 s[4:5], s[4:5], exec
	s_and_b64 s[8:9], s[8:9], exec
	s_or_b64 s[4:5], s[4:5], s[8:9]
	s_or_b64 exec, exec, s[6:7]
	s_and_saveexec_b64 s[6:7], s[4:5]
	s_cbranch_execz .LBB2_35617
; %bb.64067:
	s_getpc_b64 s[14:15]
.Lpost_getpc35617:
	s_add_u32 s14, s14, (.LBB2_13891-.Lpost_getpc35617)&4294967295
	s_addc_u32 s15, s15, (.LBB2_13891-.Lpost_getpc35617)>>32
	s_setpc_b64 s[14:15]
.LBB2_35617:
	s_getpc_b64 s[14:15]
.Lpost_getpc21392:
	s_add_u32 s14, s14, (.LBB2_13892-.Lpost_getpc21392)&4294967295
	s_addc_u32 s15, s15, (.LBB2_13892-.Lpost_getpc21392)>>32
	s_setpc_b64 s[14:15]
.LBB2_28229:
	s_movk_i32 s4, 0x80
	v_cmp_eq_u16_sdwa s[12:13], v4, s4 src0_sel:BYTE_0 src1_sel:DWORD
	s_mov_b64 s[4:5], -1
                                        ; implicit-def: $sgpr10
	s_and_saveexec_b64 s[8:9], s[12:13]
; %bb.28230:
	s_mov_b32 s10, 0x7f800001
	s_xor_b64 s[4:5], exec, -1
; %bb.28231:
	s_or_b64 exec, exec, s[8:9]
	s_and_b64 s[4:5], s[4:5], exec
	s_or_saveexec_b64 s[6:7], s[6:7]
	v_mov_b32_e32 v3, s10
	s_xor_b64 exec, exec, s[6:7]
	s_cbranch_execnz .LBB2_28232
; %bb.64069:
	s_getpc_b64 s[14:15]
.Lpost_getpc35618:
	s_add_u32 s14, s14, (.LBB2_13894-.Lpost_getpc35618)&4294967295
	s_addc_u32 s15, s15, (.LBB2_13894-.Lpost_getpc35618)>>32
	s_setpc_b64 s[14:15]
.LBB2_28232:
	v_mov_b32_e32 v3, 0
	v_cmp_ne_u16_sdwa s[8:9], v4, v3 src0_sel:BYTE_0 src1_sel:DWORD
	s_andn2_b64 s[4:5], s[4:5], exec
	s_and_b64 s[8:9], s[8:9], exec
	s_or_b64 s[4:5], s[4:5], s[8:9]
	s_or_b64 exec, exec, s[6:7]
	s_and_saveexec_b64 s[6:7], s[4:5]
	s_cbranch_execz .LBB2_35619
; %bb.64071:
	s_getpc_b64 s[14:15]
.Lpost_getpc35619:
	s_add_u32 s14, s14, (.LBB2_13895-.Lpost_getpc35619)&4294967295
	s_addc_u32 s15, s15, (.LBB2_13895-.Lpost_getpc35619)>>32
	s_setpc_b64 s[14:15]
.LBB2_35619:
	s_getpc_b64 s[14:15]
.Lpost_getpc21393:
	s_add_u32 s14, s14, (.LBB2_13896-.Lpost_getpc21393)&4294967295
	s_addc_u32 s15, s15, (.LBB2_13896-.Lpost_getpc21393)>>32
	s_setpc_b64 s[14:15]
.LBB2_28233:
	s_movk_i32 s4, 0x80
	v_cmp_eq_u16_sdwa s[12:13], v3, s4 src0_sel:BYTE_0 src1_sel:DWORD
	s_mov_b64 s[4:5], -1
                                        ; implicit-def: $sgpr10
	s_and_saveexec_b64 s[8:9], s[12:13]
; %bb.28234:
	s_mov_b32 s10, 0x7f800001
	s_xor_b64 s[4:5], exec, -1
; %bb.28235:
	s_or_b64 exec, exec, s[8:9]
	s_and_b64 s[4:5], s[4:5], exec
	s_or_saveexec_b64 s[6:7], s[6:7]
	v_mov_b32_e32 v2, s10
	s_xor_b64 exec, exec, s[6:7]
	s_cbranch_execnz .LBB2_28236
; %bb.64073:
	s_getpc_b64 s[14:15]
.Lpost_getpc35620:
	s_add_u32 s14, s14, (.LBB2_13898-.Lpost_getpc35620)&4294967295
	s_addc_u32 s15, s15, (.LBB2_13898-.Lpost_getpc35620)>>32
	s_setpc_b64 s[14:15]
.LBB2_28236:
	v_mov_b32_e32 v2, 0
	v_cmp_ne_u16_sdwa s[8:9], v3, v2 src0_sel:BYTE_0 src1_sel:DWORD
	s_andn2_b64 s[4:5], s[4:5], exec
	s_and_b64 s[8:9], s[8:9], exec
	s_or_b64 s[4:5], s[4:5], s[8:9]
	s_or_b64 exec, exec, s[6:7]
	s_and_saveexec_b64 s[6:7], s[4:5]
	s_cbranch_execz .LBB2_35621
; %bb.64075:
	s_getpc_b64 s[14:15]
.Lpost_getpc35621:
	s_add_u32 s14, s14, (.LBB2_13899-.Lpost_getpc35621)&4294967295
	s_addc_u32 s15, s15, (.LBB2_13899-.Lpost_getpc35621)>>32
	s_setpc_b64 s[14:15]
.LBB2_35621:
	s_getpc_b64 s[14:15]
.Lpost_getpc21394:
	s_add_u32 s14, s14, (.LBB2_13900-.Lpost_getpc21394)&4294967295
	s_addc_u32 s15, s15, (.LBB2_13900-.Lpost_getpc21394)>>32
	s_setpc_b64 s[14:15]
.LBB2_28237:
	s_movk_i32 s4, 0x80
	v_cmp_eq_u16_sdwa s[12:13], v3, s4 src0_sel:BYTE_0 src1_sel:DWORD
	s_mov_b64 s[4:5], -1
                                        ; implicit-def: $sgpr10
	s_and_saveexec_b64 s[8:9], s[12:13]
; %bb.28238:
	s_mov_b32 s10, 0x7f800001
	s_xor_b64 s[4:5], exec, -1
; %bb.28239:
	s_or_b64 exec, exec, s[8:9]
	s_and_b64 s[4:5], s[4:5], exec
	s_or_saveexec_b64 s[6:7], s[6:7]
	v_mov_b32_e32 v6, s10
	s_xor_b64 exec, exec, s[6:7]
	s_cbranch_execnz .LBB2_28240
; %bb.64077:
	s_getpc_b64 s[14:15]
.Lpost_getpc35622:
	s_add_u32 s14, s14, (.LBB2_13902-.Lpost_getpc35622)&4294967295
	s_addc_u32 s15, s15, (.LBB2_13902-.Lpost_getpc35622)>>32
	s_setpc_b64 s[14:15]
.LBB2_28240:
	v_mov_b32_e32 v6, 0
	v_cmp_ne_u16_sdwa s[8:9], v3, v6 src0_sel:BYTE_0 src1_sel:DWORD
	s_andn2_b64 s[4:5], s[4:5], exec
	s_and_b64 s[8:9], s[8:9], exec
	s_or_b64 s[4:5], s[4:5], s[8:9]
	s_or_b64 exec, exec, s[6:7]
	s_and_saveexec_b64 s[6:7], s[4:5]
	s_cbranch_execz .LBB2_35623
; %bb.64079:
	s_getpc_b64 s[14:15]
.Lpost_getpc35623:
	s_add_u32 s14, s14, (.LBB2_13903-.Lpost_getpc35623)&4294967295
	s_addc_u32 s15, s15, (.LBB2_13903-.Lpost_getpc35623)>>32
	s_setpc_b64 s[14:15]
.LBB2_35623:
	s_getpc_b64 s[14:15]
.Lpost_getpc21395:
	s_add_u32 s14, s14, (.LBB2_13904-.Lpost_getpc21395)&4294967295
	s_addc_u32 s15, s15, (.LBB2_13904-.Lpost_getpc21395)>>32
	s_setpc_b64 s[14:15]
.LBB2_28241:
	s_movk_i32 s4, 0x80
	v_cmp_eq_u16_e32 vcc, s4, v3
	s_mov_b64 s[4:5], -1
                                        ; implicit-def: $sgpr10
	s_and_saveexec_b64 s[8:9], vcc
; %bb.28242:
	s_mov_b32 s10, 0x7f800001
	s_xor_b64 s[4:5], exec, -1
; %bb.28243:
	s_or_b64 exec, exec, s[8:9]
	s_and_b64 s[4:5], s[4:5], exec
                                        ; implicit-def: $vgpr3
	s_or_saveexec_b64 s[6:7], s[6:7]
	v_mov_b32_e32 v2, s10
	s_xor_b64 exec, exec, s[6:7]
	s_cbranch_execnz .LBB2_28244
; %bb.64081:
	s_getpc_b64 s[14:15]
.Lpost_getpc35624:
	s_add_u32 s14, s14, (.LBB2_13906-.Lpost_getpc35624)&4294967295
	s_addc_u32 s15, s15, (.LBB2_13906-.Lpost_getpc35624)>>32
	s_setpc_b64 s[14:15]
.LBB2_28244:
	v_cmp_ne_u16_e32 vcc, 0, v3
	s_andn2_b64 s[4:5], s[4:5], exec
	s_and_b64 s[8:9], vcc, exec
	v_mov_b32_e32 v2, 0
	s_or_b64 s[4:5], s[4:5], s[8:9]
	s_or_b64 exec, exec, s[6:7]
	s_and_saveexec_b64 s[6:7], s[4:5]
	s_cbranch_execz .LBB2_35625
; %bb.64083:
	s_getpc_b64 s[14:15]
.Lpost_getpc35625:
	s_add_u32 s14, s14, (.LBB2_13907-.Lpost_getpc35625)&4294967295
	s_addc_u32 s15, s15, (.LBB2_13907-.Lpost_getpc35625)>>32
	s_setpc_b64 s[14:15]
.LBB2_35625:
	s_getpc_b64 s[14:15]
.Lpost_getpc21396:
	s_add_u32 s14, s14, (.LBB2_13908-.Lpost_getpc21396)&4294967295
	s_addc_u32 s15, s15, (.LBB2_13908-.Lpost_getpc21396)>>32
	s_setpc_b64 s[14:15]
.LBB2_28245:
	s_movk_i32 s4, 0x80
	v_cmp_eq_u16_e32 vcc, s4, v3
	s_mov_b64 s[4:5], -1
                                        ; implicit-def: $sgpr10
	s_and_saveexec_b64 s[8:9], vcc
; %bb.28246:
	s_mov_b32 s10, 0x7f800001
	s_xor_b64 s[4:5], exec, -1
; %bb.28247:
	s_or_b64 exec, exec, s[8:9]
	s_and_b64 s[4:5], s[4:5], exec
                                        ; implicit-def: $vgpr3
	s_or_saveexec_b64 s[6:7], s[6:7]
	v_mov_b32_e32 v6, s10
	s_xor_b64 exec, exec, s[6:7]
	s_cbranch_execnz .LBB2_28248
; %bb.64085:
	s_getpc_b64 s[14:15]
.Lpost_getpc35626:
	s_add_u32 s14, s14, (.LBB2_13910-.Lpost_getpc35626)&4294967295
	s_addc_u32 s15, s15, (.LBB2_13910-.Lpost_getpc35626)>>32
	s_setpc_b64 s[14:15]
.LBB2_28248:
	v_cmp_ne_u16_e32 vcc, 0, v3
	s_andn2_b64 s[4:5], s[4:5], exec
	s_and_b64 s[8:9], vcc, exec
	v_mov_b32_e32 v6, 0
	s_or_b64 s[4:5], s[4:5], s[8:9]
	s_or_b64 exec, exec, s[6:7]
	s_and_saveexec_b64 s[6:7], s[4:5]
	s_cbranch_execz .LBB2_35627
; %bb.64087:
	s_getpc_b64 s[14:15]
.Lpost_getpc35627:
	s_add_u32 s14, s14, (.LBB2_13911-.Lpost_getpc35627)&4294967295
	s_addc_u32 s15, s15, (.LBB2_13911-.Lpost_getpc35627)>>32
	s_setpc_b64 s[14:15]
.LBB2_35627:
	s_getpc_b64 s[14:15]
.Lpost_getpc21397:
	s_add_u32 s14, s14, (.LBB2_13912-.Lpost_getpc21397)&4294967295
	s_addc_u32 s15, s15, (.LBB2_13912-.Lpost_getpc21397)>>32
	s_setpc_b64 s[14:15]
.LBB2_28249:
	s_movk_i32 s4, 0x80
	v_cmp_eq_u16_sdwa s[12:13], v8, s4 src0_sel:BYTE_3 src1_sel:DWORD
	s_mov_b64 s[4:5], -1
                                        ; implicit-def: $sgpr10
	s_and_saveexec_b64 s[8:9], s[12:13]
; %bb.28250:
	s_mov_b32 s10, 0x7f800001
	s_xor_b64 s[4:5], exec, -1
; %bb.28251:
	s_or_b64 exec, exec, s[8:9]
	s_and_b64 s[4:5], s[4:5], exec
	s_or_saveexec_b64 s[6:7], s[6:7]
	v_mov_b32_e32 v2, s10
	s_xor_b64 exec, exec, s[6:7]
	s_cbranch_execnz .LBB2_28252
; %bb.64089:
	s_getpc_b64 s[14:15]
.Lpost_getpc35628:
	s_add_u32 s14, s14, (.LBB2_13914-.Lpost_getpc35628)&4294967295
	s_addc_u32 s15, s15, (.LBB2_13914-.Lpost_getpc35628)>>32
	s_setpc_b64 s[14:15]
.LBB2_28252:
	v_mov_b32_e32 v2, 0
	v_cmp_ne_u16_sdwa s[8:9], v8, v2 src0_sel:BYTE_3 src1_sel:DWORD
	s_andn2_b64 s[4:5], s[4:5], exec
	s_and_b64 s[8:9], s[8:9], exec
	s_or_b64 s[4:5], s[4:5], s[8:9]
	s_or_b64 exec, exec, s[6:7]
	s_and_saveexec_b64 s[6:7], s[4:5]
	s_cbranch_execz .LBB2_35629
; %bb.64091:
	s_getpc_b64 s[14:15]
.Lpost_getpc35629:
	s_add_u32 s14, s14, (.LBB2_13915-.Lpost_getpc35629)&4294967295
	s_addc_u32 s15, s15, (.LBB2_13915-.Lpost_getpc35629)>>32
	s_setpc_b64 s[14:15]
.LBB2_35629:
	s_getpc_b64 s[14:15]
.Lpost_getpc21398:
	s_add_u32 s14, s14, (.LBB2_13916-.Lpost_getpc21398)&4294967295
	s_addc_u32 s15, s15, (.LBB2_13916-.Lpost_getpc21398)>>32
	s_setpc_b64 s[14:15]
.LBB2_28253:
	s_movk_i32 s4, 0x80
	v_cmp_eq_u16_sdwa s[12:13], v4, s4 src0_sel:BYTE_3 src1_sel:DWORD
	s_mov_b64 s[4:5], -1
                                        ; implicit-def: $sgpr10
	s_and_saveexec_b64 s[8:9], s[12:13]
; %bb.28254:
	s_mov_b32 s10, 0x7f800001
	s_xor_b64 s[4:5], exec, -1
; %bb.28255:
	s_or_b64 exec, exec, s[8:9]
	s_and_b64 s[4:5], s[4:5], exec
	s_or_saveexec_b64 s[6:7], s[6:7]
	v_mov_b32_e32 v3, s10
	s_xor_b64 exec, exec, s[6:7]
	s_cbranch_execnz .LBB2_28256
; %bb.64093:
	s_getpc_b64 s[14:15]
.Lpost_getpc35630:
	s_add_u32 s14, s14, (.LBB2_13918-.Lpost_getpc35630)&4294967295
	s_addc_u32 s15, s15, (.LBB2_13918-.Lpost_getpc35630)>>32
	s_setpc_b64 s[14:15]
.LBB2_28256:
	v_mov_b32_e32 v3, 0
	v_cmp_ne_u16_sdwa s[8:9], v4, v3 src0_sel:BYTE_3 src1_sel:DWORD
	s_andn2_b64 s[4:5], s[4:5], exec
	s_and_b64 s[8:9], s[8:9], exec
	s_or_b64 s[4:5], s[4:5], s[8:9]
	s_or_b64 exec, exec, s[6:7]
	s_and_saveexec_b64 s[6:7], s[4:5]
	s_cbranch_execz .LBB2_35631
; %bb.64095:
	s_getpc_b64 s[14:15]
.Lpost_getpc35631:
	s_add_u32 s14, s14, (.LBB2_13919-.Lpost_getpc35631)&4294967295
	s_addc_u32 s15, s15, (.LBB2_13919-.Lpost_getpc35631)>>32
	s_setpc_b64 s[14:15]
.LBB2_35631:
	s_getpc_b64 s[14:15]
.Lpost_getpc21399:
	s_add_u32 s14, s14, (.LBB2_13920-.Lpost_getpc21399)&4294967295
	s_addc_u32 s15, s15, (.LBB2_13920-.Lpost_getpc21399)>>32
	s_setpc_b64 s[14:15]
.LBB2_28257:
	s_movk_i32 s4, 0x80
	v_cmp_eq_u16_sdwa s[12:13], v9, s4 src0_sel:BYTE_0 src1_sel:DWORD
	s_mov_b64 s[4:5], -1
                                        ; implicit-def: $sgpr10
	s_and_saveexec_b64 s[8:9], s[12:13]
; %bb.28258:
	s_mov_b32 s10, 0x7f800001
	s_xor_b64 s[4:5], exec, -1
; %bb.28259:
	s_or_b64 exec, exec, s[8:9]
	s_and_b64 s[4:5], s[4:5], exec
	s_or_saveexec_b64 s[6:7], s[6:7]
	v_mov_b32_e32 v2, s10
	s_xor_b64 exec, exec, s[6:7]
	s_cbranch_execnz .LBB2_28260
; %bb.64097:
	s_getpc_b64 s[14:15]
.Lpost_getpc35632:
	s_add_u32 s14, s14, (.LBB2_13922-.Lpost_getpc35632)&4294967295
	s_addc_u32 s15, s15, (.LBB2_13922-.Lpost_getpc35632)>>32
	s_setpc_b64 s[14:15]
.LBB2_28260:
	v_mov_b32_e32 v2, 0
	v_cmp_ne_u16_sdwa s[8:9], v9, v2 src0_sel:BYTE_0 src1_sel:DWORD
	s_andn2_b64 s[4:5], s[4:5], exec
	s_and_b64 s[8:9], s[8:9], exec
	s_or_b64 s[4:5], s[4:5], s[8:9]
	s_or_b64 exec, exec, s[6:7]
	s_and_saveexec_b64 s[6:7], s[4:5]
	s_cbranch_execz .LBB2_35633
; %bb.64099:
	s_getpc_b64 s[14:15]
.Lpost_getpc35633:
	s_add_u32 s14, s14, (.LBB2_13923-.Lpost_getpc35633)&4294967295
	s_addc_u32 s15, s15, (.LBB2_13923-.Lpost_getpc35633)>>32
	s_setpc_b64 s[14:15]
.LBB2_35633:
	s_getpc_b64 s[14:15]
.Lpost_getpc21400:
	s_add_u32 s14, s14, (.LBB2_13924-.Lpost_getpc21400)&4294967295
	s_addc_u32 s15, s15, (.LBB2_13924-.Lpost_getpc21400)>>32
	s_setpc_b64 s[14:15]
.LBB2_28261:
	s_movk_i32 s4, 0x80
	v_cmp_eq_u16_sdwa s[12:13], v5, s4 src0_sel:BYTE_0 src1_sel:DWORD
	s_mov_b64 s[4:5], -1
                                        ; implicit-def: $sgpr10
	s_and_saveexec_b64 s[8:9], s[12:13]
; %bb.28262:
	s_mov_b32 s10, 0x7f800001
	s_xor_b64 s[4:5], exec, -1
; %bb.28263:
	s_or_b64 exec, exec, s[8:9]
	s_and_b64 s[4:5], s[4:5], exec
	s_or_saveexec_b64 s[6:7], s[6:7]
	v_mov_b32_e32 v3, s10
	s_xor_b64 exec, exec, s[6:7]
	s_cbranch_execnz .LBB2_28264
; %bb.64101:
	s_getpc_b64 s[14:15]
.Lpost_getpc35634:
	s_add_u32 s14, s14, (.LBB2_13926-.Lpost_getpc35634)&4294967295
	s_addc_u32 s15, s15, (.LBB2_13926-.Lpost_getpc35634)>>32
	s_setpc_b64 s[14:15]
.LBB2_28264:
	v_mov_b32_e32 v3, 0
	v_cmp_ne_u16_sdwa s[8:9], v5, v3 src0_sel:BYTE_0 src1_sel:DWORD
	s_andn2_b64 s[4:5], s[4:5], exec
	s_and_b64 s[8:9], s[8:9], exec
	s_or_b64 s[4:5], s[4:5], s[8:9]
	s_or_b64 exec, exec, s[6:7]
	s_and_saveexec_b64 s[6:7], s[4:5]
	s_cbranch_execz .LBB2_35635
; %bb.64103:
	s_getpc_b64 s[14:15]
.Lpost_getpc35635:
	s_add_u32 s14, s14, (.LBB2_13927-.Lpost_getpc35635)&4294967295
	s_addc_u32 s15, s15, (.LBB2_13927-.Lpost_getpc35635)>>32
	s_setpc_b64 s[14:15]
.LBB2_35635:
	s_getpc_b64 s[14:15]
.Lpost_getpc21401:
	s_add_u32 s14, s14, (.LBB2_13928-.Lpost_getpc21401)&4294967295
	s_addc_u32 s15, s15, (.LBB2_13928-.Lpost_getpc21401)>>32
	s_setpc_b64 s[14:15]
.LBB2_28265:
	s_movk_i32 s4, 0x80
	v_cmp_eq_u16_sdwa s[12:13], v3, s4 src0_sel:BYTE_0 src1_sel:DWORD
	s_mov_b64 s[4:5], -1
                                        ; implicit-def: $sgpr10
	s_and_saveexec_b64 s[8:9], s[12:13]
; %bb.28266:
	s_mov_b32 s10, 0x7f800001
	s_xor_b64 s[4:5], exec, -1
; %bb.28267:
	s_or_b64 exec, exec, s[8:9]
	s_and_b64 s[4:5], s[4:5], exec
	s_or_saveexec_b64 s[6:7], s[6:7]
	v_mov_b32_e32 v2, s10
	s_xor_b64 exec, exec, s[6:7]
	s_cbranch_execnz .LBB2_28268
; %bb.64105:
	s_getpc_b64 s[14:15]
.Lpost_getpc35636:
	s_add_u32 s14, s14, (.LBB2_13930-.Lpost_getpc35636)&4294967295
	s_addc_u32 s15, s15, (.LBB2_13930-.Lpost_getpc35636)>>32
	s_setpc_b64 s[14:15]
.LBB2_28268:
	v_mov_b32_e32 v2, 0
	v_cmp_ne_u16_sdwa s[8:9], v3, v2 src0_sel:BYTE_0 src1_sel:DWORD
	s_andn2_b64 s[4:5], s[4:5], exec
	s_and_b64 s[8:9], s[8:9], exec
	s_or_b64 s[4:5], s[4:5], s[8:9]
	s_or_b64 exec, exec, s[6:7]
	s_and_saveexec_b64 s[6:7], s[4:5]
	s_cbranch_execz .LBB2_35637
; %bb.64107:
	s_getpc_b64 s[14:15]
.Lpost_getpc35637:
	s_add_u32 s14, s14, (.LBB2_13931-.Lpost_getpc35637)&4294967295
	s_addc_u32 s15, s15, (.LBB2_13931-.Lpost_getpc35637)>>32
	s_setpc_b64 s[14:15]
.LBB2_35637:
	s_getpc_b64 s[14:15]
.Lpost_getpc21402:
	s_add_u32 s14, s14, (.LBB2_13932-.Lpost_getpc21402)&4294967295
	s_addc_u32 s15, s15, (.LBB2_13932-.Lpost_getpc21402)>>32
	s_setpc_b64 s[14:15]
.LBB2_28269:
	s_movk_i32 s4, 0x80
	v_cmp_eq_u16_sdwa s[12:13], v3, s4 src0_sel:BYTE_0 src1_sel:DWORD
	s_mov_b64 s[4:5], -1
                                        ; implicit-def: $sgpr10
	s_and_saveexec_b64 s[8:9], s[12:13]
; %bb.28270:
	s_mov_b32 s10, 0x7f800001
	s_xor_b64 s[4:5], exec, -1
; %bb.28271:
	s_or_b64 exec, exec, s[8:9]
	s_and_b64 s[4:5], s[4:5], exec
	s_or_saveexec_b64 s[6:7], s[6:7]
	v_mov_b32_e32 v4, s10
	s_xor_b64 exec, exec, s[6:7]
	s_cbranch_execnz .LBB2_28272
; %bb.64109:
	s_getpc_b64 s[14:15]
.Lpost_getpc35638:
	s_add_u32 s14, s14, (.LBB2_13934-.Lpost_getpc35638)&4294967295
	s_addc_u32 s15, s15, (.LBB2_13934-.Lpost_getpc35638)>>32
	s_setpc_b64 s[14:15]
.LBB2_28272:
	v_mov_b32_e32 v4, 0
	v_cmp_ne_u16_sdwa s[8:9], v3, v4 src0_sel:BYTE_0 src1_sel:DWORD
	s_andn2_b64 s[4:5], s[4:5], exec
	s_and_b64 s[8:9], s[8:9], exec
	s_or_b64 s[4:5], s[4:5], s[8:9]
	s_or_b64 exec, exec, s[6:7]
	s_and_saveexec_b64 s[6:7], s[4:5]
	s_cbranch_execz .LBB2_35639
; %bb.64111:
	s_getpc_b64 s[14:15]
.Lpost_getpc35639:
	s_add_u32 s14, s14, (.LBB2_13935-.Lpost_getpc35639)&4294967295
	s_addc_u32 s15, s15, (.LBB2_13935-.Lpost_getpc35639)>>32
	s_setpc_b64 s[14:15]
.LBB2_35639:
	s_getpc_b64 s[14:15]
.Lpost_getpc21403:
	s_add_u32 s14, s14, (.LBB2_13936-.Lpost_getpc21403)&4294967295
	s_addc_u32 s15, s15, (.LBB2_13936-.Lpost_getpc21403)>>32
	s_setpc_b64 s[14:15]
.LBB2_28273:
	s_movk_i32 s4, 0x80
	v_cmp_eq_u16_e32 vcc, s4, v3
	s_mov_b64 s[4:5], -1
                                        ; implicit-def: $sgpr10
	s_and_saveexec_b64 s[8:9], vcc
; %bb.28274:
	s_mov_b32 s10, 0x7f800001
	s_xor_b64 s[4:5], exec, -1
; %bb.28275:
	s_or_b64 exec, exec, s[8:9]
	s_and_b64 s[4:5], s[4:5], exec
                                        ; implicit-def: $vgpr3
	s_or_saveexec_b64 s[6:7], s[6:7]
	v_mov_b32_e32 v2, s10
	s_xor_b64 exec, exec, s[6:7]
	s_cbranch_execnz .LBB2_28276
; %bb.64113:
	s_getpc_b64 s[14:15]
.Lpost_getpc35640:
	s_add_u32 s14, s14, (.LBB2_13938-.Lpost_getpc35640)&4294967295
	s_addc_u32 s15, s15, (.LBB2_13938-.Lpost_getpc35640)>>32
	s_setpc_b64 s[14:15]
.LBB2_28276:
	v_cmp_ne_u16_e32 vcc, 0, v3
	s_andn2_b64 s[4:5], s[4:5], exec
	s_and_b64 s[8:9], vcc, exec
	v_mov_b32_e32 v2, 0
	s_or_b64 s[4:5], s[4:5], s[8:9]
	s_or_b64 exec, exec, s[6:7]
	s_and_saveexec_b64 s[6:7], s[4:5]
	s_cbranch_execz .LBB2_35641
; %bb.64115:
	s_getpc_b64 s[14:15]
.Lpost_getpc35641:
	s_add_u32 s14, s14, (.LBB2_13939-.Lpost_getpc35641)&4294967295
	s_addc_u32 s15, s15, (.LBB2_13939-.Lpost_getpc35641)>>32
	s_setpc_b64 s[14:15]
.LBB2_35641:
	s_getpc_b64 s[14:15]
.Lpost_getpc21404:
	s_add_u32 s14, s14, (.LBB2_13940-.Lpost_getpc21404)&4294967295
	s_addc_u32 s15, s15, (.LBB2_13940-.Lpost_getpc21404)>>32
	s_setpc_b64 s[14:15]
.LBB2_28277:
	s_movk_i32 s4, 0x80
	v_cmp_eq_u16_e32 vcc, s4, v3
	s_mov_b64 s[4:5], -1
                                        ; implicit-def: $sgpr10
	s_and_saveexec_b64 s[8:9], vcc
; %bb.28278:
	s_mov_b32 s10, 0x7f800001
	s_xor_b64 s[4:5], exec, -1
; %bb.28279:
	s_or_b64 exec, exec, s[8:9]
	s_and_b64 s[4:5], s[4:5], exec
                                        ; implicit-def: $vgpr3
	s_or_saveexec_b64 s[6:7], s[6:7]
	v_mov_b32_e32 v4, s10
	s_xor_b64 exec, exec, s[6:7]
	s_cbranch_execnz .LBB2_28280
; %bb.64117:
	s_getpc_b64 s[14:15]
.Lpost_getpc35642:
	s_add_u32 s14, s14, (.LBB2_13942-.Lpost_getpc35642)&4294967295
	s_addc_u32 s15, s15, (.LBB2_13942-.Lpost_getpc35642)>>32
	s_setpc_b64 s[14:15]
.LBB2_28280:
	v_cmp_ne_u16_e32 vcc, 0, v3
	s_andn2_b64 s[4:5], s[4:5], exec
	s_and_b64 s[8:9], vcc, exec
	v_mov_b32_e32 v4, 0
	s_or_b64 s[4:5], s[4:5], s[8:9]
	s_or_b64 exec, exec, s[6:7]
	s_and_saveexec_b64 s[6:7], s[4:5]
	s_cbranch_execz .LBB2_35643
; %bb.64119:
	s_getpc_b64 s[14:15]
.Lpost_getpc35643:
	s_add_u32 s14, s14, (.LBB2_13943-.Lpost_getpc35643)&4294967295
	s_addc_u32 s15, s15, (.LBB2_13943-.Lpost_getpc35643)>>32
	s_setpc_b64 s[14:15]
.LBB2_35643:
	s_getpc_b64 s[14:15]
.Lpost_getpc21405:
	s_add_u32 s14, s14, (.LBB2_13944-.Lpost_getpc21405)&4294967295
	s_addc_u32 s15, s15, (.LBB2_13944-.Lpost_getpc21405)>>32
	s_setpc_b64 s[14:15]
.LBB2_28281:
	s_movk_i32 s4, 0x80
	v_cmp_eq_u16_sdwa s[12:13], v9, s4 src0_sel:BYTE_3 src1_sel:DWORD
	s_mov_b64 s[4:5], -1
                                        ; implicit-def: $sgpr10
	s_and_saveexec_b64 s[8:9], s[12:13]
; %bb.28282:
	s_mov_b32 s10, 0x7f800001
	s_xor_b64 s[4:5], exec, -1
; %bb.28283:
	s_or_b64 exec, exec, s[8:9]
	s_and_b64 s[4:5], s[4:5], exec
	s_or_saveexec_b64 s[6:7], s[6:7]
	v_mov_b32_e32 v2, s10
	s_xor_b64 exec, exec, s[6:7]
	s_cbranch_execnz .LBB2_28284
; %bb.64121:
	s_getpc_b64 s[14:15]
.Lpost_getpc35644:
	s_add_u32 s14, s14, (.LBB2_13946-.Lpost_getpc35644)&4294967295
	s_addc_u32 s15, s15, (.LBB2_13946-.Lpost_getpc35644)>>32
	s_setpc_b64 s[14:15]
.LBB2_28284:
	v_mov_b32_e32 v2, 0
	v_cmp_ne_u16_sdwa s[8:9], v9, v2 src0_sel:BYTE_3 src1_sel:DWORD
	s_andn2_b64 s[4:5], s[4:5], exec
	s_and_b64 s[8:9], s[8:9], exec
	s_or_b64 s[4:5], s[4:5], s[8:9]
	s_or_b64 exec, exec, s[6:7]
	s_and_saveexec_b64 s[6:7], s[4:5]
	s_cbranch_execz .LBB2_35645
; %bb.64123:
	s_getpc_b64 s[14:15]
.Lpost_getpc35645:
	s_add_u32 s14, s14, (.LBB2_13947-.Lpost_getpc35645)&4294967295
	s_addc_u32 s15, s15, (.LBB2_13947-.Lpost_getpc35645)>>32
	s_setpc_b64 s[14:15]
.LBB2_35645:
	s_getpc_b64 s[14:15]
.Lpost_getpc21406:
	s_add_u32 s14, s14, (.LBB2_13948-.Lpost_getpc21406)&4294967295
	s_addc_u32 s15, s15, (.LBB2_13948-.Lpost_getpc21406)>>32
	s_setpc_b64 s[14:15]
.LBB2_28285:
	s_movk_i32 s4, 0x80
	v_cmp_eq_u16_sdwa s[12:13], v5, s4 src0_sel:BYTE_3 src1_sel:DWORD
	s_mov_b64 s[4:5], -1
                                        ; implicit-def: $sgpr10
	s_and_saveexec_b64 s[8:9], s[12:13]
; %bb.28286:
	s_mov_b32 s10, 0x7f800001
	s_xor_b64 s[4:5], exec, -1
; %bb.28287:
	s_or_b64 exec, exec, s[8:9]
	s_and_b64 s[4:5], s[4:5], exec
	s_or_saveexec_b64 s[6:7], s[6:7]
	v_mov_b32_e32 v3, s10
	s_xor_b64 exec, exec, s[6:7]
	s_cbranch_execnz .LBB2_28288
; %bb.64125:
	s_getpc_b64 s[14:15]
.Lpost_getpc35646:
	s_add_u32 s14, s14, (.LBB2_13950-.Lpost_getpc35646)&4294967295
	s_addc_u32 s15, s15, (.LBB2_13950-.Lpost_getpc35646)>>32
	s_setpc_b64 s[14:15]
.LBB2_28288:
	v_mov_b32_e32 v3, 0
	v_cmp_ne_u16_sdwa s[8:9], v5, v3 src0_sel:BYTE_3 src1_sel:DWORD
	s_andn2_b64 s[4:5], s[4:5], exec
	s_and_b64 s[8:9], s[8:9], exec
	s_or_b64 s[4:5], s[4:5], s[8:9]
	s_or_b64 exec, exec, s[6:7]
	s_and_saveexec_b64 s[6:7], s[4:5]
	s_cbranch_execz .LBB2_35647
; %bb.64127:
	s_getpc_b64 s[14:15]
.Lpost_getpc35647:
	s_add_u32 s14, s14, (.LBB2_13951-.Lpost_getpc35647)&4294967295
	s_addc_u32 s15, s15, (.LBB2_13951-.Lpost_getpc35647)>>32
	s_setpc_b64 s[14:15]
.LBB2_35647:
	s_getpc_b64 s[14:15]
.Lpost_getpc21407:
	s_add_u32 s14, s14, (.LBB2_13952-.Lpost_getpc21407)&4294967295
	s_addc_u32 s15, s15, (.LBB2_13952-.Lpost_getpc21407)>>32
	s_setpc_b64 s[14:15]
.LBB2_28289:
	s_movk_i32 s4, 0x80
	v_cmp_eq_u16_sdwa s[12:13], v6, s4 src0_sel:BYTE_0 src1_sel:DWORD
	s_mov_b64 s[4:5], -1
                                        ; implicit-def: $sgpr10
	s_and_saveexec_b64 s[8:9], s[12:13]
; %bb.28290:
	s_mov_b32 s10, 0x7f800001
	s_xor_b64 s[4:5], exec, -1
; %bb.28291:
	s_or_b64 exec, exec, s[8:9]
	s_and_b64 s[4:5], s[4:5], exec
	s_or_saveexec_b64 s[6:7], s[6:7]
	v_mov_b32_e32 v12, s10
	s_xor_b64 exec, exec, s[6:7]
	s_cbranch_execnz .LBB2_28292
; %bb.64129:
	s_getpc_b64 s[14:15]
.Lpost_getpc35648:
	s_add_u32 s14, s14, (.LBB2_13954-.Lpost_getpc35648)&4294967295
	s_addc_u32 s15, s15, (.LBB2_13954-.Lpost_getpc35648)>>32
	s_setpc_b64 s[14:15]
.LBB2_28292:
	v_mov_b32_e32 v12, 0
	v_cmp_ne_u16_sdwa s[8:9], v6, v12 src0_sel:BYTE_0 src1_sel:DWORD
	s_andn2_b64 s[4:5], s[4:5], exec
	s_and_b64 s[8:9], s[8:9], exec
	s_or_b64 s[4:5], s[4:5], s[8:9]
	s_or_b64 exec, exec, s[6:7]
	s_and_saveexec_b64 s[6:7], s[4:5]
	s_cbranch_execz .LBB2_35649
; %bb.64131:
	s_getpc_b64 s[14:15]
.Lpost_getpc35649:
	s_add_u32 s14, s14, (.LBB2_13955-.Lpost_getpc35649)&4294967295
	s_addc_u32 s15, s15, (.LBB2_13955-.Lpost_getpc35649)>>32
	s_setpc_b64 s[14:15]
.LBB2_35649:
	s_getpc_b64 s[14:15]
.Lpost_getpc21408:
	s_add_u32 s14, s14, (.LBB2_13956-.Lpost_getpc21408)&4294967295
	s_addc_u32 s15, s15, (.LBB2_13956-.Lpost_getpc21408)>>32
	s_setpc_b64 s[14:15]
.LBB2_28293:
	s_movk_i32 s4, 0x80
	v_cmp_eq_u16_sdwa s[12:13], v2, s4 src0_sel:BYTE_0 src1_sel:DWORD
	s_mov_b64 s[4:5], -1
                                        ; implicit-def: $sgpr10
	s_and_saveexec_b64 s[8:9], s[12:13]
; %bb.28294:
	s_mov_b32 s10, 0x7f800001
	s_xor_b64 s[4:5], exec, -1
; %bb.28295:
	s_or_b64 exec, exec, s[8:9]
	s_and_b64 s[4:5], s[4:5], exec
	s_or_saveexec_b64 s[6:7], s[6:7]
	v_mov_b32_e32 v13, s10
	s_xor_b64 exec, exec, s[6:7]
	s_cbranch_execnz .LBB2_28296
; %bb.64133:
	s_getpc_b64 s[14:15]
.Lpost_getpc35650:
	s_add_u32 s14, s14, (.LBB2_13958-.Lpost_getpc35650)&4294967295
	s_addc_u32 s15, s15, (.LBB2_13958-.Lpost_getpc35650)>>32
	s_setpc_b64 s[14:15]
.LBB2_28296:
	v_mov_b32_e32 v13, 0
	v_cmp_ne_u16_sdwa s[8:9], v2, v13 src0_sel:BYTE_0 src1_sel:DWORD
	s_andn2_b64 s[4:5], s[4:5], exec
	s_and_b64 s[8:9], s[8:9], exec
	s_or_b64 s[4:5], s[4:5], s[8:9]
	s_or_b64 exec, exec, s[6:7]
	s_and_saveexec_b64 s[6:7], s[4:5]
	s_cbranch_execz .LBB2_35651
; %bb.64135:
	s_getpc_b64 s[14:15]
.Lpost_getpc35651:
	s_add_u32 s14, s14, (.LBB2_13959-.Lpost_getpc35651)&4294967295
	s_addc_u32 s15, s15, (.LBB2_13959-.Lpost_getpc35651)>>32
	s_setpc_b64 s[14:15]
.LBB2_35651:
	s_getpc_b64 s[14:15]
.Lpost_getpc21409:
	s_add_u32 s14, s14, (.LBB2_13960-.Lpost_getpc21409)&4294967295
	s_addc_u32 s15, s15, (.LBB2_13960-.Lpost_getpc21409)>>32
	s_setpc_b64 s[14:15]
.LBB2_28297:
	s_movk_i32 s4, 0x80
	v_cmp_eq_u16_sdwa s[12:13], v13, s4 src0_sel:BYTE_0 src1_sel:DWORD
	s_mov_b64 s[4:5], -1
                                        ; implicit-def: $sgpr10
	s_and_saveexec_b64 s[8:9], s[12:13]
; %bb.28298:
	s_mov_b32 s10, 0x7f800001
	s_xor_b64 s[4:5], exec, -1
; %bb.28299:
	s_or_b64 exec, exec, s[8:9]
	s_and_b64 s[4:5], s[4:5], exec
	s_or_saveexec_b64 s[6:7], s[6:7]
	v_mov_b32_e32 v12, s10
	s_xor_b64 exec, exec, s[6:7]
	s_cbranch_execnz .LBB2_28300
; %bb.64137:
	s_getpc_b64 s[14:15]
.Lpost_getpc35652:
	s_add_u32 s14, s14, (.LBB2_13962-.Lpost_getpc35652)&4294967295
	s_addc_u32 s15, s15, (.LBB2_13962-.Lpost_getpc35652)>>32
	s_setpc_b64 s[14:15]
.LBB2_28300:
	v_mov_b32_e32 v12, 0
	v_cmp_ne_u16_sdwa s[8:9], v13, v12 src0_sel:BYTE_0 src1_sel:DWORD
	s_andn2_b64 s[4:5], s[4:5], exec
	s_and_b64 s[8:9], s[8:9], exec
	s_or_b64 s[4:5], s[4:5], s[8:9]
	s_or_b64 exec, exec, s[6:7]
	s_and_saveexec_b64 s[6:7], s[4:5]
	s_cbranch_execz .LBB2_35653
; %bb.64139:
	s_getpc_b64 s[14:15]
.Lpost_getpc35653:
	s_add_u32 s14, s14, (.LBB2_13963-.Lpost_getpc35653)&4294967295
	s_addc_u32 s15, s15, (.LBB2_13963-.Lpost_getpc35653)>>32
	s_setpc_b64 s[14:15]
.LBB2_35653:
	s_getpc_b64 s[14:15]
.Lpost_getpc21410:
	s_add_u32 s14, s14, (.LBB2_13964-.Lpost_getpc21410)&4294967295
	s_addc_u32 s15, s15, (.LBB2_13964-.Lpost_getpc21410)>>32
	s_setpc_b64 s[14:15]
.LBB2_28301:
	s_movk_i32 s4, 0x80
	v_cmp_eq_u16_sdwa s[12:13], v13, s4 src0_sel:BYTE_0 src1_sel:DWORD
	s_mov_b64 s[4:5], -1
                                        ; implicit-def: $sgpr10
	s_and_saveexec_b64 s[8:9], s[12:13]
; %bb.28302:
	s_mov_b32 s10, 0x7f800001
	s_xor_b64 s[4:5], exec, -1
; %bb.28303:
	s_or_b64 exec, exec, s[8:9]
	s_and_b64 s[4:5], s[4:5], exec
	s_or_saveexec_b64 s[6:7], s[6:7]
	v_mov_b32_e32 v14, s10
	s_xor_b64 exec, exec, s[6:7]
	s_cbranch_execnz .LBB2_28304
; %bb.64141:
	s_getpc_b64 s[14:15]
.Lpost_getpc35654:
	s_add_u32 s14, s14, (.LBB2_13966-.Lpost_getpc35654)&4294967295
	s_addc_u32 s15, s15, (.LBB2_13966-.Lpost_getpc35654)>>32
	s_setpc_b64 s[14:15]
.LBB2_28304:
	v_mov_b32_e32 v14, 0
	v_cmp_ne_u16_sdwa s[8:9], v13, v14 src0_sel:BYTE_0 src1_sel:DWORD
	s_andn2_b64 s[4:5], s[4:5], exec
	s_and_b64 s[8:9], s[8:9], exec
	s_or_b64 s[4:5], s[4:5], s[8:9]
	s_or_b64 exec, exec, s[6:7]
	s_and_saveexec_b64 s[6:7], s[4:5]
	s_cbranch_execz .LBB2_35655
; %bb.64143:
	s_getpc_b64 s[14:15]
.Lpost_getpc35655:
	s_add_u32 s14, s14, (.LBB2_13967-.Lpost_getpc35655)&4294967295
	s_addc_u32 s15, s15, (.LBB2_13967-.Lpost_getpc35655)>>32
	s_setpc_b64 s[14:15]
.LBB2_35655:
	s_getpc_b64 s[14:15]
.Lpost_getpc21411:
	s_add_u32 s14, s14, (.LBB2_13968-.Lpost_getpc21411)&4294967295
	s_addc_u32 s15, s15, (.LBB2_13968-.Lpost_getpc21411)>>32
	s_setpc_b64 s[14:15]
.LBB2_28305:
	s_movk_i32 s4, 0x80
	v_cmp_eq_u16_e32 vcc, s4, v13
	s_mov_b64 s[4:5], -1
                                        ; implicit-def: $sgpr10
	s_and_saveexec_b64 s[8:9], vcc
; %bb.28306:
	s_mov_b32 s10, 0x7f800001
	s_xor_b64 s[4:5], exec, -1
; %bb.28307:
	s_or_b64 exec, exec, s[8:9]
	s_and_b64 s[4:5], s[4:5], exec
                                        ; implicit-def: $vgpr13
	s_or_saveexec_b64 s[6:7], s[6:7]
	v_mov_b32_e32 v12, s10
	s_xor_b64 exec, exec, s[6:7]
	s_cbranch_execnz .LBB2_28308
; %bb.64145:
	s_getpc_b64 s[14:15]
.Lpost_getpc35656:
	s_add_u32 s14, s14, (.LBB2_13970-.Lpost_getpc35656)&4294967295
	s_addc_u32 s15, s15, (.LBB2_13970-.Lpost_getpc35656)>>32
	s_setpc_b64 s[14:15]
.LBB2_28308:
	v_cmp_ne_u16_e32 vcc, 0, v13
	s_andn2_b64 s[4:5], s[4:5], exec
	s_and_b64 s[8:9], vcc, exec
	v_mov_b32_e32 v12, 0
	s_or_b64 s[4:5], s[4:5], s[8:9]
	s_or_b64 exec, exec, s[6:7]
	s_and_saveexec_b64 s[6:7], s[4:5]
	s_cbranch_execz .LBB2_35657
; %bb.64147:
	s_getpc_b64 s[14:15]
.Lpost_getpc35657:
	s_add_u32 s14, s14, (.LBB2_13971-.Lpost_getpc35657)&4294967295
	s_addc_u32 s15, s15, (.LBB2_13971-.Lpost_getpc35657)>>32
	s_setpc_b64 s[14:15]
.LBB2_35657:
	s_getpc_b64 s[14:15]
.Lpost_getpc21412:
	s_add_u32 s14, s14, (.LBB2_13972-.Lpost_getpc21412)&4294967295
	s_addc_u32 s15, s15, (.LBB2_13972-.Lpost_getpc21412)>>32
	s_setpc_b64 s[14:15]
.LBB2_28309:
	s_movk_i32 s4, 0x80
	v_cmp_eq_u16_e32 vcc, s4, v13
	s_mov_b64 s[4:5], -1
                                        ; implicit-def: $sgpr10
	s_and_saveexec_b64 s[8:9], vcc
; %bb.28310:
	s_mov_b32 s10, 0x7f800001
	s_xor_b64 s[4:5], exec, -1
; %bb.28311:
	s_or_b64 exec, exec, s[8:9]
	s_and_b64 s[4:5], s[4:5], exec
                                        ; implicit-def: $vgpr13
	s_or_saveexec_b64 s[6:7], s[6:7]
	v_mov_b32_e32 v14, s10
	s_xor_b64 exec, exec, s[6:7]
	s_cbranch_execnz .LBB2_28312
; %bb.64149:
	s_getpc_b64 s[14:15]
.Lpost_getpc35658:
	s_add_u32 s14, s14, (.LBB2_13974-.Lpost_getpc35658)&4294967295
	s_addc_u32 s15, s15, (.LBB2_13974-.Lpost_getpc35658)>>32
	s_setpc_b64 s[14:15]
.LBB2_28312:
	v_cmp_ne_u16_e32 vcc, 0, v13
	s_andn2_b64 s[4:5], s[4:5], exec
	s_and_b64 s[8:9], vcc, exec
	v_mov_b32_e32 v14, 0
	s_or_b64 s[4:5], s[4:5], s[8:9]
	s_or_b64 exec, exec, s[6:7]
	s_and_saveexec_b64 s[6:7], s[4:5]
	s_cbranch_execz .LBB2_35659
; %bb.64151:
	s_getpc_b64 s[14:15]
.Lpost_getpc35659:
	s_add_u32 s14, s14, (.LBB2_13975-.Lpost_getpc35659)&4294967295
	s_addc_u32 s15, s15, (.LBB2_13975-.Lpost_getpc35659)>>32
	s_setpc_b64 s[14:15]
.LBB2_35659:
	s_getpc_b64 s[14:15]
.Lpost_getpc21413:
	s_add_u32 s14, s14, (.LBB2_13976-.Lpost_getpc21413)&4294967295
	s_addc_u32 s15, s15, (.LBB2_13976-.Lpost_getpc21413)>>32
	s_setpc_b64 s[14:15]
.LBB2_28313:
	s_movk_i32 s4, 0x80
	v_cmp_eq_u16_sdwa s[12:13], v6, s4 src0_sel:BYTE_3 src1_sel:DWORD
	s_mov_b64 s[4:5], -1
                                        ; implicit-def: $sgpr10
	s_and_saveexec_b64 s[8:9], s[12:13]
; %bb.28314:
	s_mov_b32 s10, 0x7f800001
	s_xor_b64 s[4:5], exec, -1
; %bb.28315:
	s_or_b64 exec, exec, s[8:9]
	s_and_b64 s[4:5], s[4:5], exec
	s_or_saveexec_b64 s[6:7], s[6:7]
	v_mov_b32_e32 v12, s10
	s_xor_b64 exec, exec, s[6:7]
	s_cbranch_execnz .LBB2_28316
; %bb.64153:
	s_getpc_b64 s[14:15]
.Lpost_getpc35660:
	s_add_u32 s14, s14, (.LBB2_13978-.Lpost_getpc35660)&4294967295
	s_addc_u32 s15, s15, (.LBB2_13978-.Lpost_getpc35660)>>32
	s_setpc_b64 s[14:15]
.LBB2_28316:
	v_mov_b32_e32 v12, 0
	v_cmp_ne_u16_sdwa s[8:9], v6, v12 src0_sel:BYTE_3 src1_sel:DWORD
	s_andn2_b64 s[4:5], s[4:5], exec
	s_and_b64 s[8:9], s[8:9], exec
	s_or_b64 s[4:5], s[4:5], s[8:9]
	s_or_b64 exec, exec, s[6:7]
	s_and_saveexec_b64 s[6:7], s[4:5]
	s_cbranch_execz .LBB2_35661
; %bb.64155:
	s_getpc_b64 s[14:15]
.Lpost_getpc35661:
	s_add_u32 s14, s14, (.LBB2_13979-.Lpost_getpc35661)&4294967295
	s_addc_u32 s15, s15, (.LBB2_13979-.Lpost_getpc35661)>>32
	s_setpc_b64 s[14:15]
.LBB2_35661:
	s_getpc_b64 s[14:15]
.Lpost_getpc21414:
	s_add_u32 s14, s14, (.LBB2_13980-.Lpost_getpc21414)&4294967295
	s_addc_u32 s15, s15, (.LBB2_13980-.Lpost_getpc21414)>>32
	s_setpc_b64 s[14:15]
.LBB2_28317:
	s_movk_i32 s4, 0x80
	v_cmp_eq_u16_sdwa s[12:13], v2, s4 src0_sel:BYTE_3 src1_sel:DWORD
	s_mov_b64 s[4:5], -1
                                        ; implicit-def: $sgpr10
	s_and_saveexec_b64 s[8:9], s[12:13]
; %bb.28318:
	s_mov_b32 s10, 0x7f800001
	s_xor_b64 s[4:5], exec, -1
; %bb.28319:
	s_or_b64 exec, exec, s[8:9]
	s_and_b64 s[4:5], s[4:5], exec
	s_or_saveexec_b64 s[6:7], s[6:7]
	v_mov_b32_e32 v6, s10
	s_xor_b64 exec, exec, s[6:7]
	s_cbranch_execnz .LBB2_28320
; %bb.64157:
	s_getpc_b64 s[14:15]
.Lpost_getpc35662:
	s_add_u32 s14, s14, (.LBB2_13982-.Lpost_getpc35662)&4294967295
	s_addc_u32 s15, s15, (.LBB2_13982-.Lpost_getpc35662)>>32
	s_setpc_b64 s[14:15]
.LBB2_28320:
	v_mov_b32_e32 v6, 0
	v_cmp_ne_u16_sdwa s[8:9], v2, v6 src0_sel:BYTE_3 src1_sel:DWORD
	s_andn2_b64 s[4:5], s[4:5], exec
	s_and_b64 s[8:9], s[8:9], exec
	s_or_b64 s[4:5], s[4:5], s[8:9]
	s_or_b64 exec, exec, s[6:7]
	s_and_saveexec_b64 s[6:7], s[4:5]
	s_cbranch_execz .LBB2_35663
; %bb.64159:
	s_getpc_b64 s[14:15]
.Lpost_getpc35663:
	s_add_u32 s14, s14, (.LBB2_13983-.Lpost_getpc35663)&4294967295
	s_addc_u32 s15, s15, (.LBB2_13983-.Lpost_getpc35663)>>32
	s_setpc_b64 s[14:15]
.LBB2_35663:
	s_getpc_b64 s[14:15]
.Lpost_getpc21415:
	s_add_u32 s14, s14, (.LBB2_13984-.Lpost_getpc21415)&4294967295
	s_addc_u32 s15, s15, (.LBB2_13984-.Lpost_getpc21415)>>32
	s_setpc_b64 s[14:15]
.LBB2_28321:
	s_movk_i32 s4, 0x80
	v_cmp_eq_u16_sdwa s[12:13], v7, s4 src0_sel:BYTE_0 src1_sel:DWORD
	s_mov_b64 s[4:5], -1
                                        ; implicit-def: $sgpr10
	s_and_saveexec_b64 s[8:9], s[12:13]
; %bb.28322:
	s_mov_b32 s10, 0x7f800001
	s_xor_b64 s[4:5], exec, -1
; %bb.28323:
	s_or_b64 exec, exec, s[8:9]
	s_and_b64 s[4:5], s[4:5], exec
	s_or_saveexec_b64 s[6:7], s[6:7]
	v_mov_b32_e32 v2, s10
	s_xor_b64 exec, exec, s[6:7]
	s_cbranch_execnz .LBB2_28324
; %bb.64161:
	s_getpc_b64 s[14:15]
.Lpost_getpc35664:
	s_add_u32 s14, s14, (.LBB2_13986-.Lpost_getpc35664)&4294967295
	s_addc_u32 s15, s15, (.LBB2_13986-.Lpost_getpc35664)>>32
	s_setpc_b64 s[14:15]
.LBB2_28324:
	v_mov_b32_e32 v2, 0
	v_cmp_ne_u16_sdwa s[8:9], v7, v2 src0_sel:BYTE_0 src1_sel:DWORD
	s_andn2_b64 s[4:5], s[4:5], exec
	s_and_b64 s[8:9], s[8:9], exec
	s_or_b64 s[4:5], s[4:5], s[8:9]
	s_or_b64 exec, exec, s[6:7]
	s_and_saveexec_b64 s[6:7], s[4:5]
	s_cbranch_execz .LBB2_35665
; %bb.64163:
	s_getpc_b64 s[14:15]
.Lpost_getpc35665:
	s_add_u32 s14, s14, (.LBB2_13987-.Lpost_getpc35665)&4294967295
	s_addc_u32 s15, s15, (.LBB2_13987-.Lpost_getpc35665)>>32
	s_setpc_b64 s[14:15]
.LBB2_35665:
	s_getpc_b64 s[14:15]
.Lpost_getpc21416:
	s_add_u32 s14, s14, (.LBB2_13988-.Lpost_getpc21416)&4294967295
	s_addc_u32 s15, s15, (.LBB2_13988-.Lpost_getpc21416)>>32
	s_setpc_b64 s[14:15]
.LBB2_28325:
	s_movk_i32 s4, 0x80
	v_cmp_eq_u16_sdwa s[12:13], v3, s4 src0_sel:BYTE_0 src1_sel:DWORD
	s_mov_b64 s[4:5], -1
                                        ; implicit-def: $sgpr10
	s_and_saveexec_b64 s[8:9], s[12:13]
; %bb.28326:
	s_mov_b32 s10, 0x7f800001
	s_xor_b64 s[4:5], exec, -1
; %bb.28327:
	s_or_b64 exec, exec, s[8:9]
	s_and_b64 s[4:5], s[4:5], exec
	s_or_saveexec_b64 s[6:7], s[6:7]
	v_mov_b32_e32 v6, s10
	s_xor_b64 exec, exec, s[6:7]
	s_cbranch_execnz .LBB2_28328
; %bb.64165:
	s_getpc_b64 s[14:15]
.Lpost_getpc35666:
	s_add_u32 s14, s14, (.LBB2_13990-.Lpost_getpc35666)&4294967295
	s_addc_u32 s15, s15, (.LBB2_13990-.Lpost_getpc35666)>>32
	s_setpc_b64 s[14:15]
.LBB2_28328:
	v_mov_b32_e32 v6, 0
	v_cmp_ne_u16_sdwa s[8:9], v3, v6 src0_sel:BYTE_0 src1_sel:DWORD
	s_andn2_b64 s[4:5], s[4:5], exec
	s_and_b64 s[8:9], s[8:9], exec
	s_or_b64 s[4:5], s[4:5], s[8:9]
	s_or_b64 exec, exec, s[6:7]
	s_and_saveexec_b64 s[6:7], s[4:5]
	s_cbranch_execz .LBB2_35667
; %bb.64167:
	s_getpc_b64 s[14:15]
.Lpost_getpc35667:
	s_add_u32 s14, s14, (.LBB2_13991-.Lpost_getpc35667)&4294967295
	s_addc_u32 s15, s15, (.LBB2_13991-.Lpost_getpc35667)>>32
	s_setpc_b64 s[14:15]
.LBB2_35667:
	s_getpc_b64 s[14:15]
.Lpost_getpc21417:
	s_add_u32 s14, s14, (.LBB2_13992-.Lpost_getpc21417)&4294967295
	s_addc_u32 s15, s15, (.LBB2_13992-.Lpost_getpc21417)>>32
	s_setpc_b64 s[14:15]
.LBB2_28329:
	s_movk_i32 s4, 0x80
	v_cmp_eq_u16_sdwa s[12:13], v6, s4 src0_sel:BYTE_0 src1_sel:DWORD
	s_mov_b64 s[4:5], -1
                                        ; implicit-def: $sgpr10
	s_and_saveexec_b64 s[8:9], s[12:13]
; %bb.28330:
	s_mov_b32 s10, 0x7f800001
	s_xor_b64 s[4:5], exec, -1
; %bb.28331:
	s_or_b64 exec, exec, s[8:9]
	s_and_b64 s[4:5], s[4:5], exec
	s_or_saveexec_b64 s[6:7], s[6:7]
	v_mov_b32_e32 v2, s10
	s_xor_b64 exec, exec, s[6:7]
	s_cbranch_execnz .LBB2_28332
; %bb.64169:
	s_getpc_b64 s[14:15]
.Lpost_getpc35668:
	s_add_u32 s14, s14, (.LBB2_13994-.Lpost_getpc35668)&4294967295
	s_addc_u32 s15, s15, (.LBB2_13994-.Lpost_getpc35668)>>32
	s_setpc_b64 s[14:15]
.LBB2_28332:
	v_mov_b32_e32 v2, 0
	v_cmp_ne_u16_sdwa s[8:9], v6, v2 src0_sel:BYTE_0 src1_sel:DWORD
	s_andn2_b64 s[4:5], s[4:5], exec
	s_and_b64 s[8:9], s[8:9], exec
	s_or_b64 s[4:5], s[4:5], s[8:9]
	s_or_b64 exec, exec, s[6:7]
	s_and_saveexec_b64 s[6:7], s[4:5]
	s_cbranch_execz .LBB2_35669
; %bb.64171:
	s_getpc_b64 s[14:15]
.Lpost_getpc35669:
	s_add_u32 s14, s14, (.LBB2_13995-.Lpost_getpc35669)&4294967295
	s_addc_u32 s15, s15, (.LBB2_13995-.Lpost_getpc35669)>>32
	s_setpc_b64 s[14:15]
.LBB2_35669:
	s_getpc_b64 s[14:15]
.Lpost_getpc21418:
	s_add_u32 s14, s14, (.LBB2_13996-.Lpost_getpc21418)&4294967295
	s_addc_u32 s15, s15, (.LBB2_13996-.Lpost_getpc21418)>>32
	s_setpc_b64 s[14:15]
.LBB2_28333:
	s_movk_i32 s4, 0x80
	v_cmp_eq_u16_sdwa s[12:13], v6, s4 src0_sel:BYTE_0 src1_sel:DWORD
	s_mov_b64 s[4:5], -1
                                        ; implicit-def: $sgpr10
	s_and_saveexec_b64 s[8:9], s[12:13]
; %bb.28334:
	s_mov_b32 s10, 0x7f800001
	s_xor_b64 s[4:5], exec, -1
; %bb.28335:
	s_or_b64 exec, exec, s[8:9]
	s_and_b64 s[4:5], s[4:5], exec
	s_or_saveexec_b64 s[6:7], s[6:7]
	v_mov_b32_e32 v12, s10
	s_xor_b64 exec, exec, s[6:7]
	s_cbranch_execnz .LBB2_28336
; %bb.64173:
	s_getpc_b64 s[14:15]
.Lpost_getpc35670:
	s_add_u32 s14, s14, (.LBB2_13998-.Lpost_getpc35670)&4294967295
	s_addc_u32 s15, s15, (.LBB2_13998-.Lpost_getpc35670)>>32
	s_setpc_b64 s[14:15]
.LBB2_28336:
	v_mov_b32_e32 v12, 0
	v_cmp_ne_u16_sdwa s[8:9], v6, v12 src0_sel:BYTE_0 src1_sel:DWORD
	s_andn2_b64 s[4:5], s[4:5], exec
	s_and_b64 s[8:9], s[8:9], exec
	s_or_b64 s[4:5], s[4:5], s[8:9]
	s_or_b64 exec, exec, s[6:7]
	s_and_saveexec_b64 s[6:7], s[4:5]
	s_cbranch_execz .LBB2_35671
; %bb.64175:
	s_getpc_b64 s[14:15]
.Lpost_getpc35671:
	s_add_u32 s14, s14, (.LBB2_13999-.Lpost_getpc35671)&4294967295
	s_addc_u32 s15, s15, (.LBB2_13999-.Lpost_getpc35671)>>32
	s_setpc_b64 s[14:15]
.LBB2_35671:
	s_getpc_b64 s[14:15]
.Lpost_getpc21419:
	s_add_u32 s14, s14, (.LBB2_14000-.Lpost_getpc21419)&4294967295
	s_addc_u32 s15, s15, (.LBB2_14000-.Lpost_getpc21419)>>32
	s_setpc_b64 s[14:15]
.LBB2_28337:
	s_movk_i32 s4, 0x80
	v_cmp_eq_u16_e32 vcc, s4, v6
	s_mov_b64 s[4:5], -1
                                        ; implicit-def: $sgpr10
	s_and_saveexec_b64 s[8:9], vcc
; %bb.28338:
	s_mov_b32 s10, 0x7f800001
	s_xor_b64 s[4:5], exec, -1
; %bb.28339:
	s_or_b64 exec, exec, s[8:9]
	s_and_b64 s[4:5], s[4:5], exec
                                        ; implicit-def: $vgpr6
	s_or_saveexec_b64 s[6:7], s[6:7]
	v_mov_b32_e32 v2, s10
	s_xor_b64 exec, exec, s[6:7]
	s_cbranch_execnz .LBB2_28340
; %bb.64177:
	s_getpc_b64 s[14:15]
.Lpost_getpc35672:
	s_add_u32 s14, s14, (.LBB2_14002-.Lpost_getpc35672)&4294967295
	s_addc_u32 s15, s15, (.LBB2_14002-.Lpost_getpc35672)>>32
	s_setpc_b64 s[14:15]
.LBB2_28340:
	v_cmp_ne_u16_e32 vcc, 0, v6
	s_andn2_b64 s[4:5], s[4:5], exec
	s_and_b64 s[8:9], vcc, exec
	v_mov_b32_e32 v2, 0
	s_or_b64 s[4:5], s[4:5], s[8:9]
	s_or_b64 exec, exec, s[6:7]
	s_and_saveexec_b64 s[6:7], s[4:5]
	s_cbranch_execz .LBB2_35673
; %bb.64179:
	s_getpc_b64 s[14:15]
.Lpost_getpc35673:
	s_add_u32 s14, s14, (.LBB2_14003-.Lpost_getpc35673)&4294967295
	s_addc_u32 s15, s15, (.LBB2_14003-.Lpost_getpc35673)>>32
	s_setpc_b64 s[14:15]
.LBB2_35673:
	s_getpc_b64 s[14:15]
.Lpost_getpc21420:
	s_add_u32 s14, s14, (.LBB2_14004-.Lpost_getpc21420)&4294967295
	s_addc_u32 s15, s15, (.LBB2_14004-.Lpost_getpc21420)>>32
	s_setpc_b64 s[14:15]
.LBB2_28341:
	s_movk_i32 s4, 0x80
	v_cmp_eq_u16_e32 vcc, s4, v6
	s_mov_b64 s[4:5], -1
                                        ; implicit-def: $sgpr10
	s_and_saveexec_b64 s[8:9], vcc
; %bb.28342:
	s_mov_b32 s10, 0x7f800001
	s_xor_b64 s[4:5], exec, -1
; %bb.28343:
	s_or_b64 exec, exec, s[8:9]
	s_and_b64 s[4:5], s[4:5], exec
                                        ; implicit-def: $vgpr6
	s_or_saveexec_b64 s[6:7], s[6:7]
	v_mov_b32_e32 v12, s10
	s_xor_b64 exec, exec, s[6:7]
	s_cbranch_execnz .LBB2_28344
; %bb.64181:
	s_getpc_b64 s[14:15]
.Lpost_getpc35674:
	s_add_u32 s14, s14, (.LBB2_14006-.Lpost_getpc35674)&4294967295
	s_addc_u32 s15, s15, (.LBB2_14006-.Lpost_getpc35674)>>32
	s_setpc_b64 s[14:15]
.LBB2_28344:
	v_cmp_ne_u16_e32 vcc, 0, v6
	s_andn2_b64 s[4:5], s[4:5], exec
	s_and_b64 s[8:9], vcc, exec
	v_mov_b32_e32 v12, 0
	s_or_b64 s[4:5], s[4:5], s[8:9]
	s_or_b64 exec, exec, s[6:7]
	s_and_saveexec_b64 s[6:7], s[4:5]
	s_cbranch_execz .LBB2_35675
; %bb.64183:
	s_getpc_b64 s[14:15]
.Lpost_getpc35675:
	s_add_u32 s14, s14, (.LBB2_14007-.Lpost_getpc35675)&4294967295
	s_addc_u32 s15, s15, (.LBB2_14007-.Lpost_getpc35675)>>32
	s_setpc_b64 s[14:15]
.LBB2_35675:
	s_getpc_b64 s[14:15]
.Lpost_getpc21421:
	s_add_u32 s14, s14, (.LBB2_14008-.Lpost_getpc21421)&4294967295
	s_addc_u32 s15, s15, (.LBB2_14008-.Lpost_getpc21421)>>32
	s_setpc_b64 s[14:15]
.LBB2_28345:
	s_movk_i32 s4, 0x80
	v_cmp_eq_u16_sdwa s[12:13], v7, s4 src0_sel:BYTE_3 src1_sel:DWORD
	s_mov_b64 s[4:5], -1
                                        ; implicit-def: $sgpr10
	s_and_saveexec_b64 s[8:9], s[12:13]
; %bb.28346:
	s_mov_b32 s10, 0x7f800001
	s_xor_b64 s[4:5], exec, -1
; %bb.28347:
	s_or_b64 exec, exec, s[8:9]
	s_and_b64 s[4:5], s[4:5], exec
	s_or_saveexec_b64 s[6:7], s[6:7]
	v_mov_b32_e32 v2, s10
	s_xor_b64 exec, exec, s[6:7]
	s_cbranch_execnz .LBB2_28348
; %bb.64185:
	s_getpc_b64 s[14:15]
.Lpost_getpc35676:
	s_add_u32 s14, s14, (.LBB2_14010-.Lpost_getpc35676)&4294967295
	s_addc_u32 s15, s15, (.LBB2_14010-.Lpost_getpc35676)>>32
	s_setpc_b64 s[14:15]
.LBB2_28348:
	v_mov_b32_e32 v2, 0
	v_cmp_ne_u16_sdwa s[8:9], v7, v2 src0_sel:BYTE_3 src1_sel:DWORD
	s_andn2_b64 s[4:5], s[4:5], exec
	s_and_b64 s[8:9], s[8:9], exec
	s_or_b64 s[4:5], s[4:5], s[8:9]
	s_or_b64 exec, exec, s[6:7]
	s_and_saveexec_b64 s[6:7], s[4:5]
	s_cbranch_execz .LBB2_35677
; %bb.64187:
	s_getpc_b64 s[14:15]
.Lpost_getpc35677:
	s_add_u32 s14, s14, (.LBB2_14011-.Lpost_getpc35677)&4294967295
	s_addc_u32 s15, s15, (.LBB2_14011-.Lpost_getpc35677)>>32
	s_setpc_b64 s[14:15]
.LBB2_35677:
	s_getpc_b64 s[14:15]
.Lpost_getpc21422:
	s_add_u32 s14, s14, (.LBB2_14012-.Lpost_getpc21422)&4294967295
	s_addc_u32 s15, s15, (.LBB2_14012-.Lpost_getpc21422)>>32
	s_setpc_b64 s[14:15]
.LBB2_28349:
	s_movk_i32 s4, 0x80
	v_cmp_eq_u16_sdwa s[12:13], v3, s4 src0_sel:BYTE_3 src1_sel:DWORD
	s_mov_b64 s[4:5], -1
                                        ; implicit-def: $sgpr10
	s_and_saveexec_b64 s[8:9], s[12:13]
; %bb.28350:
	s_mov_b32 s10, 0x7f800001
	s_xor_b64 s[4:5], exec, -1
; %bb.28351:
	s_or_b64 exec, exec, s[8:9]
	s_and_b64 s[4:5], s[4:5], exec
	s_or_saveexec_b64 s[6:7], s[6:7]
	v_mov_b32_e32 v6, s10
	s_xor_b64 exec, exec, s[6:7]
	s_cbranch_execnz .LBB2_28352
; %bb.64189:
	s_getpc_b64 s[14:15]
.Lpost_getpc35678:
	s_add_u32 s14, s14, (.LBB2_14014-.Lpost_getpc35678)&4294967295
	s_addc_u32 s15, s15, (.LBB2_14014-.Lpost_getpc35678)>>32
	s_setpc_b64 s[14:15]
.LBB2_28352:
	v_mov_b32_e32 v6, 0
	v_cmp_ne_u16_sdwa s[8:9], v3, v6 src0_sel:BYTE_3 src1_sel:DWORD
	s_andn2_b64 s[4:5], s[4:5], exec
	s_and_b64 s[8:9], s[8:9], exec
	s_or_b64 s[4:5], s[4:5], s[8:9]
	s_or_b64 exec, exec, s[6:7]
	s_and_saveexec_b64 s[6:7], s[4:5]
	s_cbranch_execz .LBB2_35679
; %bb.64191:
	s_getpc_b64 s[14:15]
.Lpost_getpc35679:
	s_add_u32 s14, s14, (.LBB2_14015-.Lpost_getpc35679)&4294967295
	s_addc_u32 s15, s15, (.LBB2_14015-.Lpost_getpc35679)>>32
	s_setpc_b64 s[14:15]
.LBB2_35679:
	s_getpc_b64 s[14:15]
.Lpost_getpc21423:
	s_add_u32 s14, s14, (.LBB2_14016-.Lpost_getpc21423)&4294967295
	s_addc_u32 s15, s15, (.LBB2_14016-.Lpost_getpc21423)>>32
	s_setpc_b64 s[14:15]
.LBB2_28353:
	s_movk_i32 s4, 0x80
	v_cmp_eq_u16_sdwa s[12:13], v8, s4 src0_sel:BYTE_0 src1_sel:DWORD
	s_mov_b64 s[4:5], -1
                                        ; implicit-def: $sgpr10
	s_and_saveexec_b64 s[8:9], s[12:13]
; %bb.28354:
	s_mov_b32 s10, 0x7f800001
	s_xor_b64 s[4:5], exec, -1
; %bb.28355:
	s_or_b64 exec, exec, s[8:9]
	s_and_b64 s[4:5], s[4:5], exec
	s_or_saveexec_b64 s[6:7], s[6:7]
	v_mov_b32_e32 v2, s10
	s_xor_b64 exec, exec, s[6:7]
	s_cbranch_execnz .LBB2_28356
; %bb.64193:
	s_getpc_b64 s[14:15]
.Lpost_getpc35680:
	s_add_u32 s14, s14, (.LBB2_14018-.Lpost_getpc35680)&4294967295
	s_addc_u32 s15, s15, (.LBB2_14018-.Lpost_getpc35680)>>32
	s_setpc_b64 s[14:15]
.LBB2_28356:
	v_mov_b32_e32 v2, 0
	v_cmp_ne_u16_sdwa s[8:9], v8, v2 src0_sel:BYTE_0 src1_sel:DWORD
	s_andn2_b64 s[4:5], s[4:5], exec
	s_and_b64 s[8:9], s[8:9], exec
	s_or_b64 s[4:5], s[4:5], s[8:9]
	s_or_b64 exec, exec, s[6:7]
	s_and_saveexec_b64 s[6:7], s[4:5]
	s_cbranch_execz .LBB2_35681
; %bb.64195:
	s_getpc_b64 s[14:15]
.Lpost_getpc35681:
	s_add_u32 s14, s14, (.LBB2_14019-.Lpost_getpc35681)&4294967295
	s_addc_u32 s15, s15, (.LBB2_14019-.Lpost_getpc35681)>>32
	s_setpc_b64 s[14:15]
.LBB2_35681:
	s_getpc_b64 s[14:15]
.Lpost_getpc21424:
	s_add_u32 s14, s14, (.LBB2_14020-.Lpost_getpc21424)&4294967295
	s_addc_u32 s15, s15, (.LBB2_14020-.Lpost_getpc21424)>>32
	s_setpc_b64 s[14:15]
.LBB2_28357:
	s_movk_i32 s4, 0x80
	v_cmp_eq_u16_sdwa s[12:13], v4, s4 src0_sel:BYTE_0 src1_sel:DWORD
	s_mov_b64 s[4:5], -1
                                        ; implicit-def: $sgpr10
	s_and_saveexec_b64 s[8:9], s[12:13]
; %bb.28358:
	s_mov_b32 s10, 0x7f800001
	s_xor_b64 s[4:5], exec, -1
; %bb.28359:
	s_or_b64 exec, exec, s[8:9]
	s_and_b64 s[4:5], s[4:5], exec
	s_or_saveexec_b64 s[6:7], s[6:7]
	v_mov_b32_e32 v3, s10
	s_xor_b64 exec, exec, s[6:7]
	s_cbranch_execnz .LBB2_28360
; %bb.64197:
	s_getpc_b64 s[14:15]
.Lpost_getpc35682:
	s_add_u32 s14, s14, (.LBB2_14022-.Lpost_getpc35682)&4294967295
	s_addc_u32 s15, s15, (.LBB2_14022-.Lpost_getpc35682)>>32
	s_setpc_b64 s[14:15]
.LBB2_28360:
	v_mov_b32_e32 v3, 0
	v_cmp_ne_u16_sdwa s[8:9], v4, v3 src0_sel:BYTE_0 src1_sel:DWORD
	s_andn2_b64 s[4:5], s[4:5], exec
	s_and_b64 s[8:9], s[8:9], exec
	s_or_b64 s[4:5], s[4:5], s[8:9]
	s_or_b64 exec, exec, s[6:7]
	s_and_saveexec_b64 s[6:7], s[4:5]
	s_cbranch_execz .LBB2_35683
; %bb.64199:
	s_getpc_b64 s[14:15]
.Lpost_getpc35683:
	s_add_u32 s14, s14, (.LBB2_14023-.Lpost_getpc35683)&4294967295
	s_addc_u32 s15, s15, (.LBB2_14023-.Lpost_getpc35683)>>32
	s_setpc_b64 s[14:15]
.LBB2_35683:
	s_getpc_b64 s[14:15]
.Lpost_getpc21425:
	s_add_u32 s14, s14, (.LBB2_14024-.Lpost_getpc21425)&4294967295
	s_addc_u32 s15, s15, (.LBB2_14024-.Lpost_getpc21425)>>32
	s_setpc_b64 s[14:15]
.LBB2_28361:
	s_movk_i32 s4, 0x80
	v_cmp_eq_u16_sdwa s[12:13], v3, s4 src0_sel:BYTE_0 src1_sel:DWORD
	s_mov_b64 s[4:5], -1
                                        ; implicit-def: $sgpr10
	s_and_saveexec_b64 s[8:9], s[12:13]
; %bb.28362:
	s_mov_b32 s10, 0x7f800001
	s_xor_b64 s[4:5], exec, -1
; %bb.28363:
	s_or_b64 exec, exec, s[8:9]
	s_and_b64 s[4:5], s[4:5], exec
	s_or_saveexec_b64 s[6:7], s[6:7]
	v_mov_b32_e32 v2, s10
	s_xor_b64 exec, exec, s[6:7]
	s_cbranch_execnz .LBB2_28364
; %bb.64201:
	s_getpc_b64 s[14:15]
.Lpost_getpc35684:
	s_add_u32 s14, s14, (.LBB2_14026-.Lpost_getpc35684)&4294967295
	s_addc_u32 s15, s15, (.LBB2_14026-.Lpost_getpc35684)>>32
	s_setpc_b64 s[14:15]
.LBB2_28364:
	v_mov_b32_e32 v2, 0
	v_cmp_ne_u16_sdwa s[8:9], v3, v2 src0_sel:BYTE_0 src1_sel:DWORD
	s_andn2_b64 s[4:5], s[4:5], exec
	s_and_b64 s[8:9], s[8:9], exec
	s_or_b64 s[4:5], s[4:5], s[8:9]
	s_or_b64 exec, exec, s[6:7]
	s_and_saveexec_b64 s[6:7], s[4:5]
	s_cbranch_execz .LBB2_35685
; %bb.64203:
	s_getpc_b64 s[14:15]
.Lpost_getpc35685:
	s_add_u32 s14, s14, (.LBB2_14027-.Lpost_getpc35685)&4294967295
	s_addc_u32 s15, s15, (.LBB2_14027-.Lpost_getpc35685)>>32
	s_setpc_b64 s[14:15]
.LBB2_35685:
	s_getpc_b64 s[14:15]
.Lpost_getpc21426:
	s_add_u32 s14, s14, (.LBB2_14028-.Lpost_getpc21426)&4294967295
	s_addc_u32 s15, s15, (.LBB2_14028-.Lpost_getpc21426)>>32
	s_setpc_b64 s[14:15]
.LBB2_28365:
	s_movk_i32 s4, 0x80
	v_cmp_eq_u16_sdwa s[12:13], v3, s4 src0_sel:BYTE_0 src1_sel:DWORD
	s_mov_b64 s[4:5], -1
                                        ; implicit-def: $sgpr10
	s_and_saveexec_b64 s[8:9], s[12:13]
; %bb.28366:
	s_mov_b32 s10, 0x7f800001
	s_xor_b64 s[4:5], exec, -1
; %bb.28367:
	s_or_b64 exec, exec, s[8:9]
	s_and_b64 s[4:5], s[4:5], exec
	s_or_saveexec_b64 s[6:7], s[6:7]
	v_mov_b32_e32 v6, s10
	s_xor_b64 exec, exec, s[6:7]
	s_cbranch_execnz .LBB2_28368
; %bb.64205:
	s_getpc_b64 s[14:15]
.Lpost_getpc35686:
	s_add_u32 s14, s14, (.LBB2_14030-.Lpost_getpc35686)&4294967295
	s_addc_u32 s15, s15, (.LBB2_14030-.Lpost_getpc35686)>>32
	s_setpc_b64 s[14:15]
.LBB2_28368:
	v_mov_b32_e32 v6, 0
	v_cmp_ne_u16_sdwa s[8:9], v3, v6 src0_sel:BYTE_0 src1_sel:DWORD
	s_andn2_b64 s[4:5], s[4:5], exec
	s_and_b64 s[8:9], s[8:9], exec
	s_or_b64 s[4:5], s[4:5], s[8:9]
	s_or_b64 exec, exec, s[6:7]
	s_and_saveexec_b64 s[6:7], s[4:5]
	s_cbranch_execz .LBB2_35687
; %bb.64207:
	s_getpc_b64 s[14:15]
.Lpost_getpc35687:
	s_add_u32 s14, s14, (.LBB2_14031-.Lpost_getpc35687)&4294967295
	s_addc_u32 s15, s15, (.LBB2_14031-.Lpost_getpc35687)>>32
	s_setpc_b64 s[14:15]
.LBB2_35687:
	s_getpc_b64 s[14:15]
.Lpost_getpc21427:
	s_add_u32 s14, s14, (.LBB2_14032-.Lpost_getpc21427)&4294967295
	s_addc_u32 s15, s15, (.LBB2_14032-.Lpost_getpc21427)>>32
	s_setpc_b64 s[14:15]
.LBB2_28369:
	s_movk_i32 s4, 0x80
	v_cmp_eq_u16_e32 vcc, s4, v3
	s_mov_b64 s[4:5], -1
                                        ; implicit-def: $sgpr10
	s_and_saveexec_b64 s[8:9], vcc
; %bb.28370:
	s_mov_b32 s10, 0x7f800001
	s_xor_b64 s[4:5], exec, -1
; %bb.28371:
	s_or_b64 exec, exec, s[8:9]
	s_and_b64 s[4:5], s[4:5], exec
                                        ; implicit-def: $vgpr3
	s_or_saveexec_b64 s[6:7], s[6:7]
	v_mov_b32_e32 v2, s10
	s_xor_b64 exec, exec, s[6:7]
	s_cbranch_execnz .LBB2_28372
; %bb.64209:
	s_getpc_b64 s[14:15]
.Lpost_getpc35688:
	s_add_u32 s14, s14, (.LBB2_14034-.Lpost_getpc35688)&4294967295
	s_addc_u32 s15, s15, (.LBB2_14034-.Lpost_getpc35688)>>32
	s_setpc_b64 s[14:15]
.LBB2_28372:
	v_cmp_ne_u16_e32 vcc, 0, v3
	s_andn2_b64 s[4:5], s[4:5], exec
	s_and_b64 s[8:9], vcc, exec
	v_mov_b32_e32 v2, 0
	s_or_b64 s[4:5], s[4:5], s[8:9]
	s_or_b64 exec, exec, s[6:7]
	s_and_saveexec_b64 s[6:7], s[4:5]
	s_cbranch_execz .LBB2_35689
; %bb.64211:
	s_getpc_b64 s[14:15]
.Lpost_getpc35689:
	s_add_u32 s14, s14, (.LBB2_14035-.Lpost_getpc35689)&4294967295
	s_addc_u32 s15, s15, (.LBB2_14035-.Lpost_getpc35689)>>32
	s_setpc_b64 s[14:15]
.LBB2_35689:
	s_getpc_b64 s[14:15]
.Lpost_getpc21428:
	s_add_u32 s14, s14, (.LBB2_14036-.Lpost_getpc21428)&4294967295
	s_addc_u32 s15, s15, (.LBB2_14036-.Lpost_getpc21428)>>32
	s_setpc_b64 s[14:15]
.LBB2_28373:
	s_movk_i32 s4, 0x80
	v_cmp_eq_u16_e32 vcc, s4, v3
	s_mov_b64 s[4:5], -1
                                        ; implicit-def: $sgpr10
	s_and_saveexec_b64 s[8:9], vcc
; %bb.28374:
	s_mov_b32 s10, 0x7f800001
	s_xor_b64 s[4:5], exec, -1
; %bb.28375:
	s_or_b64 exec, exec, s[8:9]
	s_and_b64 s[4:5], s[4:5], exec
                                        ; implicit-def: $vgpr3
	s_or_saveexec_b64 s[6:7], s[6:7]
	v_mov_b32_e32 v6, s10
	s_xor_b64 exec, exec, s[6:7]
	s_cbranch_execnz .LBB2_28376
; %bb.64213:
	s_getpc_b64 s[14:15]
.Lpost_getpc35690:
	s_add_u32 s14, s14, (.LBB2_14038-.Lpost_getpc35690)&4294967295
	s_addc_u32 s15, s15, (.LBB2_14038-.Lpost_getpc35690)>>32
	s_setpc_b64 s[14:15]
.LBB2_28376:
	v_cmp_ne_u16_e32 vcc, 0, v3
	s_andn2_b64 s[4:5], s[4:5], exec
	s_and_b64 s[8:9], vcc, exec
	v_mov_b32_e32 v6, 0
	s_or_b64 s[4:5], s[4:5], s[8:9]
	s_or_b64 exec, exec, s[6:7]
	s_and_saveexec_b64 s[6:7], s[4:5]
	s_cbranch_execz .LBB2_35691
; %bb.64215:
	s_getpc_b64 s[14:15]
.Lpost_getpc35691:
	s_add_u32 s14, s14, (.LBB2_14039-.Lpost_getpc35691)&4294967295
	s_addc_u32 s15, s15, (.LBB2_14039-.Lpost_getpc35691)>>32
	s_setpc_b64 s[14:15]
.LBB2_35691:
	s_getpc_b64 s[14:15]
.Lpost_getpc21429:
	s_add_u32 s14, s14, (.LBB2_14040-.Lpost_getpc21429)&4294967295
	s_addc_u32 s15, s15, (.LBB2_14040-.Lpost_getpc21429)>>32
	s_setpc_b64 s[14:15]
.LBB2_28377:
	s_movk_i32 s4, 0x80
	v_cmp_eq_u16_sdwa s[12:13], v8, s4 src0_sel:BYTE_3 src1_sel:DWORD
	s_mov_b64 s[4:5], -1
                                        ; implicit-def: $sgpr10
	s_and_saveexec_b64 s[8:9], s[12:13]
; %bb.28378:
	s_mov_b32 s10, 0x7f800001
	s_xor_b64 s[4:5], exec, -1
; %bb.28379:
	s_or_b64 exec, exec, s[8:9]
	s_and_b64 s[4:5], s[4:5], exec
	s_or_saveexec_b64 s[6:7], s[6:7]
	v_mov_b32_e32 v2, s10
	s_xor_b64 exec, exec, s[6:7]
	s_cbranch_execnz .LBB2_28380
; %bb.64217:
	s_getpc_b64 s[14:15]
.Lpost_getpc35692:
	s_add_u32 s14, s14, (.LBB2_14042-.Lpost_getpc35692)&4294967295
	s_addc_u32 s15, s15, (.LBB2_14042-.Lpost_getpc35692)>>32
	s_setpc_b64 s[14:15]
.LBB2_28380:
	v_mov_b32_e32 v2, 0
	v_cmp_ne_u16_sdwa s[8:9], v8, v2 src0_sel:BYTE_3 src1_sel:DWORD
	s_andn2_b64 s[4:5], s[4:5], exec
	s_and_b64 s[8:9], s[8:9], exec
	s_or_b64 s[4:5], s[4:5], s[8:9]
	s_or_b64 exec, exec, s[6:7]
	s_and_saveexec_b64 s[6:7], s[4:5]
	s_cbranch_execz .LBB2_35693
; %bb.64219:
	s_getpc_b64 s[14:15]
.Lpost_getpc35693:
	s_add_u32 s14, s14, (.LBB2_14043-.Lpost_getpc35693)&4294967295
	s_addc_u32 s15, s15, (.LBB2_14043-.Lpost_getpc35693)>>32
	s_setpc_b64 s[14:15]
.LBB2_35693:
	s_getpc_b64 s[14:15]
.Lpost_getpc21430:
	s_add_u32 s14, s14, (.LBB2_14044-.Lpost_getpc21430)&4294967295
	s_addc_u32 s15, s15, (.LBB2_14044-.Lpost_getpc21430)>>32
	s_setpc_b64 s[14:15]
.LBB2_28381:
	s_movk_i32 s4, 0x80
	v_cmp_eq_u16_sdwa s[12:13], v4, s4 src0_sel:BYTE_3 src1_sel:DWORD
	s_mov_b64 s[4:5], -1
                                        ; implicit-def: $sgpr10
	s_and_saveexec_b64 s[8:9], s[12:13]
; %bb.28382:
	s_mov_b32 s10, 0x7f800001
	s_xor_b64 s[4:5], exec, -1
; %bb.28383:
	s_or_b64 exec, exec, s[8:9]
	s_and_b64 s[4:5], s[4:5], exec
	s_or_saveexec_b64 s[6:7], s[6:7]
	v_mov_b32_e32 v3, s10
	s_xor_b64 exec, exec, s[6:7]
	s_cbranch_execnz .LBB2_28384
; %bb.64221:
	s_getpc_b64 s[14:15]
.Lpost_getpc35694:
	s_add_u32 s14, s14, (.LBB2_14046-.Lpost_getpc35694)&4294967295
	s_addc_u32 s15, s15, (.LBB2_14046-.Lpost_getpc35694)>>32
	s_setpc_b64 s[14:15]
.LBB2_28384:
	v_mov_b32_e32 v3, 0
	v_cmp_ne_u16_sdwa s[8:9], v4, v3 src0_sel:BYTE_3 src1_sel:DWORD
	s_andn2_b64 s[4:5], s[4:5], exec
	s_and_b64 s[8:9], s[8:9], exec
	s_or_b64 s[4:5], s[4:5], s[8:9]
	s_or_b64 exec, exec, s[6:7]
	s_and_saveexec_b64 s[6:7], s[4:5]
	s_cbranch_execz .LBB2_35695
; %bb.64223:
	s_getpc_b64 s[14:15]
.Lpost_getpc35695:
	s_add_u32 s14, s14, (.LBB2_14047-.Lpost_getpc35695)&4294967295
	s_addc_u32 s15, s15, (.LBB2_14047-.Lpost_getpc35695)>>32
	s_setpc_b64 s[14:15]
.LBB2_35695:
	s_getpc_b64 s[14:15]
.Lpost_getpc21431:
	s_add_u32 s14, s14, (.LBB2_14048-.Lpost_getpc21431)&4294967295
	s_addc_u32 s15, s15, (.LBB2_14048-.Lpost_getpc21431)>>32
	s_setpc_b64 s[14:15]
.LBB2_28385:
	s_movk_i32 s4, 0x80
	v_cmp_eq_u16_sdwa s[12:13], v9, s4 src0_sel:BYTE_0 src1_sel:DWORD
	s_mov_b64 s[4:5], -1
                                        ; implicit-def: $sgpr10
	s_and_saveexec_b64 s[8:9], s[12:13]
; %bb.28386:
	s_mov_b32 s10, 0x7f800001
	s_xor_b64 s[4:5], exec, -1
; %bb.28387:
	s_or_b64 exec, exec, s[8:9]
	s_and_b64 s[4:5], s[4:5], exec
	s_or_saveexec_b64 s[6:7], s[6:7]
	v_mov_b32_e32 v2, s10
	s_xor_b64 exec, exec, s[6:7]
	s_cbranch_execnz .LBB2_28388
; %bb.64225:
	s_getpc_b64 s[14:15]
.Lpost_getpc35696:
	s_add_u32 s14, s14, (.LBB2_14050-.Lpost_getpc35696)&4294967295
	s_addc_u32 s15, s15, (.LBB2_14050-.Lpost_getpc35696)>>32
	s_setpc_b64 s[14:15]
.LBB2_28388:
	v_mov_b32_e32 v2, 0
	v_cmp_ne_u16_sdwa s[8:9], v9, v2 src0_sel:BYTE_0 src1_sel:DWORD
	s_andn2_b64 s[4:5], s[4:5], exec
	s_and_b64 s[8:9], s[8:9], exec
	s_or_b64 s[4:5], s[4:5], s[8:9]
	s_or_b64 exec, exec, s[6:7]
	s_and_saveexec_b64 s[6:7], s[4:5]
	s_cbranch_execz .LBB2_35697
; %bb.64227:
	s_getpc_b64 s[14:15]
.Lpost_getpc35697:
	s_add_u32 s14, s14, (.LBB2_14051-.Lpost_getpc35697)&4294967295
	s_addc_u32 s15, s15, (.LBB2_14051-.Lpost_getpc35697)>>32
	s_setpc_b64 s[14:15]
.LBB2_35697:
	s_getpc_b64 s[14:15]
.Lpost_getpc21432:
	s_add_u32 s14, s14, (.LBB2_14052-.Lpost_getpc21432)&4294967295
	s_addc_u32 s15, s15, (.LBB2_14052-.Lpost_getpc21432)>>32
	s_setpc_b64 s[14:15]
.LBB2_28389:
	s_movk_i32 s4, 0x80
	v_cmp_eq_u16_sdwa s[12:13], v5, s4 src0_sel:BYTE_0 src1_sel:DWORD
	s_mov_b64 s[4:5], -1
                                        ; implicit-def: $sgpr10
	s_and_saveexec_b64 s[8:9], s[12:13]
; %bb.28390:
	s_mov_b32 s10, 0x7f800001
	s_xor_b64 s[4:5], exec, -1
; %bb.28391:
	s_or_b64 exec, exec, s[8:9]
	s_and_b64 s[4:5], s[4:5], exec
	s_or_saveexec_b64 s[6:7], s[6:7]
	v_mov_b32_e32 v3, s10
	s_xor_b64 exec, exec, s[6:7]
	s_cbranch_execnz .LBB2_28392
; %bb.64229:
	s_getpc_b64 s[14:15]
.Lpost_getpc35698:
	s_add_u32 s14, s14, (.LBB2_14054-.Lpost_getpc35698)&4294967295
	s_addc_u32 s15, s15, (.LBB2_14054-.Lpost_getpc35698)>>32
	s_setpc_b64 s[14:15]
.LBB2_28392:
	v_mov_b32_e32 v3, 0
	v_cmp_ne_u16_sdwa s[8:9], v5, v3 src0_sel:BYTE_0 src1_sel:DWORD
	s_andn2_b64 s[4:5], s[4:5], exec
	s_and_b64 s[8:9], s[8:9], exec
	s_or_b64 s[4:5], s[4:5], s[8:9]
	s_or_b64 exec, exec, s[6:7]
	s_and_saveexec_b64 s[6:7], s[4:5]
	s_cbranch_execz .LBB2_35699
; %bb.64231:
	s_getpc_b64 s[14:15]
.Lpost_getpc35699:
	s_add_u32 s14, s14, (.LBB2_14055-.Lpost_getpc35699)&4294967295
	s_addc_u32 s15, s15, (.LBB2_14055-.Lpost_getpc35699)>>32
	s_setpc_b64 s[14:15]
.LBB2_35699:
	s_getpc_b64 s[14:15]
.Lpost_getpc21433:
	s_add_u32 s14, s14, (.LBB2_14056-.Lpost_getpc21433)&4294967295
	s_addc_u32 s15, s15, (.LBB2_14056-.Lpost_getpc21433)>>32
	s_setpc_b64 s[14:15]
.LBB2_28393:
	s_movk_i32 s4, 0x80
	v_cmp_eq_u16_sdwa s[12:13], v3, s4 src0_sel:BYTE_0 src1_sel:DWORD
	s_mov_b64 s[4:5], -1
                                        ; implicit-def: $sgpr10
	s_and_saveexec_b64 s[8:9], s[12:13]
; %bb.28394:
	s_mov_b32 s10, 0x7f800001
	s_xor_b64 s[4:5], exec, -1
; %bb.28395:
	s_or_b64 exec, exec, s[8:9]
	s_and_b64 s[4:5], s[4:5], exec
	s_or_saveexec_b64 s[6:7], s[6:7]
	v_mov_b32_e32 v2, s10
	s_xor_b64 exec, exec, s[6:7]
	s_cbranch_execnz .LBB2_28396
; %bb.64233:
	s_getpc_b64 s[14:15]
.Lpost_getpc35700:
	s_add_u32 s14, s14, (.LBB2_14058-.Lpost_getpc35700)&4294967295
	s_addc_u32 s15, s15, (.LBB2_14058-.Lpost_getpc35700)>>32
	s_setpc_b64 s[14:15]
.LBB2_28396:
	v_mov_b32_e32 v2, 0
	v_cmp_ne_u16_sdwa s[8:9], v3, v2 src0_sel:BYTE_0 src1_sel:DWORD
	s_andn2_b64 s[4:5], s[4:5], exec
	s_and_b64 s[8:9], s[8:9], exec
	s_or_b64 s[4:5], s[4:5], s[8:9]
	s_or_b64 exec, exec, s[6:7]
	s_and_saveexec_b64 s[6:7], s[4:5]
	s_cbranch_execz .LBB2_35701
; %bb.64235:
	s_getpc_b64 s[14:15]
.Lpost_getpc35701:
	s_add_u32 s14, s14, (.LBB2_14059-.Lpost_getpc35701)&4294967295
	s_addc_u32 s15, s15, (.LBB2_14059-.Lpost_getpc35701)>>32
	s_setpc_b64 s[14:15]
.LBB2_35701:
	s_getpc_b64 s[14:15]
.Lpost_getpc21434:
	s_add_u32 s14, s14, (.LBB2_14060-.Lpost_getpc21434)&4294967295
	s_addc_u32 s15, s15, (.LBB2_14060-.Lpost_getpc21434)>>32
	s_setpc_b64 s[14:15]
.LBB2_28397:
	s_movk_i32 s4, 0x80
	v_cmp_eq_u16_sdwa s[12:13], v3, s4 src0_sel:BYTE_0 src1_sel:DWORD
	s_mov_b64 s[4:5], -1
                                        ; implicit-def: $sgpr10
	s_and_saveexec_b64 s[8:9], s[12:13]
; %bb.28398:
	s_mov_b32 s10, 0x7f800001
	s_xor_b64 s[4:5], exec, -1
; %bb.28399:
	s_or_b64 exec, exec, s[8:9]
	s_and_b64 s[4:5], s[4:5], exec
	s_or_saveexec_b64 s[6:7], s[6:7]
	v_mov_b32_e32 v4, s10
	s_xor_b64 exec, exec, s[6:7]
	s_cbranch_execnz .LBB2_28400
; %bb.64237:
	s_getpc_b64 s[14:15]
.Lpost_getpc35702:
	s_add_u32 s14, s14, (.LBB2_14062-.Lpost_getpc35702)&4294967295
	s_addc_u32 s15, s15, (.LBB2_14062-.Lpost_getpc35702)>>32
	s_setpc_b64 s[14:15]
.LBB2_28400:
	v_mov_b32_e32 v4, 0
	v_cmp_ne_u16_sdwa s[8:9], v3, v4 src0_sel:BYTE_0 src1_sel:DWORD
	s_andn2_b64 s[4:5], s[4:5], exec
	s_and_b64 s[8:9], s[8:9], exec
	s_or_b64 s[4:5], s[4:5], s[8:9]
	s_or_b64 exec, exec, s[6:7]
	s_and_saveexec_b64 s[6:7], s[4:5]
	s_cbranch_execz .LBB2_35703
; %bb.64239:
	s_getpc_b64 s[14:15]
.Lpost_getpc35703:
	s_add_u32 s14, s14, (.LBB2_14063-.Lpost_getpc35703)&4294967295
	s_addc_u32 s15, s15, (.LBB2_14063-.Lpost_getpc35703)>>32
	s_setpc_b64 s[14:15]
.LBB2_35703:
	s_getpc_b64 s[14:15]
.Lpost_getpc21435:
	s_add_u32 s14, s14, (.LBB2_14064-.Lpost_getpc21435)&4294967295
	s_addc_u32 s15, s15, (.LBB2_14064-.Lpost_getpc21435)>>32
	s_setpc_b64 s[14:15]
.LBB2_28401:
	s_movk_i32 s4, 0x80
	v_cmp_eq_u16_e32 vcc, s4, v3
	s_mov_b64 s[4:5], -1
                                        ; implicit-def: $sgpr10
	s_and_saveexec_b64 s[8:9], vcc
; %bb.28402:
	s_mov_b32 s10, 0x7f800001
	s_xor_b64 s[4:5], exec, -1
; %bb.28403:
	s_or_b64 exec, exec, s[8:9]
	s_and_b64 s[4:5], s[4:5], exec
                                        ; implicit-def: $vgpr3
	s_or_saveexec_b64 s[6:7], s[6:7]
	v_mov_b32_e32 v2, s10
	s_xor_b64 exec, exec, s[6:7]
	s_cbranch_execnz .LBB2_28404
; %bb.64241:
	s_getpc_b64 s[14:15]
.Lpost_getpc35704:
	s_add_u32 s14, s14, (.LBB2_14066-.Lpost_getpc35704)&4294967295
	s_addc_u32 s15, s15, (.LBB2_14066-.Lpost_getpc35704)>>32
	s_setpc_b64 s[14:15]
.LBB2_28404:
	v_cmp_ne_u16_e32 vcc, 0, v3
	s_andn2_b64 s[4:5], s[4:5], exec
	s_and_b64 s[8:9], vcc, exec
	v_mov_b32_e32 v2, 0
	s_or_b64 s[4:5], s[4:5], s[8:9]
	s_or_b64 exec, exec, s[6:7]
	s_and_saveexec_b64 s[6:7], s[4:5]
	s_cbranch_execz .LBB2_35705
; %bb.64243:
	s_getpc_b64 s[14:15]
.Lpost_getpc35705:
	s_add_u32 s14, s14, (.LBB2_14067-.Lpost_getpc35705)&4294967295
	s_addc_u32 s15, s15, (.LBB2_14067-.Lpost_getpc35705)>>32
	s_setpc_b64 s[14:15]
.LBB2_35705:
	s_getpc_b64 s[14:15]
.Lpost_getpc21436:
	s_add_u32 s14, s14, (.LBB2_14068-.Lpost_getpc21436)&4294967295
	s_addc_u32 s15, s15, (.LBB2_14068-.Lpost_getpc21436)>>32
	s_setpc_b64 s[14:15]
.LBB2_28405:
	s_movk_i32 s4, 0x80
	v_cmp_eq_u16_e32 vcc, s4, v3
	s_mov_b64 s[4:5], -1
                                        ; implicit-def: $sgpr10
	s_and_saveexec_b64 s[8:9], vcc
; %bb.28406:
	s_mov_b32 s10, 0x7f800001
	s_xor_b64 s[4:5], exec, -1
; %bb.28407:
	s_or_b64 exec, exec, s[8:9]
	s_and_b64 s[4:5], s[4:5], exec
                                        ; implicit-def: $vgpr3
	s_or_saveexec_b64 s[6:7], s[6:7]
	v_mov_b32_e32 v4, s10
	s_xor_b64 exec, exec, s[6:7]
	s_cbranch_execnz .LBB2_28408
; %bb.64245:
	s_getpc_b64 s[14:15]
.Lpost_getpc35706:
	s_add_u32 s14, s14, (.LBB2_14070-.Lpost_getpc35706)&4294967295
	s_addc_u32 s15, s15, (.LBB2_14070-.Lpost_getpc35706)>>32
	s_setpc_b64 s[14:15]
.LBB2_28408:
	v_cmp_ne_u16_e32 vcc, 0, v3
	s_andn2_b64 s[4:5], s[4:5], exec
	s_and_b64 s[8:9], vcc, exec
	v_mov_b32_e32 v4, 0
	s_or_b64 s[4:5], s[4:5], s[8:9]
	s_or_b64 exec, exec, s[6:7]
	s_and_saveexec_b64 s[6:7], s[4:5]
	s_cbranch_execz .LBB2_35707
; %bb.64247:
	s_getpc_b64 s[14:15]
.Lpost_getpc35707:
	s_add_u32 s14, s14, (.LBB2_14071-.Lpost_getpc35707)&4294967295
	s_addc_u32 s15, s15, (.LBB2_14071-.Lpost_getpc35707)>>32
	s_setpc_b64 s[14:15]
.LBB2_35707:
	s_getpc_b64 s[14:15]
.Lpost_getpc21437:
	s_add_u32 s14, s14, (.LBB2_14072-.Lpost_getpc21437)&4294967295
	s_addc_u32 s15, s15, (.LBB2_14072-.Lpost_getpc21437)>>32
	s_setpc_b64 s[14:15]
.LBB2_28409:
	s_movk_i32 s4, 0x80
	v_cmp_eq_u16_sdwa s[12:13], v9, s4 src0_sel:BYTE_3 src1_sel:DWORD
	s_mov_b64 s[4:5], -1
                                        ; implicit-def: $sgpr10
	s_and_saveexec_b64 s[8:9], s[12:13]
; %bb.28410:
	s_mov_b32 s10, 0x7f800001
	s_xor_b64 s[4:5], exec, -1
; %bb.28411:
	s_or_b64 exec, exec, s[8:9]
	s_and_b64 s[4:5], s[4:5], exec
	s_or_saveexec_b64 s[6:7], s[6:7]
	v_mov_b32_e32 v2, s10
	s_xor_b64 exec, exec, s[6:7]
	s_cbranch_execnz .LBB2_28412
; %bb.64249:
	s_getpc_b64 s[14:15]
.Lpost_getpc35708:
	s_add_u32 s14, s14, (.LBB2_14074-.Lpost_getpc35708)&4294967295
	s_addc_u32 s15, s15, (.LBB2_14074-.Lpost_getpc35708)>>32
	s_setpc_b64 s[14:15]
.LBB2_28412:
	v_mov_b32_e32 v2, 0
	v_cmp_ne_u16_sdwa s[8:9], v9, v2 src0_sel:BYTE_3 src1_sel:DWORD
	s_andn2_b64 s[4:5], s[4:5], exec
	s_and_b64 s[8:9], s[8:9], exec
	s_or_b64 s[4:5], s[4:5], s[8:9]
	s_or_b64 exec, exec, s[6:7]
	s_and_saveexec_b64 s[6:7], s[4:5]
	s_cbranch_execz .LBB2_35709
; %bb.64251:
	s_getpc_b64 s[14:15]
.Lpost_getpc35709:
	s_add_u32 s14, s14, (.LBB2_14075-.Lpost_getpc35709)&4294967295
	s_addc_u32 s15, s15, (.LBB2_14075-.Lpost_getpc35709)>>32
	s_setpc_b64 s[14:15]
.LBB2_35709:
	s_getpc_b64 s[14:15]
.Lpost_getpc21438:
	s_add_u32 s14, s14, (.LBB2_14076-.Lpost_getpc21438)&4294967295
	s_addc_u32 s15, s15, (.LBB2_14076-.Lpost_getpc21438)>>32
	s_setpc_b64 s[14:15]
.LBB2_28413:
	s_movk_i32 s4, 0x80
	v_cmp_eq_u16_sdwa s[12:13], v5, s4 src0_sel:BYTE_3 src1_sel:DWORD
	s_mov_b64 s[4:5], -1
                                        ; implicit-def: $sgpr10
	s_and_saveexec_b64 s[8:9], s[12:13]
; %bb.28414:
	s_mov_b32 s10, 0x7f800001
	s_xor_b64 s[4:5], exec, -1
; %bb.28415:
	s_or_b64 exec, exec, s[8:9]
	s_and_b64 s[4:5], s[4:5], exec
	s_or_saveexec_b64 s[6:7], s[6:7]
	v_mov_b32_e32 v3, s10
	s_xor_b64 exec, exec, s[6:7]
	s_cbranch_execnz .LBB2_28416
; %bb.64253:
	s_getpc_b64 s[14:15]
.Lpost_getpc35710:
	s_add_u32 s14, s14, (.LBB2_14078-.Lpost_getpc35710)&4294967295
	s_addc_u32 s15, s15, (.LBB2_14078-.Lpost_getpc35710)>>32
	s_setpc_b64 s[14:15]
.LBB2_28416:
	v_mov_b32_e32 v3, 0
	v_cmp_ne_u16_sdwa s[8:9], v5, v3 src0_sel:BYTE_3 src1_sel:DWORD
	s_andn2_b64 s[4:5], s[4:5], exec
	s_and_b64 s[8:9], s[8:9], exec
	s_or_b64 s[4:5], s[4:5], s[8:9]
	s_or_b64 exec, exec, s[6:7]
	s_and_saveexec_b64 s[6:7], s[4:5]
	s_cbranch_execz .LBB2_35711
; %bb.64255:
	s_getpc_b64 s[14:15]
.Lpost_getpc35711:
	s_add_u32 s14, s14, (.LBB2_14079-.Lpost_getpc35711)&4294967295
	s_addc_u32 s15, s15, (.LBB2_14079-.Lpost_getpc35711)>>32
	s_setpc_b64 s[14:15]
.LBB2_35711:
	s_getpc_b64 s[14:15]
.Lpost_getpc21439:
	s_add_u32 s14, s14, (.LBB2_14080-.Lpost_getpc21439)&4294967295
	s_addc_u32 s15, s15, (.LBB2_14080-.Lpost_getpc21439)>>32
	s_setpc_b64 s[14:15]
.LBB2_28417:
	s_movk_i32 s4, 0x80
	v_cmp_eq_u16_sdwa s[12:13], v6, s4 src0_sel:BYTE_0 src1_sel:DWORD
	s_mov_b64 s[4:5], -1
                                        ; implicit-def: $sgpr10
	s_and_saveexec_b64 s[8:9], s[12:13]
; %bb.28418:
	s_mov_b32 s10, 0x7f800001
	s_xor_b64 s[4:5], exec, -1
; %bb.28419:
	s_or_b64 exec, exec, s[8:9]
	s_and_b64 s[4:5], s[4:5], exec
	s_or_saveexec_b64 s[6:7], s[6:7]
	v_mov_b32_e32 v12, s10
	s_xor_b64 exec, exec, s[6:7]
	s_cbranch_execnz .LBB2_28420
; %bb.64257:
	s_getpc_b64 s[14:15]
.Lpost_getpc35712:
	s_add_u32 s14, s14, (.LBB2_14082-.Lpost_getpc35712)&4294967295
	s_addc_u32 s15, s15, (.LBB2_14082-.Lpost_getpc35712)>>32
	s_setpc_b64 s[14:15]
.LBB2_28420:
	v_mov_b32_e32 v12, 0
	v_cmp_ne_u16_sdwa s[8:9], v6, v12 src0_sel:BYTE_0 src1_sel:DWORD
	s_andn2_b64 s[4:5], s[4:5], exec
	s_and_b64 s[8:9], s[8:9], exec
	s_or_b64 s[4:5], s[4:5], s[8:9]
	s_or_b64 exec, exec, s[6:7]
	s_and_saveexec_b64 s[6:7], s[4:5]
	s_cbranch_execz .LBB2_35713
; %bb.64259:
	s_getpc_b64 s[14:15]
.Lpost_getpc35713:
	s_add_u32 s14, s14, (.LBB2_14083-.Lpost_getpc35713)&4294967295
	s_addc_u32 s15, s15, (.LBB2_14083-.Lpost_getpc35713)>>32
	s_setpc_b64 s[14:15]
.LBB2_35713:
	s_getpc_b64 s[14:15]
.Lpost_getpc21440:
	s_add_u32 s14, s14, (.LBB2_14084-.Lpost_getpc21440)&4294967295
	s_addc_u32 s15, s15, (.LBB2_14084-.Lpost_getpc21440)>>32
	s_setpc_b64 s[14:15]
.LBB2_28421:
	s_movk_i32 s4, 0x80
	v_cmp_eq_u16_sdwa s[12:13], v2, s4 src0_sel:BYTE_0 src1_sel:DWORD
	s_mov_b64 s[4:5], -1
                                        ; implicit-def: $sgpr10
	s_and_saveexec_b64 s[8:9], s[12:13]
; %bb.28422:
	s_mov_b32 s10, 0x7f800001
	s_xor_b64 s[4:5], exec, -1
; %bb.28423:
	s_or_b64 exec, exec, s[8:9]
	s_and_b64 s[4:5], s[4:5], exec
	s_or_saveexec_b64 s[6:7], s[6:7]
	v_mov_b32_e32 v13, s10
	s_xor_b64 exec, exec, s[6:7]
	s_cbranch_execnz .LBB2_28424
; %bb.64261:
	s_getpc_b64 s[14:15]
.Lpost_getpc35714:
	s_add_u32 s14, s14, (.LBB2_14086-.Lpost_getpc35714)&4294967295
	s_addc_u32 s15, s15, (.LBB2_14086-.Lpost_getpc35714)>>32
	s_setpc_b64 s[14:15]
.LBB2_28424:
	v_mov_b32_e32 v13, 0
	v_cmp_ne_u16_sdwa s[8:9], v2, v13 src0_sel:BYTE_0 src1_sel:DWORD
	s_andn2_b64 s[4:5], s[4:5], exec
	s_and_b64 s[8:9], s[8:9], exec
	s_or_b64 s[4:5], s[4:5], s[8:9]
	s_or_b64 exec, exec, s[6:7]
	s_and_saveexec_b64 s[6:7], s[4:5]
	s_cbranch_execz .LBB2_35715
; %bb.64263:
	s_getpc_b64 s[14:15]
.Lpost_getpc35715:
	s_add_u32 s14, s14, (.LBB2_14087-.Lpost_getpc35715)&4294967295
	s_addc_u32 s15, s15, (.LBB2_14087-.Lpost_getpc35715)>>32
	s_setpc_b64 s[14:15]
.LBB2_35715:
	s_getpc_b64 s[14:15]
.Lpost_getpc21441:
	s_add_u32 s14, s14, (.LBB2_14088-.Lpost_getpc21441)&4294967295
	s_addc_u32 s15, s15, (.LBB2_14088-.Lpost_getpc21441)>>32
	s_setpc_b64 s[14:15]
.LBB2_28425:
	s_movk_i32 s4, 0x80
	v_cmp_eq_u16_sdwa s[12:13], v13, s4 src0_sel:BYTE_0 src1_sel:DWORD
	s_mov_b64 s[4:5], -1
                                        ; implicit-def: $sgpr10
	s_and_saveexec_b64 s[8:9], s[12:13]
; %bb.28426:
	s_mov_b32 s10, 0x7f800001
	s_xor_b64 s[4:5], exec, -1
; %bb.28427:
	s_or_b64 exec, exec, s[8:9]
	s_and_b64 s[4:5], s[4:5], exec
	s_or_saveexec_b64 s[6:7], s[6:7]
	v_mov_b32_e32 v12, s10
	s_xor_b64 exec, exec, s[6:7]
	s_cbranch_execnz .LBB2_28428
; %bb.64265:
	s_getpc_b64 s[14:15]
.Lpost_getpc35716:
	s_add_u32 s14, s14, (.LBB2_14090-.Lpost_getpc35716)&4294967295
	s_addc_u32 s15, s15, (.LBB2_14090-.Lpost_getpc35716)>>32
	s_setpc_b64 s[14:15]
.LBB2_28428:
	v_mov_b32_e32 v12, 0
	v_cmp_ne_u16_sdwa s[8:9], v13, v12 src0_sel:BYTE_0 src1_sel:DWORD
	s_andn2_b64 s[4:5], s[4:5], exec
	s_and_b64 s[8:9], s[8:9], exec
	s_or_b64 s[4:5], s[4:5], s[8:9]
	s_or_b64 exec, exec, s[6:7]
	s_and_saveexec_b64 s[6:7], s[4:5]
	s_cbranch_execz .LBB2_35717
; %bb.64267:
	s_getpc_b64 s[14:15]
.Lpost_getpc35717:
	s_add_u32 s14, s14, (.LBB2_14091-.Lpost_getpc35717)&4294967295
	s_addc_u32 s15, s15, (.LBB2_14091-.Lpost_getpc35717)>>32
	s_setpc_b64 s[14:15]
.LBB2_35717:
	s_getpc_b64 s[14:15]
.Lpost_getpc21442:
	s_add_u32 s14, s14, (.LBB2_14092-.Lpost_getpc21442)&4294967295
	s_addc_u32 s15, s15, (.LBB2_14092-.Lpost_getpc21442)>>32
	s_setpc_b64 s[14:15]
.LBB2_28429:
	s_movk_i32 s4, 0x80
	v_cmp_eq_u16_sdwa s[12:13], v13, s4 src0_sel:BYTE_0 src1_sel:DWORD
	s_mov_b64 s[4:5], -1
                                        ; implicit-def: $sgpr10
	s_and_saveexec_b64 s[8:9], s[12:13]
; %bb.28430:
	s_mov_b32 s10, 0x7f800001
	s_xor_b64 s[4:5], exec, -1
; %bb.28431:
	s_or_b64 exec, exec, s[8:9]
	s_and_b64 s[4:5], s[4:5], exec
	s_or_saveexec_b64 s[6:7], s[6:7]
	v_mov_b32_e32 v14, s10
	s_xor_b64 exec, exec, s[6:7]
	s_cbranch_execnz .LBB2_28432
; %bb.64269:
	s_getpc_b64 s[14:15]
.Lpost_getpc35718:
	s_add_u32 s14, s14, (.LBB2_14094-.Lpost_getpc35718)&4294967295
	s_addc_u32 s15, s15, (.LBB2_14094-.Lpost_getpc35718)>>32
	s_setpc_b64 s[14:15]
.LBB2_28432:
	v_mov_b32_e32 v14, 0
	v_cmp_ne_u16_sdwa s[8:9], v13, v14 src0_sel:BYTE_0 src1_sel:DWORD
	s_andn2_b64 s[4:5], s[4:5], exec
	s_and_b64 s[8:9], s[8:9], exec
	s_or_b64 s[4:5], s[4:5], s[8:9]
	s_or_b64 exec, exec, s[6:7]
	s_and_saveexec_b64 s[6:7], s[4:5]
	s_cbranch_execz .LBB2_35719
; %bb.64271:
	s_getpc_b64 s[14:15]
.Lpost_getpc35719:
	s_add_u32 s14, s14, (.LBB2_14095-.Lpost_getpc35719)&4294967295
	s_addc_u32 s15, s15, (.LBB2_14095-.Lpost_getpc35719)>>32
	s_setpc_b64 s[14:15]
.LBB2_35719:
	s_getpc_b64 s[14:15]
.Lpost_getpc21443:
	s_add_u32 s14, s14, (.LBB2_14096-.Lpost_getpc21443)&4294967295
	s_addc_u32 s15, s15, (.LBB2_14096-.Lpost_getpc21443)>>32
	s_setpc_b64 s[14:15]
.LBB2_28433:
	s_movk_i32 s4, 0x80
	v_cmp_eq_u16_e32 vcc, s4, v13
	s_mov_b64 s[4:5], -1
                                        ; implicit-def: $sgpr10
	s_and_saveexec_b64 s[8:9], vcc
; %bb.28434:
	s_mov_b32 s10, 0x7f800001
	s_xor_b64 s[4:5], exec, -1
; %bb.28435:
	s_or_b64 exec, exec, s[8:9]
	s_and_b64 s[4:5], s[4:5], exec
                                        ; implicit-def: $vgpr13
	s_or_saveexec_b64 s[6:7], s[6:7]
	v_mov_b32_e32 v12, s10
	s_xor_b64 exec, exec, s[6:7]
	s_cbranch_execnz .LBB2_28436
; %bb.64273:
	s_getpc_b64 s[14:15]
.Lpost_getpc35720:
	s_add_u32 s14, s14, (.LBB2_14098-.Lpost_getpc35720)&4294967295
	s_addc_u32 s15, s15, (.LBB2_14098-.Lpost_getpc35720)>>32
	s_setpc_b64 s[14:15]
.LBB2_28436:
	v_cmp_ne_u16_e32 vcc, 0, v13
	s_andn2_b64 s[4:5], s[4:5], exec
	s_and_b64 s[8:9], vcc, exec
	v_mov_b32_e32 v12, 0
	s_or_b64 s[4:5], s[4:5], s[8:9]
	s_or_b64 exec, exec, s[6:7]
	s_and_saveexec_b64 s[6:7], s[4:5]
	s_cbranch_execz .LBB2_35721
; %bb.64275:
	s_getpc_b64 s[14:15]
.Lpost_getpc35721:
	s_add_u32 s14, s14, (.LBB2_14099-.Lpost_getpc35721)&4294967295
	s_addc_u32 s15, s15, (.LBB2_14099-.Lpost_getpc35721)>>32
	s_setpc_b64 s[14:15]
.LBB2_35721:
	s_getpc_b64 s[14:15]
.Lpost_getpc21444:
	s_add_u32 s14, s14, (.LBB2_14100-.Lpost_getpc21444)&4294967295
	s_addc_u32 s15, s15, (.LBB2_14100-.Lpost_getpc21444)>>32
	s_setpc_b64 s[14:15]
.LBB2_28437:
	s_movk_i32 s4, 0x80
	v_cmp_eq_u16_e32 vcc, s4, v13
	s_mov_b64 s[4:5], -1
                                        ; implicit-def: $sgpr10
	s_and_saveexec_b64 s[8:9], vcc
; %bb.28438:
	s_mov_b32 s10, 0x7f800001
	s_xor_b64 s[4:5], exec, -1
; %bb.28439:
	s_or_b64 exec, exec, s[8:9]
	s_and_b64 s[4:5], s[4:5], exec
                                        ; implicit-def: $vgpr13
	s_or_saveexec_b64 s[6:7], s[6:7]
	v_mov_b32_e32 v14, s10
	s_xor_b64 exec, exec, s[6:7]
	s_cbranch_execnz .LBB2_28440
; %bb.64277:
	s_getpc_b64 s[14:15]
.Lpost_getpc35722:
	s_add_u32 s14, s14, (.LBB2_14102-.Lpost_getpc35722)&4294967295
	s_addc_u32 s15, s15, (.LBB2_14102-.Lpost_getpc35722)>>32
	s_setpc_b64 s[14:15]
.LBB2_28440:
	v_cmp_ne_u16_e32 vcc, 0, v13
	s_andn2_b64 s[4:5], s[4:5], exec
	s_and_b64 s[8:9], vcc, exec
	v_mov_b32_e32 v14, 0
	s_or_b64 s[4:5], s[4:5], s[8:9]
	s_or_b64 exec, exec, s[6:7]
	s_and_saveexec_b64 s[6:7], s[4:5]
	s_cbranch_execz .LBB2_35723
; %bb.64279:
	s_getpc_b64 s[14:15]
.Lpost_getpc35723:
	s_add_u32 s14, s14, (.LBB2_14103-.Lpost_getpc35723)&4294967295
	s_addc_u32 s15, s15, (.LBB2_14103-.Lpost_getpc35723)>>32
	s_setpc_b64 s[14:15]
.LBB2_35723:
	s_getpc_b64 s[14:15]
.Lpost_getpc21445:
	s_add_u32 s14, s14, (.LBB2_14104-.Lpost_getpc21445)&4294967295
	s_addc_u32 s15, s15, (.LBB2_14104-.Lpost_getpc21445)>>32
	s_setpc_b64 s[14:15]
.LBB2_28441:
	s_movk_i32 s4, 0x80
	v_cmp_eq_u16_sdwa s[12:13], v6, s4 src0_sel:BYTE_3 src1_sel:DWORD
	s_mov_b64 s[4:5], -1
                                        ; implicit-def: $sgpr10
	s_and_saveexec_b64 s[8:9], s[12:13]
; %bb.28442:
	s_mov_b32 s10, 0x7f800001
	s_xor_b64 s[4:5], exec, -1
; %bb.28443:
	s_or_b64 exec, exec, s[8:9]
	s_and_b64 s[4:5], s[4:5], exec
	s_or_saveexec_b64 s[6:7], s[6:7]
	v_mov_b32_e32 v12, s10
	s_xor_b64 exec, exec, s[6:7]
	s_cbranch_execnz .LBB2_28444
; %bb.64281:
	s_getpc_b64 s[14:15]
.Lpost_getpc35724:
	s_add_u32 s14, s14, (.LBB2_14106-.Lpost_getpc35724)&4294967295
	s_addc_u32 s15, s15, (.LBB2_14106-.Lpost_getpc35724)>>32
	s_setpc_b64 s[14:15]
.LBB2_28444:
	v_mov_b32_e32 v12, 0
	v_cmp_ne_u16_sdwa s[8:9], v6, v12 src0_sel:BYTE_3 src1_sel:DWORD
	s_andn2_b64 s[4:5], s[4:5], exec
	s_and_b64 s[8:9], s[8:9], exec
	s_or_b64 s[4:5], s[4:5], s[8:9]
	s_or_b64 exec, exec, s[6:7]
	s_and_saveexec_b64 s[6:7], s[4:5]
	s_cbranch_execz .LBB2_35725
; %bb.64283:
	s_getpc_b64 s[14:15]
.Lpost_getpc35725:
	s_add_u32 s14, s14, (.LBB2_14107-.Lpost_getpc35725)&4294967295
	s_addc_u32 s15, s15, (.LBB2_14107-.Lpost_getpc35725)>>32
	s_setpc_b64 s[14:15]
.LBB2_35725:
	s_getpc_b64 s[14:15]
.Lpost_getpc21446:
	s_add_u32 s14, s14, (.LBB2_14108-.Lpost_getpc21446)&4294967295
	s_addc_u32 s15, s15, (.LBB2_14108-.Lpost_getpc21446)>>32
	s_setpc_b64 s[14:15]
.LBB2_28445:
	s_movk_i32 s4, 0x80
	v_cmp_eq_u16_sdwa s[12:13], v2, s4 src0_sel:BYTE_3 src1_sel:DWORD
	s_mov_b64 s[4:5], -1
                                        ; implicit-def: $sgpr10
	s_and_saveexec_b64 s[8:9], s[12:13]
; %bb.28446:
	s_mov_b32 s10, 0x7f800001
	s_xor_b64 s[4:5], exec, -1
; %bb.28447:
	s_or_b64 exec, exec, s[8:9]
	s_and_b64 s[4:5], s[4:5], exec
	s_or_saveexec_b64 s[6:7], s[6:7]
	v_mov_b32_e32 v6, s10
	s_xor_b64 exec, exec, s[6:7]
	s_cbranch_execnz .LBB2_28448
; %bb.64285:
	s_getpc_b64 s[14:15]
.Lpost_getpc35726:
	s_add_u32 s14, s14, (.LBB2_14110-.Lpost_getpc35726)&4294967295
	s_addc_u32 s15, s15, (.LBB2_14110-.Lpost_getpc35726)>>32
	s_setpc_b64 s[14:15]
.LBB2_28448:
	v_mov_b32_e32 v6, 0
	v_cmp_ne_u16_sdwa s[8:9], v2, v6 src0_sel:BYTE_3 src1_sel:DWORD
	s_andn2_b64 s[4:5], s[4:5], exec
	s_and_b64 s[8:9], s[8:9], exec
	s_or_b64 s[4:5], s[4:5], s[8:9]
	s_or_b64 exec, exec, s[6:7]
	s_and_saveexec_b64 s[6:7], s[4:5]
	s_cbranch_execz .LBB2_35727
; %bb.64287:
	s_getpc_b64 s[14:15]
.Lpost_getpc35727:
	s_add_u32 s14, s14, (.LBB2_14111-.Lpost_getpc35727)&4294967295
	s_addc_u32 s15, s15, (.LBB2_14111-.Lpost_getpc35727)>>32
	s_setpc_b64 s[14:15]
.LBB2_35727:
	s_getpc_b64 s[14:15]
.Lpost_getpc21447:
	s_add_u32 s14, s14, (.LBB2_14112-.Lpost_getpc21447)&4294967295
	s_addc_u32 s15, s15, (.LBB2_14112-.Lpost_getpc21447)>>32
	s_setpc_b64 s[14:15]
.LBB2_28449:
	s_movk_i32 s4, 0x80
	v_cmp_eq_u16_sdwa s[12:13], v7, s4 src0_sel:BYTE_0 src1_sel:DWORD
	s_mov_b64 s[4:5], -1
                                        ; implicit-def: $sgpr10
	s_and_saveexec_b64 s[8:9], s[12:13]
; %bb.28450:
	s_mov_b32 s10, 0x7f800001
	s_xor_b64 s[4:5], exec, -1
; %bb.28451:
	s_or_b64 exec, exec, s[8:9]
	s_and_b64 s[4:5], s[4:5], exec
	s_or_saveexec_b64 s[6:7], s[6:7]
	v_mov_b32_e32 v2, s10
	s_xor_b64 exec, exec, s[6:7]
	s_cbranch_execnz .LBB2_28452
; %bb.64289:
	s_getpc_b64 s[14:15]
.Lpost_getpc35728:
	s_add_u32 s14, s14, (.LBB2_14114-.Lpost_getpc35728)&4294967295
	s_addc_u32 s15, s15, (.LBB2_14114-.Lpost_getpc35728)>>32
	s_setpc_b64 s[14:15]
.LBB2_28452:
	v_mov_b32_e32 v2, 0
	v_cmp_ne_u16_sdwa s[8:9], v7, v2 src0_sel:BYTE_0 src1_sel:DWORD
	s_andn2_b64 s[4:5], s[4:5], exec
	s_and_b64 s[8:9], s[8:9], exec
	s_or_b64 s[4:5], s[4:5], s[8:9]
	s_or_b64 exec, exec, s[6:7]
	s_and_saveexec_b64 s[6:7], s[4:5]
	s_cbranch_execz .LBB2_35729
; %bb.64291:
	s_getpc_b64 s[14:15]
.Lpost_getpc35729:
	s_add_u32 s14, s14, (.LBB2_14115-.Lpost_getpc35729)&4294967295
	s_addc_u32 s15, s15, (.LBB2_14115-.Lpost_getpc35729)>>32
	s_setpc_b64 s[14:15]
.LBB2_35729:
	s_getpc_b64 s[14:15]
.Lpost_getpc21448:
	s_add_u32 s14, s14, (.LBB2_14116-.Lpost_getpc21448)&4294967295
	s_addc_u32 s15, s15, (.LBB2_14116-.Lpost_getpc21448)>>32
	s_setpc_b64 s[14:15]
.LBB2_28453:
	s_movk_i32 s4, 0x80
	v_cmp_eq_u16_sdwa s[12:13], v3, s4 src0_sel:BYTE_0 src1_sel:DWORD
	s_mov_b64 s[4:5], -1
                                        ; implicit-def: $sgpr10
	s_and_saveexec_b64 s[8:9], s[12:13]
; %bb.28454:
	s_mov_b32 s10, 0x7f800001
	s_xor_b64 s[4:5], exec, -1
; %bb.28455:
	s_or_b64 exec, exec, s[8:9]
	s_and_b64 s[4:5], s[4:5], exec
	s_or_saveexec_b64 s[6:7], s[6:7]
	v_mov_b32_e32 v6, s10
	s_xor_b64 exec, exec, s[6:7]
	s_cbranch_execnz .LBB2_28456
; %bb.64293:
	s_getpc_b64 s[14:15]
.Lpost_getpc35730:
	s_add_u32 s14, s14, (.LBB2_14118-.Lpost_getpc35730)&4294967295
	s_addc_u32 s15, s15, (.LBB2_14118-.Lpost_getpc35730)>>32
	s_setpc_b64 s[14:15]
.LBB2_28456:
	v_mov_b32_e32 v6, 0
	v_cmp_ne_u16_sdwa s[8:9], v3, v6 src0_sel:BYTE_0 src1_sel:DWORD
	s_andn2_b64 s[4:5], s[4:5], exec
	s_and_b64 s[8:9], s[8:9], exec
	s_or_b64 s[4:5], s[4:5], s[8:9]
	s_or_b64 exec, exec, s[6:7]
	s_and_saveexec_b64 s[6:7], s[4:5]
	s_cbranch_execz .LBB2_35731
; %bb.64295:
	s_getpc_b64 s[14:15]
.Lpost_getpc35731:
	s_add_u32 s14, s14, (.LBB2_14119-.Lpost_getpc35731)&4294967295
	s_addc_u32 s15, s15, (.LBB2_14119-.Lpost_getpc35731)>>32
	s_setpc_b64 s[14:15]
.LBB2_35731:
	s_getpc_b64 s[14:15]
.Lpost_getpc21449:
	s_add_u32 s14, s14, (.LBB2_14120-.Lpost_getpc21449)&4294967295
	s_addc_u32 s15, s15, (.LBB2_14120-.Lpost_getpc21449)>>32
	s_setpc_b64 s[14:15]
.LBB2_28457:
	s_movk_i32 s4, 0x80
	v_cmp_eq_u16_sdwa s[12:13], v6, s4 src0_sel:BYTE_0 src1_sel:DWORD
	s_mov_b64 s[4:5], -1
                                        ; implicit-def: $sgpr10
	s_and_saveexec_b64 s[8:9], s[12:13]
; %bb.28458:
	s_mov_b32 s10, 0x7f800001
	s_xor_b64 s[4:5], exec, -1
; %bb.28459:
	s_or_b64 exec, exec, s[8:9]
	s_and_b64 s[4:5], s[4:5], exec
	s_or_saveexec_b64 s[6:7], s[6:7]
	v_mov_b32_e32 v2, s10
	s_xor_b64 exec, exec, s[6:7]
	s_cbranch_execnz .LBB2_28460
; %bb.64297:
	s_getpc_b64 s[14:15]
.Lpost_getpc35732:
	s_add_u32 s14, s14, (.LBB2_14122-.Lpost_getpc35732)&4294967295
	s_addc_u32 s15, s15, (.LBB2_14122-.Lpost_getpc35732)>>32
	s_setpc_b64 s[14:15]
.LBB2_28460:
	v_mov_b32_e32 v2, 0
	v_cmp_ne_u16_sdwa s[8:9], v6, v2 src0_sel:BYTE_0 src1_sel:DWORD
	s_andn2_b64 s[4:5], s[4:5], exec
	s_and_b64 s[8:9], s[8:9], exec
	s_or_b64 s[4:5], s[4:5], s[8:9]
	s_or_b64 exec, exec, s[6:7]
	s_and_saveexec_b64 s[6:7], s[4:5]
	s_cbranch_execz .LBB2_35733
; %bb.64299:
	s_getpc_b64 s[14:15]
.Lpost_getpc35733:
	s_add_u32 s14, s14, (.LBB2_14123-.Lpost_getpc35733)&4294967295
	s_addc_u32 s15, s15, (.LBB2_14123-.Lpost_getpc35733)>>32
	s_setpc_b64 s[14:15]
.LBB2_35733:
	s_getpc_b64 s[14:15]
.Lpost_getpc21450:
	s_add_u32 s14, s14, (.LBB2_14124-.Lpost_getpc21450)&4294967295
	s_addc_u32 s15, s15, (.LBB2_14124-.Lpost_getpc21450)>>32
	s_setpc_b64 s[14:15]
.LBB2_28461:
	s_movk_i32 s4, 0x80
	v_cmp_eq_u16_sdwa s[12:13], v6, s4 src0_sel:BYTE_0 src1_sel:DWORD
	s_mov_b64 s[4:5], -1
                                        ; implicit-def: $sgpr10
	s_and_saveexec_b64 s[8:9], s[12:13]
; %bb.28462:
	s_mov_b32 s10, 0x7f800001
	s_xor_b64 s[4:5], exec, -1
; %bb.28463:
	s_or_b64 exec, exec, s[8:9]
	s_and_b64 s[4:5], s[4:5], exec
	s_or_saveexec_b64 s[6:7], s[6:7]
	v_mov_b32_e32 v12, s10
	s_xor_b64 exec, exec, s[6:7]
	s_cbranch_execnz .LBB2_28464
; %bb.64301:
	s_getpc_b64 s[14:15]
.Lpost_getpc35734:
	s_add_u32 s14, s14, (.LBB2_14126-.Lpost_getpc35734)&4294967295
	s_addc_u32 s15, s15, (.LBB2_14126-.Lpost_getpc35734)>>32
	s_setpc_b64 s[14:15]
.LBB2_28464:
	v_mov_b32_e32 v12, 0
	v_cmp_ne_u16_sdwa s[8:9], v6, v12 src0_sel:BYTE_0 src1_sel:DWORD
	s_andn2_b64 s[4:5], s[4:5], exec
	s_and_b64 s[8:9], s[8:9], exec
	s_or_b64 s[4:5], s[4:5], s[8:9]
	s_or_b64 exec, exec, s[6:7]
	s_and_saveexec_b64 s[6:7], s[4:5]
	s_cbranch_execz .LBB2_35735
; %bb.64303:
	s_getpc_b64 s[14:15]
.Lpost_getpc35735:
	s_add_u32 s14, s14, (.LBB2_14127-.Lpost_getpc35735)&4294967295
	s_addc_u32 s15, s15, (.LBB2_14127-.Lpost_getpc35735)>>32
	s_setpc_b64 s[14:15]
.LBB2_35735:
	s_getpc_b64 s[14:15]
.Lpost_getpc21451:
	s_add_u32 s14, s14, (.LBB2_14128-.Lpost_getpc21451)&4294967295
	s_addc_u32 s15, s15, (.LBB2_14128-.Lpost_getpc21451)>>32
	s_setpc_b64 s[14:15]
.LBB2_28465:
	s_movk_i32 s4, 0x80
	v_cmp_eq_u16_e32 vcc, s4, v6
	s_mov_b64 s[4:5], -1
                                        ; implicit-def: $sgpr10
	s_and_saveexec_b64 s[8:9], vcc
; %bb.28466:
	s_mov_b32 s10, 0x7f800001
	s_xor_b64 s[4:5], exec, -1
; %bb.28467:
	s_or_b64 exec, exec, s[8:9]
	s_and_b64 s[4:5], s[4:5], exec
                                        ; implicit-def: $vgpr6
	s_or_saveexec_b64 s[6:7], s[6:7]
	v_mov_b32_e32 v2, s10
	s_xor_b64 exec, exec, s[6:7]
	s_cbranch_execnz .LBB2_28468
; %bb.64305:
	s_getpc_b64 s[14:15]
.Lpost_getpc35736:
	s_add_u32 s14, s14, (.LBB2_14130-.Lpost_getpc35736)&4294967295
	s_addc_u32 s15, s15, (.LBB2_14130-.Lpost_getpc35736)>>32
	s_setpc_b64 s[14:15]
.LBB2_28468:
	v_cmp_ne_u16_e32 vcc, 0, v6
	s_andn2_b64 s[4:5], s[4:5], exec
	s_and_b64 s[8:9], vcc, exec
	v_mov_b32_e32 v2, 0
	s_or_b64 s[4:5], s[4:5], s[8:9]
	s_or_b64 exec, exec, s[6:7]
	s_and_saveexec_b64 s[6:7], s[4:5]
	s_cbranch_execz .LBB2_35737
; %bb.64307:
	s_getpc_b64 s[14:15]
.Lpost_getpc35737:
	s_add_u32 s14, s14, (.LBB2_14131-.Lpost_getpc35737)&4294967295
	s_addc_u32 s15, s15, (.LBB2_14131-.Lpost_getpc35737)>>32
	s_setpc_b64 s[14:15]
.LBB2_35737:
	s_getpc_b64 s[14:15]
.Lpost_getpc21452:
	s_add_u32 s14, s14, (.LBB2_14132-.Lpost_getpc21452)&4294967295
	s_addc_u32 s15, s15, (.LBB2_14132-.Lpost_getpc21452)>>32
	s_setpc_b64 s[14:15]
.LBB2_28469:
	s_movk_i32 s4, 0x80
	v_cmp_eq_u16_e32 vcc, s4, v6
	s_mov_b64 s[4:5], -1
                                        ; implicit-def: $sgpr10
	s_and_saveexec_b64 s[8:9], vcc
; %bb.28470:
	s_mov_b32 s10, 0x7f800001
	s_xor_b64 s[4:5], exec, -1
; %bb.28471:
	s_or_b64 exec, exec, s[8:9]
	s_and_b64 s[4:5], s[4:5], exec
                                        ; implicit-def: $vgpr6
	s_or_saveexec_b64 s[6:7], s[6:7]
	v_mov_b32_e32 v12, s10
	s_xor_b64 exec, exec, s[6:7]
	s_cbranch_execnz .LBB2_28472
; %bb.64309:
	s_getpc_b64 s[14:15]
.Lpost_getpc35738:
	s_add_u32 s14, s14, (.LBB2_14134-.Lpost_getpc35738)&4294967295
	s_addc_u32 s15, s15, (.LBB2_14134-.Lpost_getpc35738)>>32
	s_setpc_b64 s[14:15]
.LBB2_28472:
	v_cmp_ne_u16_e32 vcc, 0, v6
	s_andn2_b64 s[4:5], s[4:5], exec
	s_and_b64 s[8:9], vcc, exec
	v_mov_b32_e32 v12, 0
	s_or_b64 s[4:5], s[4:5], s[8:9]
	s_or_b64 exec, exec, s[6:7]
	s_and_saveexec_b64 s[6:7], s[4:5]
	s_cbranch_execz .LBB2_35739
; %bb.64311:
	s_getpc_b64 s[14:15]
.Lpost_getpc35739:
	s_add_u32 s14, s14, (.LBB2_14135-.Lpost_getpc35739)&4294967295
	s_addc_u32 s15, s15, (.LBB2_14135-.Lpost_getpc35739)>>32
	s_setpc_b64 s[14:15]
.LBB2_35739:
	s_getpc_b64 s[14:15]
.Lpost_getpc21453:
	s_add_u32 s14, s14, (.LBB2_14136-.Lpost_getpc21453)&4294967295
	s_addc_u32 s15, s15, (.LBB2_14136-.Lpost_getpc21453)>>32
	s_setpc_b64 s[14:15]
.LBB2_28473:
	s_movk_i32 s4, 0x80
	v_cmp_eq_u16_sdwa s[12:13], v7, s4 src0_sel:BYTE_3 src1_sel:DWORD
	s_mov_b64 s[4:5], -1
                                        ; implicit-def: $sgpr10
	s_and_saveexec_b64 s[8:9], s[12:13]
; %bb.28474:
	s_mov_b32 s10, 0x7f800001
	s_xor_b64 s[4:5], exec, -1
; %bb.28475:
	s_or_b64 exec, exec, s[8:9]
	s_and_b64 s[4:5], s[4:5], exec
	s_or_saveexec_b64 s[6:7], s[6:7]
	v_mov_b32_e32 v2, s10
	s_xor_b64 exec, exec, s[6:7]
	s_cbranch_execnz .LBB2_28476
; %bb.64313:
	s_getpc_b64 s[14:15]
.Lpost_getpc35740:
	s_add_u32 s14, s14, (.LBB2_14138-.Lpost_getpc35740)&4294967295
	s_addc_u32 s15, s15, (.LBB2_14138-.Lpost_getpc35740)>>32
	s_setpc_b64 s[14:15]
.LBB2_28476:
	v_mov_b32_e32 v2, 0
	v_cmp_ne_u16_sdwa s[8:9], v7, v2 src0_sel:BYTE_3 src1_sel:DWORD
	s_andn2_b64 s[4:5], s[4:5], exec
	s_and_b64 s[8:9], s[8:9], exec
	s_or_b64 s[4:5], s[4:5], s[8:9]
	s_or_b64 exec, exec, s[6:7]
	s_and_saveexec_b64 s[6:7], s[4:5]
	s_cbranch_execz .LBB2_35741
; %bb.64315:
	s_getpc_b64 s[14:15]
.Lpost_getpc35741:
	s_add_u32 s14, s14, (.LBB2_14139-.Lpost_getpc35741)&4294967295
	s_addc_u32 s15, s15, (.LBB2_14139-.Lpost_getpc35741)>>32
	s_setpc_b64 s[14:15]
.LBB2_35741:
	s_getpc_b64 s[14:15]
.Lpost_getpc21454:
	s_add_u32 s14, s14, (.LBB2_14140-.Lpost_getpc21454)&4294967295
	s_addc_u32 s15, s15, (.LBB2_14140-.Lpost_getpc21454)>>32
	s_setpc_b64 s[14:15]
.LBB2_28477:
	s_movk_i32 s4, 0x80
	v_cmp_eq_u16_sdwa s[12:13], v3, s4 src0_sel:BYTE_3 src1_sel:DWORD
	s_mov_b64 s[4:5], -1
                                        ; implicit-def: $sgpr10
	s_and_saveexec_b64 s[8:9], s[12:13]
; %bb.28478:
	s_mov_b32 s10, 0x7f800001
	s_xor_b64 s[4:5], exec, -1
; %bb.28479:
	s_or_b64 exec, exec, s[8:9]
	s_and_b64 s[4:5], s[4:5], exec
	s_or_saveexec_b64 s[6:7], s[6:7]
	v_mov_b32_e32 v6, s10
	s_xor_b64 exec, exec, s[6:7]
	s_cbranch_execnz .LBB2_28480
; %bb.64317:
	s_getpc_b64 s[14:15]
.Lpost_getpc35742:
	s_add_u32 s14, s14, (.LBB2_14142-.Lpost_getpc35742)&4294967295
	s_addc_u32 s15, s15, (.LBB2_14142-.Lpost_getpc35742)>>32
	s_setpc_b64 s[14:15]
.LBB2_28480:
	v_mov_b32_e32 v6, 0
	v_cmp_ne_u16_sdwa s[8:9], v3, v6 src0_sel:BYTE_3 src1_sel:DWORD
	s_andn2_b64 s[4:5], s[4:5], exec
	s_and_b64 s[8:9], s[8:9], exec
	s_or_b64 s[4:5], s[4:5], s[8:9]
	s_or_b64 exec, exec, s[6:7]
	s_and_saveexec_b64 s[6:7], s[4:5]
	s_cbranch_execz .LBB2_35743
; %bb.64319:
	s_getpc_b64 s[14:15]
.Lpost_getpc35743:
	s_add_u32 s14, s14, (.LBB2_14143-.Lpost_getpc35743)&4294967295
	s_addc_u32 s15, s15, (.LBB2_14143-.Lpost_getpc35743)>>32
	s_setpc_b64 s[14:15]
.LBB2_35743:
	s_getpc_b64 s[14:15]
.Lpost_getpc21455:
	s_add_u32 s14, s14, (.LBB2_14144-.Lpost_getpc21455)&4294967295
	s_addc_u32 s15, s15, (.LBB2_14144-.Lpost_getpc21455)>>32
	s_setpc_b64 s[14:15]
.LBB2_28481:
	s_movk_i32 s4, 0x80
	v_cmp_eq_u16_sdwa s[12:13], v8, s4 src0_sel:BYTE_0 src1_sel:DWORD
	s_mov_b64 s[4:5], -1
                                        ; implicit-def: $sgpr10
	s_and_saveexec_b64 s[8:9], s[12:13]
; %bb.28482:
	s_mov_b32 s10, 0x7f800001
	s_xor_b64 s[4:5], exec, -1
; %bb.28483:
	s_or_b64 exec, exec, s[8:9]
	s_and_b64 s[4:5], s[4:5], exec
	s_or_saveexec_b64 s[6:7], s[6:7]
	v_mov_b32_e32 v2, s10
	s_xor_b64 exec, exec, s[6:7]
	s_cbranch_execnz .LBB2_28484
; %bb.64321:
	s_getpc_b64 s[14:15]
.Lpost_getpc35744:
	s_add_u32 s14, s14, (.LBB2_14146-.Lpost_getpc35744)&4294967295
	s_addc_u32 s15, s15, (.LBB2_14146-.Lpost_getpc35744)>>32
	s_setpc_b64 s[14:15]
.LBB2_28484:
	v_mov_b32_e32 v2, 0
	v_cmp_ne_u16_sdwa s[8:9], v8, v2 src0_sel:BYTE_0 src1_sel:DWORD
	s_andn2_b64 s[4:5], s[4:5], exec
	s_and_b64 s[8:9], s[8:9], exec
	s_or_b64 s[4:5], s[4:5], s[8:9]
	s_or_b64 exec, exec, s[6:7]
	s_and_saveexec_b64 s[6:7], s[4:5]
	s_cbranch_execz .LBB2_35745
; %bb.64323:
	s_getpc_b64 s[14:15]
.Lpost_getpc35745:
	s_add_u32 s14, s14, (.LBB2_14147-.Lpost_getpc35745)&4294967295
	s_addc_u32 s15, s15, (.LBB2_14147-.Lpost_getpc35745)>>32
	s_setpc_b64 s[14:15]
.LBB2_35745:
	s_getpc_b64 s[14:15]
.Lpost_getpc21456:
	s_add_u32 s14, s14, (.LBB2_14148-.Lpost_getpc21456)&4294967295
	s_addc_u32 s15, s15, (.LBB2_14148-.Lpost_getpc21456)>>32
	s_setpc_b64 s[14:15]
.LBB2_28485:
	s_movk_i32 s4, 0x80
	v_cmp_eq_u16_sdwa s[12:13], v4, s4 src0_sel:BYTE_0 src1_sel:DWORD
	s_mov_b64 s[4:5], -1
                                        ; implicit-def: $sgpr10
	s_and_saveexec_b64 s[8:9], s[12:13]
; %bb.28486:
	s_mov_b32 s10, 0x7f800001
	s_xor_b64 s[4:5], exec, -1
; %bb.28487:
	s_or_b64 exec, exec, s[8:9]
	s_and_b64 s[4:5], s[4:5], exec
	s_or_saveexec_b64 s[6:7], s[6:7]
	v_mov_b32_e32 v3, s10
	s_xor_b64 exec, exec, s[6:7]
	s_cbranch_execnz .LBB2_28488
; %bb.64325:
	s_getpc_b64 s[14:15]
.Lpost_getpc35746:
	s_add_u32 s14, s14, (.LBB2_14150-.Lpost_getpc35746)&4294967295
	s_addc_u32 s15, s15, (.LBB2_14150-.Lpost_getpc35746)>>32
	s_setpc_b64 s[14:15]
.LBB2_28488:
	v_mov_b32_e32 v3, 0
	v_cmp_ne_u16_sdwa s[8:9], v4, v3 src0_sel:BYTE_0 src1_sel:DWORD
	s_andn2_b64 s[4:5], s[4:5], exec
	s_and_b64 s[8:9], s[8:9], exec
	s_or_b64 s[4:5], s[4:5], s[8:9]
	s_or_b64 exec, exec, s[6:7]
	s_and_saveexec_b64 s[6:7], s[4:5]
	s_cbranch_execz .LBB2_35747
; %bb.64327:
	s_getpc_b64 s[14:15]
.Lpost_getpc35747:
	s_add_u32 s14, s14, (.LBB2_14151-.Lpost_getpc35747)&4294967295
	s_addc_u32 s15, s15, (.LBB2_14151-.Lpost_getpc35747)>>32
	s_setpc_b64 s[14:15]
.LBB2_35747:
	s_getpc_b64 s[14:15]
.Lpost_getpc21457:
	s_add_u32 s14, s14, (.LBB2_14152-.Lpost_getpc21457)&4294967295
	s_addc_u32 s15, s15, (.LBB2_14152-.Lpost_getpc21457)>>32
	s_setpc_b64 s[14:15]
.LBB2_28489:
	s_movk_i32 s4, 0x80
	v_cmp_eq_u16_sdwa s[12:13], v3, s4 src0_sel:BYTE_0 src1_sel:DWORD
	s_mov_b64 s[4:5], -1
                                        ; implicit-def: $sgpr10
	s_and_saveexec_b64 s[8:9], s[12:13]
; %bb.28490:
	s_mov_b32 s10, 0x7f800001
	s_xor_b64 s[4:5], exec, -1
; %bb.28491:
	s_or_b64 exec, exec, s[8:9]
	s_and_b64 s[4:5], s[4:5], exec
	s_or_saveexec_b64 s[6:7], s[6:7]
	v_mov_b32_e32 v2, s10
	s_xor_b64 exec, exec, s[6:7]
	s_cbranch_execnz .LBB2_28492
; %bb.64329:
	s_getpc_b64 s[14:15]
.Lpost_getpc35748:
	s_add_u32 s14, s14, (.LBB2_14154-.Lpost_getpc35748)&4294967295
	s_addc_u32 s15, s15, (.LBB2_14154-.Lpost_getpc35748)>>32
	s_setpc_b64 s[14:15]
.LBB2_28492:
	v_mov_b32_e32 v2, 0
	v_cmp_ne_u16_sdwa s[8:9], v3, v2 src0_sel:BYTE_0 src1_sel:DWORD
	s_andn2_b64 s[4:5], s[4:5], exec
	s_and_b64 s[8:9], s[8:9], exec
	s_or_b64 s[4:5], s[4:5], s[8:9]
	s_or_b64 exec, exec, s[6:7]
	s_and_saveexec_b64 s[6:7], s[4:5]
	s_cbranch_execz .LBB2_35749
; %bb.64331:
	s_getpc_b64 s[14:15]
.Lpost_getpc35749:
	s_add_u32 s14, s14, (.LBB2_14155-.Lpost_getpc35749)&4294967295
	s_addc_u32 s15, s15, (.LBB2_14155-.Lpost_getpc35749)>>32
	s_setpc_b64 s[14:15]
.LBB2_35749:
	s_getpc_b64 s[14:15]
.Lpost_getpc21458:
	s_add_u32 s14, s14, (.LBB2_14156-.Lpost_getpc21458)&4294967295
	s_addc_u32 s15, s15, (.LBB2_14156-.Lpost_getpc21458)>>32
	s_setpc_b64 s[14:15]
.LBB2_28493:
	s_movk_i32 s4, 0x80
	v_cmp_eq_u16_sdwa s[12:13], v3, s4 src0_sel:BYTE_0 src1_sel:DWORD
	s_mov_b64 s[4:5], -1
                                        ; implicit-def: $sgpr10
	s_and_saveexec_b64 s[8:9], s[12:13]
; %bb.28494:
	s_mov_b32 s10, 0x7f800001
	s_xor_b64 s[4:5], exec, -1
; %bb.28495:
	s_or_b64 exec, exec, s[8:9]
	s_and_b64 s[4:5], s[4:5], exec
	s_or_saveexec_b64 s[6:7], s[6:7]
	v_mov_b32_e32 v6, s10
	s_xor_b64 exec, exec, s[6:7]
	s_cbranch_execnz .LBB2_28496
; %bb.64333:
	s_getpc_b64 s[14:15]
.Lpost_getpc35750:
	s_add_u32 s14, s14, (.LBB2_14158-.Lpost_getpc35750)&4294967295
	s_addc_u32 s15, s15, (.LBB2_14158-.Lpost_getpc35750)>>32
	s_setpc_b64 s[14:15]
.LBB2_28496:
	v_mov_b32_e32 v6, 0
	v_cmp_ne_u16_sdwa s[8:9], v3, v6 src0_sel:BYTE_0 src1_sel:DWORD
	s_andn2_b64 s[4:5], s[4:5], exec
	s_and_b64 s[8:9], s[8:9], exec
	s_or_b64 s[4:5], s[4:5], s[8:9]
	s_or_b64 exec, exec, s[6:7]
	s_and_saveexec_b64 s[6:7], s[4:5]
	s_cbranch_execz .LBB2_35751
; %bb.64335:
	s_getpc_b64 s[14:15]
.Lpost_getpc35751:
	s_add_u32 s14, s14, (.LBB2_14159-.Lpost_getpc35751)&4294967295
	s_addc_u32 s15, s15, (.LBB2_14159-.Lpost_getpc35751)>>32
	s_setpc_b64 s[14:15]
.LBB2_35751:
	s_getpc_b64 s[14:15]
.Lpost_getpc21459:
	s_add_u32 s14, s14, (.LBB2_14160-.Lpost_getpc21459)&4294967295
	s_addc_u32 s15, s15, (.LBB2_14160-.Lpost_getpc21459)>>32
	s_setpc_b64 s[14:15]
.LBB2_28497:
	s_movk_i32 s4, 0x80
	v_cmp_eq_u16_e32 vcc, s4, v3
	s_mov_b64 s[4:5], -1
                                        ; implicit-def: $sgpr10
	s_and_saveexec_b64 s[8:9], vcc
; %bb.28498:
	s_mov_b32 s10, 0x7f800001
	s_xor_b64 s[4:5], exec, -1
; %bb.28499:
	s_or_b64 exec, exec, s[8:9]
	s_and_b64 s[4:5], s[4:5], exec
                                        ; implicit-def: $vgpr3
	s_or_saveexec_b64 s[6:7], s[6:7]
	v_mov_b32_e32 v2, s10
	s_xor_b64 exec, exec, s[6:7]
	s_cbranch_execnz .LBB2_28500
; %bb.64337:
	s_getpc_b64 s[14:15]
.Lpost_getpc35752:
	s_add_u32 s14, s14, (.LBB2_14162-.Lpost_getpc35752)&4294967295
	s_addc_u32 s15, s15, (.LBB2_14162-.Lpost_getpc35752)>>32
	s_setpc_b64 s[14:15]
.LBB2_28500:
	v_cmp_ne_u16_e32 vcc, 0, v3
	s_andn2_b64 s[4:5], s[4:5], exec
	s_and_b64 s[8:9], vcc, exec
	v_mov_b32_e32 v2, 0
	s_or_b64 s[4:5], s[4:5], s[8:9]
	s_or_b64 exec, exec, s[6:7]
	s_and_saveexec_b64 s[6:7], s[4:5]
	s_cbranch_execz .LBB2_35753
; %bb.64339:
	s_getpc_b64 s[14:15]
.Lpost_getpc35753:
	s_add_u32 s14, s14, (.LBB2_14163-.Lpost_getpc35753)&4294967295
	s_addc_u32 s15, s15, (.LBB2_14163-.Lpost_getpc35753)>>32
	s_setpc_b64 s[14:15]
.LBB2_35753:
	s_getpc_b64 s[14:15]
.Lpost_getpc21460:
	s_add_u32 s14, s14, (.LBB2_14164-.Lpost_getpc21460)&4294967295
	s_addc_u32 s15, s15, (.LBB2_14164-.Lpost_getpc21460)>>32
	s_setpc_b64 s[14:15]
.LBB2_28501:
	s_movk_i32 s4, 0x80
	v_cmp_eq_u16_e32 vcc, s4, v3
	s_mov_b64 s[4:5], -1
                                        ; implicit-def: $sgpr10
	s_and_saveexec_b64 s[8:9], vcc
; %bb.28502:
	s_mov_b32 s10, 0x7f800001
	s_xor_b64 s[4:5], exec, -1
; %bb.28503:
	s_or_b64 exec, exec, s[8:9]
	s_and_b64 s[4:5], s[4:5], exec
                                        ; implicit-def: $vgpr3
	s_or_saveexec_b64 s[6:7], s[6:7]
	v_mov_b32_e32 v6, s10
	s_xor_b64 exec, exec, s[6:7]
	s_cbranch_execnz .LBB2_28504
; %bb.64341:
	s_getpc_b64 s[14:15]
.Lpost_getpc35754:
	s_add_u32 s14, s14, (.LBB2_14166-.Lpost_getpc35754)&4294967295
	s_addc_u32 s15, s15, (.LBB2_14166-.Lpost_getpc35754)>>32
	s_setpc_b64 s[14:15]
.LBB2_28504:
	v_cmp_ne_u16_e32 vcc, 0, v3
	s_andn2_b64 s[4:5], s[4:5], exec
	s_and_b64 s[8:9], vcc, exec
	v_mov_b32_e32 v6, 0
	s_or_b64 s[4:5], s[4:5], s[8:9]
	s_or_b64 exec, exec, s[6:7]
	s_and_saveexec_b64 s[6:7], s[4:5]
	s_cbranch_execz .LBB2_35755
; %bb.64343:
	s_getpc_b64 s[14:15]
.Lpost_getpc35755:
	s_add_u32 s14, s14, (.LBB2_14167-.Lpost_getpc35755)&4294967295
	s_addc_u32 s15, s15, (.LBB2_14167-.Lpost_getpc35755)>>32
	s_setpc_b64 s[14:15]
.LBB2_35755:
	s_getpc_b64 s[14:15]
.Lpost_getpc21461:
	s_add_u32 s14, s14, (.LBB2_14168-.Lpost_getpc21461)&4294967295
	s_addc_u32 s15, s15, (.LBB2_14168-.Lpost_getpc21461)>>32
	s_setpc_b64 s[14:15]
.LBB2_28505:
	s_movk_i32 s4, 0x80
	v_cmp_eq_u16_sdwa s[12:13], v8, s4 src0_sel:BYTE_3 src1_sel:DWORD
	s_mov_b64 s[4:5], -1
                                        ; implicit-def: $sgpr10
	s_and_saveexec_b64 s[8:9], s[12:13]
; %bb.28506:
	s_mov_b32 s10, 0x7f800001
	s_xor_b64 s[4:5], exec, -1
; %bb.28507:
	s_or_b64 exec, exec, s[8:9]
	s_and_b64 s[4:5], s[4:5], exec
	s_or_saveexec_b64 s[6:7], s[6:7]
	v_mov_b32_e32 v2, s10
	s_xor_b64 exec, exec, s[6:7]
	s_cbranch_execnz .LBB2_28508
; %bb.64345:
	s_getpc_b64 s[14:15]
.Lpost_getpc35756:
	s_add_u32 s14, s14, (.LBB2_14170-.Lpost_getpc35756)&4294967295
	s_addc_u32 s15, s15, (.LBB2_14170-.Lpost_getpc35756)>>32
	s_setpc_b64 s[14:15]
.LBB2_28508:
	v_mov_b32_e32 v2, 0
	v_cmp_ne_u16_sdwa s[8:9], v8, v2 src0_sel:BYTE_3 src1_sel:DWORD
	s_andn2_b64 s[4:5], s[4:5], exec
	s_and_b64 s[8:9], s[8:9], exec
	s_or_b64 s[4:5], s[4:5], s[8:9]
	s_or_b64 exec, exec, s[6:7]
	s_and_saveexec_b64 s[6:7], s[4:5]
	s_cbranch_execz .LBB2_35757
; %bb.64347:
	s_getpc_b64 s[14:15]
.Lpost_getpc35757:
	s_add_u32 s14, s14, (.LBB2_14171-.Lpost_getpc35757)&4294967295
	s_addc_u32 s15, s15, (.LBB2_14171-.Lpost_getpc35757)>>32
	s_setpc_b64 s[14:15]
.LBB2_35757:
	s_getpc_b64 s[14:15]
.Lpost_getpc21462:
	s_add_u32 s14, s14, (.LBB2_14172-.Lpost_getpc21462)&4294967295
	s_addc_u32 s15, s15, (.LBB2_14172-.Lpost_getpc21462)>>32
	s_setpc_b64 s[14:15]
.LBB2_28509:
	s_movk_i32 s4, 0x80
	v_cmp_eq_u16_sdwa s[12:13], v4, s4 src0_sel:BYTE_3 src1_sel:DWORD
	s_mov_b64 s[4:5], -1
                                        ; implicit-def: $sgpr10
	s_and_saveexec_b64 s[8:9], s[12:13]
; %bb.28510:
	s_mov_b32 s10, 0x7f800001
	s_xor_b64 s[4:5], exec, -1
; %bb.28511:
	s_or_b64 exec, exec, s[8:9]
	s_and_b64 s[4:5], s[4:5], exec
	s_or_saveexec_b64 s[6:7], s[6:7]
	v_mov_b32_e32 v3, s10
	s_xor_b64 exec, exec, s[6:7]
	s_cbranch_execnz .LBB2_28512
; %bb.64349:
	s_getpc_b64 s[14:15]
.Lpost_getpc35758:
	s_add_u32 s14, s14, (.LBB2_14174-.Lpost_getpc35758)&4294967295
	s_addc_u32 s15, s15, (.LBB2_14174-.Lpost_getpc35758)>>32
	s_setpc_b64 s[14:15]
.LBB2_28512:
	v_mov_b32_e32 v3, 0
	v_cmp_ne_u16_sdwa s[8:9], v4, v3 src0_sel:BYTE_3 src1_sel:DWORD
	s_andn2_b64 s[4:5], s[4:5], exec
	s_and_b64 s[8:9], s[8:9], exec
	s_or_b64 s[4:5], s[4:5], s[8:9]
	s_or_b64 exec, exec, s[6:7]
	s_and_saveexec_b64 s[6:7], s[4:5]
	s_cbranch_execz .LBB2_35759
; %bb.64351:
	s_getpc_b64 s[14:15]
.Lpost_getpc35759:
	s_add_u32 s14, s14, (.LBB2_14175-.Lpost_getpc35759)&4294967295
	s_addc_u32 s15, s15, (.LBB2_14175-.Lpost_getpc35759)>>32
	s_setpc_b64 s[14:15]
.LBB2_35759:
	s_getpc_b64 s[14:15]
.Lpost_getpc21463:
	s_add_u32 s14, s14, (.LBB2_14176-.Lpost_getpc21463)&4294967295
	s_addc_u32 s15, s15, (.LBB2_14176-.Lpost_getpc21463)>>32
	s_setpc_b64 s[14:15]
.LBB2_28513:
	s_movk_i32 s4, 0x80
	v_cmp_eq_u16_sdwa s[12:13], v9, s4 src0_sel:BYTE_0 src1_sel:DWORD
	s_mov_b64 s[4:5], -1
                                        ; implicit-def: $sgpr10
	s_and_saveexec_b64 s[8:9], s[12:13]
; %bb.28514:
	s_mov_b32 s10, 0x7f800001
	s_xor_b64 s[4:5], exec, -1
; %bb.28515:
	s_or_b64 exec, exec, s[8:9]
	s_and_b64 s[4:5], s[4:5], exec
	s_or_saveexec_b64 s[6:7], s[6:7]
	v_mov_b32_e32 v2, s10
	s_xor_b64 exec, exec, s[6:7]
	s_cbranch_execnz .LBB2_28516
; %bb.64353:
	s_getpc_b64 s[14:15]
.Lpost_getpc35760:
	s_add_u32 s14, s14, (.LBB2_14178-.Lpost_getpc35760)&4294967295
	s_addc_u32 s15, s15, (.LBB2_14178-.Lpost_getpc35760)>>32
	s_setpc_b64 s[14:15]
.LBB2_28516:
	v_mov_b32_e32 v2, 0
	v_cmp_ne_u16_sdwa s[8:9], v9, v2 src0_sel:BYTE_0 src1_sel:DWORD
	s_andn2_b64 s[4:5], s[4:5], exec
	s_and_b64 s[8:9], s[8:9], exec
	s_or_b64 s[4:5], s[4:5], s[8:9]
	s_or_b64 exec, exec, s[6:7]
	s_and_saveexec_b64 s[6:7], s[4:5]
	s_cbranch_execz .LBB2_35761
; %bb.64355:
	s_getpc_b64 s[14:15]
.Lpost_getpc35761:
	s_add_u32 s14, s14, (.LBB2_14179-.Lpost_getpc35761)&4294967295
	s_addc_u32 s15, s15, (.LBB2_14179-.Lpost_getpc35761)>>32
	s_setpc_b64 s[14:15]
.LBB2_35761:
	s_getpc_b64 s[14:15]
.Lpost_getpc21464:
	s_add_u32 s14, s14, (.LBB2_14180-.Lpost_getpc21464)&4294967295
	s_addc_u32 s15, s15, (.LBB2_14180-.Lpost_getpc21464)>>32
	s_setpc_b64 s[14:15]
.LBB2_28517:
	s_movk_i32 s4, 0x80
	v_cmp_eq_u16_sdwa s[12:13], v5, s4 src0_sel:BYTE_0 src1_sel:DWORD
	s_mov_b64 s[4:5], -1
                                        ; implicit-def: $sgpr10
	s_and_saveexec_b64 s[8:9], s[12:13]
; %bb.28518:
	s_mov_b32 s10, 0x7f800001
	s_xor_b64 s[4:5], exec, -1
; %bb.28519:
	s_or_b64 exec, exec, s[8:9]
	s_and_b64 s[4:5], s[4:5], exec
	s_or_saveexec_b64 s[6:7], s[6:7]
	v_mov_b32_e32 v3, s10
	s_xor_b64 exec, exec, s[6:7]
	s_cbranch_execnz .LBB2_28520
; %bb.64357:
	s_getpc_b64 s[14:15]
.Lpost_getpc35762:
	s_add_u32 s14, s14, (.LBB2_14182-.Lpost_getpc35762)&4294967295
	s_addc_u32 s15, s15, (.LBB2_14182-.Lpost_getpc35762)>>32
	s_setpc_b64 s[14:15]
.LBB2_28520:
	v_mov_b32_e32 v3, 0
	v_cmp_ne_u16_sdwa s[8:9], v5, v3 src0_sel:BYTE_0 src1_sel:DWORD
	s_andn2_b64 s[4:5], s[4:5], exec
	s_and_b64 s[8:9], s[8:9], exec
	s_or_b64 s[4:5], s[4:5], s[8:9]
	s_or_b64 exec, exec, s[6:7]
	s_and_saveexec_b64 s[6:7], s[4:5]
	s_cbranch_execz .LBB2_35763
; %bb.64359:
	s_getpc_b64 s[14:15]
.Lpost_getpc35763:
	s_add_u32 s14, s14, (.LBB2_14183-.Lpost_getpc35763)&4294967295
	s_addc_u32 s15, s15, (.LBB2_14183-.Lpost_getpc35763)>>32
	s_setpc_b64 s[14:15]
.LBB2_35763:
	s_getpc_b64 s[14:15]
.Lpost_getpc21465:
	s_add_u32 s14, s14, (.LBB2_14184-.Lpost_getpc21465)&4294967295
	s_addc_u32 s15, s15, (.LBB2_14184-.Lpost_getpc21465)>>32
	s_setpc_b64 s[14:15]
.LBB2_28521:
	s_movk_i32 s4, 0x80
	v_cmp_eq_u16_sdwa s[12:13], v3, s4 src0_sel:BYTE_0 src1_sel:DWORD
	s_mov_b64 s[4:5], -1
                                        ; implicit-def: $sgpr10
	s_and_saveexec_b64 s[8:9], s[12:13]
; %bb.28522:
	s_mov_b32 s10, 0x7f800001
	s_xor_b64 s[4:5], exec, -1
; %bb.28523:
	s_or_b64 exec, exec, s[8:9]
	s_and_b64 s[4:5], s[4:5], exec
	s_or_saveexec_b64 s[6:7], s[6:7]
	v_mov_b32_e32 v2, s10
	s_xor_b64 exec, exec, s[6:7]
	s_cbranch_execnz .LBB2_28524
; %bb.64361:
	s_getpc_b64 s[14:15]
.Lpost_getpc35764:
	s_add_u32 s14, s14, (.LBB2_14186-.Lpost_getpc35764)&4294967295
	s_addc_u32 s15, s15, (.LBB2_14186-.Lpost_getpc35764)>>32
	s_setpc_b64 s[14:15]
.LBB2_28524:
	v_mov_b32_e32 v2, 0
	v_cmp_ne_u16_sdwa s[8:9], v3, v2 src0_sel:BYTE_0 src1_sel:DWORD
	s_andn2_b64 s[4:5], s[4:5], exec
	s_and_b64 s[8:9], s[8:9], exec
	s_or_b64 s[4:5], s[4:5], s[8:9]
	s_or_b64 exec, exec, s[6:7]
	s_and_saveexec_b64 s[6:7], s[4:5]
	s_cbranch_execz .LBB2_35765
; %bb.64363:
	s_getpc_b64 s[14:15]
.Lpost_getpc35765:
	s_add_u32 s14, s14, (.LBB2_14187-.Lpost_getpc35765)&4294967295
	s_addc_u32 s15, s15, (.LBB2_14187-.Lpost_getpc35765)>>32
	s_setpc_b64 s[14:15]
.LBB2_35765:
	s_getpc_b64 s[14:15]
.Lpost_getpc21466:
	s_add_u32 s14, s14, (.LBB2_14188-.Lpost_getpc21466)&4294967295
	s_addc_u32 s15, s15, (.LBB2_14188-.Lpost_getpc21466)>>32
	s_setpc_b64 s[14:15]
.LBB2_28525:
	s_movk_i32 s4, 0x80
	v_cmp_eq_u16_sdwa s[12:13], v3, s4 src0_sel:BYTE_0 src1_sel:DWORD
	s_mov_b64 s[4:5], -1
                                        ; implicit-def: $sgpr10
	s_and_saveexec_b64 s[8:9], s[12:13]
; %bb.28526:
	s_mov_b32 s10, 0x7f800001
	s_xor_b64 s[4:5], exec, -1
; %bb.28527:
	s_or_b64 exec, exec, s[8:9]
	s_and_b64 s[4:5], s[4:5], exec
	s_or_saveexec_b64 s[6:7], s[6:7]
	v_mov_b32_e32 v4, s10
	s_xor_b64 exec, exec, s[6:7]
	s_cbranch_execnz .LBB2_28528
; %bb.64365:
	s_getpc_b64 s[14:15]
.Lpost_getpc35766:
	s_add_u32 s14, s14, (.LBB2_14190-.Lpost_getpc35766)&4294967295
	s_addc_u32 s15, s15, (.LBB2_14190-.Lpost_getpc35766)>>32
	s_setpc_b64 s[14:15]
.LBB2_28528:
	v_mov_b32_e32 v4, 0
	v_cmp_ne_u16_sdwa s[8:9], v3, v4 src0_sel:BYTE_0 src1_sel:DWORD
	s_andn2_b64 s[4:5], s[4:5], exec
	s_and_b64 s[8:9], s[8:9], exec
	s_or_b64 s[4:5], s[4:5], s[8:9]
	s_or_b64 exec, exec, s[6:7]
	s_and_saveexec_b64 s[6:7], s[4:5]
	s_cbranch_execz .LBB2_35767
; %bb.64367:
	s_getpc_b64 s[14:15]
.Lpost_getpc35767:
	s_add_u32 s14, s14, (.LBB2_14191-.Lpost_getpc35767)&4294967295
	s_addc_u32 s15, s15, (.LBB2_14191-.Lpost_getpc35767)>>32
	s_setpc_b64 s[14:15]
.LBB2_35767:
	s_getpc_b64 s[14:15]
.Lpost_getpc21467:
	s_add_u32 s14, s14, (.LBB2_14192-.Lpost_getpc21467)&4294967295
	s_addc_u32 s15, s15, (.LBB2_14192-.Lpost_getpc21467)>>32
	s_setpc_b64 s[14:15]
.LBB2_28529:
	s_movk_i32 s4, 0x80
	v_cmp_eq_u16_e32 vcc, s4, v3
	s_mov_b64 s[4:5], -1
                                        ; implicit-def: $sgpr10
	s_and_saveexec_b64 s[8:9], vcc
; %bb.28530:
	s_mov_b32 s10, 0x7f800001
	s_xor_b64 s[4:5], exec, -1
; %bb.28531:
	s_or_b64 exec, exec, s[8:9]
	s_and_b64 s[4:5], s[4:5], exec
                                        ; implicit-def: $vgpr3
	s_or_saveexec_b64 s[6:7], s[6:7]
	v_mov_b32_e32 v2, s10
	s_xor_b64 exec, exec, s[6:7]
	s_cbranch_execnz .LBB2_28532
; %bb.64369:
	s_getpc_b64 s[14:15]
.Lpost_getpc35768:
	s_add_u32 s14, s14, (.LBB2_14194-.Lpost_getpc35768)&4294967295
	s_addc_u32 s15, s15, (.LBB2_14194-.Lpost_getpc35768)>>32
	s_setpc_b64 s[14:15]
.LBB2_28532:
	v_cmp_ne_u16_e32 vcc, 0, v3
	s_andn2_b64 s[4:5], s[4:5], exec
	s_and_b64 s[8:9], vcc, exec
	v_mov_b32_e32 v2, 0
	s_or_b64 s[4:5], s[4:5], s[8:9]
	s_or_b64 exec, exec, s[6:7]
	s_and_saveexec_b64 s[6:7], s[4:5]
	s_cbranch_execz .LBB2_35769
; %bb.64371:
	s_getpc_b64 s[14:15]
.Lpost_getpc35769:
	s_add_u32 s14, s14, (.LBB2_14195-.Lpost_getpc35769)&4294967295
	s_addc_u32 s15, s15, (.LBB2_14195-.Lpost_getpc35769)>>32
	s_setpc_b64 s[14:15]
.LBB2_35769:
	s_getpc_b64 s[14:15]
.Lpost_getpc21468:
	s_add_u32 s14, s14, (.LBB2_14196-.Lpost_getpc21468)&4294967295
	s_addc_u32 s15, s15, (.LBB2_14196-.Lpost_getpc21468)>>32
	s_setpc_b64 s[14:15]
.LBB2_28533:
	s_movk_i32 s4, 0x80
	v_cmp_eq_u16_e32 vcc, s4, v3
	s_mov_b64 s[4:5], -1
                                        ; implicit-def: $sgpr10
	s_and_saveexec_b64 s[8:9], vcc
; %bb.28534:
	s_mov_b32 s10, 0x7f800001
	s_xor_b64 s[4:5], exec, -1
; %bb.28535:
	s_or_b64 exec, exec, s[8:9]
	s_and_b64 s[4:5], s[4:5], exec
                                        ; implicit-def: $vgpr3
	s_or_saveexec_b64 s[6:7], s[6:7]
	v_mov_b32_e32 v4, s10
	s_xor_b64 exec, exec, s[6:7]
	s_cbranch_execnz .LBB2_28536
; %bb.64373:
	s_getpc_b64 s[14:15]
.Lpost_getpc35770:
	s_add_u32 s14, s14, (.LBB2_14198-.Lpost_getpc35770)&4294967295
	s_addc_u32 s15, s15, (.LBB2_14198-.Lpost_getpc35770)>>32
	s_setpc_b64 s[14:15]
.LBB2_28536:
	v_cmp_ne_u16_e32 vcc, 0, v3
	s_andn2_b64 s[4:5], s[4:5], exec
	s_and_b64 s[8:9], vcc, exec
	v_mov_b32_e32 v4, 0
	s_or_b64 s[4:5], s[4:5], s[8:9]
	s_or_b64 exec, exec, s[6:7]
	s_and_saveexec_b64 s[6:7], s[4:5]
	s_cbranch_execz .LBB2_35771
; %bb.64375:
	s_getpc_b64 s[14:15]
.Lpost_getpc35771:
	s_add_u32 s14, s14, (.LBB2_14199-.Lpost_getpc35771)&4294967295
	s_addc_u32 s15, s15, (.LBB2_14199-.Lpost_getpc35771)>>32
	s_setpc_b64 s[14:15]
.LBB2_35771:
	s_getpc_b64 s[14:15]
.Lpost_getpc21469:
	s_add_u32 s14, s14, (.LBB2_14200-.Lpost_getpc21469)&4294967295
	s_addc_u32 s15, s15, (.LBB2_14200-.Lpost_getpc21469)>>32
	s_setpc_b64 s[14:15]
.LBB2_28537:
	s_movk_i32 s4, 0x80
	v_cmp_eq_u16_sdwa s[12:13], v9, s4 src0_sel:BYTE_3 src1_sel:DWORD
	s_mov_b64 s[4:5], -1
                                        ; implicit-def: $sgpr10
	s_and_saveexec_b64 s[8:9], s[12:13]
; %bb.28538:
	s_mov_b32 s10, 0x7f800001
	s_xor_b64 s[4:5], exec, -1
; %bb.28539:
	s_or_b64 exec, exec, s[8:9]
	s_and_b64 s[4:5], s[4:5], exec
	s_or_saveexec_b64 s[6:7], s[6:7]
	v_mov_b32_e32 v2, s10
	s_xor_b64 exec, exec, s[6:7]
	s_cbranch_execnz .LBB2_28540
; %bb.64377:
	s_getpc_b64 s[14:15]
.Lpost_getpc35772:
	s_add_u32 s14, s14, (.LBB2_14202-.Lpost_getpc35772)&4294967295
	s_addc_u32 s15, s15, (.LBB2_14202-.Lpost_getpc35772)>>32
	s_setpc_b64 s[14:15]
.LBB2_28540:
	v_mov_b32_e32 v2, 0
	v_cmp_ne_u16_sdwa s[8:9], v9, v2 src0_sel:BYTE_3 src1_sel:DWORD
	s_andn2_b64 s[4:5], s[4:5], exec
	s_and_b64 s[8:9], s[8:9], exec
	s_or_b64 s[4:5], s[4:5], s[8:9]
	s_or_b64 exec, exec, s[6:7]
	s_and_saveexec_b64 s[6:7], s[4:5]
	s_cbranch_execz .LBB2_35773
; %bb.64379:
	s_getpc_b64 s[14:15]
.Lpost_getpc35773:
	s_add_u32 s14, s14, (.LBB2_14203-.Lpost_getpc35773)&4294967295
	s_addc_u32 s15, s15, (.LBB2_14203-.Lpost_getpc35773)>>32
	s_setpc_b64 s[14:15]
.LBB2_35773:
	s_getpc_b64 s[14:15]
.Lpost_getpc21470:
	s_add_u32 s14, s14, (.LBB2_14204-.Lpost_getpc21470)&4294967295
	s_addc_u32 s15, s15, (.LBB2_14204-.Lpost_getpc21470)>>32
	s_setpc_b64 s[14:15]
.LBB2_28541:
	s_movk_i32 s4, 0x80
	v_cmp_eq_u16_sdwa s[12:13], v5, s4 src0_sel:BYTE_3 src1_sel:DWORD
	s_mov_b64 s[4:5], -1
                                        ; implicit-def: $sgpr10
	s_and_saveexec_b64 s[8:9], s[12:13]
; %bb.28542:
	s_mov_b32 s10, 0x7f800001
	s_xor_b64 s[4:5], exec, -1
; %bb.28543:
	s_or_b64 exec, exec, s[8:9]
	s_and_b64 s[4:5], s[4:5], exec
	s_or_saveexec_b64 s[6:7], s[6:7]
	v_mov_b32_e32 v3, s10
	s_xor_b64 exec, exec, s[6:7]
	s_cbranch_execnz .LBB2_28544
; %bb.64381:
	s_getpc_b64 s[14:15]
.Lpost_getpc35774:
	s_add_u32 s14, s14, (.LBB2_14206-.Lpost_getpc35774)&4294967295
	s_addc_u32 s15, s15, (.LBB2_14206-.Lpost_getpc35774)>>32
	s_setpc_b64 s[14:15]
.LBB2_28544:
	v_mov_b32_e32 v3, 0
	v_cmp_ne_u16_sdwa s[8:9], v5, v3 src0_sel:BYTE_3 src1_sel:DWORD
	s_andn2_b64 s[4:5], s[4:5], exec
	s_and_b64 s[8:9], s[8:9], exec
	s_or_b64 s[4:5], s[4:5], s[8:9]
	s_or_b64 exec, exec, s[6:7]
	s_and_saveexec_b64 s[6:7], s[4:5]
	s_cbranch_execz .LBB2_35775
; %bb.64383:
	s_getpc_b64 s[14:15]
.Lpost_getpc35775:
	s_add_u32 s14, s14, (.LBB2_14207-.Lpost_getpc35775)&4294967295
	s_addc_u32 s15, s15, (.LBB2_14207-.Lpost_getpc35775)>>32
	s_setpc_b64 s[14:15]
.LBB2_35775:
	s_getpc_b64 s[14:15]
.Lpost_getpc21471:
	s_add_u32 s14, s14, (.LBB2_14208-.Lpost_getpc21471)&4294967295
	s_addc_u32 s15, s15, (.LBB2_14208-.Lpost_getpc21471)>>32
	s_setpc_b64 s[14:15]
.LBB2_28545:
	s_movk_i32 s4, 0x80
	v_cmp_eq_u16_sdwa s[12:13], v4, s4 src0_sel:BYTE_0 src1_sel:DWORD
	s_mov_b64 s[4:5], -1
                                        ; implicit-def: $sgpr10
	s_and_saveexec_b64 s[8:9], s[12:13]
; %bb.28546:
	s_mov_b32 s10, 0x7f800001
	s_xor_b64 s[4:5], exec, -1
; %bb.28547:
	s_or_b64 exec, exec, s[8:9]
	s_and_b64 s[4:5], s[4:5], exec
	s_or_saveexec_b64 s[6:7], s[6:7]
	v_mov_b32_e32 v10, s10
	s_xor_b64 exec, exec, s[6:7]
	s_cbranch_execnz .LBB2_28548
; %bb.64385:
	s_getpc_b64 s[14:15]
.Lpost_getpc35776:
	s_add_u32 s14, s14, (.LBB2_14210-.Lpost_getpc35776)&4294967295
	s_addc_u32 s15, s15, (.LBB2_14210-.Lpost_getpc35776)>>32
	s_setpc_b64 s[14:15]
.LBB2_28548:
	v_mov_b32_e32 v10, 0
	v_cmp_ne_u16_sdwa s[8:9], v4, v10 src0_sel:BYTE_0 src1_sel:DWORD
	s_andn2_b64 s[4:5], s[4:5], exec
	s_and_b64 s[8:9], s[8:9], exec
	s_or_b64 s[4:5], s[4:5], s[8:9]
	s_or_b64 exec, exec, s[6:7]
	s_and_saveexec_b64 s[6:7], s[4:5]
	s_cbranch_execz .LBB2_35777
; %bb.64387:
	s_getpc_b64 s[14:15]
.Lpost_getpc35777:
	s_add_u32 s14, s14, (.LBB2_14211-.Lpost_getpc35777)&4294967295
	s_addc_u32 s15, s15, (.LBB2_14211-.Lpost_getpc35777)>>32
	s_setpc_b64 s[14:15]
.LBB2_35777:
	s_getpc_b64 s[14:15]
.Lpost_getpc21472:
	s_add_u32 s14, s14, (.LBB2_14212-.Lpost_getpc21472)&4294967295
	s_addc_u32 s15, s15, (.LBB2_14212-.Lpost_getpc21472)>>32
	s_setpc_b64 s[14:15]
.LBB2_28549:
	s_movk_i32 s4, 0x80
	v_cmp_eq_u16_sdwa s[12:13], v0, s4 src0_sel:BYTE_0 src1_sel:DWORD
	s_mov_b64 s[4:5], -1
                                        ; implicit-def: $sgpr10
	s_and_saveexec_b64 s[8:9], s[12:13]
; %bb.28550:
	s_mov_b32 s10, 0x7f800001
	s_xor_b64 s[4:5], exec, -1
; %bb.28551:
	s_or_b64 exec, exec, s[8:9]
	s_and_b64 s[4:5], s[4:5], exec
	s_or_saveexec_b64 s[6:7], s[6:7]
	v_mov_b32_e32 v11, s10
	s_xor_b64 exec, exec, s[6:7]
	s_cbranch_execnz .LBB2_28552
; %bb.64389:
	s_getpc_b64 s[14:15]
.Lpost_getpc35778:
	s_add_u32 s14, s14, (.LBB2_14214-.Lpost_getpc35778)&4294967295
	s_addc_u32 s15, s15, (.LBB2_14214-.Lpost_getpc35778)>>32
	s_setpc_b64 s[14:15]
.LBB2_28552:
	v_mov_b32_e32 v11, 0
	v_cmp_ne_u16_sdwa s[8:9], v0, v11 src0_sel:BYTE_0 src1_sel:DWORD
	s_andn2_b64 s[4:5], s[4:5], exec
	s_and_b64 s[8:9], s[8:9], exec
	s_or_b64 s[4:5], s[4:5], s[8:9]
	s_or_b64 exec, exec, s[6:7]
	s_and_saveexec_b64 s[6:7], s[4:5]
	s_cbranch_execz .LBB2_35779
; %bb.64391:
	s_getpc_b64 s[14:15]
.Lpost_getpc35779:
	s_add_u32 s14, s14, (.LBB2_14215-.Lpost_getpc35779)&4294967295
	s_addc_u32 s15, s15, (.LBB2_14215-.Lpost_getpc35779)>>32
	s_setpc_b64 s[14:15]
.LBB2_35779:
	s_getpc_b64 s[14:15]
.Lpost_getpc21473:
	s_add_u32 s14, s14, (.LBB2_14216-.Lpost_getpc21473)&4294967295
	s_addc_u32 s15, s15, (.LBB2_14216-.Lpost_getpc21473)>>32
	s_setpc_b64 s[14:15]
.LBB2_28553:
	s_movk_i32 s4, 0x80
	v_cmp_eq_u16_sdwa s[12:13], v11, s4 src0_sel:BYTE_0 src1_sel:DWORD
	s_mov_b64 s[4:5], -1
                                        ; implicit-def: $sgpr10
	s_and_saveexec_b64 s[8:9], s[12:13]
; %bb.28554:
	s_mov_b32 s10, 0x7f800001
	s_xor_b64 s[4:5], exec, -1
; %bb.28555:
	s_or_b64 exec, exec, s[8:9]
	s_and_b64 s[4:5], s[4:5], exec
	s_or_saveexec_b64 s[6:7], s[6:7]
	v_mov_b32_e32 v10, s10
	s_xor_b64 exec, exec, s[6:7]
	s_cbranch_execnz .LBB2_28556
; %bb.64393:
	s_getpc_b64 s[14:15]
.Lpost_getpc35780:
	s_add_u32 s14, s14, (.LBB2_14218-.Lpost_getpc35780)&4294967295
	s_addc_u32 s15, s15, (.LBB2_14218-.Lpost_getpc35780)>>32
	s_setpc_b64 s[14:15]
.LBB2_28556:
	v_mov_b32_e32 v10, 0
	v_cmp_ne_u16_sdwa s[8:9], v11, v10 src0_sel:BYTE_0 src1_sel:DWORD
	s_andn2_b64 s[4:5], s[4:5], exec
	s_and_b64 s[8:9], s[8:9], exec
	s_or_b64 s[4:5], s[4:5], s[8:9]
	s_or_b64 exec, exec, s[6:7]
	s_and_saveexec_b64 s[6:7], s[4:5]
	s_cbranch_execz .LBB2_35781
; %bb.64395:
	s_getpc_b64 s[14:15]
.Lpost_getpc35781:
	s_add_u32 s14, s14, (.LBB2_14219-.Lpost_getpc35781)&4294967295
	s_addc_u32 s15, s15, (.LBB2_14219-.Lpost_getpc35781)>>32
	s_setpc_b64 s[14:15]
.LBB2_35781:
	s_getpc_b64 s[14:15]
.Lpost_getpc21474:
	s_add_u32 s14, s14, (.LBB2_14220-.Lpost_getpc21474)&4294967295
	s_addc_u32 s15, s15, (.LBB2_14220-.Lpost_getpc21474)>>32
	s_setpc_b64 s[14:15]
.LBB2_28557:
	s_movk_i32 s4, 0x80
	v_cmp_eq_u16_sdwa s[12:13], v11, s4 src0_sel:BYTE_0 src1_sel:DWORD
	s_mov_b64 s[4:5], -1
                                        ; implicit-def: $sgpr10
	s_and_saveexec_b64 s[8:9], s[12:13]
; %bb.28558:
	s_mov_b32 s10, 0x7f800001
	s_xor_b64 s[4:5], exec, -1
; %bb.28559:
	s_or_b64 exec, exec, s[8:9]
	s_and_b64 s[4:5], s[4:5], exec
	s_or_saveexec_b64 s[6:7], s[6:7]
	v_mov_b32_e32 v12, s10
	s_xor_b64 exec, exec, s[6:7]
	s_cbranch_execnz .LBB2_28560
; %bb.64397:
	s_getpc_b64 s[14:15]
.Lpost_getpc35782:
	s_add_u32 s14, s14, (.LBB2_14222-.Lpost_getpc35782)&4294967295
	s_addc_u32 s15, s15, (.LBB2_14222-.Lpost_getpc35782)>>32
	s_setpc_b64 s[14:15]
.LBB2_28560:
	v_mov_b32_e32 v12, 0
	v_cmp_ne_u16_sdwa s[8:9], v11, v12 src0_sel:BYTE_0 src1_sel:DWORD
	s_andn2_b64 s[4:5], s[4:5], exec
	s_and_b64 s[8:9], s[8:9], exec
	s_or_b64 s[4:5], s[4:5], s[8:9]
	s_or_b64 exec, exec, s[6:7]
	s_and_saveexec_b64 s[6:7], s[4:5]
	s_cbranch_execz .LBB2_35783
; %bb.64399:
	s_getpc_b64 s[14:15]
.Lpost_getpc35783:
	s_add_u32 s14, s14, (.LBB2_14223-.Lpost_getpc35783)&4294967295
	s_addc_u32 s15, s15, (.LBB2_14223-.Lpost_getpc35783)>>32
	s_setpc_b64 s[14:15]
.LBB2_35783:
	s_getpc_b64 s[14:15]
.Lpost_getpc21475:
	s_add_u32 s14, s14, (.LBB2_14224-.Lpost_getpc21475)&4294967295
	s_addc_u32 s15, s15, (.LBB2_14224-.Lpost_getpc21475)>>32
	s_setpc_b64 s[14:15]
.LBB2_28561:
	s_movk_i32 s4, 0x80
	v_cmp_eq_u16_e32 vcc, s4, v11
	s_mov_b64 s[4:5], -1
                                        ; implicit-def: $sgpr10
	s_and_saveexec_b64 s[8:9], vcc
; %bb.28562:
	s_mov_b32 s10, 0x7f800001
	s_xor_b64 s[4:5], exec, -1
; %bb.28563:
	s_or_b64 exec, exec, s[8:9]
	s_and_b64 s[4:5], s[4:5], exec
                                        ; implicit-def: $vgpr11
	s_or_saveexec_b64 s[6:7], s[6:7]
	v_mov_b32_e32 v10, s10
	s_xor_b64 exec, exec, s[6:7]
	s_cbranch_execnz .LBB2_28564
; %bb.64401:
	s_getpc_b64 s[14:15]
.Lpost_getpc35784:
	s_add_u32 s14, s14, (.LBB2_14226-.Lpost_getpc35784)&4294967295
	s_addc_u32 s15, s15, (.LBB2_14226-.Lpost_getpc35784)>>32
	s_setpc_b64 s[14:15]
.LBB2_28564:
	v_cmp_ne_u16_e32 vcc, 0, v11
	s_andn2_b64 s[4:5], s[4:5], exec
	s_and_b64 s[8:9], vcc, exec
	v_mov_b32_e32 v10, 0
	s_or_b64 s[4:5], s[4:5], s[8:9]
	s_or_b64 exec, exec, s[6:7]
	s_and_saveexec_b64 s[6:7], s[4:5]
	s_cbranch_execz .LBB2_35785
; %bb.64403:
	s_getpc_b64 s[14:15]
.Lpost_getpc35785:
	s_add_u32 s14, s14, (.LBB2_14227-.Lpost_getpc35785)&4294967295
	s_addc_u32 s15, s15, (.LBB2_14227-.Lpost_getpc35785)>>32
	s_setpc_b64 s[14:15]
.LBB2_35785:
	s_getpc_b64 s[14:15]
.Lpost_getpc21476:
	s_add_u32 s14, s14, (.LBB2_14228-.Lpost_getpc21476)&4294967295
	s_addc_u32 s15, s15, (.LBB2_14228-.Lpost_getpc21476)>>32
	s_setpc_b64 s[14:15]
.LBB2_28565:
	s_movk_i32 s4, 0x80
	v_cmp_eq_u16_e32 vcc, s4, v11
	s_mov_b64 s[4:5], -1
                                        ; implicit-def: $sgpr10
	s_and_saveexec_b64 s[8:9], vcc
; %bb.28566:
	s_mov_b32 s10, 0x7f800001
	s_xor_b64 s[4:5], exec, -1
; %bb.28567:
	s_or_b64 exec, exec, s[8:9]
	s_and_b64 s[4:5], s[4:5], exec
                                        ; implicit-def: $vgpr11
	s_or_saveexec_b64 s[6:7], s[6:7]
	v_mov_b32_e32 v12, s10
	s_xor_b64 exec, exec, s[6:7]
	s_cbranch_execnz .LBB2_28568
; %bb.64405:
	s_getpc_b64 s[14:15]
.Lpost_getpc35786:
	s_add_u32 s14, s14, (.LBB2_14230-.Lpost_getpc35786)&4294967295
	s_addc_u32 s15, s15, (.LBB2_14230-.Lpost_getpc35786)>>32
	s_setpc_b64 s[14:15]
.LBB2_28568:
	v_cmp_ne_u16_e32 vcc, 0, v11
	s_andn2_b64 s[4:5], s[4:5], exec
	s_and_b64 s[8:9], vcc, exec
	v_mov_b32_e32 v12, 0
	s_or_b64 s[4:5], s[4:5], s[8:9]
	s_or_b64 exec, exec, s[6:7]
	s_and_saveexec_b64 s[6:7], s[4:5]
	s_cbranch_execz .LBB2_35787
; %bb.64407:
	s_getpc_b64 s[14:15]
.Lpost_getpc35787:
	s_add_u32 s14, s14, (.LBB2_14231-.Lpost_getpc35787)&4294967295
	s_addc_u32 s15, s15, (.LBB2_14231-.Lpost_getpc35787)>>32
	s_setpc_b64 s[14:15]
.LBB2_35787:
	s_getpc_b64 s[14:15]
.Lpost_getpc21477:
	s_add_u32 s14, s14, (.LBB2_14232-.Lpost_getpc21477)&4294967295
	s_addc_u32 s15, s15, (.LBB2_14232-.Lpost_getpc21477)>>32
	s_setpc_b64 s[14:15]
.LBB2_28569:
	s_movk_i32 s4, 0x80
	v_cmp_eq_u16_sdwa s[12:13], v4, s4 src0_sel:BYTE_3 src1_sel:DWORD
	s_mov_b64 s[4:5], -1
                                        ; implicit-def: $sgpr10
	s_and_saveexec_b64 s[8:9], s[12:13]
; %bb.28570:
	s_mov_b32 s10, 0x7f800001
	s_xor_b64 s[4:5], exec, -1
; %bb.28571:
	s_or_b64 exec, exec, s[8:9]
	s_and_b64 s[4:5], s[4:5], exec
	s_or_saveexec_b64 s[6:7], s[6:7]
	v_mov_b32_e32 v10, s10
	s_xor_b64 exec, exec, s[6:7]
	s_cbranch_execnz .LBB2_28572
; %bb.64409:
	s_getpc_b64 s[14:15]
.Lpost_getpc35788:
	s_add_u32 s14, s14, (.LBB2_14234-.Lpost_getpc35788)&4294967295
	s_addc_u32 s15, s15, (.LBB2_14234-.Lpost_getpc35788)>>32
	s_setpc_b64 s[14:15]
.LBB2_28572:
	v_mov_b32_e32 v10, 0
	v_cmp_ne_u16_sdwa s[8:9], v4, v10 src0_sel:BYTE_3 src1_sel:DWORD
	s_andn2_b64 s[4:5], s[4:5], exec
	s_and_b64 s[8:9], s[8:9], exec
	s_or_b64 s[4:5], s[4:5], s[8:9]
	s_or_b64 exec, exec, s[6:7]
	s_and_saveexec_b64 s[6:7], s[4:5]
	s_cbranch_execz .LBB2_35789
; %bb.64411:
	s_getpc_b64 s[14:15]
.Lpost_getpc35789:
	s_add_u32 s14, s14, (.LBB2_14235-.Lpost_getpc35789)&4294967295
	s_addc_u32 s15, s15, (.LBB2_14235-.Lpost_getpc35789)>>32
	s_setpc_b64 s[14:15]
.LBB2_35789:
	s_getpc_b64 s[14:15]
.Lpost_getpc21478:
	s_add_u32 s14, s14, (.LBB2_14236-.Lpost_getpc21478)&4294967295
	s_addc_u32 s15, s15, (.LBB2_14236-.Lpost_getpc21478)>>32
	s_setpc_b64 s[14:15]
.LBB2_28573:
	s_movk_i32 s4, 0x80
	v_cmp_eq_u16_sdwa s[12:13], v0, s4 src0_sel:BYTE_3 src1_sel:DWORD
	s_mov_b64 s[4:5], -1
                                        ; implicit-def: $sgpr10
	s_and_saveexec_b64 s[8:9], s[12:13]
; %bb.28574:
	s_mov_b32 s10, 0x7f800001
	s_xor_b64 s[4:5], exec, -1
; %bb.28575:
	s_or_b64 exec, exec, s[8:9]
	s_and_b64 s[4:5], s[4:5], exec
	s_or_saveexec_b64 s[6:7], s[6:7]
	v_mov_b32_e32 v4, s10
	s_xor_b64 exec, exec, s[6:7]
	s_cbranch_execnz .LBB2_28576
; %bb.64413:
	s_getpc_b64 s[14:15]
.Lpost_getpc35790:
	s_add_u32 s14, s14, (.LBB2_14238-.Lpost_getpc35790)&4294967295
	s_addc_u32 s15, s15, (.LBB2_14238-.Lpost_getpc35790)>>32
	s_setpc_b64 s[14:15]
.LBB2_28576:
	v_mov_b32_e32 v4, 0
	v_cmp_ne_u16_sdwa s[8:9], v0, v4 src0_sel:BYTE_3 src1_sel:DWORD
	s_andn2_b64 s[4:5], s[4:5], exec
	s_and_b64 s[8:9], s[8:9], exec
	s_or_b64 s[4:5], s[4:5], s[8:9]
	s_or_b64 exec, exec, s[6:7]
	s_and_saveexec_b64 s[6:7], s[4:5]
	s_cbranch_execz .LBB2_35791
; %bb.64415:
	s_getpc_b64 s[14:15]
.Lpost_getpc35791:
	s_add_u32 s14, s14, (.LBB2_14239-.Lpost_getpc35791)&4294967295
	s_addc_u32 s15, s15, (.LBB2_14239-.Lpost_getpc35791)>>32
	s_setpc_b64 s[14:15]
.LBB2_35791:
	s_getpc_b64 s[14:15]
.Lpost_getpc21479:
	s_add_u32 s14, s14, (.LBB2_14240-.Lpost_getpc21479)&4294967295
	s_addc_u32 s15, s15, (.LBB2_14240-.Lpost_getpc21479)>>32
	s_setpc_b64 s[14:15]
.LBB2_28577:
	s_movk_i32 s4, 0x80
	v_cmp_eq_u16_sdwa s[12:13], v5, s4 src0_sel:BYTE_0 src1_sel:DWORD
	s_mov_b64 s[4:5], -1
                                        ; implicit-def: $sgpr10
	s_and_saveexec_b64 s[8:9], s[12:13]
; %bb.28578:
	s_mov_b32 s10, 0x7f800001
	s_xor_b64 s[4:5], exec, -1
; %bb.28579:
	s_or_b64 exec, exec, s[8:9]
	s_and_b64 s[4:5], s[4:5], exec
	s_or_saveexec_b64 s[6:7], s[6:7]
	v_mov_b32_e32 v0, s10
	s_xor_b64 exec, exec, s[6:7]
	s_cbranch_execnz .LBB2_28580
; %bb.64417:
	s_getpc_b64 s[14:15]
.Lpost_getpc35792:
	s_add_u32 s14, s14, (.LBB2_14242-.Lpost_getpc35792)&4294967295
	s_addc_u32 s15, s15, (.LBB2_14242-.Lpost_getpc35792)>>32
	s_setpc_b64 s[14:15]
.LBB2_28580:
	v_mov_b32_e32 v0, 0
	v_cmp_ne_u16_sdwa s[8:9], v5, v0 src0_sel:BYTE_0 src1_sel:DWORD
	s_andn2_b64 s[4:5], s[4:5], exec
	s_and_b64 s[8:9], s[8:9], exec
	s_or_b64 s[4:5], s[4:5], s[8:9]
	s_or_b64 exec, exec, s[6:7]
	s_and_saveexec_b64 s[6:7], s[4:5]
	s_cbranch_execz .LBB2_35793
; %bb.64419:
	s_getpc_b64 s[14:15]
.Lpost_getpc35793:
	s_add_u32 s14, s14, (.LBB2_14243-.Lpost_getpc35793)&4294967295
	s_addc_u32 s15, s15, (.LBB2_14243-.Lpost_getpc35793)>>32
	s_setpc_b64 s[14:15]
.LBB2_35793:
	s_getpc_b64 s[14:15]
.Lpost_getpc21480:
	s_add_u32 s14, s14, (.LBB2_14244-.Lpost_getpc21480)&4294967295
	s_addc_u32 s15, s15, (.LBB2_14244-.Lpost_getpc21480)>>32
	s_setpc_b64 s[14:15]
.LBB2_28581:
	s_movk_i32 s4, 0x80
	v_cmp_eq_u16_sdwa s[12:13], v1, s4 src0_sel:BYTE_0 src1_sel:DWORD
	s_mov_b64 s[4:5], -1
                                        ; implicit-def: $sgpr10
	s_and_saveexec_b64 s[8:9], s[12:13]
; %bb.28582:
	s_mov_b32 s10, 0x7f800001
	s_xor_b64 s[4:5], exec, -1
; %bb.28583:
	s_or_b64 exec, exec, s[8:9]
	s_and_b64 s[4:5], s[4:5], exec
	s_or_saveexec_b64 s[6:7], s[6:7]
	v_mov_b32_e32 v4, s10
	s_xor_b64 exec, exec, s[6:7]
	s_cbranch_execnz .LBB2_28584
; %bb.64421:
	s_getpc_b64 s[14:15]
.Lpost_getpc35794:
	s_add_u32 s14, s14, (.LBB2_14246-.Lpost_getpc35794)&4294967295
	s_addc_u32 s15, s15, (.LBB2_14246-.Lpost_getpc35794)>>32
	s_setpc_b64 s[14:15]
.LBB2_28584:
	v_mov_b32_e32 v4, 0
	v_cmp_ne_u16_sdwa s[8:9], v1, v4 src0_sel:BYTE_0 src1_sel:DWORD
	s_andn2_b64 s[4:5], s[4:5], exec
	s_and_b64 s[8:9], s[8:9], exec
	s_or_b64 s[4:5], s[4:5], s[8:9]
	s_or_b64 exec, exec, s[6:7]
	s_and_saveexec_b64 s[6:7], s[4:5]
	s_cbranch_execz .LBB2_35795
; %bb.64423:
	s_getpc_b64 s[14:15]
.Lpost_getpc35795:
	s_add_u32 s14, s14, (.LBB2_14247-.Lpost_getpc35795)&4294967295
	s_addc_u32 s15, s15, (.LBB2_14247-.Lpost_getpc35795)>>32
	s_setpc_b64 s[14:15]
.LBB2_35795:
	s_getpc_b64 s[14:15]
.Lpost_getpc21481:
	s_add_u32 s14, s14, (.LBB2_14248-.Lpost_getpc21481)&4294967295
	s_addc_u32 s15, s15, (.LBB2_14248-.Lpost_getpc21481)>>32
	s_setpc_b64 s[14:15]
.LBB2_28585:
	s_movk_i32 s4, 0x80
	v_cmp_eq_u16_sdwa s[12:13], v4, s4 src0_sel:BYTE_0 src1_sel:DWORD
	s_mov_b64 s[4:5], -1
                                        ; implicit-def: $sgpr10
	s_and_saveexec_b64 s[8:9], s[12:13]
; %bb.28586:
	s_mov_b32 s10, 0x7f800001
	s_xor_b64 s[4:5], exec, -1
; %bb.28587:
	s_or_b64 exec, exec, s[8:9]
	s_and_b64 s[4:5], s[4:5], exec
	s_or_saveexec_b64 s[6:7], s[6:7]
	v_mov_b32_e32 v0, s10
	s_xor_b64 exec, exec, s[6:7]
	s_cbranch_execnz .LBB2_28588
; %bb.64425:
	s_getpc_b64 s[14:15]
.Lpost_getpc35796:
	s_add_u32 s14, s14, (.LBB2_14250-.Lpost_getpc35796)&4294967295
	s_addc_u32 s15, s15, (.LBB2_14250-.Lpost_getpc35796)>>32
	s_setpc_b64 s[14:15]
.LBB2_28588:
	v_mov_b32_e32 v0, 0
	v_cmp_ne_u16_sdwa s[8:9], v4, v0 src0_sel:BYTE_0 src1_sel:DWORD
	s_andn2_b64 s[4:5], s[4:5], exec
	s_and_b64 s[8:9], s[8:9], exec
	s_or_b64 s[4:5], s[4:5], s[8:9]
	s_or_b64 exec, exec, s[6:7]
	s_and_saveexec_b64 s[6:7], s[4:5]
	s_cbranch_execz .LBB2_35797
; %bb.64427:
	s_getpc_b64 s[14:15]
.Lpost_getpc35797:
	s_add_u32 s14, s14, (.LBB2_14251-.Lpost_getpc35797)&4294967295
	s_addc_u32 s15, s15, (.LBB2_14251-.Lpost_getpc35797)>>32
	s_setpc_b64 s[14:15]
.LBB2_35797:
	s_getpc_b64 s[14:15]
.Lpost_getpc21482:
	s_add_u32 s14, s14, (.LBB2_14252-.Lpost_getpc21482)&4294967295
	s_addc_u32 s15, s15, (.LBB2_14252-.Lpost_getpc21482)>>32
	s_setpc_b64 s[14:15]
.LBB2_28589:
	s_movk_i32 s4, 0x80
	v_cmp_eq_u16_sdwa s[12:13], v4, s4 src0_sel:BYTE_0 src1_sel:DWORD
	s_mov_b64 s[4:5], -1
                                        ; implicit-def: $sgpr10
	s_and_saveexec_b64 s[8:9], s[12:13]
; %bb.28590:
	s_mov_b32 s10, 0x7f800001
	s_xor_b64 s[4:5], exec, -1
; %bb.28591:
	s_or_b64 exec, exec, s[8:9]
	s_and_b64 s[4:5], s[4:5], exec
	s_or_saveexec_b64 s[6:7], s[6:7]
	v_mov_b32_e32 v10, s10
	s_xor_b64 exec, exec, s[6:7]
	s_cbranch_execnz .LBB2_28592
; %bb.64429:
	s_getpc_b64 s[14:15]
.Lpost_getpc35798:
	s_add_u32 s14, s14, (.LBB2_14254-.Lpost_getpc35798)&4294967295
	s_addc_u32 s15, s15, (.LBB2_14254-.Lpost_getpc35798)>>32
	s_setpc_b64 s[14:15]
.LBB2_28592:
	v_mov_b32_e32 v10, 0
	v_cmp_ne_u16_sdwa s[8:9], v4, v10 src0_sel:BYTE_0 src1_sel:DWORD
	s_andn2_b64 s[4:5], s[4:5], exec
	s_and_b64 s[8:9], s[8:9], exec
	s_or_b64 s[4:5], s[4:5], s[8:9]
	s_or_b64 exec, exec, s[6:7]
	s_and_saveexec_b64 s[6:7], s[4:5]
	s_cbranch_execz .LBB2_35799
; %bb.64431:
	s_getpc_b64 s[14:15]
.Lpost_getpc35799:
	s_add_u32 s14, s14, (.LBB2_14255-.Lpost_getpc35799)&4294967295
	s_addc_u32 s15, s15, (.LBB2_14255-.Lpost_getpc35799)>>32
	s_setpc_b64 s[14:15]
.LBB2_35799:
	s_getpc_b64 s[14:15]
.Lpost_getpc21483:
	s_add_u32 s14, s14, (.LBB2_14256-.Lpost_getpc21483)&4294967295
	s_addc_u32 s15, s15, (.LBB2_14256-.Lpost_getpc21483)>>32
	s_setpc_b64 s[14:15]
.LBB2_28593:
	s_movk_i32 s4, 0x80
	v_cmp_eq_u16_e32 vcc, s4, v4
	s_mov_b64 s[4:5], -1
                                        ; implicit-def: $sgpr10
	s_and_saveexec_b64 s[8:9], vcc
; %bb.28594:
	s_mov_b32 s10, 0x7f800001
	s_xor_b64 s[4:5], exec, -1
; %bb.28595:
	s_or_b64 exec, exec, s[8:9]
	s_and_b64 s[4:5], s[4:5], exec
                                        ; implicit-def: $vgpr4
	s_or_saveexec_b64 s[6:7], s[6:7]
	v_mov_b32_e32 v0, s10
	s_xor_b64 exec, exec, s[6:7]
	s_cbranch_execnz .LBB2_28596
; %bb.64433:
	s_getpc_b64 s[14:15]
.Lpost_getpc35800:
	s_add_u32 s14, s14, (.LBB2_14258-.Lpost_getpc35800)&4294967295
	s_addc_u32 s15, s15, (.LBB2_14258-.Lpost_getpc35800)>>32
	s_setpc_b64 s[14:15]
.LBB2_28596:
	v_cmp_ne_u16_e32 vcc, 0, v4
	s_andn2_b64 s[4:5], s[4:5], exec
	s_and_b64 s[8:9], vcc, exec
	v_mov_b32_e32 v0, 0
	s_or_b64 s[4:5], s[4:5], s[8:9]
	s_or_b64 exec, exec, s[6:7]
	s_and_saveexec_b64 s[6:7], s[4:5]
	s_cbranch_execz .LBB2_35801
; %bb.64435:
	s_getpc_b64 s[14:15]
.Lpost_getpc35801:
	s_add_u32 s14, s14, (.LBB2_14259-.Lpost_getpc35801)&4294967295
	s_addc_u32 s15, s15, (.LBB2_14259-.Lpost_getpc35801)>>32
	s_setpc_b64 s[14:15]
.LBB2_35801:
	s_getpc_b64 s[14:15]
.Lpost_getpc21484:
	s_add_u32 s14, s14, (.LBB2_14260-.Lpost_getpc21484)&4294967295
	s_addc_u32 s15, s15, (.LBB2_14260-.Lpost_getpc21484)>>32
	s_setpc_b64 s[14:15]
.LBB2_28597:
	s_movk_i32 s4, 0x80
	v_cmp_eq_u16_e32 vcc, s4, v4
	s_mov_b64 s[4:5], -1
                                        ; implicit-def: $sgpr10
	s_and_saveexec_b64 s[8:9], vcc
; %bb.28598:
	s_mov_b32 s10, 0x7f800001
	s_xor_b64 s[4:5], exec, -1
; %bb.28599:
	s_or_b64 exec, exec, s[8:9]
	s_and_b64 s[4:5], s[4:5], exec
                                        ; implicit-def: $vgpr4
	s_or_saveexec_b64 s[6:7], s[6:7]
	v_mov_b32_e32 v10, s10
	s_xor_b64 exec, exec, s[6:7]
	s_cbranch_execnz .LBB2_28600
; %bb.64437:
	s_getpc_b64 s[14:15]
.Lpost_getpc35802:
	s_add_u32 s14, s14, (.LBB2_14262-.Lpost_getpc35802)&4294967295
	s_addc_u32 s15, s15, (.LBB2_14262-.Lpost_getpc35802)>>32
	s_setpc_b64 s[14:15]
.LBB2_28600:
	v_cmp_ne_u16_e32 vcc, 0, v4
	s_andn2_b64 s[4:5], s[4:5], exec
	s_and_b64 s[8:9], vcc, exec
	v_mov_b32_e32 v10, 0
	s_or_b64 s[4:5], s[4:5], s[8:9]
	s_or_b64 exec, exec, s[6:7]
	s_and_saveexec_b64 s[6:7], s[4:5]
	s_cbranch_execz .LBB2_35803
; %bb.64439:
	s_getpc_b64 s[14:15]
.Lpost_getpc35803:
	s_add_u32 s14, s14, (.LBB2_14263-.Lpost_getpc35803)&4294967295
	s_addc_u32 s15, s15, (.LBB2_14263-.Lpost_getpc35803)>>32
	s_setpc_b64 s[14:15]
.LBB2_35803:
	s_getpc_b64 s[14:15]
.Lpost_getpc21485:
	s_add_u32 s14, s14, (.LBB2_14264-.Lpost_getpc21485)&4294967295
	s_addc_u32 s15, s15, (.LBB2_14264-.Lpost_getpc21485)>>32
	s_setpc_b64 s[14:15]
.LBB2_28601:
	s_movk_i32 s4, 0x80
	v_cmp_eq_u16_sdwa s[12:13], v5, s4 src0_sel:BYTE_3 src1_sel:DWORD
	s_mov_b64 s[4:5], -1
                                        ; implicit-def: $sgpr10
	s_and_saveexec_b64 s[8:9], s[12:13]
; %bb.28602:
	s_mov_b32 s10, 0x7f800001
	s_xor_b64 s[4:5], exec, -1
; %bb.28603:
	s_or_b64 exec, exec, s[8:9]
	s_and_b64 s[4:5], s[4:5], exec
	s_or_saveexec_b64 s[6:7], s[6:7]
	v_mov_b32_e32 v0, s10
	s_xor_b64 exec, exec, s[6:7]
	s_cbranch_execnz .LBB2_28604
; %bb.64441:
	s_getpc_b64 s[14:15]
.Lpost_getpc35804:
	s_add_u32 s14, s14, (.LBB2_14266-.Lpost_getpc35804)&4294967295
	s_addc_u32 s15, s15, (.LBB2_14266-.Lpost_getpc35804)>>32
	s_setpc_b64 s[14:15]
.LBB2_28604:
	v_mov_b32_e32 v0, 0
	v_cmp_ne_u16_sdwa s[8:9], v5, v0 src0_sel:BYTE_3 src1_sel:DWORD
	s_andn2_b64 s[4:5], s[4:5], exec
	s_and_b64 s[8:9], s[8:9], exec
	s_or_b64 s[4:5], s[4:5], s[8:9]
	s_or_b64 exec, exec, s[6:7]
	s_and_saveexec_b64 s[6:7], s[4:5]
	s_cbranch_execz .LBB2_35805
; %bb.64443:
	s_getpc_b64 s[14:15]
.Lpost_getpc35805:
	s_add_u32 s14, s14, (.LBB2_14267-.Lpost_getpc35805)&4294967295
	s_addc_u32 s15, s15, (.LBB2_14267-.Lpost_getpc35805)>>32
	s_setpc_b64 s[14:15]
.LBB2_35805:
	s_getpc_b64 s[14:15]
.Lpost_getpc21486:
	s_add_u32 s14, s14, (.LBB2_14268-.Lpost_getpc21486)&4294967295
	s_addc_u32 s15, s15, (.LBB2_14268-.Lpost_getpc21486)>>32
	s_setpc_b64 s[14:15]
.LBB2_28605:
	s_movk_i32 s4, 0x80
	v_cmp_eq_u16_sdwa s[12:13], v1, s4 src0_sel:BYTE_3 src1_sel:DWORD
	s_mov_b64 s[4:5], -1
                                        ; implicit-def: $sgpr10
	s_and_saveexec_b64 s[8:9], s[12:13]
; %bb.28606:
	s_mov_b32 s10, 0x7f800001
	s_xor_b64 s[4:5], exec, -1
; %bb.28607:
	s_or_b64 exec, exec, s[8:9]
	s_and_b64 s[4:5], s[4:5], exec
	s_or_saveexec_b64 s[6:7], s[6:7]
	v_mov_b32_e32 v4, s10
	s_xor_b64 exec, exec, s[6:7]
	s_cbranch_execnz .LBB2_28608
; %bb.64445:
	s_getpc_b64 s[14:15]
.Lpost_getpc35806:
	s_add_u32 s14, s14, (.LBB2_14270-.Lpost_getpc35806)&4294967295
	s_addc_u32 s15, s15, (.LBB2_14270-.Lpost_getpc35806)>>32
	s_setpc_b64 s[14:15]
.LBB2_28608:
	v_mov_b32_e32 v4, 0
	v_cmp_ne_u16_sdwa s[8:9], v1, v4 src0_sel:BYTE_3 src1_sel:DWORD
	s_andn2_b64 s[4:5], s[4:5], exec
	s_and_b64 s[8:9], s[8:9], exec
	s_or_b64 s[4:5], s[4:5], s[8:9]
	s_or_b64 exec, exec, s[6:7]
	s_and_saveexec_b64 s[6:7], s[4:5]
	s_cbranch_execz .LBB2_35807
; %bb.64447:
	s_getpc_b64 s[14:15]
.Lpost_getpc35807:
	s_add_u32 s14, s14, (.LBB2_14271-.Lpost_getpc35807)&4294967295
	s_addc_u32 s15, s15, (.LBB2_14271-.Lpost_getpc35807)>>32
	s_setpc_b64 s[14:15]
.LBB2_35807:
	s_getpc_b64 s[14:15]
.Lpost_getpc21487:
	s_add_u32 s14, s14, (.LBB2_14272-.Lpost_getpc21487)&4294967295
	s_addc_u32 s15, s15, (.LBB2_14272-.Lpost_getpc21487)>>32
	s_setpc_b64 s[14:15]
.LBB2_28609:
	s_movk_i32 s4, 0x80
	v_cmp_eq_u16_sdwa s[12:13], v6, s4 src0_sel:BYTE_0 src1_sel:DWORD
	s_mov_b64 s[4:5], -1
                                        ; implicit-def: $sgpr10
	s_and_saveexec_b64 s[8:9], s[12:13]
; %bb.28610:
	s_mov_b32 s10, 0x7f800001
	s_xor_b64 s[4:5], exec, -1
; %bb.28611:
	s_or_b64 exec, exec, s[8:9]
	s_and_b64 s[4:5], s[4:5], exec
	s_or_saveexec_b64 s[6:7], s[6:7]
	v_mov_b32_e32 v0, s10
	s_xor_b64 exec, exec, s[6:7]
	s_cbranch_execnz .LBB2_28612
; %bb.64449:
	s_getpc_b64 s[14:15]
.Lpost_getpc35808:
	s_add_u32 s14, s14, (.LBB2_14274-.Lpost_getpc35808)&4294967295
	s_addc_u32 s15, s15, (.LBB2_14274-.Lpost_getpc35808)>>32
	s_setpc_b64 s[14:15]
.LBB2_28612:
	v_mov_b32_e32 v0, 0
	v_cmp_ne_u16_sdwa s[8:9], v6, v0 src0_sel:BYTE_0 src1_sel:DWORD
	s_andn2_b64 s[4:5], s[4:5], exec
	s_and_b64 s[8:9], s[8:9], exec
	s_or_b64 s[4:5], s[4:5], s[8:9]
	s_or_b64 exec, exec, s[6:7]
	s_and_saveexec_b64 s[6:7], s[4:5]
	s_cbranch_execz .LBB2_35809
; %bb.64451:
	s_getpc_b64 s[14:15]
.Lpost_getpc35809:
	s_add_u32 s14, s14, (.LBB2_14275-.Lpost_getpc35809)&4294967295
	s_addc_u32 s15, s15, (.LBB2_14275-.Lpost_getpc35809)>>32
	s_setpc_b64 s[14:15]
.LBB2_35809:
	s_getpc_b64 s[14:15]
.Lpost_getpc21488:
	s_add_u32 s14, s14, (.LBB2_14276-.Lpost_getpc21488)&4294967295
	s_addc_u32 s15, s15, (.LBB2_14276-.Lpost_getpc21488)>>32
	s_setpc_b64 s[14:15]
.LBB2_28613:
	s_movk_i32 s4, 0x80
	v_cmp_eq_u16_sdwa s[12:13], v2, s4 src0_sel:BYTE_0 src1_sel:DWORD
	s_mov_b64 s[4:5], -1
                                        ; implicit-def: $sgpr10
	s_and_saveexec_b64 s[8:9], s[12:13]
; %bb.28614:
	s_mov_b32 s10, 0x7f800001
	s_xor_b64 s[4:5], exec, -1
; %bb.28615:
	s_or_b64 exec, exec, s[8:9]
	s_and_b64 s[4:5], s[4:5], exec
	s_or_saveexec_b64 s[6:7], s[6:7]
	v_mov_b32_e32 v1, s10
	s_xor_b64 exec, exec, s[6:7]
	s_cbranch_execnz .LBB2_28616
; %bb.64453:
	s_getpc_b64 s[14:15]
.Lpost_getpc35810:
	s_add_u32 s14, s14, (.LBB2_14278-.Lpost_getpc35810)&4294967295
	s_addc_u32 s15, s15, (.LBB2_14278-.Lpost_getpc35810)>>32
	s_setpc_b64 s[14:15]
.LBB2_28616:
	v_mov_b32_e32 v1, 0
	v_cmp_ne_u16_sdwa s[8:9], v2, v1 src0_sel:BYTE_0 src1_sel:DWORD
	s_andn2_b64 s[4:5], s[4:5], exec
	s_and_b64 s[8:9], s[8:9], exec
	s_or_b64 s[4:5], s[4:5], s[8:9]
	s_or_b64 exec, exec, s[6:7]
	s_and_saveexec_b64 s[6:7], s[4:5]
	s_cbranch_execz .LBB2_35811
; %bb.64455:
	s_getpc_b64 s[14:15]
.Lpost_getpc35811:
	s_add_u32 s14, s14, (.LBB2_14279-.Lpost_getpc35811)&4294967295
	s_addc_u32 s15, s15, (.LBB2_14279-.Lpost_getpc35811)>>32
	s_setpc_b64 s[14:15]
.LBB2_35811:
	s_getpc_b64 s[14:15]
.Lpost_getpc21489:
	s_add_u32 s14, s14, (.LBB2_14280-.Lpost_getpc21489)&4294967295
	s_addc_u32 s15, s15, (.LBB2_14280-.Lpost_getpc21489)>>32
	s_setpc_b64 s[14:15]
.LBB2_28617:
	s_movk_i32 s4, 0x80
	v_cmp_eq_u16_sdwa s[12:13], v1, s4 src0_sel:BYTE_0 src1_sel:DWORD
	s_mov_b64 s[4:5], -1
                                        ; implicit-def: $sgpr10
	s_and_saveexec_b64 s[8:9], s[12:13]
; %bb.28618:
	s_mov_b32 s10, 0x7f800001
	s_xor_b64 s[4:5], exec, -1
; %bb.28619:
	s_or_b64 exec, exec, s[8:9]
	s_and_b64 s[4:5], s[4:5], exec
	s_or_saveexec_b64 s[6:7], s[6:7]
	v_mov_b32_e32 v0, s10
	s_xor_b64 exec, exec, s[6:7]
	s_cbranch_execnz .LBB2_28620
; %bb.64457:
	s_getpc_b64 s[14:15]
.Lpost_getpc35812:
	s_add_u32 s14, s14, (.LBB2_14282-.Lpost_getpc35812)&4294967295
	s_addc_u32 s15, s15, (.LBB2_14282-.Lpost_getpc35812)>>32
	s_setpc_b64 s[14:15]
.LBB2_28620:
	v_mov_b32_e32 v0, 0
	v_cmp_ne_u16_sdwa s[8:9], v1, v0 src0_sel:BYTE_0 src1_sel:DWORD
	s_andn2_b64 s[4:5], s[4:5], exec
	s_and_b64 s[8:9], s[8:9], exec
	s_or_b64 s[4:5], s[4:5], s[8:9]
	s_or_b64 exec, exec, s[6:7]
	s_and_saveexec_b64 s[6:7], s[4:5]
	s_cbranch_execz .LBB2_35813
; %bb.64459:
	s_getpc_b64 s[14:15]
.Lpost_getpc35813:
	s_add_u32 s14, s14, (.LBB2_14283-.Lpost_getpc35813)&4294967295
	s_addc_u32 s15, s15, (.LBB2_14283-.Lpost_getpc35813)>>32
	s_setpc_b64 s[14:15]
.LBB2_35813:
	s_getpc_b64 s[14:15]
.Lpost_getpc21490:
	s_add_u32 s14, s14, (.LBB2_14284-.Lpost_getpc21490)&4294967295
	s_addc_u32 s15, s15, (.LBB2_14284-.Lpost_getpc21490)>>32
	s_setpc_b64 s[14:15]
.LBB2_28621:
	s_movk_i32 s4, 0x80
	v_cmp_eq_u16_sdwa s[12:13], v1, s4 src0_sel:BYTE_0 src1_sel:DWORD
	s_mov_b64 s[4:5], -1
                                        ; implicit-def: $sgpr10
	s_and_saveexec_b64 s[8:9], s[12:13]
; %bb.28622:
	s_mov_b32 s10, 0x7f800001
	s_xor_b64 s[4:5], exec, -1
; %bb.28623:
	s_or_b64 exec, exec, s[8:9]
	s_and_b64 s[4:5], s[4:5], exec
	s_or_saveexec_b64 s[6:7], s[6:7]
	v_mov_b32_e32 v4, s10
	s_xor_b64 exec, exec, s[6:7]
	s_cbranch_execnz .LBB2_28624
; %bb.64461:
	s_getpc_b64 s[14:15]
.Lpost_getpc35814:
	s_add_u32 s14, s14, (.LBB2_14286-.Lpost_getpc35814)&4294967295
	s_addc_u32 s15, s15, (.LBB2_14286-.Lpost_getpc35814)>>32
	s_setpc_b64 s[14:15]
.LBB2_28624:
	v_mov_b32_e32 v4, 0
	v_cmp_ne_u16_sdwa s[8:9], v1, v4 src0_sel:BYTE_0 src1_sel:DWORD
	s_andn2_b64 s[4:5], s[4:5], exec
	s_and_b64 s[8:9], s[8:9], exec
	s_or_b64 s[4:5], s[4:5], s[8:9]
	s_or_b64 exec, exec, s[6:7]
	s_and_saveexec_b64 s[6:7], s[4:5]
	s_cbranch_execz .LBB2_35815
; %bb.64463:
	s_getpc_b64 s[14:15]
.Lpost_getpc35815:
	s_add_u32 s14, s14, (.LBB2_14287-.Lpost_getpc35815)&4294967295
	s_addc_u32 s15, s15, (.LBB2_14287-.Lpost_getpc35815)>>32
	s_setpc_b64 s[14:15]
.LBB2_35815:
	s_getpc_b64 s[14:15]
.Lpost_getpc21491:
	s_add_u32 s14, s14, (.LBB2_14288-.Lpost_getpc21491)&4294967295
	s_addc_u32 s15, s15, (.LBB2_14288-.Lpost_getpc21491)>>32
	s_setpc_b64 s[14:15]
.LBB2_28625:
	s_movk_i32 s4, 0x80
	v_cmp_eq_u16_e32 vcc, s4, v1
	s_mov_b64 s[4:5], -1
                                        ; implicit-def: $sgpr10
	s_and_saveexec_b64 s[8:9], vcc
; %bb.28626:
	s_mov_b32 s10, 0x7f800001
	s_xor_b64 s[4:5], exec, -1
; %bb.28627:
	s_or_b64 exec, exec, s[8:9]
	s_and_b64 s[4:5], s[4:5], exec
                                        ; implicit-def: $vgpr1
	s_or_saveexec_b64 s[6:7], s[6:7]
	v_mov_b32_e32 v0, s10
	s_xor_b64 exec, exec, s[6:7]
	s_cbranch_execnz .LBB2_28628
; %bb.64465:
	s_getpc_b64 s[14:15]
.Lpost_getpc35816:
	s_add_u32 s14, s14, (.LBB2_14290-.Lpost_getpc35816)&4294967295
	s_addc_u32 s15, s15, (.LBB2_14290-.Lpost_getpc35816)>>32
	s_setpc_b64 s[14:15]
.LBB2_28628:
	v_cmp_ne_u16_e32 vcc, 0, v1
	s_andn2_b64 s[4:5], s[4:5], exec
	s_and_b64 s[8:9], vcc, exec
	v_mov_b32_e32 v0, 0
	s_or_b64 s[4:5], s[4:5], s[8:9]
	s_or_b64 exec, exec, s[6:7]
	s_and_saveexec_b64 s[6:7], s[4:5]
	s_cbranch_execz .LBB2_35817
; %bb.64467:
	s_getpc_b64 s[14:15]
.Lpost_getpc35817:
	s_add_u32 s14, s14, (.LBB2_14291-.Lpost_getpc35817)&4294967295
	s_addc_u32 s15, s15, (.LBB2_14291-.Lpost_getpc35817)>>32
	s_setpc_b64 s[14:15]
.LBB2_35817:
	s_getpc_b64 s[14:15]
.Lpost_getpc21492:
	s_add_u32 s14, s14, (.LBB2_14292-.Lpost_getpc21492)&4294967295
	s_addc_u32 s15, s15, (.LBB2_14292-.Lpost_getpc21492)>>32
	s_setpc_b64 s[14:15]
.LBB2_28629:
	s_movk_i32 s4, 0x80
	v_cmp_eq_u16_e32 vcc, s4, v1
	s_mov_b64 s[4:5], -1
                                        ; implicit-def: $sgpr10
	s_and_saveexec_b64 s[8:9], vcc
; %bb.28630:
	s_mov_b32 s10, 0x7f800001
	s_xor_b64 s[4:5], exec, -1
; %bb.28631:
	s_or_b64 exec, exec, s[8:9]
	s_and_b64 s[4:5], s[4:5], exec
                                        ; implicit-def: $vgpr1
	s_or_saveexec_b64 s[6:7], s[6:7]
	v_mov_b32_e32 v4, s10
	s_xor_b64 exec, exec, s[6:7]
	s_cbranch_execnz .LBB2_28632
; %bb.64469:
	s_getpc_b64 s[14:15]
.Lpost_getpc35818:
	s_add_u32 s14, s14, (.LBB2_14294-.Lpost_getpc35818)&4294967295
	s_addc_u32 s15, s15, (.LBB2_14294-.Lpost_getpc35818)>>32
	s_setpc_b64 s[14:15]
.LBB2_28632:
	v_cmp_ne_u16_e32 vcc, 0, v1
	s_andn2_b64 s[4:5], s[4:5], exec
	s_and_b64 s[8:9], vcc, exec
	v_mov_b32_e32 v4, 0
	s_or_b64 s[4:5], s[4:5], s[8:9]
	s_or_b64 exec, exec, s[6:7]
	s_and_saveexec_b64 s[6:7], s[4:5]
	s_cbranch_execz .LBB2_35819
; %bb.64471:
	s_getpc_b64 s[14:15]
.Lpost_getpc35819:
	s_add_u32 s14, s14, (.LBB2_14295-.Lpost_getpc35819)&4294967295
	s_addc_u32 s15, s15, (.LBB2_14295-.Lpost_getpc35819)>>32
	s_setpc_b64 s[14:15]
.LBB2_35819:
	s_getpc_b64 s[14:15]
.Lpost_getpc21493:
	s_add_u32 s14, s14, (.LBB2_14296-.Lpost_getpc21493)&4294967295
	s_addc_u32 s15, s15, (.LBB2_14296-.Lpost_getpc21493)>>32
	s_setpc_b64 s[14:15]
.LBB2_28633:
	s_movk_i32 s4, 0x80
	v_cmp_eq_u16_sdwa s[12:13], v6, s4 src0_sel:BYTE_3 src1_sel:DWORD
	s_mov_b64 s[4:5], -1
                                        ; implicit-def: $sgpr10
	s_and_saveexec_b64 s[8:9], s[12:13]
; %bb.28634:
	s_mov_b32 s10, 0x7f800001
	s_xor_b64 s[4:5], exec, -1
; %bb.28635:
	s_or_b64 exec, exec, s[8:9]
	s_and_b64 s[4:5], s[4:5], exec
	s_or_saveexec_b64 s[6:7], s[6:7]
	v_mov_b32_e32 v0, s10
	s_xor_b64 exec, exec, s[6:7]
	s_cbranch_execnz .LBB2_28636
; %bb.64473:
	s_getpc_b64 s[14:15]
.Lpost_getpc35820:
	s_add_u32 s14, s14, (.LBB2_14298-.Lpost_getpc35820)&4294967295
	s_addc_u32 s15, s15, (.LBB2_14298-.Lpost_getpc35820)>>32
	s_setpc_b64 s[14:15]
.LBB2_28636:
	v_mov_b32_e32 v0, 0
	v_cmp_ne_u16_sdwa s[8:9], v6, v0 src0_sel:BYTE_3 src1_sel:DWORD
	s_andn2_b64 s[4:5], s[4:5], exec
	s_and_b64 s[8:9], s[8:9], exec
	s_or_b64 s[4:5], s[4:5], s[8:9]
	s_or_b64 exec, exec, s[6:7]
	s_and_saveexec_b64 s[6:7], s[4:5]
	s_cbranch_execz .LBB2_35821
; %bb.64475:
	s_getpc_b64 s[14:15]
.Lpost_getpc35821:
	s_add_u32 s14, s14, (.LBB2_14299-.Lpost_getpc35821)&4294967295
	s_addc_u32 s15, s15, (.LBB2_14299-.Lpost_getpc35821)>>32
	s_setpc_b64 s[14:15]
.LBB2_35821:
	s_getpc_b64 s[14:15]
.Lpost_getpc21494:
	s_add_u32 s14, s14, (.LBB2_14300-.Lpost_getpc21494)&4294967295
	s_addc_u32 s15, s15, (.LBB2_14300-.Lpost_getpc21494)>>32
	s_setpc_b64 s[14:15]
.LBB2_28637:
	s_movk_i32 s4, 0x80
	v_cmp_eq_u16_sdwa s[12:13], v2, s4 src0_sel:BYTE_3 src1_sel:DWORD
	s_mov_b64 s[4:5], -1
                                        ; implicit-def: $sgpr10
	s_and_saveexec_b64 s[8:9], s[12:13]
; %bb.28638:
	s_mov_b32 s10, 0x7f800001
	s_xor_b64 s[4:5], exec, -1
; %bb.28639:
	s_or_b64 exec, exec, s[8:9]
	s_and_b64 s[4:5], s[4:5], exec
	s_or_saveexec_b64 s[6:7], s[6:7]
	v_mov_b32_e32 v1, s10
	s_xor_b64 exec, exec, s[6:7]
	s_cbranch_execnz .LBB2_28640
; %bb.64477:
	s_getpc_b64 s[14:15]
.Lpost_getpc35822:
	s_add_u32 s14, s14, (.LBB2_14302-.Lpost_getpc35822)&4294967295
	s_addc_u32 s15, s15, (.LBB2_14302-.Lpost_getpc35822)>>32
	s_setpc_b64 s[14:15]
.LBB2_28640:
	v_mov_b32_e32 v1, 0
	v_cmp_ne_u16_sdwa s[8:9], v2, v1 src0_sel:BYTE_3 src1_sel:DWORD
	s_andn2_b64 s[4:5], s[4:5], exec
	s_and_b64 s[8:9], s[8:9], exec
	s_or_b64 s[4:5], s[4:5], s[8:9]
	s_or_b64 exec, exec, s[6:7]
	s_and_saveexec_b64 s[6:7], s[4:5]
	s_cbranch_execz .LBB2_35823
; %bb.64479:
	s_getpc_b64 s[14:15]
.Lpost_getpc35823:
	s_add_u32 s14, s14, (.LBB2_14303-.Lpost_getpc35823)&4294967295
	s_addc_u32 s15, s15, (.LBB2_14303-.Lpost_getpc35823)>>32
	s_setpc_b64 s[14:15]
.LBB2_35823:
	s_getpc_b64 s[14:15]
.Lpost_getpc21495:
	s_add_u32 s14, s14, (.LBB2_14304-.Lpost_getpc21495)&4294967295
	s_addc_u32 s15, s15, (.LBB2_14304-.Lpost_getpc21495)>>32
	s_setpc_b64 s[14:15]
.LBB2_28641:
	s_movk_i32 s4, 0x80
	v_cmp_eq_u16_sdwa s[12:13], v7, s4 src0_sel:BYTE_0 src1_sel:DWORD
	s_mov_b64 s[4:5], -1
                                        ; implicit-def: $sgpr10
	s_and_saveexec_b64 s[8:9], s[12:13]
; %bb.28642:
	s_mov_b32 s10, 0x7f800001
	s_xor_b64 s[4:5], exec, -1
; %bb.28643:
	s_or_b64 exec, exec, s[8:9]
	s_and_b64 s[4:5], s[4:5], exec
	s_or_saveexec_b64 s[6:7], s[6:7]
	v_mov_b32_e32 v0, s10
	s_xor_b64 exec, exec, s[6:7]
	s_cbranch_execnz .LBB2_28644
; %bb.64481:
	s_getpc_b64 s[14:15]
.Lpost_getpc35824:
	s_add_u32 s14, s14, (.LBB2_14306-.Lpost_getpc35824)&4294967295
	s_addc_u32 s15, s15, (.LBB2_14306-.Lpost_getpc35824)>>32
	s_setpc_b64 s[14:15]
.LBB2_28644:
	v_mov_b32_e32 v0, 0
	v_cmp_ne_u16_sdwa s[8:9], v7, v0 src0_sel:BYTE_0 src1_sel:DWORD
	s_andn2_b64 s[4:5], s[4:5], exec
	s_and_b64 s[8:9], s[8:9], exec
	s_or_b64 s[4:5], s[4:5], s[8:9]
	s_or_b64 exec, exec, s[6:7]
	s_and_saveexec_b64 s[6:7], s[4:5]
	s_cbranch_execz .LBB2_35825
; %bb.64483:
	s_getpc_b64 s[14:15]
.Lpost_getpc35825:
	s_add_u32 s14, s14, (.LBB2_14307-.Lpost_getpc35825)&4294967295
	s_addc_u32 s15, s15, (.LBB2_14307-.Lpost_getpc35825)>>32
	s_setpc_b64 s[14:15]
.LBB2_35825:
	s_getpc_b64 s[14:15]
.Lpost_getpc21496:
	s_add_u32 s14, s14, (.LBB2_14308-.Lpost_getpc21496)&4294967295
	s_addc_u32 s15, s15, (.LBB2_14308-.Lpost_getpc21496)>>32
	s_setpc_b64 s[14:15]
.LBB2_28645:
	s_movk_i32 s4, 0x80
	v_cmp_eq_u16_sdwa s[12:13], v3, s4 src0_sel:BYTE_0 src1_sel:DWORD
	s_mov_b64 s[4:5], -1
                                        ; implicit-def: $sgpr10
	s_and_saveexec_b64 s[8:9], s[12:13]
; %bb.28646:
	s_mov_b32 s10, 0x7f800001
	s_xor_b64 s[4:5], exec, -1
; %bb.28647:
	s_or_b64 exec, exec, s[8:9]
	s_and_b64 s[4:5], s[4:5], exec
	s_or_saveexec_b64 s[6:7], s[6:7]
	v_mov_b32_e32 v1, s10
	s_xor_b64 exec, exec, s[6:7]
	s_cbranch_execnz .LBB2_28648
; %bb.64485:
	s_getpc_b64 s[14:15]
.Lpost_getpc35826:
	s_add_u32 s14, s14, (.LBB2_14310-.Lpost_getpc35826)&4294967295
	s_addc_u32 s15, s15, (.LBB2_14310-.Lpost_getpc35826)>>32
	s_setpc_b64 s[14:15]
.LBB2_28648:
	v_mov_b32_e32 v1, 0
	v_cmp_ne_u16_sdwa s[8:9], v3, v1 src0_sel:BYTE_0 src1_sel:DWORD
	s_andn2_b64 s[4:5], s[4:5], exec
	s_and_b64 s[8:9], s[8:9], exec
	s_or_b64 s[4:5], s[4:5], s[8:9]
	s_or_b64 exec, exec, s[6:7]
	s_and_saveexec_b64 s[6:7], s[4:5]
	s_cbranch_execz .LBB2_35827
; %bb.64487:
	s_getpc_b64 s[14:15]
.Lpost_getpc35827:
	s_add_u32 s14, s14, (.LBB2_14311-.Lpost_getpc35827)&4294967295
	s_addc_u32 s15, s15, (.LBB2_14311-.Lpost_getpc35827)>>32
	s_setpc_b64 s[14:15]
.LBB2_35827:
	s_getpc_b64 s[14:15]
.Lpost_getpc21497:
	s_add_u32 s14, s14, (.LBB2_14312-.Lpost_getpc21497)&4294967295
	s_addc_u32 s15, s15, (.LBB2_14312-.Lpost_getpc21497)>>32
	s_setpc_b64 s[14:15]
.LBB2_28649:
	s_movk_i32 s4, 0x80
	v_cmp_eq_u16_sdwa s[12:13], v1, s4 src0_sel:BYTE_0 src1_sel:DWORD
	s_mov_b64 s[4:5], -1
                                        ; implicit-def: $sgpr10
	s_and_saveexec_b64 s[8:9], s[12:13]
; %bb.28650:
	s_mov_b32 s10, 0x7f800001
	s_xor_b64 s[4:5], exec, -1
; %bb.28651:
	s_or_b64 exec, exec, s[8:9]
	s_and_b64 s[4:5], s[4:5], exec
	s_or_saveexec_b64 s[6:7], s[6:7]
	v_mov_b32_e32 v0, s10
	s_xor_b64 exec, exec, s[6:7]
	s_cbranch_execnz .LBB2_28652
; %bb.64489:
	s_getpc_b64 s[14:15]
.Lpost_getpc35828:
	s_add_u32 s14, s14, (.LBB2_14314-.Lpost_getpc35828)&4294967295
	s_addc_u32 s15, s15, (.LBB2_14314-.Lpost_getpc35828)>>32
	s_setpc_b64 s[14:15]
.LBB2_28652:
	v_mov_b32_e32 v0, 0
	v_cmp_ne_u16_sdwa s[8:9], v1, v0 src0_sel:BYTE_0 src1_sel:DWORD
	s_andn2_b64 s[4:5], s[4:5], exec
	s_and_b64 s[8:9], s[8:9], exec
	s_or_b64 s[4:5], s[4:5], s[8:9]
	s_or_b64 exec, exec, s[6:7]
	s_and_saveexec_b64 s[6:7], s[4:5]
	s_cbranch_execz .LBB2_35829
; %bb.64491:
	s_getpc_b64 s[14:15]
.Lpost_getpc35829:
	s_add_u32 s14, s14, (.LBB2_14315-.Lpost_getpc35829)&4294967295
	s_addc_u32 s15, s15, (.LBB2_14315-.Lpost_getpc35829)>>32
	s_setpc_b64 s[14:15]
.LBB2_35829:
	s_getpc_b64 s[14:15]
.Lpost_getpc21498:
	s_add_u32 s14, s14, (.LBB2_14316-.Lpost_getpc21498)&4294967295
	s_addc_u32 s15, s15, (.LBB2_14316-.Lpost_getpc21498)>>32
	s_setpc_b64 s[14:15]
.LBB2_28653:
	s_movk_i32 s4, 0x80
	v_cmp_eq_u16_sdwa s[12:13], v1, s4 src0_sel:BYTE_0 src1_sel:DWORD
	s_mov_b64 s[4:5], -1
                                        ; implicit-def: $sgpr10
	s_and_saveexec_b64 s[8:9], s[12:13]
; %bb.28654:
	s_mov_b32 s10, 0x7f800001
	s_xor_b64 s[4:5], exec, -1
; %bb.28655:
	s_or_b64 exec, exec, s[8:9]
	s_and_b64 s[4:5], s[4:5], exec
	s_or_saveexec_b64 s[6:7], s[6:7]
	v_mov_b32_e32 v2, s10
	s_xor_b64 exec, exec, s[6:7]
	s_cbranch_execnz .LBB2_28656
; %bb.64493:
	s_getpc_b64 s[14:15]
.Lpost_getpc35830:
	s_add_u32 s14, s14, (.LBB2_14318-.Lpost_getpc35830)&4294967295
	s_addc_u32 s15, s15, (.LBB2_14318-.Lpost_getpc35830)>>32
	s_setpc_b64 s[14:15]
.LBB2_28656:
	v_mov_b32_e32 v2, 0
	v_cmp_ne_u16_sdwa s[8:9], v1, v2 src0_sel:BYTE_0 src1_sel:DWORD
	s_andn2_b64 s[4:5], s[4:5], exec
	s_and_b64 s[8:9], s[8:9], exec
	s_or_b64 s[4:5], s[4:5], s[8:9]
	s_or_b64 exec, exec, s[6:7]
	s_and_saveexec_b64 s[6:7], s[4:5]
	s_cbranch_execz .LBB2_35831
; %bb.64495:
	s_getpc_b64 s[14:15]
.Lpost_getpc35831:
	s_add_u32 s14, s14, (.LBB2_14319-.Lpost_getpc35831)&4294967295
	s_addc_u32 s15, s15, (.LBB2_14319-.Lpost_getpc35831)>>32
	s_setpc_b64 s[14:15]
.LBB2_35831:
	s_getpc_b64 s[14:15]
.Lpost_getpc21499:
	s_add_u32 s14, s14, (.LBB2_14320-.Lpost_getpc21499)&4294967295
	s_addc_u32 s15, s15, (.LBB2_14320-.Lpost_getpc21499)>>32
	s_setpc_b64 s[14:15]
.LBB2_28657:
	s_movk_i32 s4, 0x80
	v_cmp_eq_u16_e32 vcc, s4, v1
	s_mov_b64 s[4:5], -1
                                        ; implicit-def: $sgpr10
	s_and_saveexec_b64 s[8:9], vcc
; %bb.28658:
	s_mov_b32 s10, 0x7f800001
	s_xor_b64 s[4:5], exec, -1
; %bb.28659:
	s_or_b64 exec, exec, s[8:9]
	s_and_b64 s[4:5], s[4:5], exec
                                        ; implicit-def: $vgpr1
	s_or_saveexec_b64 s[6:7], s[6:7]
	v_mov_b32_e32 v0, s10
	s_xor_b64 exec, exec, s[6:7]
	s_cbranch_execnz .LBB2_28660
; %bb.64497:
	s_getpc_b64 s[14:15]
.Lpost_getpc35832:
	s_add_u32 s14, s14, (.LBB2_14322-.Lpost_getpc35832)&4294967295
	s_addc_u32 s15, s15, (.LBB2_14322-.Lpost_getpc35832)>>32
	s_setpc_b64 s[14:15]
.LBB2_28660:
	v_cmp_ne_u16_e32 vcc, 0, v1
	s_andn2_b64 s[4:5], s[4:5], exec
	s_and_b64 s[8:9], vcc, exec
	v_mov_b32_e32 v0, 0
	s_or_b64 s[4:5], s[4:5], s[8:9]
	s_or_b64 exec, exec, s[6:7]
	s_and_saveexec_b64 s[6:7], s[4:5]
	s_cbranch_execz .LBB2_35833
; %bb.64499:
	s_getpc_b64 s[14:15]
.Lpost_getpc35833:
	s_add_u32 s14, s14, (.LBB2_14323-.Lpost_getpc35833)&4294967295
	s_addc_u32 s15, s15, (.LBB2_14323-.Lpost_getpc35833)>>32
	s_setpc_b64 s[14:15]
.LBB2_35833:
	s_getpc_b64 s[14:15]
.Lpost_getpc21500:
	s_add_u32 s14, s14, (.LBB2_14324-.Lpost_getpc21500)&4294967295
	s_addc_u32 s15, s15, (.LBB2_14324-.Lpost_getpc21500)>>32
	s_setpc_b64 s[14:15]
.LBB2_28661:
	s_movk_i32 s4, 0x80
	v_cmp_eq_u16_e32 vcc, s4, v1
	s_mov_b64 s[4:5], -1
                                        ; implicit-def: $sgpr10
	s_and_saveexec_b64 s[8:9], vcc
; %bb.28662:
	s_mov_b32 s10, 0x7f800001
	s_xor_b64 s[4:5], exec, -1
; %bb.28663:
	s_or_b64 exec, exec, s[8:9]
	s_and_b64 s[4:5], s[4:5], exec
                                        ; implicit-def: $vgpr1
	s_or_saveexec_b64 s[6:7], s[6:7]
	v_mov_b32_e32 v2, s10
	s_xor_b64 exec, exec, s[6:7]
	s_cbranch_execnz .LBB2_28664
; %bb.64501:
	s_getpc_b64 s[14:15]
.Lpost_getpc35834:
	s_add_u32 s14, s14, (.LBB2_14326-.Lpost_getpc35834)&4294967295
	s_addc_u32 s15, s15, (.LBB2_14326-.Lpost_getpc35834)>>32
	s_setpc_b64 s[14:15]
.LBB2_28664:
	v_cmp_ne_u16_e32 vcc, 0, v1
	s_andn2_b64 s[4:5], s[4:5], exec
	s_and_b64 s[8:9], vcc, exec
	v_mov_b32_e32 v2, 0
	s_or_b64 s[4:5], s[4:5], s[8:9]
	s_or_b64 exec, exec, s[6:7]
	s_and_saveexec_b64 s[6:7], s[4:5]
	s_cbranch_execz .LBB2_35835
; %bb.64503:
	s_getpc_b64 s[14:15]
.Lpost_getpc35835:
	s_add_u32 s14, s14, (.LBB2_14327-.Lpost_getpc35835)&4294967295
	s_addc_u32 s15, s15, (.LBB2_14327-.Lpost_getpc35835)>>32
	s_setpc_b64 s[14:15]
.LBB2_35835:
	s_getpc_b64 s[14:15]
.Lpost_getpc21501:
	s_add_u32 s14, s14, (.LBB2_14328-.Lpost_getpc21501)&4294967295
	s_addc_u32 s15, s15, (.LBB2_14328-.Lpost_getpc21501)>>32
	s_setpc_b64 s[14:15]
.LBB2_28665:
	s_movk_i32 s4, 0x80
	v_cmp_eq_u16_sdwa s[12:13], v7, s4 src0_sel:BYTE_3 src1_sel:DWORD
	s_mov_b64 s[4:5], -1
                                        ; implicit-def: $sgpr10
	s_and_saveexec_b64 s[8:9], s[12:13]
; %bb.28666:
	s_mov_b32 s10, 0x7f800001
	s_xor_b64 s[4:5], exec, -1
; %bb.28667:
	s_or_b64 exec, exec, s[8:9]
	s_and_b64 s[4:5], s[4:5], exec
	s_or_saveexec_b64 s[6:7], s[6:7]
	v_mov_b32_e32 v0, s10
	s_xor_b64 exec, exec, s[6:7]
	s_cbranch_execnz .LBB2_28668
; %bb.64505:
	s_getpc_b64 s[14:15]
.Lpost_getpc35836:
	s_add_u32 s14, s14, (.LBB2_14330-.Lpost_getpc35836)&4294967295
	s_addc_u32 s15, s15, (.LBB2_14330-.Lpost_getpc35836)>>32
	s_setpc_b64 s[14:15]
.LBB2_28668:
	v_mov_b32_e32 v0, 0
	v_cmp_ne_u16_sdwa s[8:9], v7, v0 src0_sel:BYTE_3 src1_sel:DWORD
	s_andn2_b64 s[4:5], s[4:5], exec
	s_and_b64 s[8:9], s[8:9], exec
	s_or_b64 s[4:5], s[4:5], s[8:9]
	s_or_b64 exec, exec, s[6:7]
	s_and_saveexec_b64 s[6:7], s[4:5]
	s_cbranch_execz .LBB2_35837
; %bb.64507:
	s_getpc_b64 s[14:15]
.Lpost_getpc35837:
	s_add_u32 s14, s14, (.LBB2_14331-.Lpost_getpc35837)&4294967295
	s_addc_u32 s15, s15, (.LBB2_14331-.Lpost_getpc35837)>>32
	s_setpc_b64 s[14:15]
.LBB2_35837:
	s_getpc_b64 s[14:15]
.Lpost_getpc21502:
	s_add_u32 s14, s14, (.LBB2_14332-.Lpost_getpc21502)&4294967295
	s_addc_u32 s15, s15, (.LBB2_14332-.Lpost_getpc21502)>>32
	s_setpc_b64 s[14:15]
.LBB2_28669:
	s_movk_i32 s4, 0x80
	v_cmp_eq_u16_sdwa s[12:13], v3, s4 src0_sel:BYTE_3 src1_sel:DWORD
	s_mov_b64 s[4:5], -1
                                        ; implicit-def: $sgpr10
	s_and_saveexec_b64 s[8:9], s[12:13]
; %bb.28670:
	s_mov_b32 s10, 0x7f800001
	s_xor_b64 s[4:5], exec, -1
; %bb.28671:
	s_or_b64 exec, exec, s[8:9]
	s_and_b64 s[4:5], s[4:5], exec
	s_or_saveexec_b64 s[6:7], s[6:7]
	v_mov_b32_e32 v1, s10
	s_xor_b64 exec, exec, s[6:7]
	s_cbranch_execnz .LBB2_28672
; %bb.64509:
	s_getpc_b64 s[14:15]
.Lpost_getpc35838:
	s_add_u32 s14, s14, (.LBB2_14334-.Lpost_getpc35838)&4294967295
	s_addc_u32 s15, s15, (.LBB2_14334-.Lpost_getpc35838)>>32
	s_setpc_b64 s[14:15]
.LBB2_28672:
	v_mov_b32_e32 v1, 0
	v_cmp_ne_u16_sdwa s[8:9], v3, v1 src0_sel:BYTE_3 src1_sel:DWORD
	s_andn2_b64 s[4:5], s[4:5], exec
	s_and_b64 s[8:9], s[8:9], exec
	s_or_b64 s[4:5], s[4:5], s[8:9]
	s_or_b64 exec, exec, s[6:7]
	s_and_saveexec_b64 s[6:7], s[4:5]
	s_cbranch_execz .LBB2_35839
; %bb.64511:
	s_getpc_b64 s[14:15]
.Lpost_getpc35839:
	s_add_u32 s14, s14, (.LBB2_14335-.Lpost_getpc35839)&4294967295
	s_addc_u32 s15, s15, (.LBB2_14335-.Lpost_getpc35839)>>32
	s_setpc_b64 s[14:15]
.LBB2_35839:
	s_getpc_b64 s[14:15]
.Lpost_getpc21503:
	s_add_u32 s14, s14, (.LBB2_14336-.Lpost_getpc21503)&4294967295
	s_addc_u32 s15, s15, (.LBB2_14336-.Lpost_getpc21503)>>32
	s_setpc_b64 s[14:15]
.Lfunc_end2:
	.size	_ZNK2ck6detail7applierIiJLi0ELi1ELi2ELi3ELi4ELi5ELi6ELi7ELi8ELi9ELi10ELi11ELi12ELi13ELi14ELi15ELi16ELi17ELi18ELi19ELi20ELi21ELi22ELi23ELi24ELi25ELi26ELi27ELi28ELi29ELi30ELi31ELi32ELi33ELi34ELi35ELi36ELi37ELi38ELi39ELi40ELi41ELi42ELi43ELi44ELi45ELi46ELi47ELi48ELi49ELi50ELi51ELi52ELi53ELi54ELi55ELi56ELi57ELi58ELi59ELi60ELi61ELi62ELi63ELi64ELi65ELi66ELi67ELi68ELi69ELi70ELi71ELi72ELi73ELi74ELi75ELi76ELi77ELi78ELi79ELi80ELi81ELi82ELi83ELi84ELi85ELi86ELi87ELi88ELi89ELi90ELi91ELi92ELi93ELi94ELi95ELi96ELi97ELi98ELi99ELi100ELi101ELi102ELi103ELi104ELi105ELi106ELi107ELi108ELi109ELi110ELi111EEEclIZNKS_11static_fordINS_8SequenceIJLi2ELi7ELi8EEEENS5_IJLi0ELi1ELi2EEEEEclIZNKS_31BlockwiseGemmXdlops_pipeline_v3ILNS_26BlockGemmPipelineSchedulerE0ELi256ENS_9f8_fnuz_tESC_SC_fNS_16TensorDescriptorINS_5TupleIJNS_5EmbedINSE_IJNS_17integral_constantIiLi8EEENSG_IiLi224EEENSG_IiLi16EEEEEENSE_IJSJ_NSG_IiLi128EEENSG_IiLi1EEEEEELb0EEENS_3XorINSE_IJSI_SH_EEELb1EEENS_11PassThroughISJ_EENS_7UnMergeINSE_IJSH_SM_EEELb0EEENSS_ISI_EEST_NSS_ISH_EENS_21Merge_v3_division_modINSE_IJSI_SM_EEEEEST_EEENSE_IJNS5_IJLi0EEEENS5_IJLi2ELi1EEEENS5_IJLi3EEEENS5_IJLi5EEEENS5_IJLi4EEEENS5_IJLi6EEEENS5_IJLi7EEEENS5_IJLi9ELi8EEEENS5_IJLi10EEEEEEENSE_IJNS5_IJLi1ELi2ELi3EEEENS5_IJLi4ELi5EEEES18_NS5_IJLi7ELi8EEEENS5_IJLi9EEEES1B_NS5_IJLi11EEEENS5_IJLi12EEEENS5_IJLi13EEEEEEENS5_IJLi11ELi12ELi13EEEENSG_IlLl28672EEEEENSD_INSE_IJNSF_INSE_IJSH_NSG_IiLi256EEESJ_EEESN_Lb0EEENSP_INSE_IJS1O_SH_EEELb1EEEST_SW_NSS_IS1O_EEST_SY_NSZ_INSE_IJS1O_SM_EEEEEST_EEES1C_S1K_S1L_NSG_IlLl32768EEEEENSD_INSE_IJSO_SR_ST_SW_SX_ST_SY_S11_ST_NSZ_INSE_IJSH_SJ_EEEEENSU_INSE_IJNSG_IiLi7EEENSG_IiLi2EEESJ_EEELb0EEEEEENSE_IJS13_S14_S15_S16_S17_S18_S19_S1A_S1B_NS5_IJLi11ELi13EEEES1I_EEENSE_IJS1D_S1E_S18_S1F_S1G_S1B_S1H_S1I_S1J_NS5_IJLi14EEEENS5_IJLi15ELi16ELi17EEEEEEENS5_IJLi15ELi16ELi17ELi14EEEES1M_EENSD_INSE_IJS1Q_S1S_ST_SW_S1T_ST_SY_S1V_ST_S20_NSU_INSE_IJSH_S22_SJ_EEELb0EEEEEES27_S2A_S2B_S1X_EELi16ELi16ELi224ELi256ELi128ELi16ELi16ELi7ELi8ELi16ELb0ELb0EE3RunILb1ELNS_10TailNumberE10ENSD_INSE_IJNSF_INSE_IJiiEEENSE_IJiSM_EEELb0EEENSU_IS2K_Lb0EEENSS_IiEEEEENSE_IJS13_NS5_IJLi2EEEENS5_IJLi1EEEEEEENSE_IJNS5_IJLi1ELi2EEEENS5_IJLi3ELi4EEEES16_EEENS5_IJLi3ELi5ELi4EEEElEES1N_NS_35ThreadGroupTensorSliceTransfer_v4r1INS_15ThisThreadBlockILi256EEENS_16tensor_operation12element_wise11PassThroughES33_LNS_25InMemoryDataOperationEnumE0ENS5_IJLi8ELi224ELi16EEEENS5_IJLi8ELi32ELi1EEEENS5_IJLi1ELi0ELi2EEEESC_SC_RKS2X_KS1N_S37_S7_Li2ELi2ELi16ELi16ELi1ELi1ELb0ELb1ELi1EiEENS_13DynamicBufferILNS_16AddressSpaceEnumE1EKSC_lLb1ELNS_22AmdBufferCoherenceEnumE0EiEENS3C_ILS3D_2ESC_S1M_Lb1ELS3F_0EiEENSE_IJiiiEEES2X_S1Y_NS2Y_IS30_S33_S33_LS34_0ENS5_IJLi8ELi256ELi16EEEES36_S37_SC_SC_S39_KS1Y_S37_S7_Li2ELi2ELi16ELi16ELi1ELi1ELb0ELb1ELi1EiEES3G_NS3C_ILS3D_2ESC_S1X_Lb1ELS3F_0EiEES3I_NS_25StaticBufferTupleOfVectorILS3D_4EfLi56ELi4ELb1ELb0EEEEEvRKT1_RKT2_RT3_RKT4_RT5_RKT6_RKT7_RKT8_RT9_RKT10_RT11_RKT12_RT13_iEUlT_E2_EEvS4N_EUlS4N_E_EEvS4N_, .Lfunc_end2-_ZNK2ck6detail7applierIiJLi0ELi1ELi2ELi3ELi4ELi5ELi6ELi7ELi8ELi9ELi10ELi11ELi12ELi13ELi14ELi15ELi16ELi17ELi18ELi19ELi20ELi21ELi22ELi23ELi24ELi25ELi26ELi27ELi28ELi29ELi30ELi31ELi32ELi33ELi34ELi35ELi36ELi37ELi38ELi39ELi40ELi41ELi42ELi43ELi44ELi45ELi46ELi47ELi48ELi49ELi50ELi51ELi52ELi53ELi54ELi55ELi56ELi57ELi58ELi59ELi60ELi61ELi62ELi63ELi64ELi65ELi66ELi67ELi68ELi69ELi70ELi71ELi72ELi73ELi74ELi75ELi76ELi77ELi78ELi79ELi80ELi81ELi82ELi83ELi84ELi85ELi86ELi87ELi88ELi89ELi90ELi91ELi92ELi93ELi94ELi95ELi96ELi97ELi98ELi99ELi100ELi101ELi102ELi103ELi104ELi105ELi106ELi107ELi108ELi109ELi110ELi111EEEclIZNKS_11static_fordINS_8SequenceIJLi2ELi7ELi8EEEENS5_IJLi0ELi1ELi2EEEEEclIZNKS_31BlockwiseGemmXdlops_pipeline_v3ILNS_26BlockGemmPipelineSchedulerE0ELi256ENS_9f8_fnuz_tESC_SC_fNS_16TensorDescriptorINS_5TupleIJNS_5EmbedINSE_IJNS_17integral_constantIiLi8EEENSG_IiLi224EEENSG_IiLi16EEEEEENSE_IJSJ_NSG_IiLi128EEENSG_IiLi1EEEEEELb0EEENS_3XorINSE_IJSI_SH_EEELb1EEENS_11PassThroughISJ_EENS_7UnMergeINSE_IJSH_SM_EEELb0EEENSS_ISI_EEST_NSS_ISH_EENS_21Merge_v3_division_modINSE_IJSI_SM_EEEEEST_EEENSE_IJNS5_IJLi0EEEENS5_IJLi2ELi1EEEENS5_IJLi3EEEENS5_IJLi5EEEENS5_IJLi4EEEENS5_IJLi6EEEENS5_IJLi7EEEENS5_IJLi9ELi8EEEENS5_IJLi10EEEEEEENSE_IJNS5_IJLi1ELi2ELi3EEEENS5_IJLi4ELi5EEEES18_NS5_IJLi7ELi8EEEENS5_IJLi9EEEES1B_NS5_IJLi11EEEENS5_IJLi12EEEENS5_IJLi13EEEEEEENS5_IJLi11ELi12ELi13EEEENSG_IlLl28672EEEEENSD_INSE_IJNSF_INSE_IJSH_NSG_IiLi256EEESJ_EEESN_Lb0EEENSP_INSE_IJS1O_SH_EEELb1EEEST_SW_NSS_IS1O_EEST_SY_NSZ_INSE_IJS1O_SM_EEEEEST_EEES1C_S1K_S1L_NSG_IlLl32768EEEEENSD_INSE_IJSO_SR_ST_SW_SX_ST_SY_S11_ST_NSZ_INSE_IJSH_SJ_EEEEENSU_INSE_IJNSG_IiLi7EEENSG_IiLi2EEESJ_EEELb0EEEEEENSE_IJS13_S14_S15_S16_S17_S18_S19_S1A_S1B_NS5_IJLi11ELi13EEEES1I_EEENSE_IJS1D_S1E_S18_S1F_S1G_S1B_S1H_S1I_S1J_NS5_IJLi14EEEENS5_IJLi15ELi16ELi17EEEEEEENS5_IJLi15ELi16ELi17ELi14EEEES1M_EENSD_INSE_IJS1Q_S1S_ST_SW_S1T_ST_SY_S1V_ST_S20_NSU_INSE_IJSH_S22_SJ_EEELb0EEEEEES27_S2A_S2B_S1X_EELi16ELi16ELi224ELi256ELi128ELi16ELi16ELi7ELi8ELi16ELb0ELb0EE3RunILb1ELNS_10TailNumberE10ENSD_INSE_IJNSF_INSE_IJiiEEENSE_IJiSM_EEELb0EEENSU_IS2K_Lb0EEENSS_IiEEEEENSE_IJS13_NS5_IJLi2EEEENS5_IJLi1EEEEEEENSE_IJNS5_IJLi1ELi2EEEENS5_IJLi3ELi4EEEES16_EEENS5_IJLi3ELi5ELi4EEEElEES1N_NS_35ThreadGroupTensorSliceTransfer_v4r1INS_15ThisThreadBlockILi256EEENS_16tensor_operation12element_wise11PassThroughES33_LNS_25InMemoryDataOperationEnumE0ENS5_IJLi8ELi224ELi16EEEENS5_IJLi8ELi32ELi1EEEENS5_IJLi1ELi0ELi2EEEESC_SC_RKS2X_KS1N_S37_S7_Li2ELi2ELi16ELi16ELi1ELi1ELb0ELb1ELi1EiEENS_13DynamicBufferILNS_16AddressSpaceEnumE1EKSC_lLb1ELNS_22AmdBufferCoherenceEnumE0EiEENS3C_ILS3D_2ESC_S1M_Lb1ELS3F_0EiEENSE_IJiiiEEES2X_S1Y_NS2Y_IS30_S33_S33_LS34_0ENS5_IJLi8ELi256ELi16EEEES36_S37_SC_SC_S39_KS1Y_S37_S7_Li2ELi2ELi16ELi16ELi1ELi1ELb0ELb1ELi1EiEES3G_NS3C_ILS3D_2ESC_S1X_Lb1ELS3F_0EiEES3I_NS_25StaticBufferTupleOfVectorILS3D_4EfLi56ELi4ELb1ELb0EEEEEvRKT1_RKT2_RT3_RKT4_RT5_RKT6_RKT7_RKT8_RT9_RKT10_RT11_RKT12_RT13_iEUlT_E2_EEvS4N_EUlS4N_E_EEvS4N_
                                        ; -- End function
	.section	.AMDGPU.csdata,"",@progbits
; Function info:
; codeLenInByte = 1356104
; NumSgprs: 36
; NumVgprs: 18
; NumAgprs: 4
; TotalNumVgprs: 24
; ScratchSize: 0
; MemoryBound: 1
	.section	.text._ZN2ck27kernel_gemm_xdl_cshuffle_v3INS_28GridwiseGemm_xdl_cshuffle_v3INS_13tensor_layout4gemm8RowMajorENS3_11ColumnMajorES4_NS_9f8_fnuz_tES6_fDF16_DF16_NS_16tensor_operation12element_wise11PassThroughES9_S9_LNS7_6device18GemmSpecializationE0ELi256ELi224ELi256ELi128ELi16ELi16ELi16ELi16ELi7ELi8ENS_8SequenceIJLi8ELi32ELi1EEEENSC_IJLi1ELi0ELi2EEEESE_Li2ELi16ELi16ELb0ELi0ESD_SE_SE_Li2ELi16ELi16ELb0ELi0ELi1ELi2ENSC_IJLi1ELi32ELi1ELi8EEEELi4ELNS_26BlockGemmPipelineSchedulerE0ELNS_24BlockGemmPipelineVersionE2ES6_S6_Lb0ELb0ELb0ELi0ELb0EEELb1ELNS_25InMemoryDataOperationEnumE1ELi1ELNS_10TailNumberE10EEEvNT_8ArgumentE,"axG",@progbits,_ZN2ck27kernel_gemm_xdl_cshuffle_v3INS_28GridwiseGemm_xdl_cshuffle_v3INS_13tensor_layout4gemm8RowMajorENS3_11ColumnMajorES4_NS_9f8_fnuz_tES6_fDF16_DF16_NS_16tensor_operation12element_wise11PassThroughES9_S9_LNS7_6device18GemmSpecializationE0ELi256ELi224ELi256ELi128ELi16ELi16ELi16ELi16ELi7ELi8ENS_8SequenceIJLi8ELi32ELi1EEEENSC_IJLi1ELi0ELi2EEEESE_Li2ELi16ELi16ELb0ELi0ESD_SE_SE_Li2ELi16ELi16ELb0ELi0ELi1ELi2ENSC_IJLi1ELi32ELi1ELi8EEEELi4ELNS_26BlockGemmPipelineSchedulerE0ELNS_24BlockGemmPipelineVersionE2ES6_S6_Lb0ELb0ELb0ELi0ELb0EEELb1ELNS_25InMemoryDataOperationEnumE1ELi1ELNS_10TailNumberE10EEEvNT_8ArgumentE,comdat
	.protected	_ZN2ck27kernel_gemm_xdl_cshuffle_v3INS_28GridwiseGemm_xdl_cshuffle_v3INS_13tensor_layout4gemm8RowMajorENS3_11ColumnMajorES4_NS_9f8_fnuz_tES6_fDF16_DF16_NS_16tensor_operation12element_wise11PassThroughES9_S9_LNS7_6device18GemmSpecializationE0ELi256ELi224ELi256ELi128ELi16ELi16ELi16ELi16ELi7ELi8ENS_8SequenceIJLi8ELi32ELi1EEEENSC_IJLi1ELi0ELi2EEEESE_Li2ELi16ELi16ELb0ELi0ESD_SE_SE_Li2ELi16ELi16ELb0ELi0ELi1ELi2ENSC_IJLi1ELi32ELi1ELi8EEEELi4ELNS_26BlockGemmPipelineSchedulerE0ELNS_24BlockGemmPipelineVersionE2ES6_S6_Lb0ELb0ELb0ELi0ELb0EEELb1ELNS_25InMemoryDataOperationEnumE1ELi1ELNS_10TailNumberE10EEEvNT_8ArgumentE ; -- Begin function _ZN2ck27kernel_gemm_xdl_cshuffle_v3INS_28GridwiseGemm_xdl_cshuffle_v3INS_13tensor_layout4gemm8RowMajorENS3_11ColumnMajorES4_NS_9f8_fnuz_tES6_fDF16_DF16_NS_16tensor_operation12element_wise11PassThroughES9_S9_LNS7_6device18GemmSpecializationE0ELi256ELi224ELi256ELi128ELi16ELi16ELi16ELi16ELi7ELi8ENS_8SequenceIJLi8ELi32ELi1EEEENSC_IJLi1ELi0ELi2EEEESE_Li2ELi16ELi16ELb0ELi0ESD_SE_SE_Li2ELi16ELi16ELb0ELi0ELi1ELi2ENSC_IJLi1ELi32ELi1ELi8EEEELi4ELNS_26BlockGemmPipelineSchedulerE0ELNS_24BlockGemmPipelineVersionE2ES6_S6_Lb0ELb0ELb0ELi0ELb0EEELb1ELNS_25InMemoryDataOperationEnumE1ELi1ELNS_10TailNumberE10EEEvNT_8ArgumentE
	.globl	_ZN2ck27kernel_gemm_xdl_cshuffle_v3INS_28GridwiseGemm_xdl_cshuffle_v3INS_13tensor_layout4gemm8RowMajorENS3_11ColumnMajorES4_NS_9f8_fnuz_tES6_fDF16_DF16_NS_16tensor_operation12element_wise11PassThroughES9_S9_LNS7_6device18GemmSpecializationE0ELi256ELi224ELi256ELi128ELi16ELi16ELi16ELi16ELi7ELi8ENS_8SequenceIJLi8ELi32ELi1EEEENSC_IJLi1ELi0ELi2EEEESE_Li2ELi16ELi16ELb0ELi0ESD_SE_SE_Li2ELi16ELi16ELb0ELi0ELi1ELi2ENSC_IJLi1ELi32ELi1ELi8EEEELi4ELNS_26BlockGemmPipelineSchedulerE0ELNS_24BlockGemmPipelineVersionE2ES6_S6_Lb0ELb0ELb0ELi0ELb0EEELb1ELNS_25InMemoryDataOperationEnumE1ELi1ELNS_10TailNumberE10EEEvNT_8ArgumentE
	.p2align	8
	.type	_ZN2ck27kernel_gemm_xdl_cshuffle_v3INS_28GridwiseGemm_xdl_cshuffle_v3INS_13tensor_layout4gemm8RowMajorENS3_11ColumnMajorES4_NS_9f8_fnuz_tES6_fDF16_DF16_NS_16tensor_operation12element_wise11PassThroughES9_S9_LNS7_6device18GemmSpecializationE0ELi256ELi224ELi256ELi128ELi16ELi16ELi16ELi16ELi7ELi8ENS_8SequenceIJLi8ELi32ELi1EEEENSC_IJLi1ELi0ELi2EEEESE_Li2ELi16ELi16ELb0ELi0ESD_SE_SE_Li2ELi16ELi16ELb0ELi0ELi1ELi2ENSC_IJLi1ELi32ELi1ELi8EEEELi4ELNS_26BlockGemmPipelineSchedulerE0ELNS_24BlockGemmPipelineVersionE2ES6_S6_Lb0ELb0ELb0ELi0ELb0EEELb1ELNS_25InMemoryDataOperationEnumE1ELi1ELNS_10TailNumberE10EEEvNT_8ArgumentE,@function
_ZN2ck27kernel_gemm_xdl_cshuffle_v3INS_28GridwiseGemm_xdl_cshuffle_v3INS_13tensor_layout4gemm8RowMajorENS3_11ColumnMajorES4_NS_9f8_fnuz_tES6_fDF16_DF16_NS_16tensor_operation12element_wise11PassThroughES9_S9_LNS7_6device18GemmSpecializationE0ELi256ELi224ELi256ELi128ELi16ELi16ELi16ELi16ELi7ELi8ENS_8SequenceIJLi8ELi32ELi1EEEENSC_IJLi1ELi0ELi2EEEESE_Li2ELi16ELi16ELb0ELi0ESD_SE_SE_Li2ELi16ELi16ELb0ELi0ELi1ELi2ENSC_IJLi1ELi32ELi1ELi8EEEELi4ELNS_26BlockGemmPipelineSchedulerE0ELNS_24BlockGemmPipelineVersionE2ES6_S6_Lb0ELb0ELb0ELi0ELb0EEELb1ELNS_25InMemoryDataOperationEnumE1ELi1ELNS_10TailNumberE10EEEvNT_8ArgumentE: ; @_ZN2ck27kernel_gemm_xdl_cshuffle_v3INS_28GridwiseGemm_xdl_cshuffle_v3INS_13tensor_layout4gemm8RowMajorENS3_11ColumnMajorES4_NS_9f8_fnuz_tES6_fDF16_DF16_NS_16tensor_operation12element_wise11PassThroughES9_S9_LNS7_6device18GemmSpecializationE0ELi256ELi224ELi256ELi128ELi16ELi16ELi16ELi16ELi7ELi8ENS_8SequenceIJLi8ELi32ELi1EEEENSC_IJLi1ELi0ELi2EEEESE_Li2ELi16ELi16ELb0ELi0ESD_SE_SE_Li2ELi16ELi16ELb0ELi0ELi1ELi2ENSC_IJLi1ELi32ELi1ELi8EEEELi4ELNS_26BlockGemmPipelineSchedulerE0ELNS_24BlockGemmPipelineVersionE2ES6_S6_Lb0ELb0ELb0ELi0ELb0EEELb1ELNS_25InMemoryDataOperationEnumE1ELi1ELNS_10TailNumberE10EEEvNT_8ArgumentE
; %bb.0:
	s_add_u32 flat_scratch_lo, s6, s10
	s_addc_u32 flat_scratch_hi, s7, 0
	s_add_u32 s0, s0, s10
	s_load_dwordx8 s[24:31], s[4:5], 0x10
	s_load_dword s10, s[4:5], 0x68
	s_load_dwordx2 s[34:35], s[4:5], 0x60
	s_load_dwordx4 s[12:15], s[4:5], 0x50
	s_addc_u32 s1, s1, 0
	s_waitcnt lgkmcnt(0)
	s_cmp_gt_i32 s30, 1
	s_cselect_b64 s[6:7], -1, 0
	s_bitcmp1_b32 s10, 0
	s_cselect_b64 s[10:11], -1, 0
	s_and_b64 s[6:7], s[6:7], s[10:11]
	v_mov_b32_e32 v18, v0
	s_andn2_b64 vcc, exec, s[6:7]
	s_mov_b64 s[36:37], 0
	s_mov_b32 s32, 0x16400
	s_cbranch_vccnz .LBB3_2
; %bb.1:
	s_mul_i32 s6, s24, s9
	s_mul_i32 s36, s6, s25
	s_ashr_i32 s37, s36, 31
.LBB3_2:
	s_load_dword s7, s[4:5], 0x34
	s_load_dword s6, s[4:5], 0x3c
	s_add_i32 s4, s24, -1
	s_cmpk_lt_u32 s4, 0xe0
	s_mov_b32 s4, 0
	s_cbranch_scc1 .LBB3_10
; %bb.3:
	s_add_i32 s4, s25, -1
	s_cmpk_lt_u32 s4, 0x100
	s_mov_b32 s5, 0
	s_cbranch_scc1 .LBB3_9
; %bb.4:
	s_add_i32 s4, s24, 0xdf
	s_mul_hi_i32 s5, s4, 0x92492493
	s_add_i32 s5, s5, s4
	s_lshr_b32 s4, s5, 31
	s_ashr_i32 s11, s5, 7
	s_add_i32 s11, s11, s4
	s_add_i32 s4, s25, 0xff
	s_ashr_i32 s5, s4, 31
	s_lshr_b32 s5, s5, 24
	s_add_i32 s4, s4, s5
	s_ashr_i32 s10, s4, 8
	s_mul_i32 s4, s10, s11
	s_add_i32 s5, s4, 7
	s_ashr_i32 s16, s5, 31
	s_lshr_b32 s16, s16, 29
	s_add_i32 s5, s5, s16
	s_ashr_i32 s16, s5, 3
	s_and_b32 s5, s5, -8
	s_sub_i32 s17, s4, s5
	s_ashr_i32 s4, s8, 31
	s_lshr_b32 s4, s4, 29
	s_add_i32 s19, s8, s4
	s_and_b32 s4, s19, -8
	s_add_i32 s17, s17, 8
	s_sub_i32 s18, s8, s4
	s_cmp_gt_i32 s18, s17
	s_cbranch_scc1 .LBB3_6
; %bb.5:
	s_mul_i32 s8, s16, s18
	s_ashr_i32 s4, s19, 3
	s_cbranch_execz .LBB3_7
	s_branch .LBB3_8
.LBB3_6:
                                        ; implicit-def: $sgpr8
	s_ashr_i32 s4, s19, 3
.LBB3_7:
	s_add_i32 s5, s16, -1
	s_mul_i32 s5, s5, s18
	s_add_i32 s8, s17, s5
.LBB3_8:
	s_abs_i32 s5, s10
	v_cvt_f32_u32_e32 v0, s5
	s_sub_i32 s17, 0, s5
	s_add_i32 s4, s8, s4
	s_abs_i32 s16, s4
	v_rcp_iflag_f32_e32 v0, v0
	s_xor_b32 s8, s4, s10
	s_ashr_i32 s8, s8, 31
	v_mul_f32_e32 v0, 0x4f7ffffe, v0
	v_cvt_u32_f32_e32 v0, v0
	v_readfirstlane_b32 s18, v0
	s_mul_i32 s17, s17, s18
	s_mul_hi_u32 s17, s18, s17
	s_add_i32 s18, s18, s17
	s_mul_hi_u32 s17, s16, s18
	s_mul_i32 s18, s17, s5
	s_sub_i32 s16, s16, s18
	s_add_i32 s19, s17, 1
	s_sub_i32 s18, s16, s5
	s_cmp_ge_u32 s16, s5
	s_cselect_b32 s17, s19, s17
	s_cselect_b32 s16, s18, s16
	s_add_i32 s18, s17, 1
	s_cmp_ge_u32 s16, s5
	s_cselect_b32 s5, s18, s17
	s_xor_b32 s5, s5, s8
	s_lshr_b32 s16, s11, 30
	s_sub_i32 s8, s5, s8
	s_add_i32 s16, s11, s16
	s_mul_i32 s5, s8, s10
	s_sub_i32 s4, s4, s5
	s_and_b32 s5, s16, -4
	s_sub_i32 s11, s11, s5
	s_cmp_ge_i32 s8, s5
	s_cselect_b32 s11, s11, 4
	s_abs_i32 s16, s11
	v_cvt_f32_u32_e32 v0, s16
	s_ashr_i32 s5, s8, 31
	s_lshr_b32 s5, s5, 30
	s_add_i32 s5, s8, s5
	v_rcp_iflag_f32_e32 v0, v0
	s_and_b32 s5, s5, -4
	s_sub_i32 s17, s8, s5
	s_sub_i32 s18, 0, s16
	v_mul_f32_e32 v0, 0x4f7ffffe, v0
	v_cvt_u32_f32_e32 v0, v0
	s_mul_i32 s5, s17, s10
	s_add_i32 s4, s5, s4
	s_abs_i32 s10, s4
	v_readfirstlane_b32 s19, v0
	s_mul_i32 s18, s18, s19
	s_mul_hi_u32 s18, s19, s18
	s_add_i32 s19, s19, s18
	s_mul_hi_u32 s18, s10, s19
	s_mul_i32 s19, s18, s16
	s_xor_b32 s5, s4, s11
	s_sub_i32 s10, s10, s19
	s_ashr_i32 s5, s5, 31
	s_add_i32 s19, s18, 1
	s_sub_i32 s20, s10, s16
	s_cmp_ge_u32 s10, s16
	s_cselect_b32 s18, s19, s18
	s_cselect_b32 s10, s20, s10
	s_add_i32 s19, s18, 1
	s_cmp_ge_u32 s10, s16
	s_cselect_b32 s10, s19, s18
	s_xor_b32 s10, s10, s5
	s_sub_i32 s5, s10, s5
	s_mul_i32 s10, s5, s11
	s_sub_i32 s4, s4, s10
	s_add_i32 s4, s4, s8
	s_sub_i32 s8, s4, s17
.LBB3_9:
	s_mov_b32 s4, s8
	s_mov_b32 s8, s5
.LBB3_10:
	s_waitcnt lgkmcnt(0)
	s_mul_i32 s5, s7, s9
	s_ashr_i32 s10, s5, 31
	s_add_u32 s16, s12, s5
	s_addc_u32 s17, s13, s10
	s_add_u32 s20, s14, s5
	s_addc_u32 s21, s15, s10
	s_add_u32 s40, 0, 0
	s_addc_u32 s41, s24, -1
	s_add_u32 s5, 0, 0
	s_addc_u32 s5, s25, -1
	s_add_i32 s11, s30, -1
	s_mul_i32 s12, s11, s7
	s_sub_i32 s12, s26, s12
	s_mul_i32 s26, s4, 0xe0
	v_lshrrev_b32_e32 v19, 3, v18
	v_and_b32_e32 v4, 7, v18
	s_cmp_lt_u32 s9, s11
	v_mad_u32_u24 v0, v19, 7, s26
	v_lshlrev_b32_e32 v6, 4, v4
	s_cselect_b32 s7, s7, s12
	s_lshl_b32 s11, s8, 8
	v_mul_u32_u24_e32 v2, 7, v19
	v_mad_u64_u32 v[0:1], s[8:9], v0, s27, v[6:7]
	v_xor_b32_e32 v1, v2, v18
	v_and_b32_e32 v15, 7, v1
	v_mul_u32_u24_e32 v1, 0x380, v19
	v_lshl_or_b32 v16, v15, 4, v1
	v_and_b32_e32 v1, 0xf8, v18
	v_add_u32_e32 v2, s11, v1
	v_mad_u64_u32 v[2:3], s[8:9], v2, s28, v[6:7]
	v_lshl_or_b32 v14, v1, 7, v6
	v_and_b32_e32 v1, 63, v18
	v_and_b32_e32 v3, 48, v18
	v_sub_u32_e32 v1, v1, v3
	v_and_b32_e32 v3, 16, v19
	v_add_u32_e32 v13, v1, v3
	v_lshrrev_b16_e32 v3, 13, v13
	v_add_u16_e32 v3, v13, v3
	v_and_b32_e32 v3, -8, v3
	v_sub_u16_e32 v8, v13, v3
	v_lshrrev_b32_e32 v3, 2, v18
	v_and_b32_e32 v80, 16, v3
	v_add_u32_e32 v10, v1, v80
	v_mov_b32_e32 v11, 12
	v_lshrrev_b16_sdwa v1, v11, sext(v10) dst_sel:DWORD dst_unused:UNUSED_PAD src0_sel:DWORD src1_sel:BYTE_0
	v_and_b32_e32 v1, 7, v1
	v_add_u16_e32 v1, v10, v1
	s_ashr_i32 s4, s6, 31
	s_mov_b64 s[38:39], src_private_base
	v_and_b32_e32 v1, 0xf8, v1
	s_lshr_b32 s4, s4, 29
	s_movk_i32 s33, 0x200
	v_mov_b32_e32 v12, 0
	v_and_b32_e32 v9, 6, v19
	v_sub_u16_e32 v5, v10, v1
	s_add_i32 s6, s6, s4
	s_mov_b32 s38, 24
	s_mov_b32 s43, s39
	s_movk_i32 s42, 0xf8
	s_mov_b32 s44, s39
	s_mul_i32 s10, s41, s27
	s_mul_i32 s5, s5, s28
	buffer_store_dword v12, off, s[0:3], 0 offset:1404
	buffer_store_dword v12, off, s[0:3], 0 offset:1400
	buffer_store_dword v12, off, s[0:3], 0 offset:1396
	buffer_store_dword v12, off, s[0:3], 0 offset:1392
	buffer_store_dword v12, off, s[0:3], 0 offset:1388
	buffer_store_dword v12, off, s[0:3], 0 offset:1384
	buffer_store_dword v12, off, s[0:3], 0 offset:1380
	buffer_store_dword v12, off, s[0:3], 0 offset:1376
	buffer_store_dword v12, off, s[0:3], 0 offset:1372
	buffer_store_dword v12, off, s[0:3], 0 offset:1368
	buffer_store_dword v12, off, s[0:3], 0 offset:1364
	buffer_store_dword v12, off, s[0:3], 0 offset:1360
	buffer_store_dword v12, off, s[0:3], 0 offset:1356
	buffer_store_dword v12, off, s[0:3], 0 offset:1352
	buffer_store_dword v12, off, s[0:3], 0 offset:1348
	buffer_store_dword v12, off, s[0:3], 0 offset:1344
	buffer_store_dword v12, off, s[0:3], 0 offset:1340
	buffer_store_dword v12, off, s[0:3], 0 offset:1336
	buffer_store_dword v12, off, s[0:3], 0 offset:1332
	buffer_store_dword v12, off, s[0:3], 0 offset:1328
	buffer_store_dword v12, off, s[0:3], 0 offset:1324
	buffer_store_dword v12, off, s[0:3], 0 offset:1320
	buffer_store_dword v12, off, s[0:3], 0 offset:1316
	buffer_store_dword v12, off, s[0:3], 0 offset:1312
	buffer_store_dword v12, off, s[0:3], 0 offset:1308
	buffer_store_dword v12, off, s[0:3], 0 offset:1304
	buffer_store_dword v12, off, s[0:3], 0 offset:1300
	buffer_store_dword v12, off, s[0:3], 0 offset:1296
	buffer_store_dword v12, off, s[0:3], 0 offset:1292
	buffer_store_dword v12, off, s[0:3], 0 offset:1288
	buffer_store_dword v12, off, s[0:3], 0 offset:1284
	buffer_store_dword v12, off, s[0:3], 0 offset:1280
	buffer_store_dword v12, off, s[0:3], 0 offset:1276
	buffer_store_dword v12, off, s[0:3], 0 offset:1272
	buffer_store_dword v12, off, s[0:3], 0 offset:1268
	buffer_store_dword v12, off, s[0:3], 0 offset:1264
	buffer_store_dword v12, off, s[0:3], 0 offset:1260
	buffer_store_dword v12, off, s[0:3], 0 offset:1256
	buffer_store_dword v12, off, s[0:3], 0 offset:1252
	buffer_store_dword v12, off, s[0:3], 0 offset:1248
	buffer_store_dword v12, off, s[0:3], 0 offset:1244
	buffer_store_dword v12, off, s[0:3], 0 offset:1240
	buffer_store_dword v12, off, s[0:3], 0 offset:1236
	buffer_store_dword v12, off, s[0:3], 0 offset:1232
	buffer_store_dword v12, off, s[0:3], 0 offset:1228
	buffer_store_dword v12, off, s[0:3], 0 offset:1224
	buffer_store_dword v12, off, s[0:3], 0 offset:1220
	buffer_store_dword v12, off, s[0:3], 0 offset:1216
	buffer_store_dword v12, off, s[0:3], 0 offset:1212
	buffer_store_dword v12, off, s[0:3], 0 offset:1208
	buffer_store_dword v12, off, s[0:3], 0 offset:1204
	buffer_store_dword v12, off, s[0:3], 0 offset:1200
	buffer_store_dword v12, off, s[0:3], 0 offset:1196
	buffer_store_dword v12, off, s[0:3], 0 offset:1192
	buffer_store_dword v12, off, s[0:3], 0 offset:1188
	buffer_store_dword v12, off, s[0:3], 0 offset:1184
	buffer_store_dword v12, off, s[0:3], 0 offset:1180
	buffer_store_dword v12, off, s[0:3], 0 offset:1176
	buffer_store_dword v12, off, s[0:3], 0 offset:1172
	buffer_store_dword v12, off, s[0:3], 0 offset:1168
	buffer_store_dword v12, off, s[0:3], 0 offset:1164
	buffer_store_dword v12, off, s[0:3], 0 offset:1160
	buffer_store_dword v12, off, s[0:3], 0 offset:1156
	buffer_store_dword v12, off, s[0:3], 0 offset:1152
	buffer_store_dword v12, off, s[0:3], 0 offset:1148
	buffer_store_dword v12, off, s[0:3], 0 offset:1144
	buffer_store_dword v12, off, s[0:3], 0 offset:1140
	buffer_store_dword v12, off, s[0:3], 0 offset:1136
	buffer_store_dword v12, off, s[0:3], 0 offset:1132
	buffer_store_dword v12, off, s[0:3], 0 offset:1128
	buffer_store_dword v12, off, s[0:3], 0 offset:1124
	buffer_store_dword v12, off, s[0:3], 0 offset:1120
	buffer_store_dword v12, off, s[0:3], 0 offset:1116
	buffer_store_dword v12, off, s[0:3], 0 offset:1112
	buffer_store_dword v12, off, s[0:3], 0 offset:1108
	buffer_store_dword v12, off, s[0:3], 0 offset:1104
	buffer_store_dword v12, off, s[0:3], 0 offset:1100
	buffer_store_dword v12, off, s[0:3], 0 offset:1096
	buffer_store_dword v12, off, s[0:3], 0 offset:1092
	buffer_store_dword v12, off, s[0:3], 0 offset:1088
	buffer_store_dword v12, off, s[0:3], 0 offset:1084
	buffer_store_dword v12, off, s[0:3], 0 offset:1080
	buffer_store_dword v12, off, s[0:3], 0 offset:1076
	buffer_store_dword v12, off, s[0:3], 0 offset:1072
	buffer_store_dword v12, off, s[0:3], 0 offset:1068
	buffer_store_dword v12, off, s[0:3], 0 offset:1064
	buffer_store_dword v12, off, s[0:3], 0 offset:1060
	buffer_store_dword v12, off, s[0:3], 0 offset:1056
	buffer_store_dword v12, off, s[0:3], 0 offset:1052
	buffer_store_dword v12, off, s[0:3], 0 offset:1048
	buffer_store_dword v12, off, s[0:3], 0 offset:1044
	buffer_store_dword v12, off, s[0:3], 0 offset:1040
	buffer_store_dword v12, off, s[0:3], 0 offset:1036
	buffer_store_dword v12, off, s[0:3], 0 offset:1032
	buffer_store_dword v12, off, s[0:3], 0 offset:1028
	buffer_store_dword v12, off, s[0:3], 0 offset:1024
	buffer_store_dword v12, off, s[0:3], 0 offset:1020
	buffer_store_dword v12, off, s[0:3], 0 offset:1016
	buffer_store_dword v12, off, s[0:3], 0 offset:1012
	buffer_store_dword v12, off, s[0:3], 0 offset:1008
	buffer_store_dword v12, off, s[0:3], 0 offset:1004
	buffer_store_dword v12, off, s[0:3], 0 offset:1000
	buffer_store_dword v12, off, s[0:3], 0 offset:996
	buffer_store_dword v12, off, s[0:3], 0 offset:992
	buffer_store_dword v12, off, s[0:3], 0 offset:988
	buffer_store_dword v12, off, s[0:3], 0 offset:984
	buffer_store_dword v12, off, s[0:3], 0 offset:980
	buffer_store_dword v12, off, s[0:3], 0 offset:976
	buffer_store_dword v12, off, s[0:3], 0 offset:972
	buffer_store_dword v12, off, s[0:3], 0 offset:968
	buffer_store_dword v12, off, s[0:3], 0 offset:964
	buffer_store_dword v12, off, s[0:3], 0 offset:960
	buffer_store_dword v12, off, s[0:3], 0 offset:956
	buffer_store_dword v12, off, s[0:3], 0 offset:952
	buffer_store_dword v12, off, s[0:3], 0 offset:948
	buffer_store_dword v12, off, s[0:3], 0 offset:944
	buffer_store_dword v12, off, s[0:3], 0 offset:940
	buffer_store_dword v12, off, s[0:3], 0 offset:936
	buffer_store_dword v12, off, s[0:3], 0 offset:932
	buffer_store_dword v12, off, s[0:3], 0 offset:928
	buffer_store_dword v12, off, s[0:3], 0 offset:924
	buffer_store_dword v12, off, s[0:3], 0 offset:920
	buffer_store_dword v12, off, s[0:3], 0 offset:916
	buffer_store_dword v12, off, s[0:3], 0 offset:912
	buffer_store_dword v12, off, s[0:3], 0 offset:908
	buffer_store_dword v12, off, s[0:3], 0 offset:904
	buffer_store_dword v12, off, s[0:3], 0 offset:900
	buffer_store_dword v12, off, s[0:3], 0 offset:896
	buffer_store_dword v12, off, s[0:3], 0 offset:892
	buffer_store_dword v12, off, s[0:3], 0 offset:888
	buffer_store_dword v12, off, s[0:3], 0 offset:884
	buffer_store_dword v12, off, s[0:3], 0 offset:880
	buffer_store_dword v12, off, s[0:3], 0 offset:876
	buffer_store_dword v12, off, s[0:3], 0 offset:872
	buffer_store_dword v12, off, s[0:3], 0 offset:868
	buffer_store_dword v12, off, s[0:3], 0 offset:864
	buffer_store_dword v12, off, s[0:3], 0 offset:860
	buffer_store_dword v12, off, s[0:3], 0 offset:856
	buffer_store_dword v12, off, s[0:3], 0 offset:852
	buffer_store_dword v12, off, s[0:3], 0 offset:848
	buffer_store_dword v12, off, s[0:3], 0 offset:844
	buffer_store_dword v12, off, s[0:3], 0 offset:840
	buffer_store_dword v12, off, s[0:3], 0 offset:836
	buffer_store_dword v12, off, s[0:3], 0 offset:832
	buffer_store_dword v12, off, s[0:3], 0 offset:828
	buffer_store_dword v12, off, s[0:3], 0 offset:824
	buffer_store_dword v12, off, s[0:3], 0 offset:820
	buffer_store_dword v12, off, s[0:3], 0 offset:816
	buffer_store_dword v12, off, s[0:3], 0 offset:812
	buffer_store_dword v12, off, s[0:3], 0 offset:808
	buffer_store_dword v12, off, s[0:3], 0 offset:804
	buffer_store_dword v12, off, s[0:3], 0 offset:800
	buffer_store_dword v12, off, s[0:3], 0 offset:796
	buffer_store_dword v12, off, s[0:3], 0 offset:792
	buffer_store_dword v12, off, s[0:3], 0 offset:788
	buffer_store_dword v12, off, s[0:3], 0 offset:784
	buffer_store_dword v12, off, s[0:3], 0 offset:780
	buffer_store_dword v12, off, s[0:3], 0 offset:776
	buffer_store_dword v12, off, s[0:3], 0 offset:772
	buffer_store_dword v12, off, s[0:3], 0 offset:768
	buffer_store_dword v12, off, s[0:3], 0 offset:764
	buffer_store_dword v12, off, s[0:3], 0 offset:760
	buffer_store_dword v12, off, s[0:3], 0 offset:756
	buffer_store_dword v12, off, s[0:3], 0 offset:752
	buffer_store_dword v12, off, s[0:3], 0 offset:748
	buffer_store_dword v12, off, s[0:3], 0 offset:744
	buffer_store_dword v12, off, s[0:3], 0 offset:740
	buffer_store_dword v12, off, s[0:3], 0 offset:736
	buffer_store_dword v12, off, s[0:3], 0 offset:732
	buffer_store_dword v12, off, s[0:3], 0 offset:728
	buffer_store_dword v12, off, s[0:3], 0 offset:724
	buffer_store_dword v12, off, s[0:3], 0 offset:720
	buffer_store_dword v12, off, s[0:3], 0 offset:716
	buffer_store_dword v12, off, s[0:3], 0 offset:712
	buffer_store_dword v12, off, s[0:3], 0 offset:708
	buffer_store_dword v12, off, s[0:3], 0 offset:704
	buffer_store_dword v12, off, s[0:3], 0 offset:700
	buffer_store_dword v12, off, s[0:3], 0 offset:696
	buffer_store_dword v12, off, s[0:3], 0 offset:692
	buffer_store_dword v12, off, s[0:3], 0 offset:688
	buffer_store_dword v12, off, s[0:3], 0 offset:684
	buffer_store_dword v12, off, s[0:3], 0 offset:680
	buffer_store_dword v12, off, s[0:3], 0 offset:676
	buffer_store_dword v12, off, s[0:3], 0 offset:672
	buffer_store_dword v12, off, s[0:3], 0 offset:668
	buffer_store_dword v12, off, s[0:3], 0 offset:664
	buffer_store_dword v12, off, s[0:3], 0 offset:660
	buffer_store_dword v12, off, s[0:3], 0 offset:656
	buffer_store_dword v12, off, s[0:3], 0 offset:652
	buffer_store_dword v12, off, s[0:3], 0 offset:648
	buffer_store_dword v12, off, s[0:3], 0 offset:644
	buffer_store_dword v12, off, s[0:3], 0 offset:640
	buffer_store_dword v12, off, s[0:3], 0 offset:636
	buffer_store_dword v12, off, s[0:3], 0 offset:632
	buffer_store_dword v12, off, s[0:3], 0 offset:628
	buffer_store_dword v12, off, s[0:3], 0 offset:624
	buffer_store_dword v12, off, s[0:3], 0 offset:620
	buffer_store_dword v12, off, s[0:3], 0 offset:616
	buffer_store_dword v12, off, s[0:3], 0 offset:612
	buffer_store_dword v12, off, s[0:3], 0 offset:608
	buffer_store_dword v12, off, s[0:3], 0 offset:604
	buffer_store_dword v12, off, s[0:3], 0 offset:600
	buffer_store_dword v12, off, s[0:3], 0 offset:596
	buffer_store_dword v12, off, s[0:3], 0 offset:592
	buffer_store_dword v12, off, s[0:3], 0 offset:588
	buffer_store_dword v12, off, s[0:3], 0 offset:584
	buffer_store_dword v12, off, s[0:3], 0 offset:580
	buffer_store_dword v12, off, s[0:3], 0 offset:576
	buffer_store_dword v12, off, s[0:3], 0 offset:572
	buffer_store_dword v12, off, s[0:3], 0 offset:568
	buffer_store_dword v12, off, s[0:3], 0 offset:564
	buffer_store_dword v12, off, s[0:3], 0 offset:560
	buffer_store_dword v12, off, s[0:3], 0 offset:556
	buffer_store_dword v12, off, s[0:3], 0 offset:552
	buffer_store_dword v12, off, s[0:3], 0 offset:548
	buffer_store_dword v12, off, s[0:3], 0 offset:544
	buffer_store_dword v12, off, s[0:3], 0 offset:540
	buffer_store_dword v12, off, s[0:3], 0 offset:536
	buffer_store_dword v12, off, s[0:3], 0 offset:532
	buffer_store_dword v12, off, s[0:3], 0 offset:528
	buffer_store_dword v12, off, s[0:3], 0 offset:524
	buffer_store_dword v12, off, s[0:3], 0 offset:520
	buffer_store_dword v12, off, s[0:3], 0 offset:516
	buffer_store_dword v12, off, s[0:3], 0 offset:512
	v_xor_b32_sdwa v6, v9, sext(v8) dst_sel:DWORD dst_unused:UNUSED_PAD src0_sel:DWORD src1_sel:WORD_0
	v_lshlrev_b32_e32 v7, 7, v13
	v_xor_b32_sdwa v1, v9, sext(v5) dst_sel:DWORD dst_unused:UNUSED_PAD src0_sel:DWORD src1_sel:BYTE_0
	v_lshlrev_b32_e32 v3, 7, v10
	s_ashr_i32 s4, s6, 3
	; sched_barrier mask(0x00000000)
	buffer_store_dword v12, off, s[0:3], 0 offset:24
	buffer_store_dword v12, off, s[0:3], 0 offset:28
	;; [unrolled: 1-line block ×120, first 2 shown]
	s_add_i32 s18, s7, s10
	s_mov_b32 s19, 0x20000
	buffer_load_dwordx4 v[20:23], v0, s[16:19], 0 offen
	v_add_u32_e32 v17, s27, v0
	buffer_load_dwordx4 v[24:27], v17, s[16:19], 0 offen
	v_add_u32_e32 v17, s27, v17
	;; [unrolled: 2-line block ×6, first 2 shown]
	buffer_load_dwordx4 v[44:47], v17, s[16:19], 0 offen
	s_add_i32 s22, s7, s5
	s_mov_b32 s23, s19
	buffer_load_dwordx4 v[48:51], v2, s[20:23], 0 offen
	v_add_u32_e32 v56, s28, v2
	buffer_load_dwordx4 v[52:55], v56, s[20:23], 0 offen
	v_add_u32_e32 v60, s28, v56
	;; [unrolled: 2-line block ×4, first 2 shown]
	v_add_u32_e32 v73, s28, v72
	buffer_load_dwordx4 v[64:67], v72, s[20:23], 0 offen
	buffer_load_dwordx4 v[68:71], v73, s[20:23], 0 offen
	v_add_u32_e32 v81, s28, v73
	v_add_u32_e32 v82, s28, v81
	buffer_load_dwordx4 v[72:75], v81, s[20:23], 0 offen
	buffer_load_dwordx4 v[76:79], v82, s[20:23], 0 offen
	s_mul_i32 s5, s27, -6
	s_addk_i32 s5, 0x80
	v_add_u32_e32 v17, s5, v17
	s_mul_i32 s5, s28, -7
	s_addk_i32 s5, 0x80
	v_add_u32_e32 v99, s5, v82
	v_xor_b32_e32 v108, v9, v4
	v_or_b32_e32 v110, 1, v9
	v_add_u16_e32 v10, 32, v10
	v_lshrrev_b16_sdwa v11, v11, sext(v10) dst_sel:DWORD dst_unused:UNUSED_PAD src0_sel:DWORD src1_sel:BYTE_0
	v_and_b32_e32 v11, 7, v11
	v_add_u16_e32 v11, v10, v11
	v_and_b32_e32 v11, 0xf8, v11
	v_sub_u16_e32 v111, v10, v11
	v_xor_b32_sdwa v8, v110, sext(v8) dst_sel:DWORD dst_unused:UNUSED_PAD src0_sel:DWORD src1_sel:WORD_0
	v_lshlrev_b32_e32 v8, 4, v8
	s_waitcnt vmcnt(14)
	ds_write_b128 v16, v[20:23]
	v_mad_u32_u24 v20, v19, 7, 1
	v_xor_b32_e32 v20, v20, v18
	v_and_b32_e32 v20, 7, v20
	v_sub_u32_e32 v21, v20, v15
	v_mad_u32_u24 v22, v19, 7, 2
	v_lshlrev_b32_e32 v21, 4, v21
	v_xor_b32_e32 v22, v22, v18
	v_add_u32_e32 v81, 0x80, v21
	v_add_u32_e32 v21, v16, v21
	v_and_b32_e32 v22, 7, v22
	s_waitcnt vmcnt(13)
	ds_write_b128 v21, v[24:27] offset:128
	v_sub_u32_e32 v20, v22, v20
	v_mov_b32_e32 v24, 0x80
	v_lshl_add_u32 v82, v20, 4, v24
	v_add_u32_e32 v20, v21, v82
	v_mad_u32_u24 v21, v19, 7, 3
	v_xor_b32_e32 v21, v21, v18
	v_and_b32_e32 v21, 7, v21
	v_sub_u32_e32 v22, v21, v22
	v_lshl_add_u32 v83, v22, 4, v24
	v_xor_b32_e32 v22, 4, v15
	v_sub_u32_e32 v21, v22, v21
	v_lshl_add_u32 v84, v21, 4, v24
	v_mad_u32_u24 v21, v19, 7, 5
	v_xor_b32_e32 v21, v21, v18
	v_and_b32_e32 v21, 7, v21
	v_sub_u32_e32 v22, v21, v22
	v_lshl_add_u32 v85, v22, 4, v24
	v_mad_u32_u24 v22, v19, 7, 6
	v_xor_b32_e32 v22, v22, v18
	s_waitcnt vmcnt(12)
	ds_write_b128 v20, v[28:31] offset:128
	v_add_u32_e32 v20, v20, v83
	v_and_b32_e32 v25, 7, v22
	v_add3_u32 v16, v81, v16, v82
	s_waitcnt vmcnt(11)
	ds_write_b128 v20, v[32:35] offset:128
	v_add_u32_e32 v20, v20, v84
	v_sub_u32_e32 v21, v25, v21
	v_add3_u32 v16, v16, v83, v84
	s_waitcnt vmcnt(10)
	ds_write_b128 v20, v[36:39] offset:128
	v_add_u32_e32 v20, v20, v85
	v_lshl_add_u32 v86, v21, 4, v24
	v_add3_u32 v94, v16, v85, v86
	v_add_u32_e32 v16, v20, v86
	s_waitcnt vmcnt(9)
	ds_write_b128 v20, v[40:43] offset:128
	s_waitcnt vmcnt(8)
	ds_write_b128 v16, v[44:47] offset:128
	v_sub_u32_e32 v15, v15, v25
	v_mov_b32_e32 v16, 0xfffffd00
	v_lshl_add_u32 v87, v15, 4, v16
	v_xor_b32_e32 v15, 1, v4
	v_sub_u32_e32 v16, v15, v4
	v_lshlrev_b32_e32 v88, 4, v16
	v_add_u32_e32 v89, 0x80, v88
	s_waitcnt vmcnt(7)
	ds_write_b128 v14, v[48:51] offset:28672
	v_add_u32_e32 v16, v89, v14
	v_add_u32_e32 v14, v14, v88
	s_waitcnt vmcnt(6)
	ds_write_b128 v14, v[52:55] offset:28800
	v_xor_b32_e32 v14, 2, v4
	v_sub_u32_e32 v15, v14, v15
	v_xor_b32_e32 v25, 3, v4
	v_lshlrev_b32_e32 v15, 4, v15
	v_sub_u32_e32 v14, v25, v14
	v_add_u32_e32 v90, 0x80, v15
	v_lshl_add_u32 v91, v14, 4, v24
	v_add_u32_e32 v15, v15, v16
	v_add3_u32 v14, v90, v16, v91
	v_xor_b32_e32 v16, 4, v4
	v_sub_u32_e32 v25, v16, v25
	v_lshl_add_u32 v92, v25, 4, v24
	v_xor_b32_e32 v25, 5, v4
	v_sub_u32_e32 v16, v25, v16
	v_lshl_add_u32 v93, v16, 4, v24
	v_xor_b32_e32 v16, 6, v4
	s_waitcnt vmcnt(5)
	ds_write_b128 v15, v[56:59] offset:28800
	v_add_u32_e32 v15, v15, v91
	v_sub_u32_e32 v25, v16, v25
	s_waitcnt vmcnt(4)
	ds_write_b128 v15, v[60:63] offset:28800
	v_add_u32_e32 v15, v15, v92
	v_lshl_add_u32 v95, v25, 4, v24
	v_xor_b32_e32 v25, 7, v4
	s_waitcnt vmcnt(3)
	ds_write_b128 v15, v[64:67] offset:28800
	v_add_u32_e32 v15, v15, v93
	v_sub_u32_e32 v16, v25, v16
	v_add3_u32 v14, v14, v92, v93
	s_waitcnt vmcnt(2)
	ds_write_b128 v15, v[68:71] offset:28800
	v_add_u32_e32 v15, v15, v95
	v_lshl_add_u32 v96, v16, 4, v24
	v_add3_u32 v98, v14, v95, v96
	v_add_u32_e32 v14, v15, v96
	s_waitcnt vmcnt(1)
	ds_write_b128 v15, v[72:75] offset:28800
	s_waitcnt vmcnt(0)
	ds_write_b128 v14, v[76:79] offset:28800
	v_sub_u32_e32 v14, v4, v25
	v_mov_b32_e32 v15, 0xfffffc80
	v_lshl_add_u32 v97, v14, 4, v15
	v_add_u32_e32 v14, s27, v17
	v_add_u32_e32 v15, s27, v14
	buffer_load_dwordx4 v[20:23], v17, s[16:19], 0 offen
	buffer_load_dwordx4 v[28:31], v14, s[16:19], 0 offen
	;; [unrolled: 1-line block ×3, first 2 shown]
	v_add_u32_e32 v14, s27, v15
	v_add_u32_e32 v15, s27, v14
	buffer_load_dwordx4 v[36:39], v14, s[16:19], 0 offen
	buffer_load_dwordx4 v[32:35], v15, s[16:19], 0 offen
	v_add_u32_e32 v14, s27, v15
	v_add_u32_e32 v15, s27, v14
	buffer_load_dwordx4 v[40:43], v14, s[16:19], 0 offen
	buffer_load_dwordx4 v[44:47], v15, s[16:19], 0 offen
	v_add_u32_e32 v14, s28, v99
	buffer_load_dwordx4 v[60:63], v99, s[20:23], 0 offen
	buffer_load_dwordx4 v[48:51], v14, s[20:23], 0 offen
	v_add_u32_e32 v14, s28, v14
	v_add_u32_e32 v15, s28, v14
	buffer_load_dwordx4 v[52:55], v14, s[20:23], 0 offen
	buffer_load_dwordx4 v[56:59], v15, s[20:23], 0 offen
	v_add_u32_e32 v14, s28, v15
	v_add_u32_e32 v15, s28, v14
	buffer_load_dwordx4 v[68:71], v14, s[20:23], 0 offen
	buffer_load_dwordx4 v[72:75], v15, s[20:23], 0 offen
	v_add_u32_e32 v14, s28, v15
	v_add_u32_e32 v15, s28, v14
	buffer_load_dwordx4 v[76:79], v14, s[20:23], 0 offen
	buffer_load_dwordx4 v[64:67], v15, s[20:23], 0 offen
	s_nop 0
	buffer_store_dword v12, off, s[0:3], 0 offset:516
	buffer_store_dword v12, off, s[0:3], 0 offset:512
	;; [unrolled: 1-line block ×224, first 2 shown]
	v_lshl_add_u32 v99, v6, 4, v7
	v_sub_u32_e32 v12, v108, v6
	v_lshl_add_u32 v100, v12, 4, v99
	v_add_u16_e32 v12, 32, v13
	v_ashrrev_i16_e32 v13, 15, v12
	v_lshrrev_b16_e32 v13, 13, v13
	v_add_u16_e32 v13, v12, v13
	s_waitcnt lgkmcnt(0)
	s_barrier
	ds_read_b128 v[14:17], v99
	ds_read_b128 v[104:107], v100 offset:8192
	v_and_b32_e32 v13, -8, v13
	v_sub_u16_e32 v109, v12, v13
	v_xor_b32_sdwa v12, v9, sext(v109) dst_sel:DWORD dst_unused:UNUSED_PAD src0_sel:DWORD src1_sel:WORD_0
	v_sub_u32_e32 v12, v12, v6
	v_lshlrev_b32_e32 v12, 4, v12
	s_waitcnt lgkmcnt(1)
	buffer_store_dword v14, off, s[0:3], 0 offset:24
	buffer_store_dword v15, off, s[0:3], 0 offset:28
	;; [unrolled: 1-line block ×4, first 2 shown]
	v_add_u32_e32 v101, v99, v12
	ds_read_b128 v[12:15], v101 offset:4096
	v_lshl_add_u32 v16, v1, 4, v3
	v_xor_b32_e32 v4, v110, v4
	v_add_u32_e32 v102, 0x7000, v16
	v_sub_u32_e32 v17, v4, v1
	v_lshl_add_u32 v103, v17, 4, v102
	ds_read_b128 v[112:115], v103 offset:28672
	s_waitcnt lgkmcnt(1)
	buffer_store_dword v12, off, s[0:3], 0 offset:40
	buffer_store_dword v13, off, s[0:3], 0 offset:44
	;; [unrolled: 1-line block ×5, first 2 shown]
	ds_read_b128 v[12:15], v100 offset:12288
	buffer_store_dword v105, off, s[0:3], 0 offset:60
	buffer_store_dword v106, off, s[0:3], 0 offset:64
	;; [unrolled: 1-line block ×3, first 2 shown]
	ds_read_b128 v[104:107], v100 offset:16384
	s_waitcnt lgkmcnt(1)
	buffer_store_dword v12, off, s[0:3], 0 offset:72
	buffer_store_dword v13, off, s[0:3], 0 offset:76
	;; [unrolled: 1-line block ×4, first 2 shown]
	s_waitcnt lgkmcnt(0)
	buffer_store_dword v104, off, s[0:3], 0 offset:88
	ds_read_b128 v[12:15], v100 offset:20480
	buffer_store_dword v105, off, s[0:3], 0 offset:92
	buffer_store_dword v106, off, s[0:3], 0 offset:96
	;; [unrolled: 1-line block ×3, first 2 shown]
	ds_read_b128 v[104:107], v100 offset:24576
	s_waitcnt lgkmcnt(1)
	buffer_store_dword v12, off, s[0:3], 0 offset:104
	buffer_store_dword v13, off, s[0:3], 0 offset:108
	;; [unrolled: 1-line block ×4, first 2 shown]
	s_waitcnt lgkmcnt(0)
	buffer_store_dword v104, off, s[0:3], 0 offset:120
	buffer_store_dword v105, off, s[0:3], 0 offset:124
	;; [unrolled: 1-line block ×4, first 2 shown]
	v_xor_b32_sdwa v9, v9, sext(v111) dst_sel:DWORD dst_unused:UNUSED_PAD src0_sel:DWORD src1_sel:BYTE_0
	ds_read_b128 v[10:13], v16 offset:28672
	v_sub_u32_e32 v9, v9, v1
	v_lshlrev_b32_e32 v9, 4, v9
	v_add_u32_e32 v104, v102, v9
	ds_read_b128 v[14:17], v104 offset:4096
	v_sub_u32_e32 v9, v108, v1
	s_waitcnt lgkmcnt(1)
	buffer_store_dword v10, off, s[0:3], 0 offset:248
	buffer_store_dword v11, off, s[0:3], 0 offset:252
	;; [unrolled: 1-line block ×4, first 2 shown]
	s_waitcnt lgkmcnt(0)
	buffer_store_dword v14, off, s[0:3], 0 offset:264
	v_lshl_add_u32 v105, v9, 4, v102
	ds_read_b128 v[10:13], v105 offset:8192
	buffer_store_dword v15, off, s[0:3], 0 offset:268
	buffer_store_dword v16, off, s[0:3], 0 offset:272
	buffer_store_dword v17, off, s[0:3], 0 offset:276
	ds_read_b128 v[14:17], v105 offset:12288
	s_waitcnt lgkmcnt(1)
	buffer_store_dword v10, off, s[0:3], 0 offset:280
	buffer_store_dword v11, off, s[0:3], 0 offset:284
	buffer_store_dword v12, off, s[0:3], 0 offset:288
	buffer_store_dword v13, off, s[0:3], 0 offset:292
	s_waitcnt lgkmcnt(0)
	buffer_store_dword v14, off, s[0:3], 0 offset:296
	ds_read_b128 v[10:13], v105 offset:16384
	buffer_store_dword v15, off, s[0:3], 0 offset:300
	buffer_store_dword v16, off, s[0:3], 0 offset:304
	buffer_store_dword v17, off, s[0:3], 0 offset:308
	ds_read_b128 v[14:17], v105 offset:20480
	s_waitcnt lgkmcnt(1)
	buffer_store_dword v10, off, s[0:3], 0 offset:312
	buffer_store_dword v11, off, s[0:3], 0 offset:316
	buffer_store_dword v12, off, s[0:3], 0 offset:320
	buffer_store_dword v13, off, s[0:3], 0 offset:324
	s_waitcnt lgkmcnt(0)
	buffer_store_dword v14, off, s[0:3], 0 offset:328
	;; [unrolled: 12-line block ×3, first 2 shown]
	buffer_store_dword v15, off, s[0:3], 0 offset:364
	buffer_store_dword v16, off, s[0:3], 0 offset:368
	;; [unrolled: 1-line block ×3, first 2 shown]
	v_add_u32_e32 v106, v8, v7
	v_xor_b32_sdwa v7, v110, sext(v109) dst_sel:DWORD dst_unused:UNUSED_PAD src0_sel:DWORD src1_sel:WORD_0
	ds_read_b128 v[8:11], v106
	v_sub_u32_e32 v7, v7, v6
	v_lshlrev_b32_e32 v7, 4, v7
	v_add_u32_e32 v107, v99, v7
	ds_read_b128 v[12:15], v107 offset:4096
	v_sub_u32_e32 v4, v4, v6
	s_waitcnt lgkmcnt(1)
	buffer_store_dword v8, off, s[0:3], 0 offset:136
	buffer_store_dword v9, off, s[0:3], 0 offset:140
	;; [unrolled: 1-line block ×4, first 2 shown]
	s_waitcnt lgkmcnt(0)
	buffer_store_dword v12, off, s[0:3], 0 offset:152
	v_lshl_add_u32 v108, v4, 4, v99
	ds_read_b128 v[6:9], v108 offset:8192
	buffer_store_dword v13, off, s[0:3], 0 offset:156
	buffer_store_dword v14, off, s[0:3], 0 offset:160
	;; [unrolled: 1-line block ×3, first 2 shown]
	ds_read_b128 v[10:13], v108 offset:12288
	s_waitcnt lgkmcnt(1)
	buffer_store_dword v6, off, s[0:3], 0 offset:168
	buffer_store_dword v7, off, s[0:3], 0 offset:172
	;; [unrolled: 1-line block ×4, first 2 shown]
	s_waitcnt lgkmcnt(0)
	buffer_store_dword v10, off, s[0:3], 0 offset:184
	ds_read_b128 v[6:9], v108 offset:16384
	buffer_store_dword v11, off, s[0:3], 0 offset:188
	buffer_store_dword v12, off, s[0:3], 0 offset:192
	;; [unrolled: 1-line block ×3, first 2 shown]
	ds_read_b128 v[10:13], v108 offset:20480
	s_waitcnt lgkmcnt(1)
	buffer_store_dword v6, off, s[0:3], 0 offset:200
	buffer_store_dword v7, off, s[0:3], 0 offset:204
	;; [unrolled: 1-line block ×4, first 2 shown]
	s_waitcnt lgkmcnt(0)
	buffer_store_dword v10, off, s[0:3], 0 offset:216
	ds_read_b128 v[6:9], v108 offset:24576
	v_xor_b32_sdwa v4, v110, sext(v5) dst_sel:DWORD dst_unused:UNUSED_PAD src0_sel:DWORD src1_sel:BYTE_0
	buffer_store_dword v11, off, s[0:3], 0 offset:220
	buffer_store_dword v12, off, s[0:3], 0 offset:224
	;; [unrolled: 1-line block ×3, first 2 shown]
	v_lshlrev_b32_e32 v4, 4, v4
	ds_read_b128 v[10:13], v103 offset:8192
	s_waitcnt lgkmcnt(1)
	buffer_store_dword v6, off, s[0:3], 0 offset:232
	buffer_store_dword v7, off, s[0:3], 0 offset:236
	;; [unrolled: 1-line block ×4, first 2 shown]
	v_add_u32_e32 v109, v4, v3
	v_xor_b32_sdwa v3, v110, sext(v111) dst_sel:DWORD dst_unused:UNUSED_PAD src0_sel:DWORD src1_sel:BYTE_0
	ds_read_b128 v[4:7], v109 offset:28672
	v_sub_u32_e32 v1, v3, v1
	v_lshlrev_b32_e32 v1, 4, v1
	v_add_u32_e32 v110, v102, v1
	ds_read_b128 v[14:17], v110 offset:4096
	s_waitcnt lgkmcnt(1)
	buffer_store_dword v4, off, s[0:3], 0 offset:376
	buffer_store_dword v5, off, s[0:3], 0 offset:380
	;; [unrolled: 1-line block ×4, first 2 shown]
	s_waitcnt lgkmcnt(0)
	buffer_store_dword v14, off, s[0:3], 0 offset:392
	buffer_store_dword v15, off, s[0:3], 0 offset:396
	buffer_store_dword v16, off, s[0:3], 0 offset:400
	buffer_store_dword v17, off, s[0:3], 0 offset:404
	buffer_store_dword v10, off, s[0:3], 0 offset:408
	ds_read_b128 v[4:7], v103 offset:12288
	buffer_store_dword v11, off, s[0:3], 0 offset:412
	buffer_store_dword v12, off, s[0:3], 0 offset:416
	;; [unrolled: 1-line block ×3, first 2 shown]
	ds_read_b128 v[8:11], v103 offset:16384
	s_waitcnt lgkmcnt(1)
	buffer_store_dword v4, off, s[0:3], 0 offset:424
	buffer_store_dword v5, off, s[0:3], 0 offset:428
	buffer_store_dword v6, off, s[0:3], 0 offset:432
	buffer_store_dword v7, off, s[0:3], 0 offset:436
	s_waitcnt lgkmcnt(0)
	buffer_store_dword v8, off, s[0:3], 0 offset:440
	ds_read_b128 v[4:7], v103 offset:20480
	buffer_store_dword v9, off, s[0:3], 0 offset:444
	buffer_store_dword v10, off, s[0:3], 0 offset:448
	;; [unrolled: 1-line block ×3, first 2 shown]
	ds_read_b128 v[8:11], v103 offset:24576
	s_waitcnt lgkmcnt(1)
	buffer_store_dword v4, off, s[0:3], 0 offset:456
	buffer_store_dword v5, off, s[0:3], 0 offset:460
	;; [unrolled: 1-line block ×4, first 2 shown]
	s_waitcnt lgkmcnt(0)
	buffer_store_dword v8, off, s[0:3], 0 offset:472
	buffer_store_dword v9, off, s[0:3], 0 offset:476
	;; [unrolled: 1-line block ×8, first 2 shown]
	; sched_barrier mask(0x00000000)
	s_add_i32 s4, s4, -1
	s_mov_b32 s45, 0
	s_mov_b32 s46, s39
	s_max_i32 s47, s4, 1
	v_add_u32_e32 v111, 0x100, v2
	v_add_u32_e32 v112, 0x100, v0
	v_mov_b32_e32 v113, s39
	v_mov_b32_e32 v114, s38
	;; [unrolled: 1-line block ×6, first 2 shown]
.LBB3_11:                               ; =>This Inner Loop Header: Depth=1
	v_add_u32_e32 v0, v87, v94
	v_add_u32_e32 v1, v97, v98
	s_waitcnt lgkmcnt(0)
	s_barrier
	v_add_u32_e32 v3, s28, v111
	ds_write_b128 v0, v[20:23]
	v_add_u32_e32 v0, v0, v81
	v_add_u32_e32 v4, v88, v1
	;; [unrolled: 1-line block ×4, first 2 shown]
	ds_write_b128 v0, v[28:31]
	v_add_u32_e32 v0, v0, v82
	v_add_u32_e32 v7, v4, v90
	;; [unrolled: 1-line block ×4, first 2 shown]
	buffer_load_dwordx4 v[28:31], v2, s[16:19], 0 offen
	ds_write_b128 v0, v[24:27]
	v_add_u32_e32 v0, v0, v83
	v_add_u32_e32 v2, v7, v91
	;; [unrolled: 1-line block ×4, first 2 shown]
	ds_write_b128 v0, v[36:39]
	v_add_u32_e32 v0, v0, v84
	v_add_u32_e32 v11, v2, v92
	buffer_load_dwordx4 v[24:27], v5, s[16:19], 0 offen
	v_add_u32_e32 v5, s27, v8
	v_add_u32_e32 v13, s28, v10
	buffer_load_dwordx4 v[36:39], v8, s[16:19], 0 offen
	ds_write_b128 v0, v[32:35]
	v_add_u32_e32 v0, v0, v85
	v_add_u32_e32 v8, v11, v93
	;; [unrolled: 1-line block ×4, first 2 shown]
	ds_write_b128 v0, v[40:43]
	v_add_u32_e32 v94, v0, v86
	v_add_u32_e32 v0, v8, v95
	buffer_load_dwordx4 v[32:35], v5, s[16:19], 0 offen
	v_add_u32_e32 v5, s27, v12
	v_add_u32_e32 v15, s28, v14
	ds_write_b128 v94, v[44:47]
	ds_write_b128 v1, v[60:63] offset:28672
	ds_write_b128 v4, v[48:51] offset:28800
	ds_write_b128 v7, v[52:55] offset:28800
	ds_write_b128 v2, v[56:59] offset:28800
	ds_write_b128 v11, v[68:71] offset:28800
	ds_write_b128 v8, v[72:75] offset:28800
	ds_write_b128 v0, v[76:79] offset:28800
	v_add_u32_e32 v0, v0, v96
	buffer_load_dwordx4 v[20:23], v112, s[16:19], 0 offen
	buffer_load_dwordx4 v[40:43], v12, s[16:19], 0 offen
	;; [unrolled: 1-line block ×10, first 2 shown]
	ds_write_b128 v0, v[64:67] offset:28800
	buffer_load_dwordx4 v[64:67], v15, s[20:23], 0 offen
	v_add_u32_e32 v0, v89, v1
	v_add3_u32 v0, v0, v90, v91
	v_add3_u32 v0, v0, v92, v93
	;; [unrolled: 1-line block ×3, first 2 shown]
	v_mov_b32_e32 v0, s45
	v_mov_b32_e32 v1, s46
                                        ; kill: killed $vgpr3
                                        ; kill: killed $vgpr14
                                        ; kill: killed $vgpr10
                                        ; kill: killed $vgpr6
                                        ; kill: killed $vgpr5
                                        ; kill: killed $vgpr13
                                        ; kill: killed $vgpr9
	s_getpc_b64 s[4:5]
	s_add_u32 s4, s4, _ZNK2ck6detail7applierIiJLi0ELi1ELi2ELi3ELi4ELi5ELi6ELi7ELi8ELi9ELi10ELi11ELi12ELi13ELi14ELi15ELi16ELi17ELi18ELi19ELi20ELi21ELi22ELi23ELi24ELi25ELi26ELi27ELi28ELi29ELi30ELi31ELi32ELi33ELi34ELi35ELi36ELi37ELi38ELi39ELi40ELi41ELi42ELi43ELi44ELi45ELi46ELi47ELi48ELi49ELi50ELi51ELi52ELi53ELi54ELi55ELi56ELi57ELi58ELi59ELi60ELi61ELi62ELi63ELi64ELi65ELi66ELi67ELi68ELi69ELi70ELi71ELi72ELi73ELi74ELi75ELi76ELi77ELi78ELi79ELi80ELi81ELi82ELi83ELi84ELi85ELi86ELi87ELi88ELi89ELi90ELi91ELi92ELi93ELi94ELi95ELi96ELi97ELi98ELi99ELi100ELi101ELi102ELi103ELi104ELi105ELi106ELi107ELi108ELi109ELi110ELi111EEEclIZNKS_11static_fordINS_8SequenceIJLi2ELi7ELi8EEEENS5_IJLi0ELi1ELi2EEEEEclIZNKS_31BlockwiseGemmXdlops_pipeline_v3ILNS_26BlockGemmPipelineSchedulerE0ELi256ENS_9f8_fnuz_tESC_SC_fNS_16TensorDescriptorINS_5TupleIJNS_5EmbedINSE_IJNS_17integral_constantIiLi8EEENSG_IiLi224EEENSG_IiLi16EEEEEENSE_IJSJ_NSG_IiLi128EEENSG_IiLi1EEEEEELb0EEENS_3XorINSE_IJSI_SH_EEELb1EEENS_11PassThroughISJ_EENS_7UnMergeINSE_IJSH_SM_EEELb0EEENSS_ISI_EEST_NSS_ISH_EENS_21Merge_v3_division_modINSE_IJSI_SM_EEEEEST_EEENSE_IJNS5_IJLi0EEEENS5_IJLi2ELi1EEEENS5_IJLi3EEEENS5_IJLi5EEEENS5_IJLi4EEEENS5_IJLi6EEEENS5_IJLi7EEEENS5_IJLi9ELi8EEEENS5_IJLi10EEEEEEENSE_IJNS5_IJLi1ELi2ELi3EEEENS5_IJLi4ELi5EEEES18_NS5_IJLi7ELi8EEEENS5_IJLi9EEEES1B_NS5_IJLi11EEEENS5_IJLi12EEEENS5_IJLi13EEEEEEENS5_IJLi11ELi12ELi13EEEENSG_IlLl28672EEEEENSD_INSE_IJNSF_INSE_IJSH_NSG_IiLi256EEESJ_EEESN_Lb0EEENSP_INSE_IJS1O_SH_EEELb1EEEST_SW_NSS_IS1O_EEST_SY_NSZ_INSE_IJS1O_SM_EEEEEST_EEES1C_S1K_S1L_NSG_IlLl32768EEEEENSD_INSE_IJSO_SR_ST_SW_SX_ST_SY_S11_ST_NSZ_INSE_IJSH_SJ_EEEEENSU_INSE_IJNSG_IiLi7EEENSG_IiLi2EEESJ_EEELb0EEEEEENSE_IJS13_S14_S15_S16_S17_S18_S19_S1A_S1B_NS5_IJLi11ELi13EEEES1I_EEENSE_IJS1D_S1E_S18_S1F_S1G_S1B_S1H_S1I_S1J_NS5_IJLi14EEEENS5_IJLi15ELi16ELi17EEEEEEENS5_IJLi15ELi16ELi17ELi14EEEES1M_EENSD_INSE_IJS1Q_S1S_ST_SW_S1T_ST_SY_S1V_ST_S20_NSU_INSE_IJSH_S22_SJ_EEELb0EEEEEES27_S2A_S2B_S1X_EELi16ELi16ELi224ELi256ELi128ELi16ELi16ELi7ELi8ELi16ELb0ELb0EE3RunILb1ELNS_10TailNumberE10ENSD_INSE_IJNSF_INSE_IJiiEEENSE_IJiSM_EEELb0EEENSU_IS2K_Lb0EEENSS_IiEEEEENSE_IJS13_NS5_IJLi2EEEENS5_IJLi1EEEEEEENSE_IJNS5_IJLi1ELi2EEEENS5_IJLi3ELi4EEEES16_EEENS5_IJLi3ELi5ELi4EEEElEES1N_NS_35ThreadGroupTensorSliceTransfer_v4r1INS_15ThisThreadBlockILi256EEENS_16tensor_operation12element_wise11PassThroughES33_LNS_25InMemoryDataOperationEnumE0ENS5_IJLi8ELi224ELi16EEEENS5_IJLi8ELi32ELi1EEEENS5_IJLi1ELi0ELi2EEEESC_SC_RKS2X_KS1N_S37_S7_Li2ELi2ELi16ELi16ELi1ELi1ELb0ELb1ELi1EiEENS_13DynamicBufferILNS_16AddressSpaceEnumE1EKSC_lLb1ELNS_22AmdBufferCoherenceEnumE0EiEENS3C_ILS3D_2ESC_S1M_Lb1ELS3F_0EiEENSE_IJiiiEEES2X_S1Y_NS2Y_IS30_S33_S33_LS34_0ENS5_IJLi8ELi256ELi16EEEES36_S37_SC_SC_S39_KS1Y_S37_S7_Li2ELi2ELi16ELi16ELi1ELi1ELb0ELb1ELi1EiEES3G_NS3C_ILS3D_2ESC_S1X_Lb1ELS3F_0EiEES3I_NS_25StaticBufferTupleOfVectorILS3D_4EfLi56ELi4ELb1ELb0EEEEEvRKT1_RKT2_RT3_RKT4_RT5_RKT6_RKT7_RKT8_RT9_RKT10_RT11_RKT12_RT13_iEUlT_E0_EEvS4N_EUlS4N_E_EEvS4N_@rel32@lo+4
	s_addc_u32 s5, s5, _ZNK2ck6detail7applierIiJLi0ELi1ELi2ELi3ELi4ELi5ELi6ELi7ELi8ELi9ELi10ELi11ELi12ELi13ELi14ELi15ELi16ELi17ELi18ELi19ELi20ELi21ELi22ELi23ELi24ELi25ELi26ELi27ELi28ELi29ELi30ELi31ELi32ELi33ELi34ELi35ELi36ELi37ELi38ELi39ELi40ELi41ELi42ELi43ELi44ELi45ELi46ELi47ELi48ELi49ELi50ELi51ELi52ELi53ELi54ELi55ELi56ELi57ELi58ELi59ELi60ELi61ELi62ELi63ELi64ELi65ELi66ELi67ELi68ELi69ELi70ELi71ELi72ELi73ELi74ELi75ELi76ELi77ELi78ELi79ELi80ELi81ELi82ELi83ELi84ELi85ELi86ELi87ELi88ELi89ELi90ELi91ELi92ELi93ELi94ELi95ELi96ELi97ELi98ELi99ELi100ELi101ELi102ELi103ELi104ELi105ELi106ELi107ELi108ELi109ELi110ELi111EEEclIZNKS_11static_fordINS_8SequenceIJLi2ELi7ELi8EEEENS5_IJLi0ELi1ELi2EEEEEclIZNKS_31BlockwiseGemmXdlops_pipeline_v3ILNS_26BlockGemmPipelineSchedulerE0ELi256ENS_9f8_fnuz_tESC_SC_fNS_16TensorDescriptorINS_5TupleIJNS_5EmbedINSE_IJNS_17integral_constantIiLi8EEENSG_IiLi224EEENSG_IiLi16EEEEEENSE_IJSJ_NSG_IiLi128EEENSG_IiLi1EEEEEELb0EEENS_3XorINSE_IJSI_SH_EEELb1EEENS_11PassThroughISJ_EENS_7UnMergeINSE_IJSH_SM_EEELb0EEENSS_ISI_EEST_NSS_ISH_EENS_21Merge_v3_division_modINSE_IJSI_SM_EEEEEST_EEENSE_IJNS5_IJLi0EEEENS5_IJLi2ELi1EEEENS5_IJLi3EEEENS5_IJLi5EEEENS5_IJLi4EEEENS5_IJLi6EEEENS5_IJLi7EEEENS5_IJLi9ELi8EEEENS5_IJLi10EEEEEEENSE_IJNS5_IJLi1ELi2ELi3EEEENS5_IJLi4ELi5EEEES18_NS5_IJLi7ELi8EEEENS5_IJLi9EEEES1B_NS5_IJLi11EEEENS5_IJLi12EEEENS5_IJLi13EEEEEEENS5_IJLi11ELi12ELi13EEEENSG_IlLl28672EEEEENSD_INSE_IJNSF_INSE_IJSH_NSG_IiLi256EEESJ_EEESN_Lb0EEENSP_INSE_IJS1O_SH_EEELb1EEEST_SW_NSS_IS1O_EEST_SY_NSZ_INSE_IJS1O_SM_EEEEEST_EEES1C_S1K_S1L_NSG_IlLl32768EEEEENSD_INSE_IJSO_SR_ST_SW_SX_ST_SY_S11_ST_NSZ_INSE_IJSH_SJ_EEEEENSU_INSE_IJNSG_IiLi7EEENSG_IiLi2EEESJ_EEELb0EEEEEENSE_IJS13_S14_S15_S16_S17_S18_S19_S1A_S1B_NS5_IJLi11ELi13EEEES1I_EEENSE_IJS1D_S1E_S18_S1F_S1G_S1B_S1H_S1I_S1J_NS5_IJLi14EEEENS5_IJLi15ELi16ELi17EEEEEEENS5_IJLi15ELi16ELi17ELi14EEEES1M_EENSD_INSE_IJS1Q_S1S_ST_SW_S1T_ST_SY_S1V_ST_S20_NSU_INSE_IJSH_S22_SJ_EEELb0EEEEEES27_S2A_S2B_S1X_EELi16ELi16ELi224ELi256ELi128ELi16ELi16ELi7ELi8ELi16ELb0ELb0EE3RunILb1ELNS_10TailNumberE10ENSD_INSE_IJNSF_INSE_IJiiEEENSE_IJiSM_EEELb0EEENSU_IS2K_Lb0EEENSS_IiEEEEENSE_IJS13_NS5_IJLi2EEEENS5_IJLi1EEEEEEENSE_IJNS5_IJLi1ELi2EEEENS5_IJLi3ELi4EEEES16_EEENS5_IJLi3ELi5ELi4EEEElEES1N_NS_35ThreadGroupTensorSliceTransfer_v4r1INS_15ThisThreadBlockILi256EEENS_16tensor_operation12element_wise11PassThroughES33_LNS_25InMemoryDataOperationEnumE0ENS5_IJLi8ELi224ELi16EEEENS5_IJLi8ELi32ELi1EEEENS5_IJLi1ELi0ELi2EEEESC_SC_RKS2X_KS1N_S37_S7_Li2ELi2ELi16ELi16ELi1ELi1ELb0ELb1ELi1EiEENS_13DynamicBufferILNS_16AddressSpaceEnumE1EKSC_lLb1ELNS_22AmdBufferCoherenceEnumE0EiEENS3C_ILS3D_2ESC_S1M_Lb1ELS3F_0EiEENSE_IJiiiEEES2X_S1Y_NS2Y_IS30_S33_S33_LS34_0ENS5_IJLi8ELi256ELi16EEEES36_S37_SC_SC_S39_KS1Y_S37_S7_Li2ELi2ELi16ELi16ELi1ELi1ELb0ELb1ELi1EiEES3G_NS3C_ILS3D_2ESC_S1X_Lb1ELS3F_0EiEES3I_NS_25StaticBufferTupleOfVectorILS3D_4EfLi56ELi4ELb1ELb0EEEEEvRKT1_RKT2_RT3_RKT4_RT5_RKT6_RKT7_RKT8_RT9_RKT10_RT11_RKT12_RT13_iEUlT_E0_EEvS4N_EUlS4N_E_EEvS4N_@rel32@hi+12
	buffer_store_dword v113, off, s[0:3], 0 offset:4
	buffer_store_dword v114, off, s[0:3], 0
	buffer_store_dword v115, off, s[0:3], 0 offset:12
	buffer_store_dword v116, off, s[0:3], 0 offset:8
	;; [unrolled: 1-line block ×4, first 2 shown]
	s_swappc_b64 s[30:31], s[4:5]
	s_waitcnt lgkmcnt(0)
	s_barrier
	ds_read_b128 v[0:3], v99
	ds_read_b128 v[4:7], v101 offset:4096
	; sched_group_barrier mask(0x00000200) size(1) SyncID(0)
	; sched_group_barrier mask(0x00000008) size(1) SyncID(0)
	;; [unrolled: 1-line block ×64, first 2 shown]
	s_waitcnt lgkmcnt(1)
	buffer_store_dword v0, off, s[0:3], 0 offset:24
	buffer_store_dword v1, off, s[0:3], 0 offset:28
	;; [unrolled: 1-line block ×4, first 2 shown]
	s_waitcnt lgkmcnt(0)
	buffer_store_dword v4, off, s[0:3], 0 offset:40
	ds_read_b128 v[0:3], v100 offset:8192
	buffer_store_dword v5, off, s[0:3], 0 offset:44
	buffer_store_dword v6, off, s[0:3], 0 offset:48
	;; [unrolled: 1-line block ×3, first 2 shown]
	ds_read_b128 v[4:7], v100 offset:12288
	s_waitcnt lgkmcnt(1)
	buffer_store_dword v0, off, s[0:3], 0 offset:56
	buffer_store_dword v1, off, s[0:3], 0 offset:60
	;; [unrolled: 1-line block ×4, first 2 shown]
	s_waitcnt lgkmcnt(0)
	buffer_store_dword v4, off, s[0:3], 0 offset:72
	ds_read_b128 v[0:3], v100 offset:16384
	buffer_store_dword v5, off, s[0:3], 0 offset:76
	buffer_store_dword v6, off, s[0:3], 0 offset:80
	;; [unrolled: 1-line block ×3, first 2 shown]
	ds_read_b128 v[4:7], v100 offset:20480
	s_waitcnt lgkmcnt(1)
	buffer_store_dword v0, off, s[0:3], 0 offset:88
	buffer_store_dword v1, off, s[0:3], 0 offset:92
	;; [unrolled: 1-line block ×4, first 2 shown]
	s_waitcnt lgkmcnt(0)
	buffer_store_dword v4, off, s[0:3], 0 offset:104
	ds_read_b128 v[0:3], v100 offset:24576
	buffer_store_dword v5, off, s[0:3], 0 offset:108
	buffer_store_dword v6, off, s[0:3], 0 offset:112
	;; [unrolled: 1-line block ×3, first 2 shown]
	ds_read_b128 v[4:7], v102
	s_waitcnt lgkmcnt(1)
	buffer_store_dword v0, off, s[0:3], 0 offset:120
	buffer_store_dword v1, off, s[0:3], 0 offset:124
	buffer_store_dword v2, off, s[0:3], 0 offset:128
	buffer_store_dword v3, off, s[0:3], 0 offset:132
	s_waitcnt lgkmcnt(0)
	buffer_store_dword v4, off, s[0:3], 0 offset:248
	ds_read_b128 v[0:3], v104 offset:4096
	buffer_store_dword v5, off, s[0:3], 0 offset:252
	buffer_store_dword v6, off, s[0:3], 0 offset:256
	buffer_store_dword v7, off, s[0:3], 0 offset:260
	ds_read_b128 v[4:7], v105 offset:8192
	s_waitcnt lgkmcnt(1)
	buffer_store_dword v0, off, s[0:3], 0 offset:264
	buffer_store_dword v1, off, s[0:3], 0 offset:268
	buffer_store_dword v2, off, s[0:3], 0 offset:272
	buffer_store_dword v3, off, s[0:3], 0 offset:276
	s_waitcnt lgkmcnt(0)
	buffer_store_dword v4, off, s[0:3], 0 offset:280
	ds_read_b128 v[0:3], v105 offset:12288
	buffer_store_dword v5, off, s[0:3], 0 offset:284
	buffer_store_dword v6, off, s[0:3], 0 offset:288
	buffer_store_dword v7, off, s[0:3], 0 offset:292
	ds_read_b128 v[4:7], v105 offset:16384
	;; [unrolled: 12-line block ×3, first 2 shown]
	s_waitcnt lgkmcnt(1)
	buffer_store_dword v0, off, s[0:3], 0 offset:328
	buffer_store_dword v1, off, s[0:3], 0 offset:332
	;; [unrolled: 1-line block ×4, first 2 shown]
	s_waitcnt lgkmcnt(0)
	buffer_store_dword v4, off, s[0:3], 0 offset:344
	ds_read_b128 v[0:3], v105 offset:28672
	buffer_store_dword v5, off, s[0:3], 0 offset:348
	buffer_store_dword v6, off, s[0:3], 0 offset:352
	;; [unrolled: 1-line block ×3, first 2 shown]
	ds_read_b128 v[4:7], v106
	s_waitcnt lgkmcnt(1)
	buffer_store_dword v0, off, s[0:3], 0 offset:360
	buffer_store_dword v1, off, s[0:3], 0 offset:364
	buffer_store_dword v2, off, s[0:3], 0 offset:368
	buffer_store_dword v3, off, s[0:3], 0 offset:372
	s_waitcnt lgkmcnt(0)
	buffer_store_dword v4, off, s[0:3], 0 offset:136
	ds_read_b128 v[0:3], v107 offset:4096
	buffer_store_dword v5, off, s[0:3], 0 offset:140
	buffer_store_dword v6, off, s[0:3], 0 offset:144
	buffer_store_dword v7, off, s[0:3], 0 offset:148
	ds_read_b128 v[4:7], v108 offset:8192
	s_waitcnt lgkmcnt(1)
	buffer_store_dword v0, off, s[0:3], 0 offset:152
	buffer_store_dword v1, off, s[0:3], 0 offset:156
	buffer_store_dword v2, off, s[0:3], 0 offset:160
	buffer_store_dword v3, off, s[0:3], 0 offset:164
	s_waitcnt lgkmcnt(0)
	buffer_store_dword v4, off, s[0:3], 0 offset:168
	ds_read_b128 v[0:3], v108 offset:12288
	buffer_store_dword v5, off, s[0:3], 0 offset:172
	buffer_store_dword v6, off, s[0:3], 0 offset:176
	buffer_store_dword v7, off, s[0:3], 0 offset:180
	ds_read_b128 v[4:7], v108 offset:16384
	;; [unrolled: 12-line block ×7, first 2 shown]
	s_waitcnt lgkmcnt(1)
	buffer_store_dword v0, off, s[0:3], 0 offset:472
	buffer_store_dword v1, off, s[0:3], 0 offset:476
	;; [unrolled: 1-line block ×4, first 2 shown]
	s_waitcnt lgkmcnt(0)
	buffer_store_dword v4, off, s[0:3], 0 offset:488
	buffer_store_dword v5, off, s[0:3], 0 offset:492
	;; [unrolled: 1-line block ×4, first 2 shown]
	; sched_group_barrier mask(0x00000100) size(1) SyncID(0)
	; sched_group_barrier mask(0x00000008) size(1) SyncID(0)
	;; [unrolled: 1-line block ×56, first 2 shown]
	; sched_barrier mask(0x00000000)
	s_add_i32 s47, s47, -1
	v_add_u32_e32 v111, 0x80, v111
	s_cmp_lg_u32 s47, 0
	v_add_u32_e32 v112, 0x80, v112
	s_cbranch_scc1 .LBB3_11
; %bb.12:
	v_mov_b32_e32 v0, s43
	buffer_store_dword v0, off, s[0:3], 0 offset:4
	v_mov_b32_e32 v0, s38
	buffer_store_dword v0, off, s[0:3], 0
	v_mov_b32_e32 v0, s44
	s_lshl_b64 s[4:5], s[36:37], 1
	buffer_store_dword v0, off, s[0:3], 0 offset:12
	v_mov_b32_e32 v0, s42
	s_add_u32 s36, s34, s4
	s_mul_i32 s41, s41, s29
	s_mul_hi_u32 s4, s40, s29
	buffer_store_dword v0, off, s[0:3], 0 offset:8
	v_mov_b32_e32 v0, s39
	s_addc_u32 s37, s35, s5
	s_add_i32 s16, s4, s41
	s_mov_b64 s[4:5], src_private_base
	buffer_store_dword v0, off, s[0:3], 0 offset:20
	v_mov_b32_e32 v0, s33
	buffer_store_dword v0, off, s[0:3], 0 offset:16
	v_mov_b32_e32 v0, 0
	v_mov_b32_e32 v1, s5
	s_getpc_b64 s[6:7]
	s_add_u32 s6, s6, _ZNK2ck6detail7applierIiJLi0ELi1ELi2ELi3ELi4ELi5ELi6ELi7ELi8ELi9ELi10ELi11ELi12ELi13ELi14ELi15ELi16ELi17ELi18ELi19ELi20ELi21ELi22ELi23ELi24ELi25ELi26ELi27ELi28ELi29ELi30ELi31ELi32ELi33ELi34ELi35ELi36ELi37ELi38ELi39ELi40ELi41ELi42ELi43ELi44ELi45ELi46ELi47ELi48ELi49ELi50ELi51ELi52ELi53ELi54ELi55ELi56ELi57ELi58ELi59ELi60ELi61ELi62ELi63ELi64ELi65ELi66ELi67ELi68ELi69ELi70ELi71ELi72ELi73ELi74ELi75ELi76ELi77ELi78ELi79ELi80ELi81ELi82ELi83ELi84ELi85ELi86ELi87ELi88ELi89ELi90ELi91ELi92ELi93ELi94ELi95ELi96ELi97ELi98ELi99ELi100ELi101ELi102ELi103ELi104ELi105ELi106ELi107ELi108ELi109ELi110ELi111EEEclIZNKS_11static_fordINS_8SequenceIJLi2ELi7ELi8EEEENS5_IJLi0ELi1ELi2EEEEEclIZNKS_31BlockwiseGemmXdlops_pipeline_v3ILNS_26BlockGemmPipelineSchedulerE0ELi256ENS_9f8_fnuz_tESC_SC_fNS_16TensorDescriptorINS_5TupleIJNS_5EmbedINSE_IJNS_17integral_constantIiLi8EEENSG_IiLi224EEENSG_IiLi16EEEEEENSE_IJSJ_NSG_IiLi128EEENSG_IiLi1EEEEEELb0EEENS_3XorINSE_IJSI_SH_EEELb1EEENS_11PassThroughISJ_EENS_7UnMergeINSE_IJSH_SM_EEELb0EEENSS_ISI_EEST_NSS_ISH_EENS_21Merge_v3_division_modINSE_IJSI_SM_EEEEEST_EEENSE_IJNS5_IJLi0EEEENS5_IJLi2ELi1EEEENS5_IJLi3EEEENS5_IJLi5EEEENS5_IJLi4EEEENS5_IJLi6EEEENS5_IJLi7EEEENS5_IJLi9ELi8EEEENS5_IJLi10EEEEEEENSE_IJNS5_IJLi1ELi2ELi3EEEENS5_IJLi4ELi5EEEES18_NS5_IJLi7ELi8EEEENS5_IJLi9EEEES1B_NS5_IJLi11EEEENS5_IJLi12EEEENS5_IJLi13EEEEEEENS5_IJLi11ELi12ELi13EEEENSG_IlLl28672EEEEENSD_INSE_IJNSF_INSE_IJSH_NSG_IiLi256EEESJ_EEESN_Lb0EEENSP_INSE_IJS1O_SH_EEELb1EEEST_SW_NSS_IS1O_EEST_SY_NSZ_INSE_IJS1O_SM_EEEEEST_EEES1C_S1K_S1L_NSG_IlLl32768EEEEENSD_INSE_IJSO_SR_ST_SW_SX_ST_SY_S11_ST_NSZ_INSE_IJSH_SJ_EEEEENSU_INSE_IJNSG_IiLi7EEENSG_IiLi2EEESJ_EEELb0EEEEEENSE_IJS13_S14_S15_S16_S17_S18_S19_S1A_S1B_NS5_IJLi11ELi13EEEES1I_EEENSE_IJS1D_S1E_S18_S1F_S1G_S1B_S1H_S1I_S1J_NS5_IJLi14EEEENS5_IJLi15ELi16ELi17EEEEEEENS5_IJLi15ELi16ELi17ELi14EEEES1M_EENSD_INSE_IJS1Q_S1S_ST_SW_S1T_ST_SY_S1V_ST_S20_NSU_INSE_IJSH_S22_SJ_EEELb0EEEEEES27_S2A_S2B_S1X_EELi16ELi16ELi224ELi256ELi128ELi16ELi16ELi7ELi8ELi16ELb0ELb0EE3RunILb1ELNS_10TailNumberE10ENSD_INSE_IJNSF_INSE_IJiiEEENSE_IJiSM_EEELb0EEENSU_IS2K_Lb0EEENSS_IiEEEEENSE_IJS13_NS5_IJLi2EEEENS5_IJLi1EEEEEEENSE_IJNS5_IJLi1ELi2EEEENS5_IJLi3ELi4EEEES16_EEENS5_IJLi3ELi5ELi4EEEElEES1N_NS_35ThreadGroupTensorSliceTransfer_v4r1INS_15ThisThreadBlockILi256EEENS_16tensor_operation12element_wise11PassThroughES33_LNS_25InMemoryDataOperationEnumE0ENS5_IJLi8ELi224ELi16EEEENS5_IJLi8ELi32ELi1EEEENS5_IJLi1ELi0ELi2EEEESC_SC_RKS2X_KS1N_S37_S7_Li2ELi2ELi16ELi16ELi1ELi1ELb0ELb1ELi1EiEENS_13DynamicBufferILNS_16AddressSpaceEnumE1EKSC_lLb1ELNS_22AmdBufferCoherenceEnumE0EiEENS3C_ILS3D_2ESC_S1M_Lb1ELS3F_0EiEENSE_IJiiiEEES2X_S1Y_NS2Y_IS30_S33_S33_LS34_0ENS5_IJLi8ELi256ELi16EEEES36_S37_SC_SC_S39_KS1Y_S37_S7_Li2ELi2ELi16ELi16ELi1ELi1ELb0ELb1ELi1EiEES3G_NS3C_ILS3D_2ESC_S1X_Lb1ELS3F_0EiEES3I_NS_25StaticBufferTupleOfVectorILS3D_4EfLi56ELi4ELb1ELb0EEEEEvRKT1_RKT2_RT3_RKT4_RT5_RKT6_RKT7_RKT8_RT9_RKT10_RT11_RKT12_RT13_iEUlT_E2_EEvS4N_EUlS4N_E_EEvS4N_@rel32@lo+4
	s_addc_u32 s7, s7, _ZNK2ck6detail7applierIiJLi0ELi1ELi2ELi3ELi4ELi5ELi6ELi7ELi8ELi9ELi10ELi11ELi12ELi13ELi14ELi15ELi16ELi17ELi18ELi19ELi20ELi21ELi22ELi23ELi24ELi25ELi26ELi27ELi28ELi29ELi30ELi31ELi32ELi33ELi34ELi35ELi36ELi37ELi38ELi39ELi40ELi41ELi42ELi43ELi44ELi45ELi46ELi47ELi48ELi49ELi50ELi51ELi52ELi53ELi54ELi55ELi56ELi57ELi58ELi59ELi60ELi61ELi62ELi63ELi64ELi65ELi66ELi67ELi68ELi69ELi70ELi71ELi72ELi73ELi74ELi75ELi76ELi77ELi78ELi79ELi80ELi81ELi82ELi83ELi84ELi85ELi86ELi87ELi88ELi89ELi90ELi91ELi92ELi93ELi94ELi95ELi96ELi97ELi98ELi99ELi100ELi101ELi102ELi103ELi104ELi105ELi106ELi107ELi108ELi109ELi110ELi111EEEclIZNKS_11static_fordINS_8SequenceIJLi2ELi7ELi8EEEENS5_IJLi0ELi1ELi2EEEEEclIZNKS_31BlockwiseGemmXdlops_pipeline_v3ILNS_26BlockGemmPipelineSchedulerE0ELi256ENS_9f8_fnuz_tESC_SC_fNS_16TensorDescriptorINS_5TupleIJNS_5EmbedINSE_IJNS_17integral_constantIiLi8EEENSG_IiLi224EEENSG_IiLi16EEEEEENSE_IJSJ_NSG_IiLi128EEENSG_IiLi1EEEEEELb0EEENS_3XorINSE_IJSI_SH_EEELb1EEENS_11PassThroughISJ_EENS_7UnMergeINSE_IJSH_SM_EEELb0EEENSS_ISI_EEST_NSS_ISH_EENS_21Merge_v3_division_modINSE_IJSI_SM_EEEEEST_EEENSE_IJNS5_IJLi0EEEENS5_IJLi2ELi1EEEENS5_IJLi3EEEENS5_IJLi5EEEENS5_IJLi4EEEENS5_IJLi6EEEENS5_IJLi7EEEENS5_IJLi9ELi8EEEENS5_IJLi10EEEEEEENSE_IJNS5_IJLi1ELi2ELi3EEEENS5_IJLi4ELi5EEEES18_NS5_IJLi7ELi8EEEENS5_IJLi9EEEES1B_NS5_IJLi11EEEENS5_IJLi12EEEENS5_IJLi13EEEEEEENS5_IJLi11ELi12ELi13EEEENSG_IlLl28672EEEEENSD_INSE_IJNSF_INSE_IJSH_NSG_IiLi256EEESJ_EEESN_Lb0EEENSP_INSE_IJS1O_SH_EEELb1EEEST_SW_NSS_IS1O_EEST_SY_NSZ_INSE_IJS1O_SM_EEEEEST_EEES1C_S1K_S1L_NSG_IlLl32768EEEEENSD_INSE_IJSO_SR_ST_SW_SX_ST_SY_S11_ST_NSZ_INSE_IJSH_SJ_EEEEENSU_INSE_IJNSG_IiLi7EEENSG_IiLi2EEESJ_EEELb0EEEEEENSE_IJS13_S14_S15_S16_S17_S18_S19_S1A_S1B_NS5_IJLi11ELi13EEEES1I_EEENSE_IJS1D_S1E_S18_S1F_S1G_S1B_S1H_S1I_S1J_NS5_IJLi14EEEENS5_IJLi15ELi16ELi17EEEEEEENS5_IJLi15ELi16ELi17ELi14EEEES1M_EENSD_INSE_IJS1Q_S1S_ST_SW_S1T_ST_SY_S1V_ST_S20_NSU_INSE_IJSH_S22_SJ_EEELb0EEEEEES27_S2A_S2B_S1X_EELi16ELi16ELi224ELi256ELi128ELi16ELi16ELi7ELi8ELi16ELb0ELb0EE3RunILb1ELNS_10TailNumberE10ENSD_INSE_IJNSF_INSE_IJiiEEENSE_IJiSM_EEELb0EEENSU_IS2K_Lb0EEENSS_IiEEEEENSE_IJS13_NS5_IJLi2EEEENS5_IJLi1EEEEEEENSE_IJNS5_IJLi1ELi2EEEENS5_IJLi3ELi4EEEES16_EEENS5_IJLi3ELi5ELi4EEEElEES1N_NS_35ThreadGroupTensorSliceTransfer_v4r1INS_15ThisThreadBlockILi256EEENS_16tensor_operation12element_wise11PassThroughES33_LNS_25InMemoryDataOperationEnumE0ENS5_IJLi8ELi224ELi16EEEENS5_IJLi8ELi32ELi1EEEENS5_IJLi1ELi0ELi2EEEESC_SC_RKS2X_KS1N_S37_S7_Li2ELi2ELi16ELi16ELi1ELi1ELb0ELb1ELi1EiEENS_13DynamicBufferILNS_16AddressSpaceEnumE1EKSC_lLb1ELNS_22AmdBufferCoherenceEnumE0EiEENS3C_ILS3D_2ESC_S1M_Lb1ELS3F_0EiEENSE_IJiiiEEES2X_S1Y_NS2Y_IS30_S33_S33_LS34_0ENS5_IJLi8ELi256ELi16EEEES36_S37_SC_SC_S39_KS1Y_S37_S7_Li2ELi2ELi16ELi16ELi1ELi1ELb0ELb1ELi1EiEES3G_NS3C_ILS3D_2ESC_S1X_Lb1ELS3F_0EiEES3I_NS_25StaticBufferTupleOfVectorILS3D_4EfLi56ELi4ELb1ELb0EEEEEvRKT1_RKT2_RT3_RKT4_RT5_RKT6_RKT7_RKT8_RT9_RKT10_RT11_RKT12_RT13_iEUlT_E2_EEvS4N_EUlS4N_E_EEvS4N_@rel32@hi+12
	s_swappc_b64 s[30:31], s[6:7]
	s_waitcnt lgkmcnt(0)
	s_barrier
	buffer_load_dword v5, off, s[0:3], 0 offset:512
	buffer_load_dword v7, off, s[0:3], 0 offset:516
	;; [unrolled: 1-line block ×8, first 2 shown]
	v_lshlrev_b32_e32 v0, 3, v18
	v_lshl_or_b32 v1, v18, 4, v18
	v_and_b32_e32 v2, 0x400, v0
	v_and_b32_e32 v0, 56, v0
	v_or_b32_e32 v4, s26, v19
	s_add_i32 s4, s25, s16
	v_and_b32_e32 v1, 0x30f, v1
	v_or_b32_e32 v6, s11, v0
	s_lshl_b32 s38, s4, 1
	v_or3_b32 v2, v1, v2, v80
	v_lshlrev_b32_e32 v14, 1, v0
	v_lshlrev_b32_e32 v2, 1, v2
	v_cmp_gt_i32_e64 s[18:19], s24, v4
	v_cmp_gt_i32_e32 vcc, s25, v6
	v_bfrev_b32_e32 v3, 1
	s_mov_b32 s39, 0x20000
	v_or_b32_e32 v15, 64, v6
	v_or_b32_e32 v16, 0x44, v6
	s_lshl_b32 s22, s29, 5
	v_add_u32_e32 v22, 64, v4
	v_add_u32_e32 v33, 0x60, v4
	s_waitcnt vmcnt(7)
	v_cvt_f16_f32_e32 v5, v5
	s_waitcnt vmcnt(6)
	v_mad_u64_u32 v[0:1], s[4:5], v4, s29, v[6:7]
	v_cvt_f16_f32_e32 v7, v7
	s_waitcnt vmcnt(5)
	v_cvt_f16_f32_e32 v8, v8
	v_lshl_or_b32 v1, v19, 7, v14
	s_waitcnt vmcnt(4)
	v_cvt_f16_f32_e32 v9, v9
	s_waitcnt vmcnt(3)
	v_cvt_f16_f32_e32 v10, v10
	;; [unrolled: 2-line block ×5, first 2 shown]
	ds_write_b16 v2, v5
	ds_write_b16 v2, v7 offset:128
	ds_write_b16 v2, v8 offset:256
	;; [unrolled: 1-line block ×7, first 2 shown]
	s_waitcnt lgkmcnt(0)
	s_barrier
	ds_read_b64 v[8:9], v1
	s_and_b64 s[4:5], s[18:19], vcc
	v_lshlrev_b32_e32 v5, 1, v0
	v_cndmask_b32_e64 v7, v3, 0, s[4:5]
	v_add_u32_e32 v7, v7, v5
	s_waitcnt lgkmcnt(0)
	buffer_atomic_pk_add_f16 v8, v7, s[36:39], 0 offen
	buffer_atomic_pk_add_f16 v9, v7, s[36:39], 4 offen
	v_or_b32_e32 v14, 4, v6
	ds_read_b64 v[8:9], v1 offset:8
	v_cmp_gt_i32_e64 s[4:5], s25, v14
	s_and_b64 s[6:7], s[18:19], s[4:5]
	v_cndmask_b32_e64 v7, v3, 0, s[6:7]
	v_add_u32_e32 v7, v5, v7
	s_waitcnt lgkmcnt(0)
	buffer_atomic_pk_add_f16 v8, v7, s[36:39], 0 offen offset:8
	buffer_atomic_pk_add_f16 v9, v7, s[36:39], 4 offen offset:8
	s_waitcnt lgkmcnt(0)
	s_barrier
	buffer_load_dword v7, off, s[0:3], 0 offset:544
	buffer_load_dword v8, off, s[0:3], 0 offset:548
	;; [unrolled: 1-line block ×8, first 2 shown]
	v_cmp_gt_i32_e64 s[6:7], s25, v15
	s_and_b64 s[8:9], s[18:19], s[6:7]
	v_or_b32_e32 v15, 0x80, v6
	v_add_u32_e32 v17, 0xc0, v0
	v_add_u32_e32 v0, s22, v0
	;; [unrolled: 1-line block ×3, first 2 shown]
	v_lshlrev_b32_e32 v27, 1, v26
	s_waitcnt vmcnt(7)
	v_cvt_f16_f32_e32 v7, v7
	s_waitcnt vmcnt(6)
	v_cvt_f16_f32_e32 v8, v8
	s_waitcnt vmcnt(5)
	v_cvt_f16_f32_e32 v9, v9
	s_waitcnt vmcnt(4)
	v_cvt_f16_f32_e32 v10, v10
	s_waitcnt vmcnt(3)
	v_cvt_f16_f32_e32 v11, v11
	s_waitcnt vmcnt(2)
	v_cvt_f16_f32_e32 v12, v12
	s_waitcnt vmcnt(1)
	v_cvt_f16_f32_e32 v13, v13
	s_waitcnt vmcnt(0)
	v_cvt_f16_f32_e32 v14, v14
	ds_write_b16 v2, v7
	ds_write_b16 v2, v8 offset:128
	ds_write_b16 v2, v9 offset:256
	;; [unrolled: 1-line block ×7, first 2 shown]
	s_waitcnt lgkmcnt(0)
	s_barrier
	ds_read_b64 v[8:9], v1
	v_cndmask_b32_e64 v7, v3, 0, s[8:9]
	v_add_u32_e32 v7, v5, v7
	s_waitcnt lgkmcnt(0)
	buffer_atomic_pk_add_f16 v8, v7, s[36:39], 0 offen offset:128
	buffer_atomic_pk_add_f16 v9, v7, s[36:39], 4 offen offset:128
	ds_read_b64 v[8:9], v1 offset:8
	v_cmp_gt_i32_e64 s[8:9], s25, v16
	s_and_b64 s[10:11], s[18:19], s[8:9]
	v_cndmask_b32_e64 v7, v3, 0, s[10:11]
	v_add_u32_e32 v7, v5, v7
	s_waitcnt lgkmcnt(0)
	buffer_atomic_pk_add_f16 v8, v7, s[36:39], 0 offen offset:136
	buffer_atomic_pk_add_f16 v9, v7, s[36:39], 4 offen offset:136
	s_waitcnt lgkmcnt(0)
	s_barrier
	buffer_load_dword v7, off, s[0:3], 0 offset:576
	buffer_load_dword v8, off, s[0:3], 0 offset:580
	;; [unrolled: 1-line block ×8, first 2 shown]
	v_cmp_gt_i32_e64 s[10:11], s25, v15
	s_and_b64 s[12:13], s[18:19], s[10:11]
	v_or_b32_e32 v16, 0x84, v6
	v_or_b32_e32 v15, 0xc0, v6
	s_waitcnt vmcnt(7)
	v_cvt_f16_f32_e32 v7, v7
	s_waitcnt vmcnt(6)
	v_cvt_f16_f32_e32 v8, v8
	;; [unrolled: 2-line block ×8, first 2 shown]
	ds_write_b16 v2, v7
	ds_write_b16 v2, v8 offset:128
	ds_write_b16 v2, v9 offset:256
	;; [unrolled: 1-line block ×7, first 2 shown]
	s_waitcnt lgkmcnt(0)
	s_barrier
	ds_read_b64 v[8:9], v1
	v_cndmask_b32_e64 v7, v3, 0, s[12:13]
	v_add_u32_e32 v7, v5, v7
	s_waitcnt lgkmcnt(0)
	buffer_atomic_pk_add_f16 v8, v7, s[36:39], 0 offen offset:256
	buffer_atomic_pk_add_f16 v9, v7, s[36:39], 4 offen offset:256
	ds_read_b64 v[8:9], v1 offset:8
	v_cmp_gt_i32_e64 s[12:13], s25, v16
	s_and_b64 s[14:15], s[18:19], s[12:13]
	v_cndmask_b32_e64 v7, v3, 0, s[14:15]
	v_add_u32_e32 v7, v5, v7
	s_waitcnt lgkmcnt(0)
	buffer_atomic_pk_add_f16 v8, v7, s[36:39], 0 offen offset:264
	buffer_atomic_pk_add_f16 v9, v7, s[36:39], 4 offen offset:264
	s_waitcnt lgkmcnt(0)
	s_barrier
	buffer_load_dword v7, off, s[0:3], 0 offset:608
	buffer_load_dword v8, off, s[0:3], 0 offset:612
	;; [unrolled: 1-line block ×8, first 2 shown]
	v_or_b32_e32 v16, 0xc4, v6
	v_cmp_gt_i32_e64 s[14:15], s25, v15
	s_and_b64 s[16:17], s[18:19], s[14:15]
	s_waitcnt vmcnt(7)
	v_cvt_f16_f32_e32 v6, v7
	s_waitcnt vmcnt(6)
	v_cvt_f16_f32_e32 v7, v8
	;; [unrolled: 2-line block ×8, first 2 shown]
	ds_write_b16 v2, v6
	ds_write_b16 v2, v7 offset:128
	ds_write_b16 v2, v8 offset:256
	;; [unrolled: 1-line block ×7, first 2 shown]
	s_waitcnt lgkmcnt(0)
	s_barrier
	ds_read_b64 v[6:7], v1
	v_cndmask_b32_e64 v8, v3, 0, s[16:17]
	v_lshl_add_u32 v8, v17, 1, v8
	s_waitcnt lgkmcnt(0)
	buffer_atomic_pk_add_f16 v6, v8, s[36:39], 0 offen
	buffer_atomic_pk_add_f16 v7, v8, s[36:39], 4 offen
	ds_read_b64 v[6:7], v1 offset:8
	v_cmp_gt_i32_e64 s[16:17], s25, v16
	s_and_b64 s[18:19], s[18:19], s[16:17]
	v_cndmask_b32_e64 v8, v3, 0, s[18:19]
	v_add_u32_e32 v5, v5, v8
	s_waitcnt lgkmcnt(0)
	buffer_atomic_pk_add_f16 v6, v5, s[36:39], 0 offen offset:392
	buffer_atomic_pk_add_f16 v7, v5, s[36:39], 4 offen offset:392
	s_waitcnt lgkmcnt(0)
	s_barrier
	buffer_load_dword v5, off, s[0:3], 0 offset:736
	buffer_load_dword v6, off, s[0:3], 0 offset:740
	;; [unrolled: 1-line block ×8, first 2 shown]
	v_add_u32_e32 v13, 32, v4
	v_cmp_gt_i32_e64 s[18:19], s24, v13
	s_and_b64 s[20:21], s[18:19], s[14:15]
	v_add_lshl_u32 v16, v17, s22, 1
	s_waitcnt vmcnt(7)
	v_cvt_f16_f32_e32 v5, v5
	s_waitcnt vmcnt(6)
	v_cvt_f16_f32_e32 v6, v6
	;; [unrolled: 2-line block ×8, first 2 shown]
	ds_write_b16 v2, v5
	ds_write_b16 v2, v6 offset:128
	ds_write_b16 v2, v7 offset:256
	;; [unrolled: 1-line block ×7, first 2 shown]
	s_waitcnt lgkmcnt(0)
	s_barrier
	ds_read_b64 v[6:7], v1
	v_cndmask_b32_e64 v5, v3, 0, s[20:21]
	v_add_u32_e32 v5, v16, v5
	s_waitcnt lgkmcnt(0)
	buffer_atomic_pk_add_f16 v6, v5, s[36:39], 0 offen
	buffer_atomic_pk_add_f16 v7, v5, s[36:39], 4 offen
	ds_read_b64 v[6:7], v1 offset:8
	v_mov_b32_e32 v5, 0x80000008
	s_and_b64 s[20:21], s[18:19], s[16:17]
	v_cndmask_b32_e64 v8, v5, 8, s[20:21]
	v_add_u32_e32 v8, v16, v8
	s_waitcnt lgkmcnt(0)
	buffer_atomic_pk_add_f16 v6, v8, s[36:39], 0 offen
	buffer_atomic_pk_add_f16 v7, v8, s[36:39], 4 offen
	s_waitcnt lgkmcnt(0)
	s_barrier
	buffer_load_dword v8, off, s[0:3], 0 offset:704
	buffer_load_dword v9, off, s[0:3], 0 offset:708
	;; [unrolled: 1-line block ×8, first 2 shown]
	v_mov_b32_e32 v6, 0x7fffff80
	v_mov_b32_e32 v7, 0xffffff80
	s_and_b64 s[20:21], s[18:19], s[10:11]
	s_waitcnt vmcnt(7)
	v_cvt_f16_f32_e32 v8, v8
	s_waitcnt vmcnt(6)
	v_cvt_f16_f32_e32 v9, v9
	;; [unrolled: 2-line block ×8, first 2 shown]
	ds_write_b16 v2, v8
	ds_write_b16 v2, v9 offset:128
	ds_write_b16 v2, v10 offset:256
	;; [unrolled: 1-line block ×7, first 2 shown]
	s_waitcnt lgkmcnt(0)
	s_barrier
	ds_read_b64 v[10:11], v1
	v_cndmask_b32_e64 v9, v6, v7, s[20:21]
	v_add_u32_e32 v9, v16, v9
	s_waitcnt lgkmcnt(0)
	buffer_atomic_pk_add_f16 v10, v9, s[36:39], 0 offen
	buffer_atomic_pk_add_f16 v11, v9, s[36:39], 4 offen
	ds_read_b64 v[12:13], v1 offset:8
	v_mov_b32_e32 v8, 0x7fffff88
	v_mov_b32_e32 v11, 0xffffff88
	s_and_b64 s[20:21], s[18:19], s[12:13]
	v_cndmask_b32_e64 v9, v8, v11, s[20:21]
	v_add_u32_e32 v9, v16, v9
	s_waitcnt lgkmcnt(0)
	buffer_atomic_pk_add_f16 v12, v9, s[36:39], 0 offen
	buffer_atomic_pk_add_f16 v13, v9, s[36:39], 4 offen
	s_waitcnt lgkmcnt(0)
	s_barrier
	buffer_load_dword v12, off, s[0:3], 0 offset:672
	buffer_load_dword v13, off, s[0:3], 0 offset:676
	;; [unrolled: 1-line block ×8, first 2 shown]
	v_mov_b32_e32 v9, 0x7fffff00
	v_mov_b32_e32 v10, 0xffffff00
	s_and_b64 s[20:21], s[18:19], s[6:7]
	s_waitcnt vmcnt(7)
	v_cvt_f16_f32_e32 v12, v12
	s_waitcnt vmcnt(6)
	v_cvt_f16_f32_e32 v13, v13
	;; [unrolled: 2-line block ×8, first 2 shown]
	ds_write_b16 v2, v12
	ds_write_b16 v2, v13 offset:128
	ds_write_b16 v2, v14 offset:256
	;; [unrolled: 1-line block ×7, first 2 shown]
	s_waitcnt lgkmcnt(0)
	s_barrier
	ds_read_b64 v[14:15], v1
	v_cndmask_b32_e64 v13, v9, v10, s[20:21]
	v_add_u32_e32 v13, v16, v13
	s_waitcnt lgkmcnt(0)
	buffer_atomic_pk_add_f16 v14, v13, s[36:39], 0 offen
	buffer_atomic_pk_add_f16 v15, v13, s[36:39], 4 offen
	ds_read_b64 v[14:15], v1 offset:8
	v_mov_b32_e32 v12, 0x7fffff08
	v_mov_b32_e32 v13, 0xffffff08
	s_and_b64 s[20:21], s[18:19], s[8:9]
	v_cndmask_b32_e64 v17, v12, v13, s[20:21]
	v_add_u32_e32 v16, v16, v17
	s_waitcnt lgkmcnt(0)
	buffer_atomic_pk_add_f16 v14, v16, s[36:39], 0 offen
	buffer_atomic_pk_add_f16 v15, v16, s[36:39], 4 offen
	s_waitcnt lgkmcnt(0)
	s_barrier
	buffer_load_dword v14, off, s[0:3], 0 offset:640
	buffer_load_dword v15, off, s[0:3], 0 offset:644
	;; [unrolled: 1-line block ×8, first 2 shown]
	s_and_b64 s[20:21], vcc, s[18:19]
	s_and_b64 s[18:19], s[18:19], s[4:5]
	s_waitcnt vmcnt(7)
	v_cvt_f16_f32_e32 v14, v14
	s_waitcnt vmcnt(6)
	v_cvt_f16_f32_e32 v15, v15
	;; [unrolled: 2-line block ×8, first 2 shown]
	ds_write_b16 v2, v14
	ds_write_b16 v2, v15 offset:128
	ds_write_b16 v2, v16 offset:256
	;; [unrolled: 1-line block ×7, first 2 shown]
	s_waitcnt lgkmcnt(0)
	s_barrier
	ds_read_b64 v[14:15], v1
	v_cndmask_b32_e64 v16, v3, 0, s[20:21]
	v_lshlrev_b32_e32 v17, 1, v0
	v_add_u32_e32 v16, v16, v17
	s_waitcnt lgkmcnt(0)
	buffer_atomic_pk_add_f16 v14, v16, s[36:39], 0 offen
	buffer_atomic_pk_add_f16 v15, v16, s[36:39], 4 offen
	ds_read_b64 v[14:15], v1 offset:8
	v_cndmask_b32_e64 v16, v3, 0, s[18:19]
	v_add_u32_e32 v16, v17, v16
	s_waitcnt lgkmcnt(0)
	buffer_atomic_pk_add_f16 v14, v16, s[36:39], 0 offen offset:8
	buffer_atomic_pk_add_f16 v15, v16, s[36:39], 4 offen offset:8
	s_waitcnt lgkmcnt(0)
	s_barrier
	buffer_load_dword v14, off, s[0:3], 0 offset:768
	buffer_load_dword v15, off, s[0:3], 0 offset:772
	;; [unrolled: 1-line block ×8, first 2 shown]
	v_cmp_gt_i32_e64 s[18:19], s24, v22
	s_and_b64 s[20:21], vcc, s[18:19]
	s_waitcnt vmcnt(7)
	v_cvt_f16_f32_e32 v14, v14
	s_waitcnt vmcnt(6)
	v_cvt_f16_f32_e32 v15, v15
	;; [unrolled: 2-line block ×8, first 2 shown]
	ds_write_b16 v2, v14
	ds_write_b16 v2, v15 offset:128
	ds_write_b16 v2, v16 offset:256
	;; [unrolled: 1-line block ×7, first 2 shown]
	s_waitcnt lgkmcnt(0)
	s_barrier
	ds_read_b64 v[14:15], v1
	v_cndmask_b32_e64 v16, v3, 0, s[20:21]
	v_add_u32_e32 v0, v27, v16
	s_waitcnt lgkmcnt(0)
	buffer_atomic_pk_add_f16 v14, v0, s[36:39], 0 offen
	buffer_atomic_pk_add_f16 v15, v0, s[36:39], 4 offen
	ds_read_b64 v[14:15], v1 offset:8
	s_and_b64 s[20:21], s[18:19], s[4:5]
	v_cndmask_b32_e64 v0, v5, 8, s[20:21]
	v_add_u32_e32 v0, v27, v0
	s_waitcnt lgkmcnt(0)
	buffer_atomic_pk_add_f16 v14, v0, s[36:39], 0 offen
	buffer_atomic_pk_add_f16 v15, v0, s[36:39], 4 offen
	s_waitcnt lgkmcnt(0)
	s_barrier
	buffer_load_dword v15, off, s[0:3], 0 offset:800
	buffer_load_dword v16, off, s[0:3], 0 offset:804
	;; [unrolled: 1-line block ×8, first 2 shown]
	v_mov_b32_e32 v0, 0x80000080
	v_mov_b32_e32 v14, 0x80
	s_and_b64 s[20:21], s[18:19], s[6:7]
	s_waitcnt vmcnt(7)
	v_cvt_f16_f32_e32 v15, v15
	s_waitcnt vmcnt(6)
	v_cvt_f16_f32_e32 v16, v16
	;; [unrolled: 2-line block ×8, first 2 shown]
	ds_write_b16 v2, v15
	ds_write_b16 v2, v16 offset:128
	ds_write_b16 v2, v17 offset:256
	;; [unrolled: 1-line block ×7, first 2 shown]
	s_waitcnt lgkmcnt(0)
	s_barrier
	ds_read_b64 v[16:17], v1
	v_cndmask_b32_e64 v18, v0, v14, s[20:21]
	v_add_u32_e32 v18, v27, v18
	s_waitcnt lgkmcnt(0)
	buffer_atomic_pk_add_f16 v16, v18, s[36:39], 0 offen
	buffer_atomic_pk_add_f16 v17, v18, s[36:39], 4 offen
	ds_read_b64 v[16:17], v1 offset:8
	v_mov_b32_e32 v15, 0x80000088
	v_mov_b32_e32 v18, 0x88
	s_and_b64 s[20:21], s[18:19], s[8:9]
	v_cndmask_b32_e64 v19, v15, v18, s[20:21]
	v_add_u32_e32 v19, v27, v19
	s_waitcnt lgkmcnt(0)
	buffer_atomic_pk_add_f16 v16, v19, s[36:39], 0 offen
	buffer_atomic_pk_add_f16 v17, v19, s[36:39], 4 offen
	s_waitcnt lgkmcnt(0)
	s_barrier
	buffer_load_dword v19, off, s[0:3], 0 offset:832
	buffer_load_dword v20, off, s[0:3], 0 offset:836
	;; [unrolled: 1-line block ×8, first 2 shown]
	v_mov_b32_e32 v16, 0x80000100
	v_mov_b32_e32 v17, 0x100
	s_and_b64 s[20:21], s[18:19], s[10:11]
	s_waitcnt vmcnt(7)
	v_cvt_f16_f32_e32 v19, v19
	s_waitcnt vmcnt(6)
	v_cvt_f16_f32_e32 v20, v20
	;; [unrolled: 2-line block ×8, first 2 shown]
	ds_write_b16 v2, v19
	ds_write_b16 v2, v20 offset:128
	ds_write_b16 v2, v21 offset:256
	;; [unrolled: 1-line block ×7, first 2 shown]
	s_waitcnt lgkmcnt(0)
	s_barrier
	ds_read_b64 v[20:21], v1
	v_cndmask_b32_e64 v22, v16, v17, s[20:21]
	v_add_u32_e32 v22, v27, v22
	s_waitcnt lgkmcnt(0)
	buffer_atomic_pk_add_f16 v20, v22, s[36:39], 0 offen
	buffer_atomic_pk_add_f16 v21, v22, s[36:39], 4 offen
	ds_read_b64 v[22:23], v1 offset:8
	v_mov_b32_e32 v19, 0x80000108
	v_mov_b32_e32 v21, 0x108
	s_and_b64 s[20:21], s[18:19], s[12:13]
	v_cndmask_b32_e64 v20, v19, v21, s[20:21]
	v_add_u32_e32 v20, v27, v20
	s_waitcnt lgkmcnt(0)
	buffer_atomic_pk_add_f16 v22, v20, s[36:39], 0 offen
	buffer_atomic_pk_add_f16 v23, v20, s[36:39], 4 offen
	s_waitcnt lgkmcnt(0)
	s_barrier
	buffer_load_dword v22, off, s[0:3], 0 offset:864
	buffer_load_dword v23, off, s[0:3], 0 offset:868
	;; [unrolled: 1-line block ×8, first 2 shown]
	s_and_b64 s[20:21], s[18:19], s[14:15]
	v_mov_b32_e32 v20, 0x80000188
	s_and_b64 s[18:19], s[18:19], s[16:17]
	s_waitcnt vmcnt(7)
	v_cvt_f16_f32_e32 v22, v22
	s_waitcnt vmcnt(6)
	v_cvt_f16_f32_e32 v23, v23
	;; [unrolled: 2-line block ×8, first 2 shown]
	ds_write_b16 v2, v22
	ds_write_b16 v2, v23 offset:128
	ds_write_b16 v2, v24 offset:256
	ds_write_b16 v2, v25 offset:384
	ds_write_b16 v2, v28 offset:448
	ds_write_b16 v2, v29 offset:320
	ds_write_b16 v2, v30 offset:192
	ds_write_b16 v2, v31 offset:64
	s_waitcnt lgkmcnt(0)
	s_barrier
	ds_read_b64 v[22:23], v1
	v_cndmask_b32_e64 v24, v3, 0, s[20:21]
	v_add_u32_e32 v28, 0xc0, v26
	v_lshl_add_u32 v24, v28, 1, v24
	s_waitcnt lgkmcnt(0)
	buffer_atomic_pk_add_f16 v22, v24, s[36:39], 0 offen
	buffer_atomic_pk_add_f16 v23, v24, s[36:39], 4 offen
	ds_read_b64 v[24:25], v1 offset:8
	v_mov_b32_e32 v22, 0x188
	v_cndmask_b32_e64 v23, v20, v22, s[18:19]
	v_add_u32_e32 v23, v27, v23
	s_waitcnt lgkmcnt(0)
	buffer_atomic_pk_add_f16 v24, v23, s[36:39], 0 offen
	buffer_atomic_pk_add_f16 v25, v23, s[36:39], 4 offen
	s_waitcnt lgkmcnt(0)
	s_barrier
	buffer_load_dword v23, off, s[0:3], 0 offset:992
	buffer_load_dword v24, off, s[0:3], 0 offset:996
	;; [unrolled: 1-line block ×8, first 2 shown]
	v_cmp_gt_i32_e64 s[18:19], s24, v33
	s_and_b64 s[20:21], s[18:19], s[14:15]
	v_add_u32_e32 v26, s22, v26
	v_add_u32_e32 v33, 0xa0, v4
	s_waitcnt vmcnt(7)
	v_cvt_f16_f32_e32 v23, v23
	s_waitcnt vmcnt(6)
	v_cvt_f16_f32_e32 v24, v24
	;; [unrolled: 2-line block ×8, first 2 shown]
	ds_write_b16 v2, v23
	ds_write_b16 v2, v24 offset:128
	ds_write_b16 v2, v25 offset:256
	;; [unrolled: 1-line block ×7, first 2 shown]
	s_waitcnt lgkmcnt(0)
	s_barrier
	ds_read_b64 v[24:25], v1
	v_cndmask_b32_e64 v23, v3, 0, s[20:21]
	v_add_lshl_u32 v27, v28, s22, 1
	v_add_u32_e32 v23, v27, v23
	s_waitcnt lgkmcnt(0)
	buffer_atomic_pk_add_f16 v24, v23, s[36:39], 0 offen
	buffer_atomic_pk_add_f16 v25, v23, s[36:39], 4 offen
	ds_read_b64 v[24:25], v1 offset:8
	s_and_b64 s[20:21], s[18:19], s[16:17]
	v_cndmask_b32_e64 v23, v5, 8, s[20:21]
	v_add_u32_e32 v23, v27, v23
	s_waitcnt lgkmcnt(0)
	buffer_atomic_pk_add_f16 v24, v23, s[36:39], 0 offen
	buffer_atomic_pk_add_f16 v25, v23, s[36:39], 4 offen
	s_waitcnt lgkmcnt(0)
	s_barrier
	buffer_load_dword v23, off, s[0:3], 0 offset:960
	buffer_load_dword v24, off, s[0:3], 0 offset:964
	;; [unrolled: 1-line block ×8, first 2 shown]
	s_and_b64 s[20:21], s[18:19], s[10:11]
	s_waitcnt vmcnt(7)
	v_cvt_f16_f32_e32 v23, v23
	s_waitcnt vmcnt(6)
	v_cvt_f16_f32_e32 v24, v24
	;; [unrolled: 2-line block ×8, first 2 shown]
	ds_write_b16 v2, v23
	ds_write_b16 v2, v24 offset:128
	ds_write_b16 v2, v25 offset:256
	;; [unrolled: 1-line block ×7, first 2 shown]
	s_waitcnt lgkmcnt(0)
	s_barrier
	ds_read_b64 v[24:25], v1
	v_cndmask_b32_e64 v23, v6, v7, s[20:21]
	v_add_u32_e32 v23, v27, v23
	s_waitcnt lgkmcnt(0)
	buffer_atomic_pk_add_f16 v24, v23, s[36:39], 0 offen
	buffer_atomic_pk_add_f16 v25, v23, s[36:39], 4 offen
	ds_read_b64 v[24:25], v1 offset:8
	s_and_b64 s[20:21], s[18:19], s[12:13]
	v_cndmask_b32_e64 v23, v8, v11, s[20:21]
	v_add_u32_e32 v23, v27, v23
	s_waitcnt lgkmcnt(0)
	buffer_atomic_pk_add_f16 v24, v23, s[36:39], 0 offen
	buffer_atomic_pk_add_f16 v25, v23, s[36:39], 4 offen
	s_waitcnt lgkmcnt(0)
	s_barrier
	buffer_load_dword v23, off, s[0:3], 0 offset:928
	buffer_load_dword v24, off, s[0:3], 0 offset:932
	;; [unrolled: 1-line block ×8, first 2 shown]
	s_and_b64 s[20:21], s[18:19], s[6:7]
	s_waitcnt vmcnt(7)
	v_cvt_f16_f32_e32 v23, v23
	s_waitcnt vmcnt(6)
	v_cvt_f16_f32_e32 v24, v24
	;; [unrolled: 2-line block ×8, first 2 shown]
	ds_write_b16 v2, v23
	ds_write_b16 v2, v24 offset:128
	ds_write_b16 v2, v25 offset:256
	;; [unrolled: 1-line block ×7, first 2 shown]
	s_waitcnt lgkmcnt(0)
	s_barrier
	ds_read_b64 v[24:25], v1
	v_cndmask_b32_e64 v23, v9, v10, s[20:21]
	v_add_u32_e32 v23, v27, v23
	s_waitcnt lgkmcnt(0)
	buffer_atomic_pk_add_f16 v24, v23, s[36:39], 0 offen
	buffer_atomic_pk_add_f16 v25, v23, s[36:39], 4 offen
	ds_read_b64 v[24:25], v1 offset:8
	s_and_b64 s[20:21], s[18:19], s[8:9]
	v_cndmask_b32_e64 v23, v12, v13, s[20:21]
	v_add_u32_e32 v23, v27, v23
	s_waitcnt lgkmcnt(0)
	buffer_atomic_pk_add_f16 v24, v23, s[36:39], 0 offen
	buffer_atomic_pk_add_f16 v25, v23, s[36:39], 4 offen
	s_waitcnt lgkmcnt(0)
	s_barrier
	buffer_load_dword v23, off, s[0:3], 0 offset:896
	buffer_load_dword v24, off, s[0:3], 0 offset:900
	;; [unrolled: 1-line block ×8, first 2 shown]
	s_and_b64 s[20:21], vcc, s[18:19]
	s_and_b64 s[18:19], s[18:19], s[4:5]
	v_add_u32_e32 v32, 0x80, v4
	v_add_u32_e32 v4, 0xc0, v4
	s_waitcnt vmcnt(7)
	v_cvt_f16_f32_e32 v23, v23
	s_waitcnt vmcnt(6)
	v_cvt_f16_f32_e32 v24, v24
	;; [unrolled: 2-line block ×8, first 2 shown]
	ds_write_b16 v2, v23
	ds_write_b16 v2, v24 offset:128
	ds_write_b16 v2, v25 offset:256
	;; [unrolled: 1-line block ×7, first 2 shown]
	s_waitcnt lgkmcnt(0)
	s_barrier
	ds_read_b64 v[24:25], v1
	v_cndmask_b32_e64 v23, v3, 0, s[20:21]
	v_lshlrev_b32_e32 v27, 1, v26
	v_add_u32_e32 v23, v27, v23
	s_waitcnt lgkmcnt(0)
	buffer_atomic_pk_add_f16 v24, v23, s[36:39], 0 offen
	buffer_atomic_pk_add_f16 v25, v23, s[36:39], 4 offen
	ds_read_b64 v[24:25], v1 offset:8
	v_cndmask_b32_e64 v23, v5, 8, s[18:19]
	v_add_u32_e32 v23, v27, v23
	s_waitcnt lgkmcnt(0)
	buffer_atomic_pk_add_f16 v24, v23, s[36:39], 0 offen
	buffer_atomic_pk_add_f16 v25, v23, s[36:39], 4 offen
	s_waitcnt lgkmcnt(0)
	s_barrier
	buffer_load_dword v23, off, s[0:3], 0 offset:1024
	buffer_load_dword v24, off, s[0:3], 0 offset:1028
	;; [unrolled: 1-line block ×8, first 2 shown]
	v_cmp_gt_i32_e64 s[18:19], s24, v32
	s_and_b64 s[20:21], vcc, s[18:19]
	v_add_u32_e32 v26, s22, v26
	s_waitcnt vmcnt(7)
	v_cvt_f16_f32_e32 v23, v23
	s_waitcnt vmcnt(6)
	v_cvt_f16_f32_e32 v24, v24
	;; [unrolled: 2-line block ×8, first 2 shown]
	ds_write_b16 v2, v23
	ds_write_b16 v2, v24 offset:128
	ds_write_b16 v2, v25 offset:256
	ds_write_b16 v2, v27 offset:384
	ds_write_b16 v2, v28 offset:448
	ds_write_b16 v2, v29 offset:320
	ds_write_b16 v2, v30 offset:192
	ds_write_b16 v2, v31 offset:64
	s_waitcnt lgkmcnt(0)
	s_barrier
	ds_read_b64 v[24:25], v1
	v_cndmask_b32_e64 v23, v3, 0, s[20:21]
	v_lshlrev_b32_e32 v27, 1, v26
	v_add_u32_e32 v23, v27, v23
	s_waitcnt lgkmcnt(0)
	buffer_atomic_pk_add_f16 v24, v23, s[36:39], 0 offen
	buffer_atomic_pk_add_f16 v25, v23, s[36:39], 4 offen
	ds_read_b64 v[24:25], v1 offset:8
	s_and_b64 s[20:21], s[18:19], s[4:5]
	v_cndmask_b32_e64 v23, v5, 8, s[20:21]
	v_add_u32_e32 v23, v27, v23
	s_waitcnt lgkmcnt(0)
	buffer_atomic_pk_add_f16 v24, v23, s[36:39], 0 offen
	buffer_atomic_pk_add_f16 v25, v23, s[36:39], 4 offen
	s_waitcnt lgkmcnt(0)
	s_barrier
	buffer_load_dword v23, off, s[0:3], 0 offset:1056
	buffer_load_dword v24, off, s[0:3], 0 offset:1060
	;; [unrolled: 1-line block ×8, first 2 shown]
	s_and_b64 s[20:21], s[18:19], s[6:7]
	s_waitcnt vmcnt(7)
	v_cvt_f16_f32_e32 v23, v23
	s_waitcnt vmcnt(6)
	v_cvt_f16_f32_e32 v24, v24
	;; [unrolled: 2-line block ×8, first 2 shown]
	ds_write_b16 v2, v23
	ds_write_b16 v2, v24 offset:128
	ds_write_b16 v2, v25 offset:256
	;; [unrolled: 1-line block ×7, first 2 shown]
	s_waitcnt lgkmcnt(0)
	s_barrier
	ds_read_b64 v[24:25], v1
	v_cndmask_b32_e64 v23, v0, v14, s[20:21]
	v_add_u32_e32 v23, v27, v23
	s_waitcnt lgkmcnt(0)
	buffer_atomic_pk_add_f16 v24, v23, s[36:39], 0 offen
	buffer_atomic_pk_add_f16 v25, v23, s[36:39], 4 offen
	ds_read_b64 v[24:25], v1 offset:8
	s_and_b64 s[20:21], s[18:19], s[8:9]
	v_cndmask_b32_e64 v23, v15, v18, s[20:21]
	v_add_u32_e32 v23, v27, v23
	s_waitcnt lgkmcnt(0)
	buffer_atomic_pk_add_f16 v24, v23, s[36:39], 0 offen
	buffer_atomic_pk_add_f16 v25, v23, s[36:39], 4 offen
	s_waitcnt lgkmcnt(0)
	s_barrier
	buffer_load_dword v23, off, s[0:3], 0 offset:1088
	buffer_load_dword v24, off, s[0:3], 0 offset:1092
	;; [unrolled: 1-line block ×8, first 2 shown]
	s_and_b64 s[20:21], s[18:19], s[10:11]
	s_waitcnt vmcnt(7)
	v_cvt_f16_f32_e32 v23, v23
	s_waitcnt vmcnt(6)
	v_cvt_f16_f32_e32 v24, v24
	;; [unrolled: 2-line block ×8, first 2 shown]
	ds_write_b16 v2, v23
	ds_write_b16 v2, v24 offset:128
	ds_write_b16 v2, v25 offset:256
	;; [unrolled: 1-line block ×7, first 2 shown]
	s_waitcnt lgkmcnt(0)
	s_barrier
	ds_read_b64 v[24:25], v1
	v_cndmask_b32_e64 v23, v16, v17, s[20:21]
	v_add_u32_e32 v23, v27, v23
	s_waitcnt lgkmcnt(0)
	buffer_atomic_pk_add_f16 v24, v23, s[36:39], 0 offen
	buffer_atomic_pk_add_f16 v25, v23, s[36:39], 4 offen
	ds_read_b64 v[24:25], v1 offset:8
	s_and_b64 s[20:21], s[18:19], s[12:13]
	v_cndmask_b32_e64 v23, v19, v21, s[20:21]
	v_add_u32_e32 v23, v27, v23
	s_waitcnt lgkmcnt(0)
	buffer_atomic_pk_add_f16 v24, v23, s[36:39], 0 offen
	buffer_atomic_pk_add_f16 v25, v23, s[36:39], 4 offen
	s_waitcnt lgkmcnt(0)
	s_barrier
	buffer_load_dword v23, off, s[0:3], 0 offset:1120
	buffer_load_dword v24, off, s[0:3], 0 offset:1124
	;; [unrolled: 1-line block ×8, first 2 shown]
	s_and_b64 s[20:21], s[18:19], s[14:15]
	s_and_b64 s[18:19], s[18:19], s[16:17]
	s_waitcnt vmcnt(7)
	v_cvt_f16_f32_e32 v23, v23
	s_waitcnt vmcnt(6)
	v_cvt_f16_f32_e32 v24, v24
	;; [unrolled: 2-line block ×8, first 2 shown]
	ds_write_b16 v2, v23
	ds_write_b16 v2, v24 offset:128
	ds_write_b16 v2, v25 offset:256
	;; [unrolled: 1-line block ×7, first 2 shown]
	s_waitcnt lgkmcnt(0)
	s_barrier
	ds_read_b64 v[24:25], v1
	v_cndmask_b32_e64 v23, v3, 0, s[20:21]
	v_add_u32_e32 v28, 0xc0, v26
	v_lshl_add_u32 v23, v28, 1, v23
	s_waitcnt lgkmcnt(0)
	buffer_atomic_pk_add_f16 v24, v23, s[36:39], 0 offen
	buffer_atomic_pk_add_f16 v25, v23, s[36:39], 4 offen
	ds_read_b64 v[24:25], v1 offset:8
	v_cndmask_b32_e64 v23, v20, v22, s[18:19]
	v_add_u32_e32 v23, v27, v23
	s_waitcnt lgkmcnt(0)
	buffer_atomic_pk_add_f16 v24, v23, s[36:39], 0 offen
	buffer_atomic_pk_add_f16 v25, v23, s[36:39], 4 offen
	s_waitcnt lgkmcnt(0)
	s_barrier
	buffer_load_dword v23, off, s[0:3], 0 offset:1248
	buffer_load_dword v24, off, s[0:3], 0 offset:1252
	;; [unrolled: 1-line block ×8, first 2 shown]
	v_cmp_gt_i32_e64 s[18:19], s24, v33
	s_and_b64 s[20:21], s[18:19], s[14:15]
	s_waitcnt vmcnt(7)
	v_cvt_f16_f32_e32 v23, v23
	s_waitcnt vmcnt(6)
	v_cvt_f16_f32_e32 v24, v24
	;; [unrolled: 2-line block ×8, first 2 shown]
	ds_write_b16 v2, v23
	ds_write_b16 v2, v24 offset:128
	ds_write_b16 v2, v25 offset:256
	;; [unrolled: 1-line block ×7, first 2 shown]
	s_waitcnt lgkmcnt(0)
	s_barrier
	ds_read_b64 v[24:25], v1
	v_cndmask_b32_e64 v23, v3, 0, s[20:21]
	v_add_lshl_u32 v27, v28, s22, 1
	v_add_u32_e32 v23, v27, v23
	s_waitcnt lgkmcnt(0)
	buffer_atomic_pk_add_f16 v24, v23, s[36:39], 0 offen
	buffer_atomic_pk_add_f16 v25, v23, s[36:39], 4 offen
	ds_read_b64 v[24:25], v1 offset:8
	s_and_b64 s[20:21], s[18:19], s[16:17]
	v_cndmask_b32_e64 v23, v5, 8, s[20:21]
	v_add_u32_e32 v23, v27, v23
	s_waitcnt lgkmcnt(0)
	buffer_atomic_pk_add_f16 v24, v23, s[36:39], 0 offen
	buffer_atomic_pk_add_f16 v25, v23, s[36:39], 4 offen
	s_waitcnt lgkmcnt(0)
	s_barrier
	buffer_load_dword v23, off, s[0:3], 0 offset:1216
	buffer_load_dword v24, off, s[0:3], 0 offset:1220
	;; [unrolled: 1-line block ×8, first 2 shown]
	s_and_b64 s[20:21], s[18:19], s[10:11]
	v_cndmask_b32_e64 v6, v6, v7, s[20:21]
	v_add_u32_e32 v6, v27, v6
	s_and_b64 s[20:21], s[18:19], s[12:13]
	v_cndmask_b32_e64 v8, v8, v11, s[20:21]
	v_add_u32_e32 v8, v27, v8
	s_and_b64 s[20:21], s[18:19], s[6:7]
	s_waitcnt vmcnt(7)
	v_cvt_f16_f32_e32 v23, v23
	s_waitcnt vmcnt(6)
	v_cvt_f16_f32_e32 v24, v24
	;; [unrolled: 2-line block ×8, first 2 shown]
	ds_write_b16 v2, v23
	ds_write_b16 v2, v24 offset:128
	ds_write_b16 v2, v25 offset:256
	;; [unrolled: 1-line block ×7, first 2 shown]
	s_waitcnt lgkmcnt(0)
	s_barrier
	ds_read_b64 v[24:25], v1
	s_waitcnt lgkmcnt(0)
	buffer_atomic_pk_add_f16 v24, v6, s[36:39], 0 offen
	buffer_atomic_pk_add_f16 v25, v6, s[36:39], 4 offen
	ds_read_b64 v[6:7], v1 offset:8
	s_waitcnt lgkmcnt(0)
	buffer_atomic_pk_add_f16 v6, v8, s[36:39], 0 offen
	buffer_atomic_pk_add_f16 v7, v8, s[36:39], 4 offen
	s_waitcnt lgkmcnt(0)
	s_barrier
	buffer_load_dword v6, off, s[0:3], 0 offset:1184
	buffer_load_dword v7, off, s[0:3], 0 offset:1188
	;; [unrolled: 1-line block ×8, first 2 shown]
	s_waitcnt vmcnt(7)
	v_cvt_f16_f32_e32 v6, v6
	s_waitcnt vmcnt(6)
	v_cvt_f16_f32_e32 v7, v7
	;; [unrolled: 2-line block ×8, first 2 shown]
	ds_write_b16 v2, v6
	ds_write_b16 v2, v7 offset:128
	ds_write_b16 v2, v8 offset:256
	;; [unrolled: 1-line block ×7, first 2 shown]
	s_waitcnt lgkmcnt(0)
	s_barrier
	ds_read_b64 v[6:7], v1
	v_cndmask_b32_e64 v8, v9, v10, s[20:21]
	v_add_u32_e32 v8, v27, v8
	s_waitcnt lgkmcnt(0)
	buffer_atomic_pk_add_f16 v6, v8, s[36:39], 0 offen
	buffer_atomic_pk_add_f16 v7, v8, s[36:39], 4 offen
	ds_read_b64 v[6:7], v1 offset:8
	s_and_b64 s[20:21], s[18:19], s[8:9]
	v_cndmask_b32_e64 v8, v12, v13, s[20:21]
	v_add_u32_e32 v8, v27, v8
	s_waitcnt lgkmcnt(0)
	buffer_atomic_pk_add_f16 v6, v8, s[36:39], 0 offen
	buffer_atomic_pk_add_f16 v7, v8, s[36:39], 4 offen
	s_waitcnt lgkmcnt(0)
	s_barrier
	buffer_load_dword v6, off, s[0:3], 0 offset:1152
	buffer_load_dword v7, off, s[0:3], 0 offset:1156
	;; [unrolled: 1-line block ×8, first 2 shown]
	s_and_b64 s[20:21], vcc, s[18:19]
	s_and_b64 s[18:19], s[18:19], s[4:5]
	s_waitcnt vmcnt(7)
	v_cvt_f16_f32_e32 v6, v6
	s_waitcnt vmcnt(6)
	v_cvt_f16_f32_e32 v7, v7
	;; [unrolled: 2-line block ×8, first 2 shown]
	ds_write_b16 v2, v6
	ds_write_b16 v2, v7 offset:128
	ds_write_b16 v2, v8 offset:256
	ds_write_b16 v2, v9 offset:384
	ds_write_b16 v2, v10 offset:448
	ds_write_b16 v2, v11 offset:320
	ds_write_b16 v2, v12 offset:192
	ds_write_b16 v2, v13 offset:64
	s_waitcnt lgkmcnt(0)
	s_barrier
	ds_read_b64 v[6:7], v1
	v_cndmask_b32_e64 v8, v3, 0, s[20:21]
	v_add_lshl_u32 v9, v26, s22, 1
	v_add_u32_e32 v8, v9, v8
	s_waitcnt lgkmcnt(0)
	buffer_atomic_pk_add_f16 v6, v8, s[36:39], 0 offen
	buffer_atomic_pk_add_f16 v7, v8, s[36:39], 4 offen
	ds_read_b64 v[6:7], v1 offset:8
	v_cndmask_b32_e64 v8, v5, 8, s[18:19]
	v_add_u32_e32 v8, v9, v8
	s_waitcnt lgkmcnt(0)
	buffer_atomic_pk_add_f16 v6, v8, s[36:39], 0 offen
	buffer_atomic_pk_add_f16 v7, v8, s[36:39], 4 offen
	s_waitcnt lgkmcnt(0)
	s_barrier
	buffer_load_dword v6, off, s[0:3], 0 offset:1280
	buffer_load_dword v7, off, s[0:3], 0 offset:1284
	buffer_load_dword v8, off, s[0:3], 0 offset:1288
	buffer_load_dword v10, off, s[0:3], 0 offset:1292
	buffer_load_dword v11, off, s[0:3], 0 offset:1308
	buffer_load_dword v12, off, s[0:3], 0 offset:1304
	buffer_load_dword v13, off, s[0:3], 0 offset:1300
	buffer_load_dword v23, off, s[0:3], 0 offset:1296
	v_cmp_gt_i32_e64 s[18:19], s24, v4
	s_and_b64 s[20:21], vcc, s[18:19]
	v_cndmask_b32_e64 v3, v3, 0, s[20:21]
	s_and_b64 s[4:5], s[18:19], s[4:5]
	s_and_b64 vcc, s[18:19], s[6:7]
	v_cndmask_b32_e32 v0, v0, v14, vcc
	s_and_b64 vcc, s[18:19], s[8:9]
	s_waitcnt vmcnt(7)
	v_cvt_f16_f32_e32 v4, v6
	s_waitcnt vmcnt(6)
	v_cvt_f16_f32_e32 v6, v7
	;; [unrolled: 2-line block ×8, first 2 shown]
	ds_write_b16 v2, v4
	ds_write_b16 v2, v6 offset:128
	ds_write_b16 v2, v7 offset:256
	;; [unrolled: 1-line block ×7, first 2 shown]
	s_waitcnt lgkmcnt(0)
	s_barrier
	ds_read_b64 v[6:7], v1
	v_lshl_add_u32 v8, s29, 6, v9
	v_add_u32_e32 v3, v8, v3
	s_waitcnt lgkmcnt(0)
	buffer_atomic_pk_add_f16 v6, v3, s[36:39], 0 offen
	buffer_atomic_pk_add_f16 v7, v3, s[36:39], 4 offen
	ds_read_b64 v[6:7], v1 offset:8
	v_cndmask_b32_e64 v3, v5, 8, s[4:5]
	v_add_u32_e32 v3, v8, v3
	s_waitcnt lgkmcnt(0)
	buffer_atomic_pk_add_f16 v6, v3, s[36:39], 0 offen
	buffer_atomic_pk_add_f16 v7, v3, s[36:39], 4 offen
	s_waitcnt lgkmcnt(0)
	s_barrier
	buffer_load_dword v3, off, s[0:3], 0 offset:1312
	buffer_load_dword v4, off, s[0:3], 0 offset:1316
	;; [unrolled: 1-line block ×8, first 2 shown]
	v_add_u32_e32 v0, v8, v0
	s_waitcnt vmcnt(7)
	v_cvt_f16_f32_e32 v3, v3
	s_waitcnt vmcnt(6)
	v_cvt_f16_f32_e32 v4, v4
	;; [unrolled: 2-line block ×8, first 2 shown]
	ds_write_b16 v2, v3
	ds_write_b16 v2, v4 offset:128
	ds_write_b16 v2, v5 offset:256
	;; [unrolled: 1-line block ×7, first 2 shown]
	s_waitcnt lgkmcnt(0)
	s_barrier
	ds_read_b64 v[4:5], v1
	s_waitcnt lgkmcnt(0)
	buffer_atomic_pk_add_f16 v4, v0, s[36:39], 0 offen
	buffer_atomic_pk_add_f16 v5, v0, s[36:39], 4 offen
	ds_read_b64 v[4:5], v1 offset:8
	v_cndmask_b32_e32 v0, v15, v18, vcc
	v_add_u32_e32 v0, v8, v0
	s_waitcnt lgkmcnt(0)
	buffer_atomic_pk_add_f16 v4, v0, s[36:39], 0 offen
	buffer_atomic_pk_add_f16 v5, v0, s[36:39], 4 offen
	s_waitcnt lgkmcnt(0)
	s_barrier
	buffer_load_dword v0, off, s[0:3], 0 offset:1344
	buffer_load_dword v3, off, s[0:3], 0 offset:1348
	;; [unrolled: 1-line block ×8, first 2 shown]
	s_and_b64 vcc, s[18:19], s[10:11]
	s_waitcnt vmcnt(7)
	v_cvt_f16_f32_e32 v0, v0
	s_waitcnt vmcnt(6)
	v_cvt_f16_f32_e32 v3, v3
	s_waitcnt vmcnt(5)
	v_cvt_f16_f32_e32 v4, v4
	s_waitcnt vmcnt(4)
	v_cvt_f16_f32_e32 v5, v5
	s_waitcnt vmcnt(3)
	v_cvt_f16_f32_e32 v6, v6
	s_waitcnt vmcnt(2)
	v_cvt_f16_f32_e32 v7, v7
	s_waitcnt vmcnt(1)
	v_cvt_f16_f32_e32 v9, v9
	s_waitcnt vmcnt(0)
	v_cvt_f16_f32_e32 v10, v10
	ds_write_b16 v2, v0
	ds_write_b16 v2, v3 offset:128
	ds_write_b16 v2, v4 offset:256
	;; [unrolled: 1-line block ×7, first 2 shown]
	s_waitcnt lgkmcnt(0)
	s_barrier
	ds_read_b64 v[4:5], v1
	v_cndmask_b32_e32 v0, v16, v17, vcc
	v_add_u32_e32 v0, v8, v0
	s_waitcnt lgkmcnt(0)
	buffer_atomic_pk_add_f16 v4, v0, s[36:39], 0 offen
	buffer_atomic_pk_add_f16 v5, v0, s[36:39], 4 offen
	ds_read_b64 v[4:5], v1 offset:8
	s_and_b64 vcc, s[18:19], s[12:13]
	v_cndmask_b32_e32 v0, v19, v21, vcc
	v_add_u32_e32 v0, v8, v0
	s_waitcnt lgkmcnt(0)
	buffer_atomic_pk_add_f16 v4, v0, s[36:39], 0 offen
	buffer_atomic_pk_add_f16 v5, v0, s[36:39], 4 offen
	s_waitcnt lgkmcnt(0)
	s_barrier
	buffer_load_dword v0, off, s[0:3], 0 offset:1376
	buffer_load_dword v3, off, s[0:3], 0 offset:1380
	;; [unrolled: 1-line block ×8, first 2 shown]
	s_and_b64 vcc, s[18:19], s[14:15]
	s_waitcnt vmcnt(7)
	v_cvt_f16_f32_e32 v0, v0
	s_waitcnt vmcnt(6)
	v_cvt_f16_f32_e32 v3, v3
	s_waitcnt vmcnt(5)
	v_cvt_f16_f32_e32 v4, v4
	s_waitcnt vmcnt(4)
	v_cvt_f16_f32_e32 v5, v5
	s_waitcnt vmcnt(3)
	v_cvt_f16_f32_e32 v6, v6
	s_waitcnt vmcnt(2)
	v_cvt_f16_f32_e32 v7, v7
	s_waitcnt vmcnt(1)
	v_cvt_f16_f32_e32 v9, v9
	s_waitcnt vmcnt(0)
	v_cvt_f16_f32_e32 v10, v10
	ds_write_b16 v2, v0
	ds_write_b16 v2, v3 offset:128
	ds_write_b16 v2, v4 offset:256
	;; [unrolled: 1-line block ×7, first 2 shown]
	s_waitcnt lgkmcnt(0)
	s_barrier
	ds_read_b64 v[2:3], v1
	v_mov_b32_e32 v0, 0x80000180
	v_mov_b32_e32 v4, 0x180
	v_cndmask_b32_e32 v0, v0, v4, vcc
	v_add_u32_e32 v0, v8, v0
	s_waitcnt lgkmcnt(0)
	buffer_atomic_pk_add_f16 v2, v0, s[36:39], 0 offen
	buffer_atomic_pk_add_f16 v3, v0, s[36:39], 4 offen
	ds_read_b64 v[0:1], v1 offset:8
	s_and_b64 vcc, s[18:19], s[16:17]
	v_cndmask_b32_e32 v2, v20, v22, vcc
	v_add_u32_e32 v2, v8, v2
	s_waitcnt lgkmcnt(0)
	buffer_atomic_pk_add_f16 v0, v2, s[36:39], 0 offen
	buffer_atomic_pk_add_f16 v1, v2, s[36:39], 4 offen
	s_endpgm
	.section	.rodata,"a",@progbits
	.p2align	6, 0x0
	.amdhsa_kernel _ZN2ck27kernel_gemm_xdl_cshuffle_v3INS_28GridwiseGemm_xdl_cshuffle_v3INS_13tensor_layout4gemm8RowMajorENS3_11ColumnMajorES4_NS_9f8_fnuz_tES6_fDF16_DF16_NS_16tensor_operation12element_wise11PassThroughES9_S9_LNS7_6device18GemmSpecializationE0ELi256ELi224ELi256ELi128ELi16ELi16ELi16ELi16ELi7ELi8ENS_8SequenceIJLi8ELi32ELi1EEEENSC_IJLi1ELi0ELi2EEEESE_Li2ELi16ELi16ELb0ELi0ESD_SE_SE_Li2ELi16ELi16ELb0ELi0ELi1ELi2ENSC_IJLi1ELi32ELi1ELi8EEEELi4ELNS_26BlockGemmPipelineSchedulerE0ELNS_24BlockGemmPipelineVersionE2ES6_S6_Lb0ELb0ELb0ELi0ELb0EEELb1ELNS_25InMemoryDataOperationEnumE1ELi1ELNS_10TailNumberE10EEEvNT_8ArgumentE
		.amdhsa_group_segment_fixed_size 61440
		.amdhsa_private_segment_fixed_size 1424
		.amdhsa_kernarg_size 112
		.amdhsa_user_sgpr_count 8
		.amdhsa_user_sgpr_private_segment_buffer 1
		.amdhsa_user_sgpr_dispatch_ptr 0
		.amdhsa_user_sgpr_queue_ptr 0
		.amdhsa_user_sgpr_kernarg_segment_ptr 1
		.amdhsa_user_sgpr_dispatch_id 0
		.amdhsa_user_sgpr_flat_scratch_init 1
		.amdhsa_user_sgpr_kernarg_preload_length 0
		.amdhsa_user_sgpr_kernarg_preload_offset 0
		.amdhsa_user_sgpr_private_segment_size 0
		.amdhsa_uses_dynamic_stack 0
		.amdhsa_system_sgpr_private_segment_wavefront_offset 1
		.amdhsa_system_sgpr_workgroup_id_x 1
		.amdhsa_system_sgpr_workgroup_id_y 0
		.amdhsa_system_sgpr_workgroup_id_z 1
		.amdhsa_system_sgpr_workgroup_info 0
		.amdhsa_system_vgpr_workitem_id 0
		.amdhsa_next_free_vgpr 124
		.amdhsa_next_free_sgpr 48
		.amdhsa_accum_offset 120
		.amdhsa_reserve_vcc 1
		.amdhsa_reserve_flat_scratch 1
		.amdhsa_float_round_mode_32 0
		.amdhsa_float_round_mode_16_64 0
		.amdhsa_float_denorm_mode_32 3
		.amdhsa_float_denorm_mode_16_64 3
		.amdhsa_dx10_clamp 1
		.amdhsa_ieee_mode 1
		.amdhsa_fp16_overflow 0
		.amdhsa_tg_split 0
		.amdhsa_exception_fp_ieee_invalid_op 0
		.amdhsa_exception_fp_denorm_src 0
		.amdhsa_exception_fp_ieee_div_zero 0
		.amdhsa_exception_fp_ieee_overflow 0
		.amdhsa_exception_fp_ieee_underflow 0
		.amdhsa_exception_fp_ieee_inexact 0
		.amdhsa_exception_int_div_zero 0
	.end_amdhsa_kernel
	.section	.text._ZN2ck27kernel_gemm_xdl_cshuffle_v3INS_28GridwiseGemm_xdl_cshuffle_v3INS_13tensor_layout4gemm8RowMajorENS3_11ColumnMajorES4_NS_9f8_fnuz_tES6_fDF16_DF16_NS_16tensor_operation12element_wise11PassThroughES9_S9_LNS7_6device18GemmSpecializationE0ELi256ELi224ELi256ELi128ELi16ELi16ELi16ELi16ELi7ELi8ENS_8SequenceIJLi8ELi32ELi1EEEENSC_IJLi1ELi0ELi2EEEESE_Li2ELi16ELi16ELb0ELi0ESD_SE_SE_Li2ELi16ELi16ELb0ELi0ELi1ELi2ENSC_IJLi1ELi32ELi1ELi8EEEELi4ELNS_26BlockGemmPipelineSchedulerE0ELNS_24BlockGemmPipelineVersionE2ES6_S6_Lb0ELb0ELb0ELi0ELb0EEELb1ELNS_25InMemoryDataOperationEnumE1ELi1ELNS_10TailNumberE10EEEvNT_8ArgumentE,"axG",@progbits,_ZN2ck27kernel_gemm_xdl_cshuffle_v3INS_28GridwiseGemm_xdl_cshuffle_v3INS_13tensor_layout4gemm8RowMajorENS3_11ColumnMajorES4_NS_9f8_fnuz_tES6_fDF16_DF16_NS_16tensor_operation12element_wise11PassThroughES9_S9_LNS7_6device18GemmSpecializationE0ELi256ELi224ELi256ELi128ELi16ELi16ELi16ELi16ELi7ELi8ENS_8SequenceIJLi8ELi32ELi1EEEENSC_IJLi1ELi0ELi2EEEESE_Li2ELi16ELi16ELb0ELi0ESD_SE_SE_Li2ELi16ELi16ELb0ELi0ELi1ELi2ENSC_IJLi1ELi32ELi1ELi8EEEELi4ELNS_26BlockGemmPipelineSchedulerE0ELNS_24BlockGemmPipelineVersionE2ES6_S6_Lb0ELb0ELb0ELi0ELb0EEELb1ELNS_25InMemoryDataOperationEnumE1ELi1ELNS_10TailNumberE10EEEvNT_8ArgumentE,comdat
.Lfunc_end3:
	.size	_ZN2ck27kernel_gemm_xdl_cshuffle_v3INS_28GridwiseGemm_xdl_cshuffle_v3INS_13tensor_layout4gemm8RowMajorENS3_11ColumnMajorES4_NS_9f8_fnuz_tES6_fDF16_DF16_NS_16tensor_operation12element_wise11PassThroughES9_S9_LNS7_6device18GemmSpecializationE0ELi256ELi224ELi256ELi128ELi16ELi16ELi16ELi16ELi7ELi8ENS_8SequenceIJLi8ELi32ELi1EEEENSC_IJLi1ELi0ELi2EEEESE_Li2ELi16ELi16ELb0ELi0ESD_SE_SE_Li2ELi16ELi16ELb0ELi0ELi1ELi2ENSC_IJLi1ELi32ELi1ELi8EEEELi4ELNS_26BlockGemmPipelineSchedulerE0ELNS_24BlockGemmPipelineVersionE2ES6_S6_Lb0ELb0ELb0ELi0ELb0EEELb1ELNS_25InMemoryDataOperationEnumE1ELi1ELNS_10TailNumberE10EEEvNT_8ArgumentE, .Lfunc_end3-_ZN2ck27kernel_gemm_xdl_cshuffle_v3INS_28GridwiseGemm_xdl_cshuffle_v3INS_13tensor_layout4gemm8RowMajorENS3_11ColumnMajorES4_NS_9f8_fnuz_tES6_fDF16_DF16_NS_16tensor_operation12element_wise11PassThroughES9_S9_LNS7_6device18GemmSpecializationE0ELi256ELi224ELi256ELi128ELi16ELi16ELi16ELi16ELi7ELi8ENS_8SequenceIJLi8ELi32ELi1EEEENSC_IJLi1ELi0ELi2EEEESE_Li2ELi16ELi16ELb0ELi0ESD_SE_SE_Li2ELi16ELi16ELb0ELi0ELi1ELi2ENSC_IJLi1ELi32ELi1ELi8EEEELi4ELNS_26BlockGemmPipelineSchedulerE0ELNS_24BlockGemmPipelineVersionE2ES6_S6_Lb0ELb0ELb0ELi0ELb0EEELb1ELNS_25InMemoryDataOperationEnumE1ELi1ELNS_10TailNumberE10EEEvNT_8ArgumentE
                                        ; -- End function
	.section	.AMDGPU.csdata,"",@progbits
; Kernel info:
; codeLenInByte = 18908
; NumSgprs: 54
; NumVgprs: 119
; NumAgprs: 4
; TotalNumVgprs: 124
; ScratchSize: 1424
; MemoryBound: 0
; FloatMode: 240
; IeeeMode: 1
; LDSByteSize: 61440 bytes/workgroup (compile time only)
; SGPRBlocks: 6
; VGPRBlocks: 15
; NumSGPRsForWavesPerEU: 54
; NumVGPRsForWavesPerEU: 124
; AccumOffset: 120
; Occupancy: 1
; WaveLimiterHint : 1
; COMPUTE_PGM_RSRC2:SCRATCH_EN: 1
; COMPUTE_PGM_RSRC2:USER_SGPR: 8
; COMPUTE_PGM_RSRC2:TRAP_HANDLER: 0
; COMPUTE_PGM_RSRC2:TGID_X_EN: 1
; COMPUTE_PGM_RSRC2:TGID_Y_EN: 0
; COMPUTE_PGM_RSRC2:TGID_Z_EN: 1
; COMPUTE_PGM_RSRC2:TIDIG_COMP_CNT: 0
; COMPUTE_PGM_RSRC3_GFX90A:ACCUM_OFFSET: 29
; COMPUTE_PGM_RSRC3_GFX90A:TG_SPLIT: 0
	.section	.text._ZN2ck27kernel_gemm_xdl_cshuffle_v3INS_28GridwiseGemm_xdl_cshuffle_v3INS_13tensor_layout4gemm8RowMajorENS3_11ColumnMajorES4_NS_9f8_fnuz_tES6_fDF16_DF16_NS_16tensor_operation12element_wise11PassThroughES9_S9_LNS7_6device18GemmSpecializationE0ELi256ELi224ELi256ELi128ELi16ELi16ELi16ELi16ELi7ELi8ENS_8SequenceIJLi8ELi32ELi1EEEENSC_IJLi1ELi0ELi2EEEESE_Li2ELi16ELi16ELb0ELi0ESD_SE_SE_Li2ELi16ELi16ELb0ELi0ELi1ELi2ENSC_IJLi1ELi32ELi1ELi8EEEELi4ELNS_26BlockGemmPipelineSchedulerE0ELNS_24BlockGemmPipelineVersionE2ES6_S6_Lb0ELb0ELb0ELi0ELb0EEELb1ELNS_25InMemoryDataOperationEnumE0ELi1ELNS_10TailNumberE10EEEvNT_8ArgumentE,"axG",@progbits,_ZN2ck27kernel_gemm_xdl_cshuffle_v3INS_28GridwiseGemm_xdl_cshuffle_v3INS_13tensor_layout4gemm8RowMajorENS3_11ColumnMajorES4_NS_9f8_fnuz_tES6_fDF16_DF16_NS_16tensor_operation12element_wise11PassThroughES9_S9_LNS7_6device18GemmSpecializationE0ELi256ELi224ELi256ELi128ELi16ELi16ELi16ELi16ELi7ELi8ENS_8SequenceIJLi8ELi32ELi1EEEENSC_IJLi1ELi0ELi2EEEESE_Li2ELi16ELi16ELb0ELi0ESD_SE_SE_Li2ELi16ELi16ELb0ELi0ELi1ELi2ENSC_IJLi1ELi32ELi1ELi8EEEELi4ELNS_26BlockGemmPipelineSchedulerE0ELNS_24BlockGemmPipelineVersionE2ES6_S6_Lb0ELb0ELb0ELi0ELb0EEELb1ELNS_25InMemoryDataOperationEnumE0ELi1ELNS_10TailNumberE10EEEvNT_8ArgumentE,comdat
	.protected	_ZN2ck27kernel_gemm_xdl_cshuffle_v3INS_28GridwiseGemm_xdl_cshuffle_v3INS_13tensor_layout4gemm8RowMajorENS3_11ColumnMajorES4_NS_9f8_fnuz_tES6_fDF16_DF16_NS_16tensor_operation12element_wise11PassThroughES9_S9_LNS7_6device18GemmSpecializationE0ELi256ELi224ELi256ELi128ELi16ELi16ELi16ELi16ELi7ELi8ENS_8SequenceIJLi8ELi32ELi1EEEENSC_IJLi1ELi0ELi2EEEESE_Li2ELi16ELi16ELb0ELi0ESD_SE_SE_Li2ELi16ELi16ELb0ELi0ELi1ELi2ENSC_IJLi1ELi32ELi1ELi8EEEELi4ELNS_26BlockGemmPipelineSchedulerE0ELNS_24BlockGemmPipelineVersionE2ES6_S6_Lb0ELb0ELb0ELi0ELb0EEELb1ELNS_25InMemoryDataOperationEnumE0ELi1ELNS_10TailNumberE10EEEvNT_8ArgumentE ; -- Begin function _ZN2ck27kernel_gemm_xdl_cshuffle_v3INS_28GridwiseGemm_xdl_cshuffle_v3INS_13tensor_layout4gemm8RowMajorENS3_11ColumnMajorES4_NS_9f8_fnuz_tES6_fDF16_DF16_NS_16tensor_operation12element_wise11PassThroughES9_S9_LNS7_6device18GemmSpecializationE0ELi256ELi224ELi256ELi128ELi16ELi16ELi16ELi16ELi7ELi8ENS_8SequenceIJLi8ELi32ELi1EEEENSC_IJLi1ELi0ELi2EEEESE_Li2ELi16ELi16ELb0ELi0ESD_SE_SE_Li2ELi16ELi16ELb0ELi0ELi1ELi2ENSC_IJLi1ELi32ELi1ELi8EEEELi4ELNS_26BlockGemmPipelineSchedulerE0ELNS_24BlockGemmPipelineVersionE2ES6_S6_Lb0ELb0ELb0ELi0ELb0EEELb1ELNS_25InMemoryDataOperationEnumE0ELi1ELNS_10TailNumberE10EEEvNT_8ArgumentE
	.globl	_ZN2ck27kernel_gemm_xdl_cshuffle_v3INS_28GridwiseGemm_xdl_cshuffle_v3INS_13tensor_layout4gemm8RowMajorENS3_11ColumnMajorES4_NS_9f8_fnuz_tES6_fDF16_DF16_NS_16tensor_operation12element_wise11PassThroughES9_S9_LNS7_6device18GemmSpecializationE0ELi256ELi224ELi256ELi128ELi16ELi16ELi16ELi16ELi7ELi8ENS_8SequenceIJLi8ELi32ELi1EEEENSC_IJLi1ELi0ELi2EEEESE_Li2ELi16ELi16ELb0ELi0ESD_SE_SE_Li2ELi16ELi16ELb0ELi0ELi1ELi2ENSC_IJLi1ELi32ELi1ELi8EEEELi4ELNS_26BlockGemmPipelineSchedulerE0ELNS_24BlockGemmPipelineVersionE2ES6_S6_Lb0ELb0ELb0ELi0ELb0EEELb1ELNS_25InMemoryDataOperationEnumE0ELi1ELNS_10TailNumberE10EEEvNT_8ArgumentE
	.p2align	8
	.type	_ZN2ck27kernel_gemm_xdl_cshuffle_v3INS_28GridwiseGemm_xdl_cshuffle_v3INS_13tensor_layout4gemm8RowMajorENS3_11ColumnMajorES4_NS_9f8_fnuz_tES6_fDF16_DF16_NS_16tensor_operation12element_wise11PassThroughES9_S9_LNS7_6device18GemmSpecializationE0ELi256ELi224ELi256ELi128ELi16ELi16ELi16ELi16ELi7ELi8ENS_8SequenceIJLi8ELi32ELi1EEEENSC_IJLi1ELi0ELi2EEEESE_Li2ELi16ELi16ELb0ELi0ESD_SE_SE_Li2ELi16ELi16ELb0ELi0ELi1ELi2ENSC_IJLi1ELi32ELi1ELi8EEEELi4ELNS_26BlockGemmPipelineSchedulerE0ELNS_24BlockGemmPipelineVersionE2ES6_S6_Lb0ELb0ELb0ELi0ELb0EEELb1ELNS_25InMemoryDataOperationEnumE0ELi1ELNS_10TailNumberE10EEEvNT_8ArgumentE,@function
_ZN2ck27kernel_gemm_xdl_cshuffle_v3INS_28GridwiseGemm_xdl_cshuffle_v3INS_13tensor_layout4gemm8RowMajorENS3_11ColumnMajorES4_NS_9f8_fnuz_tES6_fDF16_DF16_NS_16tensor_operation12element_wise11PassThroughES9_S9_LNS7_6device18GemmSpecializationE0ELi256ELi224ELi256ELi128ELi16ELi16ELi16ELi16ELi7ELi8ENS_8SequenceIJLi8ELi32ELi1EEEENSC_IJLi1ELi0ELi2EEEESE_Li2ELi16ELi16ELb0ELi0ESD_SE_SE_Li2ELi16ELi16ELb0ELi0ELi1ELi2ENSC_IJLi1ELi32ELi1ELi8EEEELi4ELNS_26BlockGemmPipelineSchedulerE0ELNS_24BlockGemmPipelineVersionE2ES6_S6_Lb0ELb0ELb0ELi0ELb0EEELb1ELNS_25InMemoryDataOperationEnumE0ELi1ELNS_10TailNumberE10EEEvNT_8ArgumentE: ; @_ZN2ck27kernel_gemm_xdl_cshuffle_v3INS_28GridwiseGemm_xdl_cshuffle_v3INS_13tensor_layout4gemm8RowMajorENS3_11ColumnMajorES4_NS_9f8_fnuz_tES6_fDF16_DF16_NS_16tensor_operation12element_wise11PassThroughES9_S9_LNS7_6device18GemmSpecializationE0ELi256ELi224ELi256ELi128ELi16ELi16ELi16ELi16ELi7ELi8ENS_8SequenceIJLi8ELi32ELi1EEEENSC_IJLi1ELi0ELi2EEEESE_Li2ELi16ELi16ELb0ELi0ESD_SE_SE_Li2ELi16ELi16ELb0ELi0ELi1ELi2ENSC_IJLi1ELi32ELi1ELi8EEEELi4ELNS_26BlockGemmPipelineSchedulerE0ELNS_24BlockGemmPipelineVersionE2ES6_S6_Lb0ELb0ELb0ELi0ELb0EEELb1ELNS_25InMemoryDataOperationEnumE0ELi1ELNS_10TailNumberE10EEEvNT_8ArgumentE
; %bb.0:
	s_add_u32 flat_scratch_lo, s6, s10
	s_addc_u32 flat_scratch_hi, s7, 0
	s_add_u32 s0, s0, s10
	s_load_dwordx8 s[24:31], s[4:5], 0x10
	s_load_dword s10, s[4:5], 0x68
	s_load_dwordx2 s[34:35], s[4:5], 0x60
	s_load_dwordx4 s[12:15], s[4:5], 0x50
	s_addc_u32 s1, s1, 0
	s_waitcnt lgkmcnt(0)
	s_cmp_gt_i32 s30, 1
	s_cselect_b64 s[6:7], -1, 0
	s_bitcmp1_b32 s10, 0
	s_cselect_b64 s[10:11], -1, 0
	s_and_b64 s[6:7], s[6:7], s[10:11]
	v_mov_b32_e32 v18, v0
	s_andn2_b64 vcc, exec, s[6:7]
	s_mov_b64 s[36:37], 0
	s_mov_b32 s32, 0x16400
	s_cbranch_vccnz .LBB4_2
; %bb.1:
	s_mul_i32 s6, s24, s9
	s_mul_i32 s36, s6, s25
	s_ashr_i32 s37, s36, 31
.LBB4_2:
	s_load_dword s7, s[4:5], 0x34
	s_load_dword s6, s[4:5], 0x3c
	s_add_i32 s4, s24, -1
	s_cmpk_lt_u32 s4, 0xe0
	s_mov_b32 s4, 0
	s_cbranch_scc1 .LBB4_10
; %bb.3:
	s_add_i32 s4, s25, -1
	s_cmpk_lt_u32 s4, 0x100
	s_mov_b32 s5, 0
	s_cbranch_scc1 .LBB4_9
; %bb.4:
	s_add_i32 s4, s24, 0xdf
	s_mul_hi_i32 s5, s4, 0x92492493
	s_add_i32 s5, s5, s4
	s_lshr_b32 s4, s5, 31
	s_ashr_i32 s11, s5, 7
	s_add_i32 s11, s11, s4
	s_add_i32 s4, s25, 0xff
	s_ashr_i32 s5, s4, 31
	s_lshr_b32 s5, s5, 24
	s_add_i32 s4, s4, s5
	s_ashr_i32 s10, s4, 8
	s_mul_i32 s4, s10, s11
	s_add_i32 s5, s4, 7
	s_ashr_i32 s16, s5, 31
	s_lshr_b32 s16, s16, 29
	s_add_i32 s5, s5, s16
	s_ashr_i32 s16, s5, 3
	s_and_b32 s5, s5, -8
	s_sub_i32 s17, s4, s5
	s_ashr_i32 s4, s8, 31
	s_lshr_b32 s4, s4, 29
	s_add_i32 s19, s8, s4
	s_and_b32 s4, s19, -8
	s_add_i32 s17, s17, 8
	s_sub_i32 s18, s8, s4
	s_cmp_gt_i32 s18, s17
	s_cbranch_scc1 .LBB4_6
; %bb.5:
	s_mul_i32 s8, s16, s18
	s_ashr_i32 s4, s19, 3
	s_cbranch_execz .LBB4_7
	s_branch .LBB4_8
.LBB4_6:
                                        ; implicit-def: $sgpr8
	s_ashr_i32 s4, s19, 3
.LBB4_7:
	s_add_i32 s5, s16, -1
	s_mul_i32 s5, s5, s18
	s_add_i32 s8, s17, s5
.LBB4_8:
	s_abs_i32 s5, s10
	v_cvt_f32_u32_e32 v0, s5
	s_sub_i32 s17, 0, s5
	s_add_i32 s4, s8, s4
	s_abs_i32 s16, s4
	v_rcp_iflag_f32_e32 v0, v0
	s_xor_b32 s8, s4, s10
	s_ashr_i32 s8, s8, 31
	v_mul_f32_e32 v0, 0x4f7ffffe, v0
	v_cvt_u32_f32_e32 v0, v0
	v_readfirstlane_b32 s18, v0
	s_mul_i32 s17, s17, s18
	s_mul_hi_u32 s17, s18, s17
	s_add_i32 s18, s18, s17
	s_mul_hi_u32 s17, s16, s18
	s_mul_i32 s18, s17, s5
	s_sub_i32 s16, s16, s18
	s_add_i32 s19, s17, 1
	s_sub_i32 s18, s16, s5
	s_cmp_ge_u32 s16, s5
	s_cselect_b32 s17, s19, s17
	s_cselect_b32 s16, s18, s16
	s_add_i32 s18, s17, 1
	s_cmp_ge_u32 s16, s5
	s_cselect_b32 s5, s18, s17
	s_xor_b32 s5, s5, s8
	s_lshr_b32 s16, s11, 30
	s_sub_i32 s8, s5, s8
	s_add_i32 s16, s11, s16
	s_mul_i32 s5, s8, s10
	s_sub_i32 s4, s4, s5
	s_and_b32 s5, s16, -4
	s_sub_i32 s11, s11, s5
	s_cmp_ge_i32 s8, s5
	s_cselect_b32 s11, s11, 4
	s_abs_i32 s16, s11
	v_cvt_f32_u32_e32 v0, s16
	s_ashr_i32 s5, s8, 31
	s_lshr_b32 s5, s5, 30
	s_add_i32 s5, s8, s5
	v_rcp_iflag_f32_e32 v0, v0
	s_and_b32 s5, s5, -4
	s_sub_i32 s17, s8, s5
	s_sub_i32 s18, 0, s16
	v_mul_f32_e32 v0, 0x4f7ffffe, v0
	v_cvt_u32_f32_e32 v0, v0
	s_mul_i32 s5, s17, s10
	s_add_i32 s4, s5, s4
	s_abs_i32 s10, s4
	v_readfirstlane_b32 s19, v0
	s_mul_i32 s18, s18, s19
	s_mul_hi_u32 s18, s19, s18
	s_add_i32 s19, s19, s18
	s_mul_hi_u32 s18, s10, s19
	s_mul_i32 s19, s18, s16
	s_xor_b32 s5, s4, s11
	s_sub_i32 s10, s10, s19
	s_ashr_i32 s5, s5, 31
	s_add_i32 s19, s18, 1
	s_sub_i32 s20, s10, s16
	s_cmp_ge_u32 s10, s16
	s_cselect_b32 s18, s19, s18
	s_cselect_b32 s10, s20, s10
	s_add_i32 s19, s18, 1
	s_cmp_ge_u32 s10, s16
	s_cselect_b32 s10, s19, s18
	s_xor_b32 s10, s10, s5
	s_sub_i32 s5, s10, s5
	s_mul_i32 s10, s5, s11
	s_sub_i32 s4, s4, s10
	s_add_i32 s4, s4, s8
	s_sub_i32 s8, s4, s17
.LBB4_9:
	s_mov_b32 s4, s8
	s_mov_b32 s8, s5
.LBB4_10:
	s_waitcnt lgkmcnt(0)
	s_mul_i32 s5, s7, s9
	s_ashr_i32 s10, s5, 31
	s_add_u32 s16, s12, s5
	s_addc_u32 s17, s13, s10
	s_add_u32 s20, s14, s5
	s_addc_u32 s21, s15, s10
	s_add_u32 s40, 0, 0
	s_addc_u32 s41, s24, -1
	s_add_u32 s5, 0, 0
	s_addc_u32 s5, s25, -1
	s_add_i32 s11, s30, -1
	s_mul_i32 s12, s11, s7
	s_sub_i32 s12, s26, s12
	s_mul_i32 s26, s4, 0xe0
	v_lshrrev_b32_e32 v19, 3, v18
	v_and_b32_e32 v4, 7, v18
	s_cmp_lt_u32 s9, s11
	v_mad_u32_u24 v0, v19, 7, s26
	v_lshlrev_b32_e32 v6, 4, v4
	s_cselect_b32 s7, s7, s12
	s_lshl_b32 s11, s8, 8
	v_mul_u32_u24_e32 v2, 7, v19
	v_mad_u64_u32 v[0:1], s[8:9], v0, s27, v[6:7]
	v_xor_b32_e32 v1, v2, v18
	v_and_b32_e32 v15, 7, v1
	v_mul_u32_u24_e32 v1, 0x380, v19
	v_lshl_or_b32 v16, v15, 4, v1
	v_and_b32_e32 v1, 0xf8, v18
	v_add_u32_e32 v2, s11, v1
	v_mad_u64_u32 v[2:3], s[8:9], v2, s28, v[6:7]
	v_lshl_or_b32 v14, v1, 7, v6
	v_and_b32_e32 v1, 63, v18
	v_and_b32_e32 v3, 48, v18
	v_sub_u32_e32 v1, v1, v3
	v_and_b32_e32 v3, 16, v19
	v_add_u32_e32 v13, v1, v3
	v_lshrrev_b16_e32 v3, 13, v13
	v_add_u16_e32 v3, v13, v3
	v_and_b32_e32 v3, -8, v3
	v_sub_u16_e32 v8, v13, v3
	v_lshrrev_b32_e32 v3, 2, v18
	v_and_b32_e32 v80, 16, v3
	v_add_u32_e32 v10, v1, v80
	v_mov_b32_e32 v11, 12
	v_lshrrev_b16_sdwa v1, v11, sext(v10) dst_sel:DWORD dst_unused:UNUSED_PAD src0_sel:DWORD src1_sel:BYTE_0
	v_and_b32_e32 v1, 7, v1
	v_add_u16_e32 v1, v10, v1
	s_ashr_i32 s4, s6, 31
	s_mov_b64 s[38:39], src_private_base
	v_and_b32_e32 v1, 0xf8, v1
	s_lshr_b32 s4, s4, 29
	s_movk_i32 s33, 0x200
	v_mov_b32_e32 v12, 0
	v_and_b32_e32 v9, 6, v19
	v_sub_u16_e32 v5, v10, v1
	s_add_i32 s6, s6, s4
	s_mov_b32 s38, 24
	s_mov_b32 s43, s39
	s_movk_i32 s42, 0xf8
	s_mov_b32 s44, s39
	s_mul_i32 s10, s41, s27
	s_mul_i32 s5, s5, s28
	buffer_store_dword v12, off, s[0:3], 0 offset:1404
	buffer_store_dword v12, off, s[0:3], 0 offset:1400
	;; [unrolled: 1-line block ×224, first 2 shown]
	v_xor_b32_sdwa v6, v9, sext(v8) dst_sel:DWORD dst_unused:UNUSED_PAD src0_sel:DWORD src1_sel:WORD_0
	v_lshlrev_b32_e32 v7, 7, v13
	v_xor_b32_sdwa v1, v9, sext(v5) dst_sel:DWORD dst_unused:UNUSED_PAD src0_sel:DWORD src1_sel:BYTE_0
	v_lshlrev_b32_e32 v3, 7, v10
	s_ashr_i32 s4, s6, 3
	; sched_barrier mask(0x00000000)
	buffer_store_dword v12, off, s[0:3], 0 offset:24
	buffer_store_dword v12, off, s[0:3], 0 offset:28
	;; [unrolled: 1-line block ×120, first 2 shown]
	s_add_i32 s18, s7, s10
	s_mov_b32 s19, 0x20000
	buffer_load_dwordx4 v[20:23], v0, s[16:19], 0 offen
	v_add_u32_e32 v17, s27, v0
	buffer_load_dwordx4 v[24:27], v17, s[16:19], 0 offen
	v_add_u32_e32 v17, s27, v17
	;; [unrolled: 2-line block ×6, first 2 shown]
	buffer_load_dwordx4 v[44:47], v17, s[16:19], 0 offen
	s_add_i32 s22, s7, s5
	s_mov_b32 s23, s19
	buffer_load_dwordx4 v[48:51], v2, s[20:23], 0 offen
	v_add_u32_e32 v56, s28, v2
	buffer_load_dwordx4 v[52:55], v56, s[20:23], 0 offen
	v_add_u32_e32 v60, s28, v56
	;; [unrolled: 2-line block ×4, first 2 shown]
	v_add_u32_e32 v73, s28, v72
	buffer_load_dwordx4 v[64:67], v72, s[20:23], 0 offen
	buffer_load_dwordx4 v[68:71], v73, s[20:23], 0 offen
	v_add_u32_e32 v81, s28, v73
	v_add_u32_e32 v82, s28, v81
	buffer_load_dwordx4 v[72:75], v81, s[20:23], 0 offen
	buffer_load_dwordx4 v[76:79], v82, s[20:23], 0 offen
	s_mul_i32 s5, s27, -6
	s_addk_i32 s5, 0x80
	v_add_u32_e32 v17, s5, v17
	s_mul_i32 s5, s28, -7
	s_addk_i32 s5, 0x80
	v_add_u32_e32 v99, s5, v82
	v_xor_b32_e32 v108, v9, v4
	v_or_b32_e32 v110, 1, v9
	v_add_u16_e32 v10, 32, v10
	v_lshrrev_b16_sdwa v11, v11, sext(v10) dst_sel:DWORD dst_unused:UNUSED_PAD src0_sel:DWORD src1_sel:BYTE_0
	v_and_b32_e32 v11, 7, v11
	v_add_u16_e32 v11, v10, v11
	v_and_b32_e32 v11, 0xf8, v11
	v_sub_u16_e32 v111, v10, v11
	v_xor_b32_sdwa v8, v110, sext(v8) dst_sel:DWORD dst_unused:UNUSED_PAD src0_sel:DWORD src1_sel:WORD_0
	v_lshlrev_b32_e32 v8, 4, v8
	s_waitcnt vmcnt(14)
	ds_write_b128 v16, v[20:23]
	v_mad_u32_u24 v20, v19, 7, 1
	v_xor_b32_e32 v20, v20, v18
	v_and_b32_e32 v20, 7, v20
	v_sub_u32_e32 v21, v20, v15
	v_mad_u32_u24 v22, v19, 7, 2
	v_lshlrev_b32_e32 v21, 4, v21
	v_xor_b32_e32 v22, v22, v18
	v_add_u32_e32 v81, 0x80, v21
	v_add_u32_e32 v21, v16, v21
	v_and_b32_e32 v22, 7, v22
	s_waitcnt vmcnt(13)
	ds_write_b128 v21, v[24:27] offset:128
	v_sub_u32_e32 v20, v22, v20
	v_mov_b32_e32 v24, 0x80
	v_lshl_add_u32 v82, v20, 4, v24
	v_add_u32_e32 v20, v21, v82
	v_mad_u32_u24 v21, v19, 7, 3
	v_xor_b32_e32 v21, v21, v18
	v_and_b32_e32 v21, 7, v21
	v_sub_u32_e32 v22, v21, v22
	v_lshl_add_u32 v83, v22, 4, v24
	v_xor_b32_e32 v22, 4, v15
	v_sub_u32_e32 v21, v22, v21
	v_lshl_add_u32 v84, v21, 4, v24
	v_mad_u32_u24 v21, v19, 7, 5
	v_xor_b32_e32 v21, v21, v18
	v_and_b32_e32 v21, 7, v21
	v_sub_u32_e32 v22, v21, v22
	v_lshl_add_u32 v85, v22, 4, v24
	v_mad_u32_u24 v22, v19, 7, 6
	v_xor_b32_e32 v22, v22, v18
	s_waitcnt vmcnt(12)
	ds_write_b128 v20, v[28:31] offset:128
	v_add_u32_e32 v20, v20, v83
	v_and_b32_e32 v25, 7, v22
	v_add3_u32 v16, v81, v16, v82
	s_waitcnt vmcnt(11)
	ds_write_b128 v20, v[32:35] offset:128
	v_add_u32_e32 v20, v20, v84
	v_sub_u32_e32 v21, v25, v21
	v_add3_u32 v16, v16, v83, v84
	s_waitcnt vmcnt(10)
	ds_write_b128 v20, v[36:39] offset:128
	v_add_u32_e32 v20, v20, v85
	v_lshl_add_u32 v86, v21, 4, v24
	v_add3_u32 v94, v16, v85, v86
	v_add_u32_e32 v16, v20, v86
	s_waitcnt vmcnt(9)
	ds_write_b128 v20, v[40:43] offset:128
	s_waitcnt vmcnt(8)
	ds_write_b128 v16, v[44:47] offset:128
	v_sub_u32_e32 v15, v15, v25
	v_mov_b32_e32 v16, 0xfffffd00
	v_lshl_add_u32 v87, v15, 4, v16
	v_xor_b32_e32 v15, 1, v4
	v_sub_u32_e32 v16, v15, v4
	v_lshlrev_b32_e32 v88, 4, v16
	v_add_u32_e32 v89, 0x80, v88
	s_waitcnt vmcnt(7)
	ds_write_b128 v14, v[48:51] offset:28672
	v_add_u32_e32 v16, v89, v14
	v_add_u32_e32 v14, v14, v88
	s_waitcnt vmcnt(6)
	ds_write_b128 v14, v[52:55] offset:28800
	v_xor_b32_e32 v14, 2, v4
	v_sub_u32_e32 v15, v14, v15
	v_xor_b32_e32 v25, 3, v4
	v_lshlrev_b32_e32 v15, 4, v15
	v_sub_u32_e32 v14, v25, v14
	v_add_u32_e32 v90, 0x80, v15
	v_lshl_add_u32 v91, v14, 4, v24
	v_add_u32_e32 v15, v15, v16
	v_add3_u32 v14, v90, v16, v91
	v_xor_b32_e32 v16, 4, v4
	v_sub_u32_e32 v25, v16, v25
	v_lshl_add_u32 v92, v25, 4, v24
	v_xor_b32_e32 v25, 5, v4
	v_sub_u32_e32 v16, v25, v16
	v_lshl_add_u32 v93, v16, 4, v24
	v_xor_b32_e32 v16, 6, v4
	s_waitcnt vmcnt(5)
	ds_write_b128 v15, v[56:59] offset:28800
	v_add_u32_e32 v15, v15, v91
	v_sub_u32_e32 v25, v16, v25
	s_waitcnt vmcnt(4)
	ds_write_b128 v15, v[60:63] offset:28800
	v_add_u32_e32 v15, v15, v92
	v_lshl_add_u32 v95, v25, 4, v24
	v_xor_b32_e32 v25, 7, v4
	s_waitcnt vmcnt(3)
	ds_write_b128 v15, v[64:67] offset:28800
	v_add_u32_e32 v15, v15, v93
	v_sub_u32_e32 v16, v25, v16
	v_add3_u32 v14, v14, v92, v93
	s_waitcnt vmcnt(2)
	ds_write_b128 v15, v[68:71] offset:28800
	v_add_u32_e32 v15, v15, v95
	v_lshl_add_u32 v96, v16, 4, v24
	v_add3_u32 v98, v14, v95, v96
	v_add_u32_e32 v14, v15, v96
	s_waitcnt vmcnt(1)
	ds_write_b128 v15, v[72:75] offset:28800
	s_waitcnt vmcnt(0)
	ds_write_b128 v14, v[76:79] offset:28800
	v_sub_u32_e32 v14, v4, v25
	v_mov_b32_e32 v15, 0xfffffc80
	v_lshl_add_u32 v97, v14, 4, v15
	v_add_u32_e32 v14, s27, v17
	v_add_u32_e32 v15, s27, v14
	buffer_load_dwordx4 v[20:23], v17, s[16:19], 0 offen
	buffer_load_dwordx4 v[28:31], v14, s[16:19], 0 offen
	;; [unrolled: 1-line block ×3, first 2 shown]
	v_add_u32_e32 v14, s27, v15
	v_add_u32_e32 v15, s27, v14
	buffer_load_dwordx4 v[36:39], v14, s[16:19], 0 offen
	buffer_load_dwordx4 v[32:35], v15, s[16:19], 0 offen
	v_add_u32_e32 v14, s27, v15
	v_add_u32_e32 v15, s27, v14
	buffer_load_dwordx4 v[40:43], v14, s[16:19], 0 offen
	buffer_load_dwordx4 v[44:47], v15, s[16:19], 0 offen
	v_add_u32_e32 v14, s28, v99
	buffer_load_dwordx4 v[60:63], v99, s[20:23], 0 offen
	buffer_load_dwordx4 v[48:51], v14, s[20:23], 0 offen
	v_add_u32_e32 v14, s28, v14
	v_add_u32_e32 v15, s28, v14
	buffer_load_dwordx4 v[52:55], v14, s[20:23], 0 offen
	buffer_load_dwordx4 v[56:59], v15, s[20:23], 0 offen
	v_add_u32_e32 v14, s28, v15
	;; [unrolled: 4-line block ×3, first 2 shown]
	v_add_u32_e32 v15, s28, v14
	buffer_load_dwordx4 v[76:79], v14, s[20:23], 0 offen
	buffer_load_dwordx4 v[64:67], v15, s[20:23], 0 offen
	s_nop 0
	buffer_store_dword v12, off, s[0:3], 0 offset:516
	buffer_store_dword v12, off, s[0:3], 0 offset:512
	;; [unrolled: 1-line block ×224, first 2 shown]
	v_lshl_add_u32 v99, v6, 4, v7
	v_sub_u32_e32 v12, v108, v6
	v_lshl_add_u32 v100, v12, 4, v99
	v_add_u16_e32 v12, 32, v13
	v_ashrrev_i16_e32 v13, 15, v12
	v_lshrrev_b16_e32 v13, 13, v13
	v_add_u16_e32 v13, v12, v13
	s_waitcnt lgkmcnt(0)
	s_barrier
	ds_read_b128 v[14:17], v99
	ds_read_b128 v[104:107], v100 offset:8192
	v_and_b32_e32 v13, -8, v13
	v_sub_u16_e32 v109, v12, v13
	v_xor_b32_sdwa v12, v9, sext(v109) dst_sel:DWORD dst_unused:UNUSED_PAD src0_sel:DWORD src1_sel:WORD_0
	v_sub_u32_e32 v12, v12, v6
	v_lshlrev_b32_e32 v12, 4, v12
	s_waitcnt lgkmcnt(1)
	buffer_store_dword v14, off, s[0:3], 0 offset:24
	buffer_store_dword v15, off, s[0:3], 0 offset:28
	;; [unrolled: 1-line block ×4, first 2 shown]
	v_add_u32_e32 v101, v99, v12
	ds_read_b128 v[12:15], v101 offset:4096
	v_lshl_add_u32 v16, v1, 4, v3
	v_xor_b32_e32 v4, v110, v4
	v_add_u32_e32 v102, 0x7000, v16
	v_sub_u32_e32 v17, v4, v1
	v_lshl_add_u32 v103, v17, 4, v102
	ds_read_b128 v[112:115], v103 offset:28672
	s_waitcnt lgkmcnt(1)
	buffer_store_dword v12, off, s[0:3], 0 offset:40
	buffer_store_dword v13, off, s[0:3], 0 offset:44
	;; [unrolled: 1-line block ×5, first 2 shown]
	ds_read_b128 v[12:15], v100 offset:12288
	buffer_store_dword v105, off, s[0:3], 0 offset:60
	buffer_store_dword v106, off, s[0:3], 0 offset:64
	buffer_store_dword v107, off, s[0:3], 0 offset:68
	ds_read_b128 v[104:107], v100 offset:16384
	s_waitcnt lgkmcnt(1)
	buffer_store_dword v12, off, s[0:3], 0 offset:72
	buffer_store_dword v13, off, s[0:3], 0 offset:76
	buffer_store_dword v14, off, s[0:3], 0 offset:80
	buffer_store_dword v15, off, s[0:3], 0 offset:84
	s_waitcnt lgkmcnt(0)
	buffer_store_dword v104, off, s[0:3], 0 offset:88
	ds_read_b128 v[12:15], v100 offset:20480
	buffer_store_dword v105, off, s[0:3], 0 offset:92
	buffer_store_dword v106, off, s[0:3], 0 offset:96
	;; [unrolled: 1-line block ×3, first 2 shown]
	ds_read_b128 v[104:107], v100 offset:24576
	s_waitcnt lgkmcnt(1)
	buffer_store_dword v12, off, s[0:3], 0 offset:104
	buffer_store_dword v13, off, s[0:3], 0 offset:108
	;; [unrolled: 1-line block ×4, first 2 shown]
	s_waitcnt lgkmcnt(0)
	buffer_store_dword v104, off, s[0:3], 0 offset:120
	buffer_store_dword v105, off, s[0:3], 0 offset:124
	;; [unrolled: 1-line block ×4, first 2 shown]
	v_xor_b32_sdwa v9, v9, sext(v111) dst_sel:DWORD dst_unused:UNUSED_PAD src0_sel:DWORD src1_sel:BYTE_0
	ds_read_b128 v[10:13], v16 offset:28672
	v_sub_u32_e32 v9, v9, v1
	v_lshlrev_b32_e32 v9, 4, v9
	v_add_u32_e32 v104, v102, v9
	ds_read_b128 v[14:17], v104 offset:4096
	v_sub_u32_e32 v9, v108, v1
	s_waitcnt lgkmcnt(1)
	buffer_store_dword v10, off, s[0:3], 0 offset:248
	buffer_store_dword v11, off, s[0:3], 0 offset:252
	;; [unrolled: 1-line block ×4, first 2 shown]
	s_waitcnt lgkmcnt(0)
	buffer_store_dword v14, off, s[0:3], 0 offset:264
	v_lshl_add_u32 v105, v9, 4, v102
	ds_read_b128 v[10:13], v105 offset:8192
	buffer_store_dword v15, off, s[0:3], 0 offset:268
	buffer_store_dword v16, off, s[0:3], 0 offset:272
	buffer_store_dword v17, off, s[0:3], 0 offset:276
	ds_read_b128 v[14:17], v105 offset:12288
	s_waitcnt lgkmcnt(1)
	buffer_store_dword v10, off, s[0:3], 0 offset:280
	buffer_store_dword v11, off, s[0:3], 0 offset:284
	buffer_store_dword v12, off, s[0:3], 0 offset:288
	buffer_store_dword v13, off, s[0:3], 0 offset:292
	s_waitcnt lgkmcnt(0)
	buffer_store_dword v14, off, s[0:3], 0 offset:296
	ds_read_b128 v[10:13], v105 offset:16384
	buffer_store_dword v15, off, s[0:3], 0 offset:300
	buffer_store_dword v16, off, s[0:3], 0 offset:304
	buffer_store_dword v17, off, s[0:3], 0 offset:308
	ds_read_b128 v[14:17], v105 offset:20480
	s_waitcnt lgkmcnt(1)
	buffer_store_dword v10, off, s[0:3], 0 offset:312
	buffer_store_dword v11, off, s[0:3], 0 offset:316
	buffer_store_dword v12, off, s[0:3], 0 offset:320
	buffer_store_dword v13, off, s[0:3], 0 offset:324
	s_waitcnt lgkmcnt(0)
	buffer_store_dword v14, off, s[0:3], 0 offset:328
	;; [unrolled: 12-line block ×3, first 2 shown]
	buffer_store_dword v15, off, s[0:3], 0 offset:364
	buffer_store_dword v16, off, s[0:3], 0 offset:368
	;; [unrolled: 1-line block ×3, first 2 shown]
	v_add_u32_e32 v106, v8, v7
	v_xor_b32_sdwa v7, v110, sext(v109) dst_sel:DWORD dst_unused:UNUSED_PAD src0_sel:DWORD src1_sel:WORD_0
	ds_read_b128 v[8:11], v106
	v_sub_u32_e32 v7, v7, v6
	v_lshlrev_b32_e32 v7, 4, v7
	v_add_u32_e32 v107, v99, v7
	ds_read_b128 v[12:15], v107 offset:4096
	v_sub_u32_e32 v4, v4, v6
	s_waitcnt lgkmcnt(1)
	buffer_store_dword v8, off, s[0:3], 0 offset:136
	buffer_store_dword v9, off, s[0:3], 0 offset:140
	;; [unrolled: 1-line block ×4, first 2 shown]
	s_waitcnt lgkmcnt(0)
	buffer_store_dword v12, off, s[0:3], 0 offset:152
	v_lshl_add_u32 v108, v4, 4, v99
	ds_read_b128 v[6:9], v108 offset:8192
	buffer_store_dword v13, off, s[0:3], 0 offset:156
	buffer_store_dword v14, off, s[0:3], 0 offset:160
	;; [unrolled: 1-line block ×3, first 2 shown]
	ds_read_b128 v[10:13], v108 offset:12288
	s_waitcnt lgkmcnt(1)
	buffer_store_dword v6, off, s[0:3], 0 offset:168
	buffer_store_dword v7, off, s[0:3], 0 offset:172
	;; [unrolled: 1-line block ×4, first 2 shown]
	s_waitcnt lgkmcnt(0)
	buffer_store_dword v10, off, s[0:3], 0 offset:184
	ds_read_b128 v[6:9], v108 offset:16384
	buffer_store_dword v11, off, s[0:3], 0 offset:188
	buffer_store_dword v12, off, s[0:3], 0 offset:192
	;; [unrolled: 1-line block ×3, first 2 shown]
	ds_read_b128 v[10:13], v108 offset:20480
	s_waitcnt lgkmcnt(1)
	buffer_store_dword v6, off, s[0:3], 0 offset:200
	buffer_store_dword v7, off, s[0:3], 0 offset:204
	;; [unrolled: 1-line block ×4, first 2 shown]
	s_waitcnt lgkmcnt(0)
	buffer_store_dword v10, off, s[0:3], 0 offset:216
	ds_read_b128 v[6:9], v108 offset:24576
	v_xor_b32_sdwa v4, v110, sext(v5) dst_sel:DWORD dst_unused:UNUSED_PAD src0_sel:DWORD src1_sel:BYTE_0
	buffer_store_dword v11, off, s[0:3], 0 offset:220
	buffer_store_dword v12, off, s[0:3], 0 offset:224
	;; [unrolled: 1-line block ×3, first 2 shown]
	v_lshlrev_b32_e32 v4, 4, v4
	ds_read_b128 v[10:13], v103 offset:8192
	s_waitcnt lgkmcnt(1)
	buffer_store_dword v6, off, s[0:3], 0 offset:232
	buffer_store_dword v7, off, s[0:3], 0 offset:236
	;; [unrolled: 1-line block ×4, first 2 shown]
	v_add_u32_e32 v109, v4, v3
	v_xor_b32_sdwa v3, v110, sext(v111) dst_sel:DWORD dst_unused:UNUSED_PAD src0_sel:DWORD src1_sel:BYTE_0
	ds_read_b128 v[4:7], v109 offset:28672
	v_sub_u32_e32 v1, v3, v1
	v_lshlrev_b32_e32 v1, 4, v1
	v_add_u32_e32 v110, v102, v1
	ds_read_b128 v[14:17], v110 offset:4096
	s_waitcnt lgkmcnt(1)
	buffer_store_dword v4, off, s[0:3], 0 offset:376
	buffer_store_dword v5, off, s[0:3], 0 offset:380
	;; [unrolled: 1-line block ×4, first 2 shown]
	s_waitcnt lgkmcnt(0)
	buffer_store_dword v14, off, s[0:3], 0 offset:392
	buffer_store_dword v15, off, s[0:3], 0 offset:396
	;; [unrolled: 1-line block ×5, first 2 shown]
	ds_read_b128 v[4:7], v103 offset:12288
	buffer_store_dword v11, off, s[0:3], 0 offset:412
	buffer_store_dword v12, off, s[0:3], 0 offset:416
	;; [unrolled: 1-line block ×3, first 2 shown]
	ds_read_b128 v[8:11], v103 offset:16384
	s_waitcnt lgkmcnt(1)
	buffer_store_dword v4, off, s[0:3], 0 offset:424
	buffer_store_dword v5, off, s[0:3], 0 offset:428
	buffer_store_dword v6, off, s[0:3], 0 offset:432
	buffer_store_dword v7, off, s[0:3], 0 offset:436
	s_waitcnt lgkmcnt(0)
	buffer_store_dword v8, off, s[0:3], 0 offset:440
	ds_read_b128 v[4:7], v103 offset:20480
	buffer_store_dword v9, off, s[0:3], 0 offset:444
	buffer_store_dword v10, off, s[0:3], 0 offset:448
	buffer_store_dword v11, off, s[0:3], 0 offset:452
	ds_read_b128 v[8:11], v103 offset:24576
	s_waitcnt lgkmcnt(1)
	buffer_store_dword v4, off, s[0:3], 0 offset:456
	buffer_store_dword v5, off, s[0:3], 0 offset:460
	;; [unrolled: 1-line block ×4, first 2 shown]
	s_waitcnt lgkmcnt(0)
	buffer_store_dword v8, off, s[0:3], 0 offset:472
	buffer_store_dword v9, off, s[0:3], 0 offset:476
	;; [unrolled: 1-line block ×8, first 2 shown]
	; sched_barrier mask(0x00000000)
	s_add_i32 s4, s4, -1
	s_mov_b32 s45, 0
	s_mov_b32 s46, s39
	s_max_i32 s47, s4, 1
	v_add_u32_e32 v111, 0x100, v2
	v_add_u32_e32 v112, 0x100, v0
	v_mov_b32_e32 v113, s39
	v_mov_b32_e32 v114, s38
	;; [unrolled: 1-line block ×6, first 2 shown]
.LBB4_11:                               ; =>This Inner Loop Header: Depth=1
	v_add_u32_e32 v0, v87, v94
	v_add_u32_e32 v1, v97, v98
	s_waitcnt lgkmcnt(0)
	s_barrier
	v_add_u32_e32 v3, s28, v111
	ds_write_b128 v0, v[20:23]
	v_add_u32_e32 v0, v0, v81
	v_add_u32_e32 v4, v88, v1
	v_add_u32_e32 v2, s27, v112
	v_add_u32_e32 v6, s28, v3
	ds_write_b128 v0, v[28:31]
	v_add_u32_e32 v0, v0, v82
	v_add_u32_e32 v7, v4, v90
	;; [unrolled: 1-line block ×4, first 2 shown]
	buffer_load_dwordx4 v[28:31], v2, s[16:19], 0 offen
	ds_write_b128 v0, v[24:27]
	v_add_u32_e32 v0, v0, v83
	v_add_u32_e32 v2, v7, v91
	;; [unrolled: 1-line block ×4, first 2 shown]
	ds_write_b128 v0, v[36:39]
	v_add_u32_e32 v0, v0, v84
	v_add_u32_e32 v11, v2, v92
	buffer_load_dwordx4 v[24:27], v5, s[16:19], 0 offen
	v_add_u32_e32 v5, s27, v8
	v_add_u32_e32 v13, s28, v10
	buffer_load_dwordx4 v[36:39], v8, s[16:19], 0 offen
	ds_write_b128 v0, v[32:35]
	v_add_u32_e32 v0, v0, v85
	v_add_u32_e32 v8, v11, v93
	;; [unrolled: 1-line block ×4, first 2 shown]
	ds_write_b128 v0, v[40:43]
	v_add_u32_e32 v94, v0, v86
	v_add_u32_e32 v0, v8, v95
	buffer_load_dwordx4 v[32:35], v5, s[16:19], 0 offen
	v_add_u32_e32 v5, s27, v12
	v_add_u32_e32 v15, s28, v14
	ds_write_b128 v94, v[44:47]
	ds_write_b128 v1, v[60:63] offset:28672
	ds_write_b128 v4, v[48:51] offset:28800
	;; [unrolled: 1-line block ×7, first 2 shown]
	v_add_u32_e32 v0, v0, v96
	buffer_load_dwordx4 v[20:23], v112, s[16:19], 0 offen
	buffer_load_dwordx4 v[40:43], v12, s[16:19], 0 offen
	;; [unrolled: 1-line block ×10, first 2 shown]
	ds_write_b128 v0, v[64:67] offset:28800
	buffer_load_dwordx4 v[64:67], v15, s[20:23], 0 offen
	v_add_u32_e32 v0, v89, v1
	v_add3_u32 v0, v0, v90, v91
	v_add3_u32 v0, v0, v92, v93
	;; [unrolled: 1-line block ×3, first 2 shown]
	v_mov_b32_e32 v0, s45
	v_mov_b32_e32 v1, s46
                                        ; kill: killed $vgpr3
                                        ; kill: killed $vgpr14
                                        ; kill: killed $vgpr10
                                        ; kill: killed $vgpr6
                                        ; kill: killed $vgpr5
                                        ; kill: killed $vgpr13
                                        ; kill: killed $vgpr9
	s_getpc_b64 s[4:5]
	s_add_u32 s4, s4, _ZNK2ck6detail7applierIiJLi0ELi1ELi2ELi3ELi4ELi5ELi6ELi7ELi8ELi9ELi10ELi11ELi12ELi13ELi14ELi15ELi16ELi17ELi18ELi19ELi20ELi21ELi22ELi23ELi24ELi25ELi26ELi27ELi28ELi29ELi30ELi31ELi32ELi33ELi34ELi35ELi36ELi37ELi38ELi39ELi40ELi41ELi42ELi43ELi44ELi45ELi46ELi47ELi48ELi49ELi50ELi51ELi52ELi53ELi54ELi55ELi56ELi57ELi58ELi59ELi60ELi61ELi62ELi63ELi64ELi65ELi66ELi67ELi68ELi69ELi70ELi71ELi72ELi73ELi74ELi75ELi76ELi77ELi78ELi79ELi80ELi81ELi82ELi83ELi84ELi85ELi86ELi87ELi88ELi89ELi90ELi91ELi92ELi93ELi94ELi95ELi96ELi97ELi98ELi99ELi100ELi101ELi102ELi103ELi104ELi105ELi106ELi107ELi108ELi109ELi110ELi111EEEclIZNKS_11static_fordINS_8SequenceIJLi2ELi7ELi8EEEENS5_IJLi0ELi1ELi2EEEEEclIZNKS_31BlockwiseGemmXdlops_pipeline_v3ILNS_26BlockGemmPipelineSchedulerE0ELi256ENS_9f8_fnuz_tESC_SC_fNS_16TensorDescriptorINS_5TupleIJNS_5EmbedINSE_IJNS_17integral_constantIiLi8EEENSG_IiLi224EEENSG_IiLi16EEEEEENSE_IJSJ_NSG_IiLi128EEENSG_IiLi1EEEEEELb0EEENS_3XorINSE_IJSI_SH_EEELb1EEENS_11PassThroughISJ_EENS_7UnMergeINSE_IJSH_SM_EEELb0EEENSS_ISI_EEST_NSS_ISH_EENS_21Merge_v3_division_modINSE_IJSI_SM_EEEEEST_EEENSE_IJNS5_IJLi0EEEENS5_IJLi2ELi1EEEENS5_IJLi3EEEENS5_IJLi5EEEENS5_IJLi4EEEENS5_IJLi6EEEENS5_IJLi7EEEENS5_IJLi9ELi8EEEENS5_IJLi10EEEEEEENSE_IJNS5_IJLi1ELi2ELi3EEEENS5_IJLi4ELi5EEEES18_NS5_IJLi7ELi8EEEENS5_IJLi9EEEES1B_NS5_IJLi11EEEENS5_IJLi12EEEENS5_IJLi13EEEEEEENS5_IJLi11ELi12ELi13EEEENSG_IlLl28672EEEEENSD_INSE_IJNSF_INSE_IJSH_NSG_IiLi256EEESJ_EEESN_Lb0EEENSP_INSE_IJS1O_SH_EEELb1EEEST_SW_NSS_IS1O_EEST_SY_NSZ_INSE_IJS1O_SM_EEEEEST_EEES1C_S1K_S1L_NSG_IlLl32768EEEEENSD_INSE_IJSO_SR_ST_SW_SX_ST_SY_S11_ST_NSZ_INSE_IJSH_SJ_EEEEENSU_INSE_IJNSG_IiLi7EEENSG_IiLi2EEESJ_EEELb0EEEEEENSE_IJS13_S14_S15_S16_S17_S18_S19_S1A_S1B_NS5_IJLi11ELi13EEEES1I_EEENSE_IJS1D_S1E_S18_S1F_S1G_S1B_S1H_S1I_S1J_NS5_IJLi14EEEENS5_IJLi15ELi16ELi17EEEEEEENS5_IJLi15ELi16ELi17ELi14EEEES1M_EENSD_INSE_IJS1Q_S1S_ST_SW_S1T_ST_SY_S1V_ST_S20_NSU_INSE_IJSH_S22_SJ_EEELb0EEEEEES27_S2A_S2B_S1X_EELi16ELi16ELi224ELi256ELi128ELi16ELi16ELi7ELi8ELi16ELb0ELb0EE3RunILb1ELNS_10TailNumberE10ENSD_INSE_IJNSF_INSE_IJiiEEENSE_IJiSM_EEELb0EEENSU_IS2K_Lb0EEENSS_IiEEEEENSE_IJS13_NS5_IJLi2EEEENS5_IJLi1EEEEEEENSE_IJNS5_IJLi1ELi2EEEENS5_IJLi3ELi4EEEES16_EEENS5_IJLi3ELi5ELi4EEEElEES1N_NS_35ThreadGroupTensorSliceTransfer_v4r1INS_15ThisThreadBlockILi256EEENS_16tensor_operation12element_wise11PassThroughES33_LNS_25InMemoryDataOperationEnumE0ENS5_IJLi8ELi224ELi16EEEENS5_IJLi8ELi32ELi1EEEENS5_IJLi1ELi0ELi2EEEESC_SC_RKS2X_KS1N_S37_S7_Li2ELi2ELi16ELi16ELi1ELi1ELb0ELb1ELi1EiEENS_13DynamicBufferILNS_16AddressSpaceEnumE1EKSC_lLb1ELNS_22AmdBufferCoherenceEnumE0EiEENS3C_ILS3D_2ESC_S1M_Lb1ELS3F_0EiEENSE_IJiiiEEES2X_S1Y_NS2Y_IS30_S33_S33_LS34_0ENS5_IJLi8ELi256ELi16EEEES36_S37_SC_SC_S39_KS1Y_S37_S7_Li2ELi2ELi16ELi16ELi1ELi1ELb0ELb1ELi1EiEES3G_NS3C_ILS3D_2ESC_S1X_Lb1ELS3F_0EiEES3I_NS_25StaticBufferTupleOfVectorILS3D_4EfLi56ELi4ELb1ELb0EEEEEvRKT1_RKT2_RT3_RKT4_RT5_RKT6_RKT7_RKT8_RT9_RKT10_RT11_RKT12_RT13_iEUlT_E0_EEvS4N_EUlS4N_E_EEvS4N_@rel32@lo+4
	s_addc_u32 s5, s5, _ZNK2ck6detail7applierIiJLi0ELi1ELi2ELi3ELi4ELi5ELi6ELi7ELi8ELi9ELi10ELi11ELi12ELi13ELi14ELi15ELi16ELi17ELi18ELi19ELi20ELi21ELi22ELi23ELi24ELi25ELi26ELi27ELi28ELi29ELi30ELi31ELi32ELi33ELi34ELi35ELi36ELi37ELi38ELi39ELi40ELi41ELi42ELi43ELi44ELi45ELi46ELi47ELi48ELi49ELi50ELi51ELi52ELi53ELi54ELi55ELi56ELi57ELi58ELi59ELi60ELi61ELi62ELi63ELi64ELi65ELi66ELi67ELi68ELi69ELi70ELi71ELi72ELi73ELi74ELi75ELi76ELi77ELi78ELi79ELi80ELi81ELi82ELi83ELi84ELi85ELi86ELi87ELi88ELi89ELi90ELi91ELi92ELi93ELi94ELi95ELi96ELi97ELi98ELi99ELi100ELi101ELi102ELi103ELi104ELi105ELi106ELi107ELi108ELi109ELi110ELi111EEEclIZNKS_11static_fordINS_8SequenceIJLi2ELi7ELi8EEEENS5_IJLi0ELi1ELi2EEEEEclIZNKS_31BlockwiseGemmXdlops_pipeline_v3ILNS_26BlockGemmPipelineSchedulerE0ELi256ENS_9f8_fnuz_tESC_SC_fNS_16TensorDescriptorINS_5TupleIJNS_5EmbedINSE_IJNS_17integral_constantIiLi8EEENSG_IiLi224EEENSG_IiLi16EEEEEENSE_IJSJ_NSG_IiLi128EEENSG_IiLi1EEEEEELb0EEENS_3XorINSE_IJSI_SH_EEELb1EEENS_11PassThroughISJ_EENS_7UnMergeINSE_IJSH_SM_EEELb0EEENSS_ISI_EEST_NSS_ISH_EENS_21Merge_v3_division_modINSE_IJSI_SM_EEEEEST_EEENSE_IJNS5_IJLi0EEEENS5_IJLi2ELi1EEEENS5_IJLi3EEEENS5_IJLi5EEEENS5_IJLi4EEEENS5_IJLi6EEEENS5_IJLi7EEEENS5_IJLi9ELi8EEEENS5_IJLi10EEEEEEENSE_IJNS5_IJLi1ELi2ELi3EEEENS5_IJLi4ELi5EEEES18_NS5_IJLi7ELi8EEEENS5_IJLi9EEEES1B_NS5_IJLi11EEEENS5_IJLi12EEEENS5_IJLi13EEEEEEENS5_IJLi11ELi12ELi13EEEENSG_IlLl28672EEEEENSD_INSE_IJNSF_INSE_IJSH_NSG_IiLi256EEESJ_EEESN_Lb0EEENSP_INSE_IJS1O_SH_EEELb1EEEST_SW_NSS_IS1O_EEST_SY_NSZ_INSE_IJS1O_SM_EEEEEST_EEES1C_S1K_S1L_NSG_IlLl32768EEEEENSD_INSE_IJSO_SR_ST_SW_SX_ST_SY_S11_ST_NSZ_INSE_IJSH_SJ_EEEEENSU_INSE_IJNSG_IiLi7EEENSG_IiLi2EEESJ_EEELb0EEEEEENSE_IJS13_S14_S15_S16_S17_S18_S19_S1A_S1B_NS5_IJLi11ELi13EEEES1I_EEENSE_IJS1D_S1E_S18_S1F_S1G_S1B_S1H_S1I_S1J_NS5_IJLi14EEEENS5_IJLi15ELi16ELi17EEEEEEENS5_IJLi15ELi16ELi17ELi14EEEES1M_EENSD_INSE_IJS1Q_S1S_ST_SW_S1T_ST_SY_S1V_ST_S20_NSU_INSE_IJSH_S22_SJ_EEELb0EEEEEES27_S2A_S2B_S1X_EELi16ELi16ELi224ELi256ELi128ELi16ELi16ELi7ELi8ELi16ELb0ELb0EE3RunILb1ELNS_10TailNumberE10ENSD_INSE_IJNSF_INSE_IJiiEEENSE_IJiSM_EEELb0EEENSU_IS2K_Lb0EEENSS_IiEEEEENSE_IJS13_NS5_IJLi2EEEENS5_IJLi1EEEEEEENSE_IJNS5_IJLi1ELi2EEEENS5_IJLi3ELi4EEEES16_EEENS5_IJLi3ELi5ELi4EEEElEES1N_NS_35ThreadGroupTensorSliceTransfer_v4r1INS_15ThisThreadBlockILi256EEENS_16tensor_operation12element_wise11PassThroughES33_LNS_25InMemoryDataOperationEnumE0ENS5_IJLi8ELi224ELi16EEEENS5_IJLi8ELi32ELi1EEEENS5_IJLi1ELi0ELi2EEEESC_SC_RKS2X_KS1N_S37_S7_Li2ELi2ELi16ELi16ELi1ELi1ELb0ELb1ELi1EiEENS_13DynamicBufferILNS_16AddressSpaceEnumE1EKSC_lLb1ELNS_22AmdBufferCoherenceEnumE0EiEENS3C_ILS3D_2ESC_S1M_Lb1ELS3F_0EiEENSE_IJiiiEEES2X_S1Y_NS2Y_IS30_S33_S33_LS34_0ENS5_IJLi8ELi256ELi16EEEES36_S37_SC_SC_S39_KS1Y_S37_S7_Li2ELi2ELi16ELi16ELi1ELi1ELb0ELb1ELi1EiEES3G_NS3C_ILS3D_2ESC_S1X_Lb1ELS3F_0EiEES3I_NS_25StaticBufferTupleOfVectorILS3D_4EfLi56ELi4ELb1ELb0EEEEEvRKT1_RKT2_RT3_RKT4_RT5_RKT6_RKT7_RKT8_RT9_RKT10_RT11_RKT12_RT13_iEUlT_E0_EEvS4N_EUlS4N_E_EEvS4N_@rel32@hi+12
	buffer_store_dword v113, off, s[0:3], 0 offset:4
	buffer_store_dword v114, off, s[0:3], 0
	buffer_store_dword v115, off, s[0:3], 0 offset:12
	buffer_store_dword v116, off, s[0:3], 0 offset:8
	;; [unrolled: 1-line block ×4, first 2 shown]
	s_swappc_b64 s[30:31], s[4:5]
	s_waitcnt lgkmcnt(0)
	s_barrier
	ds_read_b128 v[0:3], v99
	ds_read_b128 v[4:7], v101 offset:4096
	; sched_group_barrier mask(0x00000200) size(1) SyncID(0)
	; sched_group_barrier mask(0x00000008) size(1) SyncID(0)
	;; [unrolled: 1-line block ×64, first 2 shown]
	s_waitcnt lgkmcnt(1)
	buffer_store_dword v0, off, s[0:3], 0 offset:24
	buffer_store_dword v1, off, s[0:3], 0 offset:28
	;; [unrolled: 1-line block ×4, first 2 shown]
	s_waitcnt lgkmcnt(0)
	buffer_store_dword v4, off, s[0:3], 0 offset:40
	ds_read_b128 v[0:3], v100 offset:8192
	buffer_store_dword v5, off, s[0:3], 0 offset:44
	buffer_store_dword v6, off, s[0:3], 0 offset:48
	;; [unrolled: 1-line block ×3, first 2 shown]
	ds_read_b128 v[4:7], v100 offset:12288
	s_waitcnt lgkmcnt(1)
	buffer_store_dword v0, off, s[0:3], 0 offset:56
	buffer_store_dword v1, off, s[0:3], 0 offset:60
	;; [unrolled: 1-line block ×4, first 2 shown]
	s_waitcnt lgkmcnt(0)
	buffer_store_dword v4, off, s[0:3], 0 offset:72
	ds_read_b128 v[0:3], v100 offset:16384
	buffer_store_dword v5, off, s[0:3], 0 offset:76
	buffer_store_dword v6, off, s[0:3], 0 offset:80
	;; [unrolled: 1-line block ×3, first 2 shown]
	ds_read_b128 v[4:7], v100 offset:20480
	s_waitcnt lgkmcnt(1)
	buffer_store_dword v0, off, s[0:3], 0 offset:88
	buffer_store_dword v1, off, s[0:3], 0 offset:92
	buffer_store_dword v2, off, s[0:3], 0 offset:96
	buffer_store_dword v3, off, s[0:3], 0 offset:100
	s_waitcnt lgkmcnt(0)
	buffer_store_dword v4, off, s[0:3], 0 offset:104
	ds_read_b128 v[0:3], v100 offset:24576
	buffer_store_dword v5, off, s[0:3], 0 offset:108
	buffer_store_dword v6, off, s[0:3], 0 offset:112
	;; [unrolled: 1-line block ×3, first 2 shown]
	ds_read_b128 v[4:7], v102
	s_waitcnt lgkmcnt(1)
	buffer_store_dword v0, off, s[0:3], 0 offset:120
	buffer_store_dword v1, off, s[0:3], 0 offset:124
	buffer_store_dword v2, off, s[0:3], 0 offset:128
	buffer_store_dword v3, off, s[0:3], 0 offset:132
	s_waitcnt lgkmcnt(0)
	buffer_store_dword v4, off, s[0:3], 0 offset:248
	ds_read_b128 v[0:3], v104 offset:4096
	buffer_store_dword v5, off, s[0:3], 0 offset:252
	buffer_store_dword v6, off, s[0:3], 0 offset:256
	buffer_store_dword v7, off, s[0:3], 0 offset:260
	ds_read_b128 v[4:7], v105 offset:8192
	s_waitcnt lgkmcnt(1)
	buffer_store_dword v0, off, s[0:3], 0 offset:264
	buffer_store_dword v1, off, s[0:3], 0 offset:268
	buffer_store_dword v2, off, s[0:3], 0 offset:272
	buffer_store_dword v3, off, s[0:3], 0 offset:276
	s_waitcnt lgkmcnt(0)
	buffer_store_dword v4, off, s[0:3], 0 offset:280
	ds_read_b128 v[0:3], v105 offset:12288
	buffer_store_dword v5, off, s[0:3], 0 offset:284
	buffer_store_dword v6, off, s[0:3], 0 offset:288
	buffer_store_dword v7, off, s[0:3], 0 offset:292
	ds_read_b128 v[4:7], v105 offset:16384
	;; [unrolled: 12-line block ×3, first 2 shown]
	s_waitcnt lgkmcnt(1)
	buffer_store_dword v0, off, s[0:3], 0 offset:328
	buffer_store_dword v1, off, s[0:3], 0 offset:332
	;; [unrolled: 1-line block ×4, first 2 shown]
	s_waitcnt lgkmcnt(0)
	buffer_store_dword v4, off, s[0:3], 0 offset:344
	ds_read_b128 v[0:3], v105 offset:28672
	buffer_store_dword v5, off, s[0:3], 0 offset:348
	buffer_store_dword v6, off, s[0:3], 0 offset:352
	;; [unrolled: 1-line block ×3, first 2 shown]
	ds_read_b128 v[4:7], v106
	s_waitcnt lgkmcnt(1)
	buffer_store_dword v0, off, s[0:3], 0 offset:360
	buffer_store_dword v1, off, s[0:3], 0 offset:364
	buffer_store_dword v2, off, s[0:3], 0 offset:368
	buffer_store_dword v3, off, s[0:3], 0 offset:372
	s_waitcnt lgkmcnt(0)
	buffer_store_dword v4, off, s[0:3], 0 offset:136
	ds_read_b128 v[0:3], v107 offset:4096
	buffer_store_dword v5, off, s[0:3], 0 offset:140
	buffer_store_dword v6, off, s[0:3], 0 offset:144
	buffer_store_dword v7, off, s[0:3], 0 offset:148
	ds_read_b128 v[4:7], v108 offset:8192
	s_waitcnt lgkmcnt(1)
	buffer_store_dword v0, off, s[0:3], 0 offset:152
	buffer_store_dword v1, off, s[0:3], 0 offset:156
	buffer_store_dword v2, off, s[0:3], 0 offset:160
	buffer_store_dword v3, off, s[0:3], 0 offset:164
	s_waitcnt lgkmcnt(0)
	buffer_store_dword v4, off, s[0:3], 0 offset:168
	ds_read_b128 v[0:3], v108 offset:12288
	buffer_store_dword v5, off, s[0:3], 0 offset:172
	buffer_store_dword v6, off, s[0:3], 0 offset:176
	buffer_store_dword v7, off, s[0:3], 0 offset:180
	ds_read_b128 v[4:7], v108 offset:16384
	;; [unrolled: 12-line block ×7, first 2 shown]
	s_waitcnt lgkmcnt(1)
	buffer_store_dword v0, off, s[0:3], 0 offset:472
	buffer_store_dword v1, off, s[0:3], 0 offset:476
	;; [unrolled: 1-line block ×4, first 2 shown]
	s_waitcnt lgkmcnt(0)
	buffer_store_dword v4, off, s[0:3], 0 offset:488
	buffer_store_dword v5, off, s[0:3], 0 offset:492
	;; [unrolled: 1-line block ×4, first 2 shown]
	; sched_group_barrier mask(0x00000100) size(1) SyncID(0)
	; sched_group_barrier mask(0x00000008) size(1) SyncID(0)
	;; [unrolled: 1-line block ×56, first 2 shown]
	; sched_barrier mask(0x00000000)
	s_add_i32 s47, s47, -1
	v_add_u32_e32 v111, 0x80, v111
	s_cmp_lg_u32 s47, 0
	v_add_u32_e32 v112, 0x80, v112
	s_cbranch_scc1 .LBB4_11
; %bb.12:
	v_mov_b32_e32 v0, s43
	buffer_store_dword v0, off, s[0:3], 0 offset:4
	v_mov_b32_e32 v0, s38
	buffer_store_dword v0, off, s[0:3], 0
	v_mov_b32_e32 v0, s44
	s_lshl_b64 s[4:5], s[36:37], 1
	buffer_store_dword v0, off, s[0:3], 0 offset:12
	v_mov_b32_e32 v0, s42
	s_add_u32 s36, s34, s4
	s_mul_i32 s41, s41, s29
	s_mul_hi_u32 s4, s40, s29
	buffer_store_dword v0, off, s[0:3], 0 offset:8
	v_mov_b32_e32 v0, s39
	s_addc_u32 s37, s35, s5
	s_add_i32 s16, s4, s41
	s_mov_b64 s[4:5], src_private_base
	buffer_store_dword v0, off, s[0:3], 0 offset:20
	v_mov_b32_e32 v0, s33
	buffer_store_dword v0, off, s[0:3], 0 offset:16
	v_mov_b32_e32 v0, 0
	v_mov_b32_e32 v1, s5
	s_getpc_b64 s[6:7]
	s_add_u32 s6, s6, _ZNK2ck6detail7applierIiJLi0ELi1ELi2ELi3ELi4ELi5ELi6ELi7ELi8ELi9ELi10ELi11ELi12ELi13ELi14ELi15ELi16ELi17ELi18ELi19ELi20ELi21ELi22ELi23ELi24ELi25ELi26ELi27ELi28ELi29ELi30ELi31ELi32ELi33ELi34ELi35ELi36ELi37ELi38ELi39ELi40ELi41ELi42ELi43ELi44ELi45ELi46ELi47ELi48ELi49ELi50ELi51ELi52ELi53ELi54ELi55ELi56ELi57ELi58ELi59ELi60ELi61ELi62ELi63ELi64ELi65ELi66ELi67ELi68ELi69ELi70ELi71ELi72ELi73ELi74ELi75ELi76ELi77ELi78ELi79ELi80ELi81ELi82ELi83ELi84ELi85ELi86ELi87ELi88ELi89ELi90ELi91ELi92ELi93ELi94ELi95ELi96ELi97ELi98ELi99ELi100ELi101ELi102ELi103ELi104ELi105ELi106ELi107ELi108ELi109ELi110ELi111EEEclIZNKS_11static_fordINS_8SequenceIJLi2ELi7ELi8EEEENS5_IJLi0ELi1ELi2EEEEEclIZNKS_31BlockwiseGemmXdlops_pipeline_v3ILNS_26BlockGemmPipelineSchedulerE0ELi256ENS_9f8_fnuz_tESC_SC_fNS_16TensorDescriptorINS_5TupleIJNS_5EmbedINSE_IJNS_17integral_constantIiLi8EEENSG_IiLi224EEENSG_IiLi16EEEEEENSE_IJSJ_NSG_IiLi128EEENSG_IiLi1EEEEEELb0EEENS_3XorINSE_IJSI_SH_EEELb1EEENS_11PassThroughISJ_EENS_7UnMergeINSE_IJSH_SM_EEELb0EEENSS_ISI_EEST_NSS_ISH_EENS_21Merge_v3_division_modINSE_IJSI_SM_EEEEEST_EEENSE_IJNS5_IJLi0EEEENS5_IJLi2ELi1EEEENS5_IJLi3EEEENS5_IJLi5EEEENS5_IJLi4EEEENS5_IJLi6EEEENS5_IJLi7EEEENS5_IJLi9ELi8EEEENS5_IJLi10EEEEEEENSE_IJNS5_IJLi1ELi2ELi3EEEENS5_IJLi4ELi5EEEES18_NS5_IJLi7ELi8EEEENS5_IJLi9EEEES1B_NS5_IJLi11EEEENS5_IJLi12EEEENS5_IJLi13EEEEEEENS5_IJLi11ELi12ELi13EEEENSG_IlLl28672EEEEENSD_INSE_IJNSF_INSE_IJSH_NSG_IiLi256EEESJ_EEESN_Lb0EEENSP_INSE_IJS1O_SH_EEELb1EEEST_SW_NSS_IS1O_EEST_SY_NSZ_INSE_IJS1O_SM_EEEEEST_EEES1C_S1K_S1L_NSG_IlLl32768EEEEENSD_INSE_IJSO_SR_ST_SW_SX_ST_SY_S11_ST_NSZ_INSE_IJSH_SJ_EEEEENSU_INSE_IJNSG_IiLi7EEENSG_IiLi2EEESJ_EEELb0EEEEEENSE_IJS13_S14_S15_S16_S17_S18_S19_S1A_S1B_NS5_IJLi11ELi13EEEES1I_EEENSE_IJS1D_S1E_S18_S1F_S1G_S1B_S1H_S1I_S1J_NS5_IJLi14EEEENS5_IJLi15ELi16ELi17EEEEEEENS5_IJLi15ELi16ELi17ELi14EEEES1M_EENSD_INSE_IJS1Q_S1S_ST_SW_S1T_ST_SY_S1V_ST_S20_NSU_INSE_IJSH_S22_SJ_EEELb0EEEEEES27_S2A_S2B_S1X_EELi16ELi16ELi224ELi256ELi128ELi16ELi16ELi7ELi8ELi16ELb0ELb0EE3RunILb1ELNS_10TailNumberE10ENSD_INSE_IJNSF_INSE_IJiiEEENSE_IJiSM_EEELb0EEENSU_IS2K_Lb0EEENSS_IiEEEEENSE_IJS13_NS5_IJLi2EEEENS5_IJLi1EEEEEEENSE_IJNS5_IJLi1ELi2EEEENS5_IJLi3ELi4EEEES16_EEENS5_IJLi3ELi5ELi4EEEElEES1N_NS_35ThreadGroupTensorSliceTransfer_v4r1INS_15ThisThreadBlockILi256EEENS_16tensor_operation12element_wise11PassThroughES33_LNS_25InMemoryDataOperationEnumE0ENS5_IJLi8ELi224ELi16EEEENS5_IJLi8ELi32ELi1EEEENS5_IJLi1ELi0ELi2EEEESC_SC_RKS2X_KS1N_S37_S7_Li2ELi2ELi16ELi16ELi1ELi1ELb0ELb1ELi1EiEENS_13DynamicBufferILNS_16AddressSpaceEnumE1EKSC_lLb1ELNS_22AmdBufferCoherenceEnumE0EiEENS3C_ILS3D_2ESC_S1M_Lb1ELS3F_0EiEENSE_IJiiiEEES2X_S1Y_NS2Y_IS30_S33_S33_LS34_0ENS5_IJLi8ELi256ELi16EEEES36_S37_SC_SC_S39_KS1Y_S37_S7_Li2ELi2ELi16ELi16ELi1ELi1ELb0ELb1ELi1EiEES3G_NS3C_ILS3D_2ESC_S1X_Lb1ELS3F_0EiEES3I_NS_25StaticBufferTupleOfVectorILS3D_4EfLi56ELi4ELb1ELb0EEEEEvRKT1_RKT2_RT3_RKT4_RT5_RKT6_RKT7_RKT8_RT9_RKT10_RT11_RKT12_RT13_iEUlT_E2_EEvS4N_EUlS4N_E_EEvS4N_@rel32@lo+4
	s_addc_u32 s7, s7, _ZNK2ck6detail7applierIiJLi0ELi1ELi2ELi3ELi4ELi5ELi6ELi7ELi8ELi9ELi10ELi11ELi12ELi13ELi14ELi15ELi16ELi17ELi18ELi19ELi20ELi21ELi22ELi23ELi24ELi25ELi26ELi27ELi28ELi29ELi30ELi31ELi32ELi33ELi34ELi35ELi36ELi37ELi38ELi39ELi40ELi41ELi42ELi43ELi44ELi45ELi46ELi47ELi48ELi49ELi50ELi51ELi52ELi53ELi54ELi55ELi56ELi57ELi58ELi59ELi60ELi61ELi62ELi63ELi64ELi65ELi66ELi67ELi68ELi69ELi70ELi71ELi72ELi73ELi74ELi75ELi76ELi77ELi78ELi79ELi80ELi81ELi82ELi83ELi84ELi85ELi86ELi87ELi88ELi89ELi90ELi91ELi92ELi93ELi94ELi95ELi96ELi97ELi98ELi99ELi100ELi101ELi102ELi103ELi104ELi105ELi106ELi107ELi108ELi109ELi110ELi111EEEclIZNKS_11static_fordINS_8SequenceIJLi2ELi7ELi8EEEENS5_IJLi0ELi1ELi2EEEEEclIZNKS_31BlockwiseGemmXdlops_pipeline_v3ILNS_26BlockGemmPipelineSchedulerE0ELi256ENS_9f8_fnuz_tESC_SC_fNS_16TensorDescriptorINS_5TupleIJNS_5EmbedINSE_IJNS_17integral_constantIiLi8EEENSG_IiLi224EEENSG_IiLi16EEEEEENSE_IJSJ_NSG_IiLi128EEENSG_IiLi1EEEEEELb0EEENS_3XorINSE_IJSI_SH_EEELb1EEENS_11PassThroughISJ_EENS_7UnMergeINSE_IJSH_SM_EEELb0EEENSS_ISI_EEST_NSS_ISH_EENS_21Merge_v3_division_modINSE_IJSI_SM_EEEEEST_EEENSE_IJNS5_IJLi0EEEENS5_IJLi2ELi1EEEENS5_IJLi3EEEENS5_IJLi5EEEENS5_IJLi4EEEENS5_IJLi6EEEENS5_IJLi7EEEENS5_IJLi9ELi8EEEENS5_IJLi10EEEEEEENSE_IJNS5_IJLi1ELi2ELi3EEEENS5_IJLi4ELi5EEEES18_NS5_IJLi7ELi8EEEENS5_IJLi9EEEES1B_NS5_IJLi11EEEENS5_IJLi12EEEENS5_IJLi13EEEEEEENS5_IJLi11ELi12ELi13EEEENSG_IlLl28672EEEEENSD_INSE_IJNSF_INSE_IJSH_NSG_IiLi256EEESJ_EEESN_Lb0EEENSP_INSE_IJS1O_SH_EEELb1EEEST_SW_NSS_IS1O_EEST_SY_NSZ_INSE_IJS1O_SM_EEEEEST_EEES1C_S1K_S1L_NSG_IlLl32768EEEEENSD_INSE_IJSO_SR_ST_SW_SX_ST_SY_S11_ST_NSZ_INSE_IJSH_SJ_EEEEENSU_INSE_IJNSG_IiLi7EEENSG_IiLi2EEESJ_EEELb0EEEEEENSE_IJS13_S14_S15_S16_S17_S18_S19_S1A_S1B_NS5_IJLi11ELi13EEEES1I_EEENSE_IJS1D_S1E_S18_S1F_S1G_S1B_S1H_S1I_S1J_NS5_IJLi14EEEENS5_IJLi15ELi16ELi17EEEEEEENS5_IJLi15ELi16ELi17ELi14EEEES1M_EENSD_INSE_IJS1Q_S1S_ST_SW_S1T_ST_SY_S1V_ST_S20_NSU_INSE_IJSH_S22_SJ_EEELb0EEEEEES27_S2A_S2B_S1X_EELi16ELi16ELi224ELi256ELi128ELi16ELi16ELi7ELi8ELi16ELb0ELb0EE3RunILb1ELNS_10TailNumberE10ENSD_INSE_IJNSF_INSE_IJiiEEENSE_IJiSM_EEELb0EEENSU_IS2K_Lb0EEENSS_IiEEEEENSE_IJS13_NS5_IJLi2EEEENS5_IJLi1EEEEEEENSE_IJNS5_IJLi1ELi2EEEENS5_IJLi3ELi4EEEES16_EEENS5_IJLi3ELi5ELi4EEEElEES1N_NS_35ThreadGroupTensorSliceTransfer_v4r1INS_15ThisThreadBlockILi256EEENS_16tensor_operation12element_wise11PassThroughES33_LNS_25InMemoryDataOperationEnumE0ENS5_IJLi8ELi224ELi16EEEENS5_IJLi8ELi32ELi1EEEENS5_IJLi1ELi0ELi2EEEESC_SC_RKS2X_KS1N_S37_S7_Li2ELi2ELi16ELi16ELi1ELi1ELb0ELb1ELi1EiEENS_13DynamicBufferILNS_16AddressSpaceEnumE1EKSC_lLb1ELNS_22AmdBufferCoherenceEnumE0EiEENS3C_ILS3D_2ESC_S1M_Lb1ELS3F_0EiEENSE_IJiiiEEES2X_S1Y_NS2Y_IS30_S33_S33_LS34_0ENS5_IJLi8ELi256ELi16EEEES36_S37_SC_SC_S39_KS1Y_S37_S7_Li2ELi2ELi16ELi16ELi1ELi1ELb0ELb1ELi1EiEES3G_NS3C_ILS3D_2ESC_S1X_Lb1ELS3F_0EiEES3I_NS_25StaticBufferTupleOfVectorILS3D_4EfLi56ELi4ELb1ELb0EEEEEvRKT1_RKT2_RT3_RKT4_RT5_RKT6_RKT7_RKT8_RT9_RKT10_RT11_RKT12_RT13_iEUlT_E2_EEvS4N_EUlS4N_E_EEvS4N_@rel32@hi+12
	s_swappc_b64 s[30:31], s[6:7]
	s_waitcnt lgkmcnt(0)
	s_barrier
	buffer_load_dword v5, off, s[0:3], 0 offset:512
	buffer_load_dword v6, off, s[0:3], 0 offset:516
	;; [unrolled: 1-line block ×8, first 2 shown]
	v_lshlrev_b32_e32 v0, 3, v18
	v_lshl_or_b32 v1, v18, 4, v18
	v_and_b32_e32 v2, 0x400, v0
	v_and_b32_e32 v0, 56, v0
	v_or_b32_e32 v3, s26, v19
	s_add_i32 s4, s25, s16
	v_and_b32_e32 v1, 0x30f, v1
	v_or_b32_e32 v10, s11, v0
	s_lshl_b32 s38, s4, 1
	v_or3_b32 v2, v1, v2, v80
	v_lshlrev_b32_e32 v14, 1, v0
	v_lshlrev_b32_e32 v2, 1, v2
	v_cmp_gt_i32_e64 s[18:19], s24, v3
	v_cmp_gt_i32_e64 s[8:9], s25, v10
	v_bfrev_b32_e32 v4, 1
	s_mov_b32 s39, 0x20000
	s_lshl_b32 s22, s29, 5
	s_waitcnt vmcnt(7)
	v_cvt_f16_f32_e32 v5, v5
	s_waitcnt vmcnt(6)
	v_cvt_f16_f32_e32 v6, v6
	;; [unrolled: 2-line block ×5, first 2 shown]
	s_waitcnt vmcnt(2)
	v_mad_u64_u32 v[0:1], s[4:5], v3, s29, v[10:11]
	v_lshl_or_b32 v1, v19, 7, v14
	v_or_b32_e32 v14, 4, v10
	v_cvt_f16_f32_e32 v11, v11
	s_waitcnt vmcnt(1)
	v_cvt_f16_f32_e32 v12, v12
	s_waitcnt vmcnt(0)
	v_cvt_f16_f32_e32 v13, v13
	ds_write_b16 v2, v5
	ds_write_b16 v2, v6 offset:128
	ds_write_b16 v2, v7 offset:256
	;; [unrolled: 1-line block ×7, first 2 shown]
	s_waitcnt lgkmcnt(0)
	s_barrier
	ds_read2_b64 v[6:9], v1 offset1:1
	s_and_b64 s[4:5], s[18:19], s[8:9]
	v_cmp_gt_i32_e32 vcc, s25, v14
	v_cndmask_b32_e64 v16, v4, 0, s[4:5]
	s_and_b64 s[4:5], s[18:19], vcc
	v_lshlrev_b32_e32 v15, 1, v0
	v_cndmask_b32_e64 v11, v4, 0, s[4:5]
	v_add_u32_e32 v5, v16, v15
	v_add_u32_e32 v11, v15, v11
	s_waitcnt lgkmcnt(0)
	buffer_store_dwordx2 v[6:7], v5, s[36:39], 0 offen
	buffer_store_dwordx2 v[8:9], v11, s[36:39], 0 offen offset:8
	s_waitcnt lgkmcnt(0)
	s_barrier
	buffer_load_dword v5, off, s[0:3], 0 offset:544
	buffer_load_dword v6, off, s[0:3], 0 offset:548
	;; [unrolled: 1-line block ×8, first 2 shown]
	v_or_b32_e32 v14, 64, v10
	v_or_b32_e32 v16, 0x44, v10
	v_cmp_gt_i32_e64 s[12:13], s25, v14
	v_cmp_gt_i32_e64 s[4:5], s25, v16
	s_and_b64 s[6:7], s[18:19], s[12:13]
	v_cndmask_b32_e64 v14, v4, 0, s[6:7]
	s_and_b64 s[6:7], s[18:19], s[4:5]
	v_or_b32_e32 v16, 0x84, v10
	s_waitcnt vmcnt(7)
	v_cvt_f16_f32_e32 v5, v5
	s_waitcnt vmcnt(6)
	v_cvt_f16_f32_e32 v6, v6
	;; [unrolled: 2-line block ×8, first 2 shown]
	ds_write_b16 v2, v5
	ds_write_b16 v2, v6 offset:128
	ds_write_b16 v2, v7 offset:256
	;; [unrolled: 1-line block ×7, first 2 shown]
	s_waitcnt lgkmcnt(0)
	s_barrier
	ds_read2_b64 v[6:9], v1 offset1:1
	v_cndmask_b32_e64 v5, v4, 0, s[6:7]
	v_add_u32_e32 v11, v15, v14
	v_add_u32_e32 v5, v15, v5
	s_waitcnt lgkmcnt(0)
	buffer_store_dwordx2 v[6:7], v11, s[36:39], 0 offen offset:128
	buffer_store_dwordx2 v[8:9], v5, s[36:39], 0 offen offset:136
	s_waitcnt lgkmcnt(0)
	s_barrier
	buffer_load_dword v5, off, s[0:3], 0 offset:576
	buffer_load_dword v6, off, s[0:3], 0 offset:580
	;; [unrolled: 1-line block ×8, first 2 shown]
	v_or_b32_e32 v14, 0x80, v10
	v_cmp_gt_i32_e64 s[14:15], s25, v14
	v_cmp_gt_i32_e64 s[6:7], s25, v16
	s_and_b64 s[10:11], s[18:19], s[14:15]
	v_cndmask_b32_e64 v14, v4, 0, s[10:11]
	s_and_b64 s[10:11], s[18:19], s[6:7]
	v_add_u32_e32 v16, 0xc0, v0
	v_add_lshl_u32 v20, v16, s22, 1
	v_add_u32_e32 v0, s22, v0
	v_add_u32_e32 v28, s22, v0
	v_lshlrev_b32_e32 v29, 1, v28
	s_waitcnt vmcnt(7)
	v_cvt_f16_f32_e32 v5, v5
	s_waitcnt vmcnt(6)
	v_cvt_f16_f32_e32 v6, v6
	;; [unrolled: 2-line block ×8, first 2 shown]
	ds_write_b16 v2, v5
	ds_write_b16 v2, v6 offset:128
	ds_write_b16 v2, v7 offset:256
	;; [unrolled: 1-line block ×7, first 2 shown]
	s_waitcnt lgkmcnt(0)
	s_barrier
	ds_read2_b64 v[6:9], v1 offset1:1
	v_cndmask_b32_e64 v5, v4, 0, s[10:11]
	v_add_u32_e32 v11, v15, v14
	v_add_u32_e32 v5, v15, v5
	s_waitcnt lgkmcnt(0)
	buffer_store_dwordx2 v[6:7], v11, s[36:39], 0 offen offset:256
	buffer_store_dwordx2 v[8:9], v5, s[36:39], 0 offen offset:264
	s_waitcnt lgkmcnt(0)
	s_barrier
	buffer_load_dword v5, off, s[0:3], 0 offset:608
	buffer_load_dword v6, off, s[0:3], 0 offset:612
	;; [unrolled: 1-line block ×8, first 2 shown]
	v_or_b32_e32 v14, 0xc0, v10
	v_or_b32_e32 v10, 0xc4, v10
	v_cmp_gt_i32_e64 s[16:17], s25, v14
	v_cmp_gt_i32_e64 s[10:11], s25, v10
	s_and_b64 s[20:21], s[18:19], s[16:17]
	v_cndmask_b32_e64 v10, v4, 0, s[20:21]
	s_and_b64 s[18:19], s[18:19], s[10:11]
	v_lshl_add_u32 v10, v16, 1, v10
	v_add_u32_e32 v14, 32, v3
	s_waitcnt vmcnt(7)
	v_cvt_f16_f32_e32 v5, v5
	s_waitcnt vmcnt(6)
	v_cvt_f16_f32_e32 v6, v6
	;; [unrolled: 2-line block ×8, first 2 shown]
	ds_write_b16 v2, v5
	ds_write_b16 v2, v6 offset:128
	ds_write_b16 v2, v7 offset:256
	;; [unrolled: 1-line block ×7, first 2 shown]
	s_waitcnt lgkmcnt(0)
	s_barrier
	ds_read2_b64 v[6:9], v1 offset1:1
	v_cndmask_b32_e64 v5, v4, 0, s[18:19]
	v_add_u32_e32 v5, v15, v5
	s_waitcnt lgkmcnt(0)
	buffer_store_dwordx2 v[6:7], v10, s[36:39], 0 offen
	buffer_store_dwordx2 v[8:9], v5, s[36:39], 0 offen offset:392
	s_waitcnt lgkmcnt(0)
	s_barrier
	buffer_load_dword v6, off, s[0:3], 0 offset:736
	buffer_load_dword v7, off, s[0:3], 0 offset:740
	;; [unrolled: 1-line block ×8, first 2 shown]
	v_cmp_gt_i32_e64 s[18:19], s24, v14
	s_and_b64 s[20:21], s[18:19], s[16:17]
	v_mov_b32_e32 v5, 0x80000008
	v_cndmask_b32_e64 v14, v4, 0, s[20:21]
	s_and_b64 s[20:21], s[18:19], s[10:11]
	s_waitcnt vmcnt(7)
	v_cvt_f16_f32_e32 v6, v6
	s_waitcnt vmcnt(6)
	v_cvt_f16_f32_e32 v7, v7
	;; [unrolled: 2-line block ×8, first 2 shown]
	ds_write_b16 v2, v6
	ds_write_b16 v2, v7 offset:128
	ds_write_b16 v2, v8 offset:256
	;; [unrolled: 1-line block ×7, first 2 shown]
	s_waitcnt lgkmcnt(0)
	s_barrier
	ds_read2_b64 v[6:9], v1 offset1:1
	v_cndmask_b32_e64 v10, v5, 8, s[20:21]
	v_add_u32_e32 v11, v20, v14
	v_add_u32_e32 v10, v20, v10
	s_waitcnt lgkmcnt(0)
	buffer_store_dwordx2 v[6:7], v11, s[36:39], 0 offen
	buffer_store_dwordx2 v[8:9], v10, s[36:39], 0 offen
	s_waitcnt lgkmcnt(0)
	s_barrier
	buffer_load_dword v8, off, s[0:3], 0 offset:704
	buffer_load_dword v9, off, s[0:3], 0 offset:708
	;; [unrolled: 1-line block ×8, first 2 shown]
	v_mov_b32_e32 v10, 0x7fffff80
	v_mov_b32_e32 v11, 0xffffff80
	s_and_b64 s[20:21], s[18:19], s[14:15]
	v_mov_b32_e32 v6, 0x7fffff88
	v_mov_b32_e32 v7, 0xffffff88
	v_cndmask_b32_e64 v18, v10, v11, s[20:21]
	s_and_b64 s[20:21], s[18:19], s[6:7]
	s_waitcnt vmcnt(7)
	v_cvt_f16_f32_e32 v8, v8
	s_waitcnt vmcnt(6)
	v_cvt_f16_f32_e32 v9, v9
	;; [unrolled: 2-line block ×8, first 2 shown]
	ds_write_b16 v2, v8
	ds_write_b16 v2, v9 offset:128
	ds_write_b16 v2, v12 offset:256
	;; [unrolled: 1-line block ×7, first 2 shown]
	s_waitcnt lgkmcnt(0)
	s_barrier
	ds_read2_b64 v[12:15], v1 offset1:1
	v_cndmask_b32_e64 v8, v6, v7, s[20:21]
	v_add_u32_e32 v9, v20, v18
	v_add_u32_e32 v8, v20, v8
	s_waitcnt lgkmcnt(0)
	buffer_store_dwordx2 v[12:13], v9, s[36:39], 0 offen
	buffer_store_dwordx2 v[14:15], v8, s[36:39], 0 offen
	s_waitcnt lgkmcnt(0)
	s_barrier
	buffer_load_dword v12, off, s[0:3], 0 offset:672
	buffer_load_dword v15, off, s[0:3], 0 offset:676
	;; [unrolled: 1-line block ×8, first 2 shown]
	v_mov_b32_e32 v13, 0x7fffff00
	v_mov_b32_e32 v14, 0xffffff00
	s_and_b64 s[20:21], s[18:19], s[12:13]
	v_mov_b32_e32 v8, 0x7fffff08
	v_mov_b32_e32 v9, 0xffffff08
	v_cndmask_b32_e64 v23, v13, v14, s[20:21]
	s_and_b64 s[20:21], s[18:19], s[4:5]
	s_waitcnt vmcnt(7)
	v_cvt_f16_f32_e32 v12, v12
	s_waitcnt vmcnt(6)
	v_cvt_f16_f32_e32 v15, v15
	;; [unrolled: 2-line block ×8, first 2 shown]
	ds_write_b16 v2, v12
	ds_write_b16 v2, v15 offset:128
	ds_write_b16 v2, v16 offset:256
	;; [unrolled: 1-line block ×7, first 2 shown]
	s_waitcnt lgkmcnt(0)
	s_barrier
	ds_read2_b64 v[16:19], v1 offset1:1
	v_cndmask_b32_e64 v12, v8, v9, s[20:21]
	v_add_u32_e32 v15, v20, v23
	v_add_u32_e32 v12, v20, v12
	s_waitcnt lgkmcnt(0)
	buffer_store_dwordx2 v[16:17], v15, s[36:39], 0 offen
	buffer_store_dwordx2 v[18:19], v12, s[36:39], 0 offen
	s_waitcnt lgkmcnt(0)
	s_barrier
	buffer_load_dword v12, off, s[0:3], 0 offset:640
	buffer_load_dword v15, off, s[0:3], 0 offset:644
	;; [unrolled: 1-line block ×8, first 2 shown]
	s_and_b64 s[20:21], s[8:9], s[18:19]
	s_and_b64 s[18:19], s[18:19], vcc
	v_cndmask_b32_e64 v22, v4, 0, s[20:21]
	v_lshlrev_b32_e32 v23, 1, v0
	s_waitcnt vmcnt(7)
	v_cvt_f16_f32_e32 v12, v12
	s_waitcnt vmcnt(6)
	v_cvt_f16_f32_e32 v15, v15
	;; [unrolled: 2-line block ×8, first 2 shown]
	ds_write_b16 v2, v12
	ds_write_b16 v2, v15 offset:128
	ds_write_b16 v2, v16 offset:256
	;; [unrolled: 1-line block ×7, first 2 shown]
	s_waitcnt lgkmcnt(0)
	s_barrier
	ds_read2_b64 v[16:19], v1 offset1:1
	v_cndmask_b32_e64 v12, v4, 0, s[18:19]
	v_add_u32_e32 v15, v22, v23
	v_add_u32_e32 v12, v23, v12
	s_waitcnt lgkmcnt(0)
	buffer_store_dwordx2 v[16:17], v15, s[36:39], 0 offen
	buffer_store_dwordx2 v[18:19], v12, s[36:39], 0 offen offset:8
	s_waitcnt lgkmcnt(0)
	s_barrier
	buffer_load_dword v12, off, s[0:3], 0 offset:768
	buffer_load_dword v15, off, s[0:3], 0 offset:772
	;; [unrolled: 1-line block ×8, first 2 shown]
	v_add_u32_e32 v22, 64, v3
	v_cmp_gt_i32_e64 s[18:19], s24, v22
	s_and_b64 s[20:21], s[8:9], s[18:19]
	v_cndmask_b32_e64 v22, v4, 0, s[20:21]
	s_and_b64 s[20:21], s[18:19], vcc
	s_waitcnt vmcnt(7)
	v_cvt_f16_f32_e32 v0, v12
	s_waitcnt vmcnt(6)
	v_cvt_f16_f32_e32 v12, v15
	;; [unrolled: 2-line block ×8, first 2 shown]
	ds_write_b16 v2, v0
	ds_write_b16 v2, v12 offset:128
	ds_write_b16 v2, v15 offset:256
	;; [unrolled: 1-line block ×7, first 2 shown]
	s_waitcnt lgkmcnt(0)
	s_barrier
	ds_read2_b64 v[16:19], v1 offset1:1
	v_cndmask_b32_e64 v0, v5, 8, s[20:21]
	v_add_u32_e32 v12, v29, v22
	v_add_u32_e32 v0, v29, v0
	s_waitcnt lgkmcnt(0)
	buffer_store_dwordx2 v[16:17], v12, s[36:39], 0 offen
	buffer_store_dwordx2 v[18:19], v0, s[36:39], 0 offen
	s_waitcnt lgkmcnt(0)
	s_barrier
	buffer_load_dword v15, off, s[0:3], 0 offset:800
	buffer_load_dword v16, off, s[0:3], 0 offset:804
	;; [unrolled: 1-line block ×8, first 2 shown]
	v_mov_b32_e32 v19, 0x80000080
	v_mov_b32_e32 v20, 0x80
	s_and_b64 s[20:21], s[18:19], s[12:13]
	v_mov_b32_e32 v0, 0x80000088
	v_mov_b32_e32 v12, 0x88
	v_cndmask_b32_e64 v26, v19, v20, s[20:21]
	s_and_b64 s[20:21], s[18:19], s[4:5]
	s_waitcnt vmcnt(7)
	v_cvt_f16_f32_e32 v15, v15
	s_waitcnt vmcnt(6)
	v_cvt_f16_f32_e32 v16, v16
	;; [unrolled: 2-line block ×8, first 2 shown]
	ds_write_b16 v2, v15
	ds_write_b16 v2, v16 offset:128
	ds_write_b16 v2, v17 offset:256
	;; [unrolled: 1-line block ×7, first 2 shown]
	s_waitcnt lgkmcnt(0)
	s_barrier
	ds_read2_b64 v[22:25], v1 offset1:1
	v_cndmask_b32_e64 v15, v0, v12, s[20:21]
	v_add_u32_e32 v16, v29, v26
	v_add_u32_e32 v15, v29, v15
	s_waitcnt lgkmcnt(0)
	buffer_store_dwordx2 v[22:23], v16, s[36:39], 0 offen
	buffer_store_dwordx2 v[24:25], v15, s[36:39], 0 offen
	s_waitcnt lgkmcnt(0)
	s_barrier
	buffer_load_dword v17, off, s[0:3], 0 offset:832
	buffer_load_dword v18, off, s[0:3], 0 offset:836
	buffer_load_dword v23, off, s[0:3], 0 offset:840
	buffer_load_dword v24, off, s[0:3], 0 offset:844
	buffer_load_dword v25, off, s[0:3], 0 offset:860
	buffer_load_dword v26, off, s[0:3], 0 offset:856
	buffer_load_dword v27, off, s[0:3], 0 offset:852
	buffer_load_dword v30, off, s[0:3], 0 offset:848
	v_mov_b32_e32 v21, 0x80000100
	v_mov_b32_e32 v22, 0x100
	s_and_b64 s[20:21], s[18:19], s[14:15]
	v_mov_b32_e32 v15, 0x80000108
	v_mov_b32_e32 v16, 0x108
	v_cndmask_b32_e64 v31, v21, v22, s[20:21]
	s_and_b64 s[20:21], s[18:19], s[6:7]
	s_waitcnt vmcnt(7)
	v_cvt_f16_f32_e32 v17, v17
	s_waitcnt vmcnt(6)
	v_cvt_f16_f32_e32 v18, v18
	;; [unrolled: 2-line block ×8, first 2 shown]
	ds_write_b16 v2, v17
	ds_write_b16 v2, v18 offset:128
	ds_write_b16 v2, v23 offset:256
	;; [unrolled: 1-line block ×7, first 2 shown]
	s_waitcnt lgkmcnt(0)
	s_barrier
	ds_read2_b64 v[24:27], v1 offset1:1
	v_cndmask_b32_e64 v17, v15, v16, s[20:21]
	v_add_u32_e32 v18, v29, v31
	v_add_u32_e32 v17, v29, v17
	s_waitcnt lgkmcnt(0)
	buffer_store_dwordx2 v[24:25], v18, s[36:39], 0 offen
	buffer_store_dwordx2 v[26:27], v17, s[36:39], 0 offen
	s_waitcnt lgkmcnt(0)
	s_barrier
	buffer_load_dword v23, off, s[0:3], 0 offset:864
	buffer_load_dword v24, off, s[0:3], 0 offset:868
	;; [unrolled: 1-line block ×8, first 2 shown]
	v_mov_b32_e32 v17, 0x80000188
	v_mov_b32_e32 v18, 0x188
	s_and_b64 s[20:21], s[18:19], s[16:17]
	s_and_b64 s[18:19], s[18:19], s[10:11]
	v_cndmask_b32_e64 v33, v4, 0, s[20:21]
	s_waitcnt vmcnt(7)
	v_cvt_f16_f32_e32 v23, v23
	s_waitcnt vmcnt(6)
	v_cvt_f16_f32_e32 v24, v24
	;; [unrolled: 2-line block ×8, first 2 shown]
	ds_write_b16 v2, v23
	ds_write_b16 v2, v24 offset:128
	ds_write_b16 v2, v25 offset:256
	;; [unrolled: 1-line block ×7, first 2 shown]
	s_waitcnt lgkmcnt(0)
	s_barrier
	ds_read2_b64 v[24:27], v1 offset1:1
	v_cndmask_b32_e64 v23, v17, v18, s[18:19]
	v_add_u32_e32 v30, 0xc0, v28
	v_lshl_add_u32 v31, v30, 1, v33
	v_add_u32_e32 v23, v29, v23
	s_waitcnt lgkmcnt(0)
	buffer_store_dwordx2 v[24:25], v31, s[36:39], 0 offen
	buffer_store_dwordx2 v[26:27], v23, s[36:39], 0 offen
	s_waitcnt lgkmcnt(0)
	s_barrier
	buffer_load_dword v23, off, s[0:3], 0 offset:992
	buffer_load_dword v24, off, s[0:3], 0 offset:996
	;; [unrolled: 1-line block ×8, first 2 shown]
	v_add_u32_e32 v33, 0x60, v3
	v_cmp_gt_i32_e64 s[18:19], s24, v33
	s_and_b64 s[20:21], s[18:19], s[16:17]
	v_cndmask_b32_e64 v33, v4, 0, s[20:21]
	s_and_b64 s[20:21], s[18:19], s[10:11]
	s_waitcnt vmcnt(7)
	v_cvt_f16_f32_e32 v23, v23
	s_waitcnt vmcnt(6)
	v_cvt_f16_f32_e32 v24, v24
	;; [unrolled: 2-line block ×8, first 2 shown]
	ds_write_b16 v2, v23
	ds_write_b16 v2, v24 offset:128
	ds_write_b16 v2, v25 offset:256
	;; [unrolled: 1-line block ×7, first 2 shown]
	s_waitcnt lgkmcnt(0)
	s_barrier
	ds_read2_b64 v[24:27], v1 offset1:1
	v_cndmask_b32_e64 v23, v5, 8, s[20:21]
	v_add_lshl_u32 v29, v30, s22, 1
	v_add_u32_e32 v30, v29, v33
	v_add_u32_e32 v23, v29, v23
	s_waitcnt lgkmcnt(0)
	buffer_store_dwordx2 v[24:25], v30, s[36:39], 0 offen
	buffer_store_dwordx2 v[26:27], v23, s[36:39], 0 offen
	s_waitcnt lgkmcnt(0)
	s_barrier
	buffer_load_dword v23, off, s[0:3], 0 offset:960
	buffer_load_dword v24, off, s[0:3], 0 offset:964
	;; [unrolled: 1-line block ×8, first 2 shown]
	s_and_b64 s[20:21], s[18:19], s[14:15]
	v_cndmask_b32_e64 v33, v10, v11, s[20:21]
	s_and_b64 s[20:21], s[18:19], s[6:7]
	s_waitcnt vmcnt(7)
	v_cvt_f16_f32_e32 v23, v23
	s_waitcnt vmcnt(6)
	v_cvt_f16_f32_e32 v24, v24
	;; [unrolled: 2-line block ×8, first 2 shown]
	ds_write_b16 v2, v23
	ds_write_b16 v2, v24 offset:128
	ds_write_b16 v2, v25 offset:256
	;; [unrolled: 1-line block ×7, first 2 shown]
	s_waitcnt lgkmcnt(0)
	s_barrier
	ds_read2_b64 v[24:27], v1 offset1:1
	v_cndmask_b32_e64 v23, v6, v7, s[20:21]
	v_add_u32_e32 v30, v29, v33
	v_add_u32_e32 v23, v29, v23
	s_waitcnt lgkmcnt(0)
	buffer_store_dwordx2 v[24:25], v30, s[36:39], 0 offen
	buffer_store_dwordx2 v[26:27], v23, s[36:39], 0 offen
	s_waitcnt lgkmcnt(0)
	s_barrier
	buffer_load_dword v23, off, s[0:3], 0 offset:928
	buffer_load_dword v24, off, s[0:3], 0 offset:932
	;; [unrolled: 1-line block ×8, first 2 shown]
	s_and_b64 s[20:21], s[18:19], s[12:13]
	v_cndmask_b32_e64 v33, v13, v14, s[20:21]
	s_and_b64 s[20:21], s[18:19], s[4:5]
	s_waitcnt vmcnt(7)
	v_cvt_f16_f32_e32 v23, v23
	s_waitcnt vmcnt(6)
	v_cvt_f16_f32_e32 v24, v24
	;; [unrolled: 2-line block ×8, first 2 shown]
	ds_write_b16 v2, v23
	ds_write_b16 v2, v24 offset:128
	ds_write_b16 v2, v25 offset:256
	;; [unrolled: 1-line block ×7, first 2 shown]
	s_waitcnt lgkmcnt(0)
	s_barrier
	ds_read2_b64 v[24:27], v1 offset1:1
	v_cndmask_b32_e64 v23, v8, v9, s[20:21]
	v_add_u32_e32 v30, v29, v33
	v_add_u32_e32 v23, v29, v23
	s_waitcnt lgkmcnt(0)
	buffer_store_dwordx2 v[24:25], v30, s[36:39], 0 offen
	buffer_store_dwordx2 v[26:27], v23, s[36:39], 0 offen
	s_waitcnt lgkmcnt(0)
	s_barrier
	buffer_load_dword v23, off, s[0:3], 0 offset:896
	buffer_load_dword v24, off, s[0:3], 0 offset:900
	;; [unrolled: 1-line block ×8, first 2 shown]
	s_and_b64 s[20:21], s[8:9], s[18:19]
	s_and_b64 s[18:19], s[18:19], vcc
	v_cndmask_b32_e64 v32, v4, 0, s[20:21]
	v_cndmask_b32_e64 v33, v5, 8, s[18:19]
	s_waitcnt vmcnt(7)
	v_cvt_f16_f32_e32 v23, v23
	s_waitcnt vmcnt(6)
	v_cvt_f16_f32_e32 v24, v24
	;; [unrolled: 2-line block ×8, first 2 shown]
	ds_write_b16 v2, v23
	ds_write_b16 v2, v24 offset:128
	ds_write_b16 v2, v25 offset:256
	;; [unrolled: 1-line block ×7, first 2 shown]
	s_waitcnt lgkmcnt(0)
	s_barrier
	ds_read2_b64 v[24:27], v1 offset1:1
	v_add_u32_e32 v23, s22, v28
	v_lshlrev_b32_e32 v28, 1, v23
	v_add_u32_e32 v29, v28, v32
	v_add_u32_e32 v28, v28, v33
	s_waitcnt lgkmcnt(0)
	buffer_store_dwordx2 v[24:25], v29, s[36:39], 0 offen
	buffer_store_dwordx2 v[26:27], v28, s[36:39], 0 offen
	s_waitcnt lgkmcnt(0)
	s_barrier
	buffer_load_dword v24, off, s[0:3], 0 offset:1024
	buffer_load_dword v25, off, s[0:3], 0 offset:1028
	;; [unrolled: 1-line block ×8, first 2 shown]
	v_add_u32_e32 v32, 0x80, v3
	v_cmp_gt_i32_e64 s[18:19], s24, v32
	s_and_b64 s[20:21], s[8:9], s[18:19]
	v_cndmask_b32_e64 v32, v4, 0, s[20:21]
	s_and_b64 s[20:21], s[18:19], vcc
	v_add_u32_e32 v23, s22, v23
	v_cndmask_b32_e64 v33, v5, 8, s[20:21]
	s_and_b64 s[20:21], s[18:19], s[12:13]
	s_waitcnt vmcnt(7)
	v_cvt_f16_f32_e32 v24, v24
	s_waitcnt vmcnt(6)
	v_cvt_f16_f32_e32 v25, v25
	;; [unrolled: 2-line block ×8, first 2 shown]
	ds_write_b16 v2, v24
	ds_write_b16 v2, v25 offset:128
	ds_write_b16 v2, v26 offset:256
	;; [unrolled: 1-line block ×7, first 2 shown]
	s_waitcnt lgkmcnt(0)
	s_barrier
	ds_read2_b64 v[24:27], v1 offset1:1
	v_lshlrev_b32_e32 v28, 1, v23
	v_add_u32_e32 v29, v28, v32
	v_add_u32_e32 v30, v28, v33
	s_waitcnt lgkmcnt(0)
	buffer_store_dwordx2 v[24:25], v29, s[36:39], 0 offen
	buffer_store_dwordx2 v[26:27], v30, s[36:39], 0 offen
	s_waitcnt lgkmcnt(0)
	s_barrier
	buffer_load_dword v24, off, s[0:3], 0 offset:1056
	buffer_load_dword v25, off, s[0:3], 0 offset:1060
	;; [unrolled: 1-line block ×8, first 2 shown]
	v_cndmask_b32_e64 v33, v19, v20, s[20:21]
	s_and_b64 s[20:21], s[18:19], s[4:5]
	s_waitcnt vmcnt(7)
	v_cvt_f16_f32_e32 v24, v24
	s_waitcnt vmcnt(6)
	v_cvt_f16_f32_e32 v25, v25
	;; [unrolled: 2-line block ×8, first 2 shown]
	ds_write_b16 v2, v24
	ds_write_b16 v2, v25 offset:128
	ds_write_b16 v2, v26 offset:256
	;; [unrolled: 1-line block ×7, first 2 shown]
	s_waitcnt lgkmcnt(0)
	s_barrier
	ds_read2_b64 v[24:27], v1 offset1:1
	v_cndmask_b32_e64 v29, v0, v12, s[20:21]
	v_add_u32_e32 v30, v28, v33
	v_add_u32_e32 v29, v28, v29
	s_waitcnt lgkmcnt(0)
	buffer_store_dwordx2 v[24:25], v30, s[36:39], 0 offen
	buffer_store_dwordx2 v[26:27], v29, s[36:39], 0 offen
	s_waitcnt lgkmcnt(0)
	s_barrier
	buffer_load_dword v24, off, s[0:3], 0 offset:1088
	buffer_load_dword v25, off, s[0:3], 0 offset:1092
	buffer_load_dword v26, off, s[0:3], 0 offset:1096
	buffer_load_dword v27, off, s[0:3], 0 offset:1100
	buffer_load_dword v29, off, s[0:3], 0 offset:1116
	buffer_load_dword v30, off, s[0:3], 0 offset:1112
	buffer_load_dword v31, off, s[0:3], 0 offset:1108
	buffer_load_dword v32, off, s[0:3], 0 offset:1104
	s_and_b64 s[20:21], s[18:19], s[14:15]
	v_cndmask_b32_e64 v33, v21, v22, s[20:21]
	s_and_b64 s[20:21], s[18:19], s[6:7]
	s_waitcnt vmcnt(7)
	v_cvt_f16_f32_e32 v24, v24
	s_waitcnt vmcnt(6)
	v_cvt_f16_f32_e32 v25, v25
	;; [unrolled: 2-line block ×8, first 2 shown]
	ds_write_b16 v2, v24
	ds_write_b16 v2, v25 offset:128
	ds_write_b16 v2, v26 offset:256
	;; [unrolled: 1-line block ×7, first 2 shown]
	s_waitcnt lgkmcnt(0)
	s_barrier
	ds_read2_b64 v[24:27], v1 offset1:1
	v_cndmask_b32_e64 v29, v15, v16, s[20:21]
	v_add_u32_e32 v30, v28, v33
	v_add_u32_e32 v29, v28, v29
	s_waitcnt lgkmcnt(0)
	buffer_store_dwordx2 v[24:25], v30, s[36:39], 0 offen
	buffer_store_dwordx2 v[26:27], v29, s[36:39], 0 offen
	s_waitcnt lgkmcnt(0)
	s_barrier
	buffer_load_dword v24, off, s[0:3], 0 offset:1120
	buffer_load_dword v25, off, s[0:3], 0 offset:1124
	;; [unrolled: 1-line block ×8, first 2 shown]
	s_and_b64 s[20:21], s[18:19], s[16:17]
	s_and_b64 s[18:19], s[18:19], s[10:11]
	v_cndmask_b32_e64 v33, v4, 0, s[20:21]
	s_waitcnt vmcnt(7)
	v_cvt_f16_f32_e32 v24, v24
	s_waitcnt vmcnt(6)
	v_cvt_f16_f32_e32 v25, v25
	;; [unrolled: 2-line block ×8, first 2 shown]
	ds_write_b16 v2, v24
	ds_write_b16 v2, v25 offset:128
	ds_write_b16 v2, v26 offset:256
	;; [unrolled: 1-line block ×7, first 2 shown]
	s_waitcnt lgkmcnt(0)
	s_barrier
	ds_read2_b64 v[24:27], v1 offset1:1
	v_cndmask_b32_e64 v29, v17, v18, s[18:19]
	v_add_u32_e32 v30, 0xc0, v23
	v_lshl_add_u32 v31, v30, 1, v33
	v_add_u32_e32 v28, v28, v29
	s_waitcnt lgkmcnt(0)
	buffer_store_dwordx2 v[24:25], v31, s[36:39], 0 offen
	buffer_store_dwordx2 v[26:27], v28, s[36:39], 0 offen
	s_waitcnt lgkmcnt(0)
	s_barrier
	buffer_load_dword v24, off, s[0:3], 0 offset:1248
	buffer_load_dword v25, off, s[0:3], 0 offset:1252
	;; [unrolled: 1-line block ×8, first 2 shown]
	v_add_u32_e32 v33, 0xa0, v3
	v_cmp_gt_i32_e64 s[18:19], s24, v33
	s_and_b64 s[20:21], s[18:19], s[16:17]
	v_cndmask_b32_e64 v33, v4, 0, s[20:21]
	s_and_b64 s[20:21], s[18:19], s[10:11]
	v_add_u32_e32 v3, 0xc0, v3
	s_waitcnt vmcnt(7)
	v_cvt_f16_f32_e32 v24, v24
	s_waitcnt vmcnt(6)
	v_cvt_f16_f32_e32 v25, v25
	s_waitcnt vmcnt(5)
	v_cvt_f16_f32_e32 v26, v26
	s_waitcnt vmcnt(4)
	v_cvt_f16_f32_e32 v27, v27
	s_waitcnt vmcnt(3)
	v_cvt_f16_f32_e32 v28, v28
	s_waitcnt vmcnt(2)
	v_cvt_f16_f32_e32 v29, v29
	s_waitcnt vmcnt(1)
	v_cvt_f16_f32_e32 v31, v31
	s_waitcnt vmcnt(0)
	v_cvt_f16_f32_e32 v32, v32
	ds_write_b16 v2, v24
	ds_write_b16 v2, v25 offset:128
	ds_write_b16 v2, v26 offset:256
	;; [unrolled: 1-line block ×7, first 2 shown]
	s_waitcnt lgkmcnt(0)
	s_barrier
	ds_read2_b64 v[24:27], v1 offset1:1
	v_cndmask_b32_e64 v28, v5, 8, s[20:21]
	v_add_lshl_u32 v29, v30, s22, 1
	v_add_u32_e32 v30, v29, v33
	v_add_u32_e32 v28, v29, v28
	s_waitcnt lgkmcnt(0)
	buffer_store_dwordx2 v[24:25], v30, s[36:39], 0 offen
	buffer_store_dwordx2 v[26:27], v28, s[36:39], 0 offen
	s_waitcnt lgkmcnt(0)
	s_barrier
	buffer_load_dword v24, off, s[0:3], 0 offset:1216
	buffer_load_dword v25, off, s[0:3], 0 offset:1220
	;; [unrolled: 1-line block ×8, first 2 shown]
	s_and_b64 s[20:21], s[18:19], s[14:15]
	v_cndmask_b32_e64 v10, v10, v11, s[20:21]
	s_and_b64 s[20:21], s[18:19], s[6:7]
	v_cndmask_b32_e64 v6, v6, v7, s[20:21]
	v_add_u32_e32 v7, v29, v10
	v_add_u32_e32 v6, v29, v6
	s_and_b64 s[20:21], s[18:19], s[12:13]
	v_cndmask_b32_e64 v13, v13, v14, s[20:21]
	s_and_b64 s[20:21], s[18:19], s[4:5]
	s_waitcnt vmcnt(7)
	v_cvt_f16_f32_e32 v11, v24
	s_waitcnt vmcnt(6)
	v_cvt_f16_f32_e32 v24, v25
	;; [unrolled: 2-line block ×8, first 2 shown]
	ds_write_b16 v2, v11
	ds_write_b16 v2, v24 offset:128
	ds_write_b16 v2, v25 offset:256
	;; [unrolled: 1-line block ×7, first 2 shown]
	s_waitcnt lgkmcnt(0)
	s_barrier
	ds_read2_b64 v[24:27], v1 offset1:1
	s_waitcnt lgkmcnt(0)
	buffer_store_dwordx2 v[24:25], v7, s[36:39], 0 offen
	buffer_store_dwordx2 v[26:27], v6, s[36:39], 0 offen
	s_waitcnt lgkmcnt(0)
	s_barrier
	buffer_load_dword v6, off, s[0:3], 0 offset:1184
	buffer_load_dword v7, off, s[0:3], 0 offset:1188
	;; [unrolled: 1-line block ×8, first 2 shown]
	s_waitcnt vmcnt(7)
	v_cvt_f16_f32_e32 v6, v6
	s_waitcnt vmcnt(6)
	v_cvt_f16_f32_e32 v7, v7
	;; [unrolled: 2-line block ×8, first 2 shown]
	ds_write_b16 v2, v6
	ds_write_b16 v2, v7 offset:128
	ds_write_b16 v2, v10 offset:256
	;; [unrolled: 1-line block ×7, first 2 shown]
	s_waitcnt lgkmcnt(0)
	s_barrier
	ds_read2_b64 v[24:27], v1 offset1:1
	v_cndmask_b32_e64 v6, v8, v9, s[20:21]
	v_add_u32_e32 v7, v29, v13
	v_add_u32_e32 v6, v29, v6
	s_waitcnt lgkmcnt(0)
	buffer_store_dwordx2 v[24:25], v7, s[36:39], 0 offen
	buffer_store_dwordx2 v[26:27], v6, s[36:39], 0 offen
	s_waitcnt lgkmcnt(0)
	s_barrier
	buffer_load_dword v6, off, s[0:3], 0 offset:1152
	buffer_load_dword v7, off, s[0:3], 0 offset:1156
	;; [unrolled: 1-line block ×8, first 2 shown]
	s_and_b64 s[20:21], s[8:9], s[18:19]
	s_and_b64 s[18:19], s[18:19], vcc
	v_cndmask_b32_e64 v24, v4, 0, s[20:21]
	s_waitcnt vmcnt(7)
	v_cvt_f16_f32_e32 v6, v6
	s_waitcnt vmcnt(6)
	v_cvt_f16_f32_e32 v7, v7
	;; [unrolled: 2-line block ×8, first 2 shown]
	ds_write_b16 v2, v6
	ds_write_b16 v2, v7 offset:128
	ds_write_b16 v2, v8 offset:256
	;; [unrolled: 1-line block ×7, first 2 shown]
	s_waitcnt lgkmcnt(0)
	s_barrier
	ds_read2_b64 v[6:9], v1 offset1:1
	v_cndmask_b32_e64 v10, v5, 8, s[18:19]
	v_add_lshl_u32 v11, v23, s22, 1
	v_add_u32_e32 v13, v11, v24
	v_add_u32_e32 v10, v11, v10
	s_waitcnt lgkmcnt(0)
	buffer_store_dwordx2 v[6:7], v13, s[36:39], 0 offen
	buffer_store_dwordx2 v[8:9], v10, s[36:39], 0 offen
	s_waitcnt lgkmcnt(0)
	s_barrier
	buffer_load_dword v6, off, s[0:3], 0 offset:1280
	buffer_load_dword v7, off, s[0:3], 0 offset:1284
	;; [unrolled: 1-line block ×8, first 2 shown]
	v_cmp_gt_i32_e64 s[18:19], s24, v3
	s_and_b64 s[8:9], s[8:9], s[18:19]
	v_cndmask_b32_e64 v3, v4, 0, s[8:9]
	s_and_b64 s[8:9], s[18:19], vcc
	s_and_b64 vcc, s[18:19], s[12:13]
	s_waitcnt vmcnt(7)
	v_cvt_f16_f32_e32 v4, v6
	s_waitcnt vmcnt(6)
	v_cvt_f16_f32_e32 v6, v7
	;; [unrolled: 2-line block ×8, first 2 shown]
	ds_write_b16 v2, v4
	ds_write_b16 v2, v6 offset:128
	ds_write_b16 v2, v7 offset:256
	ds_write_b16 v2, v8 offset:384
	ds_write_b16 v2, v9 offset:448
	ds_write_b16 v2, v10 offset:320
	ds_write_b16 v2, v13 offset:192
	ds_write_b16 v2, v14 offset:64
	s_waitcnt lgkmcnt(0)
	s_barrier
	ds_read2_b64 v[6:9], v1 offset1:1
	v_cndmask_b32_e64 v4, v5, 8, s[8:9]
	v_lshl_add_u32 v10, s29, 6, v11
	v_add_u32_e32 v3, v10, v3
	v_add_u32_e32 v4, v10, v4
	s_waitcnt lgkmcnt(0)
	buffer_store_dwordx2 v[6:7], v3, s[36:39], 0 offen
	buffer_store_dwordx2 v[8:9], v4, s[36:39], 0 offen
	s_waitcnt lgkmcnt(0)
	s_barrier
	buffer_load_dword v3, off, s[0:3], 0 offset:1312
	buffer_load_dword v4, off, s[0:3], 0 offset:1316
	;; [unrolled: 1-line block ×8, first 2 shown]
	v_cndmask_b32_e32 v13, v19, v20, vcc
	s_and_b64 vcc, s[18:19], s[4:5]
	v_cndmask_b32_e32 v0, v0, v12, vcc
	v_add_u32_e32 v0, v10, v0
	s_and_b64 vcc, s[18:19], s[14:15]
	v_mov_b32_e32 v12, 0x180
	s_waitcnt vmcnt(7)
	v_cvt_f16_f32_e32 v3, v3
	s_waitcnt vmcnt(6)
	v_cvt_f16_f32_e32 v4, v4
	;; [unrolled: 2-line block ×8, first 2 shown]
	ds_write_b16 v2, v3
	ds_write_b16 v2, v4 offset:128
	ds_write_b16 v2, v5 offset:256
	;; [unrolled: 1-line block ×7, first 2 shown]
	s_waitcnt lgkmcnt(0)
	s_barrier
	ds_read2_b64 v[4:7], v1 offset1:1
	v_add_u32_e32 v3, v10, v13
	s_waitcnt lgkmcnt(0)
	buffer_store_dwordx2 v[4:5], v3, s[36:39], 0 offen
	buffer_store_dwordx2 v[6:7], v0, s[36:39], 0 offen
	s_waitcnt lgkmcnt(0)
	s_barrier
	buffer_load_dword v0, off, s[0:3], 0 offset:1344
	buffer_load_dword v3, off, s[0:3], 0 offset:1348
	buffer_load_dword v4, off, s[0:3], 0 offset:1352
	buffer_load_dword v5, off, s[0:3], 0 offset:1356
	buffer_load_dword v6, off, s[0:3], 0 offset:1372
	buffer_load_dword v7, off, s[0:3], 0 offset:1368
	buffer_load_dword v8, off, s[0:3], 0 offset:1364
	buffer_load_dword v9, off, s[0:3], 0 offset:1360
	v_cndmask_b32_e32 v11, v21, v22, vcc
	s_and_b64 vcc, s[18:19], s[6:7]
	s_waitcnt vmcnt(7)
	v_cvt_f16_f32_e32 v0, v0
	s_waitcnt vmcnt(6)
	v_cvt_f16_f32_e32 v3, v3
	;; [unrolled: 2-line block ×8, first 2 shown]
	ds_write_b16 v2, v0
	ds_write_b16 v2, v3 offset:128
	ds_write_b16 v2, v4 offset:256
	;; [unrolled: 1-line block ×7, first 2 shown]
	s_waitcnt lgkmcnt(0)
	s_barrier
	ds_read2_b64 v[4:7], v1 offset1:1
	v_cndmask_b32_e32 v0, v15, v16, vcc
	v_add_u32_e32 v3, v10, v11
	v_add_u32_e32 v0, v10, v0
	s_waitcnt lgkmcnt(0)
	buffer_store_dwordx2 v[4:5], v3, s[36:39], 0 offen
	buffer_store_dwordx2 v[6:7], v0, s[36:39], 0 offen
	s_waitcnt lgkmcnt(0)
	s_barrier
	buffer_load_dword v0, off, s[0:3], 0 offset:1376
	buffer_load_dword v3, off, s[0:3], 0 offset:1380
	buffer_load_dword v4, off, s[0:3], 0 offset:1384
	buffer_load_dword v5, off, s[0:3], 0 offset:1388
	buffer_load_dword v6, off, s[0:3], 0 offset:1404
	buffer_load_dword v7, off, s[0:3], 0 offset:1400
	buffer_load_dword v8, off, s[0:3], 0 offset:1396
	buffer_load_dword v9, off, s[0:3], 0 offset:1392
	v_mov_b32_e32 v11, 0x80000180
	s_and_b64 vcc, s[18:19], s[16:17]
	v_cndmask_b32_e32 v11, v11, v12, vcc
	s_and_b64 vcc, s[18:19], s[10:11]
	s_waitcnt vmcnt(7)
	v_cvt_f16_f32_e32 v0, v0
	s_waitcnt vmcnt(6)
	v_cvt_f16_f32_e32 v3, v3
	;; [unrolled: 2-line block ×8, first 2 shown]
	ds_write_b16 v2, v0
	ds_write_b16 v2, v3 offset:128
	ds_write_b16 v2, v4 offset:256
	;; [unrolled: 1-line block ×7, first 2 shown]
	s_waitcnt lgkmcnt(0)
	s_barrier
	ds_read2_b64 v[0:3], v1 offset1:1
	v_cndmask_b32_e32 v4, v17, v18, vcc
	v_add_u32_e32 v5, v10, v11
	v_add_u32_e32 v4, v10, v4
	s_waitcnt lgkmcnt(0)
	buffer_store_dwordx2 v[0:1], v5, s[36:39], 0 offen
	buffer_store_dwordx2 v[2:3], v4, s[36:39], 0 offen
	s_endpgm
	.section	.rodata,"a",@progbits
	.p2align	6, 0x0
	.amdhsa_kernel _ZN2ck27kernel_gemm_xdl_cshuffle_v3INS_28GridwiseGemm_xdl_cshuffle_v3INS_13tensor_layout4gemm8RowMajorENS3_11ColumnMajorES4_NS_9f8_fnuz_tES6_fDF16_DF16_NS_16tensor_operation12element_wise11PassThroughES9_S9_LNS7_6device18GemmSpecializationE0ELi256ELi224ELi256ELi128ELi16ELi16ELi16ELi16ELi7ELi8ENS_8SequenceIJLi8ELi32ELi1EEEENSC_IJLi1ELi0ELi2EEEESE_Li2ELi16ELi16ELb0ELi0ESD_SE_SE_Li2ELi16ELi16ELb0ELi0ELi1ELi2ENSC_IJLi1ELi32ELi1ELi8EEEELi4ELNS_26BlockGemmPipelineSchedulerE0ELNS_24BlockGemmPipelineVersionE2ES6_S6_Lb0ELb0ELb0ELi0ELb0EEELb1ELNS_25InMemoryDataOperationEnumE0ELi1ELNS_10TailNumberE10EEEvNT_8ArgumentE
		.amdhsa_group_segment_fixed_size 61440
		.amdhsa_private_segment_fixed_size 1424
		.amdhsa_kernarg_size 112
		.amdhsa_user_sgpr_count 8
		.amdhsa_user_sgpr_private_segment_buffer 1
		.amdhsa_user_sgpr_dispatch_ptr 0
		.amdhsa_user_sgpr_queue_ptr 0
		.amdhsa_user_sgpr_kernarg_segment_ptr 1
		.amdhsa_user_sgpr_dispatch_id 0
		.amdhsa_user_sgpr_flat_scratch_init 1
		.amdhsa_user_sgpr_kernarg_preload_length 0
		.amdhsa_user_sgpr_kernarg_preload_offset 0
		.amdhsa_user_sgpr_private_segment_size 0
		.amdhsa_uses_dynamic_stack 0
		.amdhsa_system_sgpr_private_segment_wavefront_offset 1
		.amdhsa_system_sgpr_workgroup_id_x 1
		.amdhsa_system_sgpr_workgroup_id_y 0
		.amdhsa_system_sgpr_workgroup_id_z 1
		.amdhsa_system_sgpr_workgroup_info 0
		.amdhsa_system_vgpr_workitem_id 0
		.amdhsa_next_free_vgpr 124
		.amdhsa_next_free_sgpr 48
		.amdhsa_accum_offset 120
		.amdhsa_reserve_vcc 1
		.amdhsa_reserve_flat_scratch 1
		.amdhsa_float_round_mode_32 0
		.amdhsa_float_round_mode_16_64 0
		.amdhsa_float_denorm_mode_32 3
		.amdhsa_float_denorm_mode_16_64 3
		.amdhsa_dx10_clamp 1
		.amdhsa_ieee_mode 1
		.amdhsa_fp16_overflow 0
		.amdhsa_tg_split 0
		.amdhsa_exception_fp_ieee_invalid_op 0
		.amdhsa_exception_fp_denorm_src 0
		.amdhsa_exception_fp_ieee_div_zero 0
		.amdhsa_exception_fp_ieee_overflow 0
		.amdhsa_exception_fp_ieee_underflow 0
		.amdhsa_exception_fp_ieee_inexact 0
		.amdhsa_exception_int_div_zero 0
	.end_amdhsa_kernel
	.section	.text._ZN2ck27kernel_gemm_xdl_cshuffle_v3INS_28GridwiseGemm_xdl_cshuffle_v3INS_13tensor_layout4gemm8RowMajorENS3_11ColumnMajorES4_NS_9f8_fnuz_tES6_fDF16_DF16_NS_16tensor_operation12element_wise11PassThroughES9_S9_LNS7_6device18GemmSpecializationE0ELi256ELi224ELi256ELi128ELi16ELi16ELi16ELi16ELi7ELi8ENS_8SequenceIJLi8ELi32ELi1EEEENSC_IJLi1ELi0ELi2EEEESE_Li2ELi16ELi16ELb0ELi0ESD_SE_SE_Li2ELi16ELi16ELb0ELi0ELi1ELi2ENSC_IJLi1ELi32ELi1ELi8EEEELi4ELNS_26BlockGemmPipelineSchedulerE0ELNS_24BlockGemmPipelineVersionE2ES6_S6_Lb0ELb0ELb0ELi0ELb0EEELb1ELNS_25InMemoryDataOperationEnumE0ELi1ELNS_10TailNumberE10EEEvNT_8ArgumentE,"axG",@progbits,_ZN2ck27kernel_gemm_xdl_cshuffle_v3INS_28GridwiseGemm_xdl_cshuffle_v3INS_13tensor_layout4gemm8RowMajorENS3_11ColumnMajorES4_NS_9f8_fnuz_tES6_fDF16_DF16_NS_16tensor_operation12element_wise11PassThroughES9_S9_LNS7_6device18GemmSpecializationE0ELi256ELi224ELi256ELi128ELi16ELi16ELi16ELi16ELi7ELi8ENS_8SequenceIJLi8ELi32ELi1EEEENSC_IJLi1ELi0ELi2EEEESE_Li2ELi16ELi16ELb0ELi0ESD_SE_SE_Li2ELi16ELi16ELb0ELi0ELi1ELi2ENSC_IJLi1ELi32ELi1ELi8EEEELi4ELNS_26BlockGemmPipelineSchedulerE0ELNS_24BlockGemmPipelineVersionE2ES6_S6_Lb0ELb0ELb0ELi0ELb0EEELb1ELNS_25InMemoryDataOperationEnumE0ELi1ELNS_10TailNumberE10EEEvNT_8ArgumentE,comdat
.Lfunc_end4:
	.size	_ZN2ck27kernel_gemm_xdl_cshuffle_v3INS_28GridwiseGemm_xdl_cshuffle_v3INS_13tensor_layout4gemm8RowMajorENS3_11ColumnMajorES4_NS_9f8_fnuz_tES6_fDF16_DF16_NS_16tensor_operation12element_wise11PassThroughES9_S9_LNS7_6device18GemmSpecializationE0ELi256ELi224ELi256ELi128ELi16ELi16ELi16ELi16ELi7ELi8ENS_8SequenceIJLi8ELi32ELi1EEEENSC_IJLi1ELi0ELi2EEEESE_Li2ELi16ELi16ELb0ELi0ESD_SE_SE_Li2ELi16ELi16ELb0ELi0ELi1ELi2ENSC_IJLi1ELi32ELi1ELi8EEEELi4ELNS_26BlockGemmPipelineSchedulerE0ELNS_24BlockGemmPipelineVersionE2ES6_S6_Lb0ELb0ELb0ELi0ELb0EEELb1ELNS_25InMemoryDataOperationEnumE0ELi1ELNS_10TailNumberE10EEEvNT_8ArgumentE, .Lfunc_end4-_ZN2ck27kernel_gemm_xdl_cshuffle_v3INS_28GridwiseGemm_xdl_cshuffle_v3INS_13tensor_layout4gemm8RowMajorENS3_11ColumnMajorES4_NS_9f8_fnuz_tES6_fDF16_DF16_NS_16tensor_operation12element_wise11PassThroughES9_S9_LNS7_6device18GemmSpecializationE0ELi256ELi224ELi256ELi128ELi16ELi16ELi16ELi16ELi7ELi8ENS_8SequenceIJLi8ELi32ELi1EEEENSC_IJLi1ELi0ELi2EEEESE_Li2ELi16ELi16ELb0ELi0ESD_SE_SE_Li2ELi16ELi16ELb0ELi0ELi1ELi2ENSC_IJLi1ELi32ELi1ELi8EEEELi4ELNS_26BlockGemmPipelineSchedulerE0ELNS_24BlockGemmPipelineVersionE2ES6_S6_Lb0ELb0ELb0ELi0ELb0EEELb1ELNS_25InMemoryDataOperationEnumE0ELi1ELNS_10TailNumberE10EEEvNT_8ArgumentE
                                        ; -- End function
	.section	.AMDGPU.csdata,"",@progbits
; Kernel info:
; codeLenInByte = 18124
; NumSgprs: 54
; NumVgprs: 119
; NumAgprs: 4
; TotalNumVgprs: 124
; ScratchSize: 1424
; MemoryBound: 0
; FloatMode: 240
; IeeeMode: 1
; LDSByteSize: 61440 bytes/workgroup (compile time only)
; SGPRBlocks: 6
; VGPRBlocks: 15
; NumSGPRsForWavesPerEU: 54
; NumVGPRsForWavesPerEU: 124
; AccumOffset: 120
; Occupancy: 1
; WaveLimiterHint : 1
; COMPUTE_PGM_RSRC2:SCRATCH_EN: 1
; COMPUTE_PGM_RSRC2:USER_SGPR: 8
; COMPUTE_PGM_RSRC2:TRAP_HANDLER: 0
; COMPUTE_PGM_RSRC2:TGID_X_EN: 1
; COMPUTE_PGM_RSRC2:TGID_Y_EN: 0
; COMPUTE_PGM_RSRC2:TGID_Z_EN: 1
; COMPUTE_PGM_RSRC2:TIDIG_COMP_CNT: 0
; COMPUTE_PGM_RSRC3_GFX90A:ACCUM_OFFSET: 29
; COMPUTE_PGM_RSRC3_GFX90A:TG_SPLIT: 0
	.section	.text._ZN2ck27kernel_gemm_xdl_cshuffle_v3INS_28GridwiseGemm_xdl_cshuffle_v3INS_13tensor_layout4gemm8RowMajorENS3_11ColumnMajorES4_NS_9f8_fnuz_tES6_fDF16_DF16_NS_16tensor_operation12element_wise11PassThroughES9_S9_LNS7_6device18GemmSpecializationE0ELi256ELi224ELi256ELi128ELi16ELi16ELi16ELi16ELi7ELi4ENS_8SequenceIJLi8ELi32ELi1EEEENSC_IJLi1ELi0ELi2EEEESE_Li2ELi16ELi16ELb0ELi0ESD_SE_SE_Li2ELi16ELi16ELb0ELi0ELi1ELi2ENSC_IJLi1ELi32ELi1ELi8EEEELi4ELNS_26BlockGemmPipelineSchedulerE0ELNS_24BlockGemmPipelineVersionE2ES6_S6_Lb0ELb0ELb0ELi0ELb0EEELb1ELNS_25InMemoryDataOperationEnumE1ELi1ELNS_10TailNumberE10EEEvNT_8ArgumentE,"axG",@progbits,_ZN2ck27kernel_gemm_xdl_cshuffle_v3INS_28GridwiseGemm_xdl_cshuffle_v3INS_13tensor_layout4gemm8RowMajorENS3_11ColumnMajorES4_NS_9f8_fnuz_tES6_fDF16_DF16_NS_16tensor_operation12element_wise11PassThroughES9_S9_LNS7_6device18GemmSpecializationE0ELi256ELi224ELi256ELi128ELi16ELi16ELi16ELi16ELi7ELi4ENS_8SequenceIJLi8ELi32ELi1EEEENSC_IJLi1ELi0ELi2EEEESE_Li2ELi16ELi16ELb0ELi0ESD_SE_SE_Li2ELi16ELi16ELb0ELi0ELi1ELi2ENSC_IJLi1ELi32ELi1ELi8EEEELi4ELNS_26BlockGemmPipelineSchedulerE0ELNS_24BlockGemmPipelineVersionE2ES6_S6_Lb0ELb0ELb0ELi0ELb0EEELb1ELNS_25InMemoryDataOperationEnumE1ELi1ELNS_10TailNumberE10EEEvNT_8ArgumentE,comdat
	.protected	_ZN2ck27kernel_gemm_xdl_cshuffle_v3INS_28GridwiseGemm_xdl_cshuffle_v3INS_13tensor_layout4gemm8RowMajorENS3_11ColumnMajorES4_NS_9f8_fnuz_tES6_fDF16_DF16_NS_16tensor_operation12element_wise11PassThroughES9_S9_LNS7_6device18GemmSpecializationE0ELi256ELi224ELi256ELi128ELi16ELi16ELi16ELi16ELi7ELi4ENS_8SequenceIJLi8ELi32ELi1EEEENSC_IJLi1ELi0ELi2EEEESE_Li2ELi16ELi16ELb0ELi0ESD_SE_SE_Li2ELi16ELi16ELb0ELi0ELi1ELi2ENSC_IJLi1ELi32ELi1ELi8EEEELi4ELNS_26BlockGemmPipelineSchedulerE0ELNS_24BlockGemmPipelineVersionE2ES6_S6_Lb0ELb0ELb0ELi0ELb0EEELb1ELNS_25InMemoryDataOperationEnumE1ELi1ELNS_10TailNumberE10EEEvNT_8ArgumentE ; -- Begin function _ZN2ck27kernel_gemm_xdl_cshuffle_v3INS_28GridwiseGemm_xdl_cshuffle_v3INS_13tensor_layout4gemm8RowMajorENS3_11ColumnMajorES4_NS_9f8_fnuz_tES6_fDF16_DF16_NS_16tensor_operation12element_wise11PassThroughES9_S9_LNS7_6device18GemmSpecializationE0ELi256ELi224ELi256ELi128ELi16ELi16ELi16ELi16ELi7ELi4ENS_8SequenceIJLi8ELi32ELi1EEEENSC_IJLi1ELi0ELi2EEEESE_Li2ELi16ELi16ELb0ELi0ESD_SE_SE_Li2ELi16ELi16ELb0ELi0ELi1ELi2ENSC_IJLi1ELi32ELi1ELi8EEEELi4ELNS_26BlockGemmPipelineSchedulerE0ELNS_24BlockGemmPipelineVersionE2ES6_S6_Lb0ELb0ELb0ELi0ELb0EEELb1ELNS_25InMemoryDataOperationEnumE1ELi1ELNS_10TailNumberE10EEEvNT_8ArgumentE
	.globl	_ZN2ck27kernel_gemm_xdl_cshuffle_v3INS_28GridwiseGemm_xdl_cshuffle_v3INS_13tensor_layout4gemm8RowMajorENS3_11ColumnMajorES4_NS_9f8_fnuz_tES6_fDF16_DF16_NS_16tensor_operation12element_wise11PassThroughES9_S9_LNS7_6device18GemmSpecializationE0ELi256ELi224ELi256ELi128ELi16ELi16ELi16ELi16ELi7ELi4ENS_8SequenceIJLi8ELi32ELi1EEEENSC_IJLi1ELi0ELi2EEEESE_Li2ELi16ELi16ELb0ELi0ESD_SE_SE_Li2ELi16ELi16ELb0ELi0ELi1ELi2ENSC_IJLi1ELi32ELi1ELi8EEEELi4ELNS_26BlockGemmPipelineSchedulerE0ELNS_24BlockGemmPipelineVersionE2ES6_S6_Lb0ELb0ELb0ELi0ELb0EEELb1ELNS_25InMemoryDataOperationEnumE1ELi1ELNS_10TailNumberE10EEEvNT_8ArgumentE
	.p2align	8
	.type	_ZN2ck27kernel_gemm_xdl_cshuffle_v3INS_28GridwiseGemm_xdl_cshuffle_v3INS_13tensor_layout4gemm8RowMajorENS3_11ColumnMajorES4_NS_9f8_fnuz_tES6_fDF16_DF16_NS_16tensor_operation12element_wise11PassThroughES9_S9_LNS7_6device18GemmSpecializationE0ELi256ELi224ELi256ELi128ELi16ELi16ELi16ELi16ELi7ELi4ENS_8SequenceIJLi8ELi32ELi1EEEENSC_IJLi1ELi0ELi2EEEESE_Li2ELi16ELi16ELb0ELi0ESD_SE_SE_Li2ELi16ELi16ELb0ELi0ELi1ELi2ENSC_IJLi1ELi32ELi1ELi8EEEELi4ELNS_26BlockGemmPipelineSchedulerE0ELNS_24BlockGemmPipelineVersionE2ES6_S6_Lb0ELb0ELb0ELi0ELb0EEELb1ELNS_25InMemoryDataOperationEnumE1ELi1ELNS_10TailNumberE10EEEvNT_8ArgumentE,@function
_ZN2ck27kernel_gemm_xdl_cshuffle_v3INS_28GridwiseGemm_xdl_cshuffle_v3INS_13tensor_layout4gemm8RowMajorENS3_11ColumnMajorES4_NS_9f8_fnuz_tES6_fDF16_DF16_NS_16tensor_operation12element_wise11PassThroughES9_S9_LNS7_6device18GemmSpecializationE0ELi256ELi224ELi256ELi128ELi16ELi16ELi16ELi16ELi7ELi4ENS_8SequenceIJLi8ELi32ELi1EEEENSC_IJLi1ELi0ELi2EEEESE_Li2ELi16ELi16ELb0ELi0ESD_SE_SE_Li2ELi16ELi16ELb0ELi0ELi1ELi2ENSC_IJLi1ELi32ELi1ELi8EEEELi4ELNS_26BlockGemmPipelineSchedulerE0ELNS_24BlockGemmPipelineVersionE2ES6_S6_Lb0ELb0ELb0ELi0ELb0EEELb1ELNS_25InMemoryDataOperationEnumE1ELi1ELNS_10TailNumberE10EEEvNT_8ArgumentE: ; @_ZN2ck27kernel_gemm_xdl_cshuffle_v3INS_28GridwiseGemm_xdl_cshuffle_v3INS_13tensor_layout4gemm8RowMajorENS3_11ColumnMajorES4_NS_9f8_fnuz_tES6_fDF16_DF16_NS_16tensor_operation12element_wise11PassThroughES9_S9_LNS7_6device18GemmSpecializationE0ELi256ELi224ELi256ELi128ELi16ELi16ELi16ELi16ELi7ELi4ENS_8SequenceIJLi8ELi32ELi1EEEENSC_IJLi1ELi0ELi2EEEESE_Li2ELi16ELi16ELb0ELi0ESD_SE_SE_Li2ELi16ELi16ELb0ELi0ELi1ELi2ENSC_IJLi1ELi32ELi1ELi8EEEELi4ELNS_26BlockGemmPipelineSchedulerE0ELNS_24BlockGemmPipelineVersionE2ES6_S6_Lb0ELb0ELb0ELi0ELb0EEELb1ELNS_25InMemoryDataOperationEnumE1ELi1ELNS_10TailNumberE10EEEvNT_8ArgumentE
; %bb.0:
	s_endpgm
	.section	.rodata,"a",@progbits
	.p2align	6, 0x0
	.amdhsa_kernel _ZN2ck27kernel_gemm_xdl_cshuffle_v3INS_28GridwiseGemm_xdl_cshuffle_v3INS_13tensor_layout4gemm8RowMajorENS3_11ColumnMajorES4_NS_9f8_fnuz_tES6_fDF16_DF16_NS_16tensor_operation12element_wise11PassThroughES9_S9_LNS7_6device18GemmSpecializationE0ELi256ELi224ELi256ELi128ELi16ELi16ELi16ELi16ELi7ELi4ENS_8SequenceIJLi8ELi32ELi1EEEENSC_IJLi1ELi0ELi2EEEESE_Li2ELi16ELi16ELb0ELi0ESD_SE_SE_Li2ELi16ELi16ELb0ELi0ELi1ELi2ENSC_IJLi1ELi32ELi1ELi8EEEELi4ELNS_26BlockGemmPipelineSchedulerE0ELNS_24BlockGemmPipelineVersionE2ES6_S6_Lb0ELb0ELb0ELi0ELb0EEELb1ELNS_25InMemoryDataOperationEnumE1ELi1ELNS_10TailNumberE10EEEvNT_8ArgumentE
		.amdhsa_group_segment_fixed_size 0
		.amdhsa_private_segment_fixed_size 0
		.amdhsa_kernarg_size 112
		.amdhsa_user_sgpr_count 6
		.amdhsa_user_sgpr_private_segment_buffer 1
		.amdhsa_user_sgpr_dispatch_ptr 0
		.amdhsa_user_sgpr_queue_ptr 0
		.amdhsa_user_sgpr_kernarg_segment_ptr 1
		.amdhsa_user_sgpr_dispatch_id 0
		.amdhsa_user_sgpr_flat_scratch_init 0
		.amdhsa_user_sgpr_kernarg_preload_length 0
		.amdhsa_user_sgpr_kernarg_preload_offset 0
		.amdhsa_user_sgpr_private_segment_size 0
		.amdhsa_uses_dynamic_stack 0
		.amdhsa_system_sgpr_private_segment_wavefront_offset 0
		.amdhsa_system_sgpr_workgroup_id_x 1
		.amdhsa_system_sgpr_workgroup_id_y 0
		.amdhsa_system_sgpr_workgroup_id_z 0
		.amdhsa_system_sgpr_workgroup_info 0
		.amdhsa_system_vgpr_workitem_id 0
		.amdhsa_next_free_vgpr 1
		.amdhsa_next_free_sgpr 0
		.amdhsa_accum_offset 4
		.amdhsa_reserve_vcc 0
		.amdhsa_reserve_flat_scratch 0
		.amdhsa_float_round_mode_32 0
		.amdhsa_float_round_mode_16_64 0
		.amdhsa_float_denorm_mode_32 3
		.amdhsa_float_denorm_mode_16_64 3
		.amdhsa_dx10_clamp 1
		.amdhsa_ieee_mode 1
		.amdhsa_fp16_overflow 0
		.amdhsa_tg_split 0
		.amdhsa_exception_fp_ieee_invalid_op 0
		.amdhsa_exception_fp_denorm_src 0
		.amdhsa_exception_fp_ieee_div_zero 0
		.amdhsa_exception_fp_ieee_overflow 0
		.amdhsa_exception_fp_ieee_underflow 0
		.amdhsa_exception_fp_ieee_inexact 0
		.amdhsa_exception_int_div_zero 0
	.end_amdhsa_kernel
	.section	.text._ZN2ck27kernel_gemm_xdl_cshuffle_v3INS_28GridwiseGemm_xdl_cshuffle_v3INS_13tensor_layout4gemm8RowMajorENS3_11ColumnMajorES4_NS_9f8_fnuz_tES6_fDF16_DF16_NS_16tensor_operation12element_wise11PassThroughES9_S9_LNS7_6device18GemmSpecializationE0ELi256ELi224ELi256ELi128ELi16ELi16ELi16ELi16ELi7ELi4ENS_8SequenceIJLi8ELi32ELi1EEEENSC_IJLi1ELi0ELi2EEEESE_Li2ELi16ELi16ELb0ELi0ESD_SE_SE_Li2ELi16ELi16ELb0ELi0ELi1ELi2ENSC_IJLi1ELi32ELi1ELi8EEEELi4ELNS_26BlockGemmPipelineSchedulerE0ELNS_24BlockGemmPipelineVersionE2ES6_S6_Lb0ELb0ELb0ELi0ELb0EEELb1ELNS_25InMemoryDataOperationEnumE1ELi1ELNS_10TailNumberE10EEEvNT_8ArgumentE,"axG",@progbits,_ZN2ck27kernel_gemm_xdl_cshuffle_v3INS_28GridwiseGemm_xdl_cshuffle_v3INS_13tensor_layout4gemm8RowMajorENS3_11ColumnMajorES4_NS_9f8_fnuz_tES6_fDF16_DF16_NS_16tensor_operation12element_wise11PassThroughES9_S9_LNS7_6device18GemmSpecializationE0ELi256ELi224ELi256ELi128ELi16ELi16ELi16ELi16ELi7ELi4ENS_8SequenceIJLi8ELi32ELi1EEEENSC_IJLi1ELi0ELi2EEEESE_Li2ELi16ELi16ELb0ELi0ESD_SE_SE_Li2ELi16ELi16ELb0ELi0ELi1ELi2ENSC_IJLi1ELi32ELi1ELi8EEEELi4ELNS_26BlockGemmPipelineSchedulerE0ELNS_24BlockGemmPipelineVersionE2ES6_S6_Lb0ELb0ELb0ELi0ELb0EEELb1ELNS_25InMemoryDataOperationEnumE1ELi1ELNS_10TailNumberE10EEEvNT_8ArgumentE,comdat
.Lfunc_end5:
	.size	_ZN2ck27kernel_gemm_xdl_cshuffle_v3INS_28GridwiseGemm_xdl_cshuffle_v3INS_13tensor_layout4gemm8RowMajorENS3_11ColumnMajorES4_NS_9f8_fnuz_tES6_fDF16_DF16_NS_16tensor_operation12element_wise11PassThroughES9_S9_LNS7_6device18GemmSpecializationE0ELi256ELi224ELi256ELi128ELi16ELi16ELi16ELi16ELi7ELi4ENS_8SequenceIJLi8ELi32ELi1EEEENSC_IJLi1ELi0ELi2EEEESE_Li2ELi16ELi16ELb0ELi0ESD_SE_SE_Li2ELi16ELi16ELb0ELi0ELi1ELi2ENSC_IJLi1ELi32ELi1ELi8EEEELi4ELNS_26BlockGemmPipelineSchedulerE0ELNS_24BlockGemmPipelineVersionE2ES6_S6_Lb0ELb0ELb0ELi0ELb0EEELb1ELNS_25InMemoryDataOperationEnumE1ELi1ELNS_10TailNumberE10EEEvNT_8ArgumentE, .Lfunc_end5-_ZN2ck27kernel_gemm_xdl_cshuffle_v3INS_28GridwiseGemm_xdl_cshuffle_v3INS_13tensor_layout4gemm8RowMajorENS3_11ColumnMajorES4_NS_9f8_fnuz_tES6_fDF16_DF16_NS_16tensor_operation12element_wise11PassThroughES9_S9_LNS7_6device18GemmSpecializationE0ELi256ELi224ELi256ELi128ELi16ELi16ELi16ELi16ELi7ELi4ENS_8SequenceIJLi8ELi32ELi1EEEENSC_IJLi1ELi0ELi2EEEESE_Li2ELi16ELi16ELb0ELi0ESD_SE_SE_Li2ELi16ELi16ELb0ELi0ELi1ELi2ENSC_IJLi1ELi32ELi1ELi8EEEELi4ELNS_26BlockGemmPipelineSchedulerE0ELNS_24BlockGemmPipelineVersionE2ES6_S6_Lb0ELb0ELb0ELi0ELb0EEELb1ELNS_25InMemoryDataOperationEnumE1ELi1ELNS_10TailNumberE10EEEvNT_8ArgumentE
                                        ; -- End function
	.section	.AMDGPU.csdata,"",@progbits
; Kernel info:
; codeLenInByte = 4
; NumSgprs: 4
; NumVgprs: 0
; NumAgprs: 0
; TotalNumVgprs: 0
; ScratchSize: 0
; MemoryBound: 0
; FloatMode: 240
; IeeeMode: 1
; LDSByteSize: 0 bytes/workgroup (compile time only)
; SGPRBlocks: 0
; VGPRBlocks: 0
; NumSGPRsForWavesPerEU: 4
; NumVGPRsForWavesPerEU: 1
; AccumOffset: 4
; Occupancy: 8
; WaveLimiterHint : 0
; COMPUTE_PGM_RSRC2:SCRATCH_EN: 0
; COMPUTE_PGM_RSRC2:USER_SGPR: 6
; COMPUTE_PGM_RSRC2:TRAP_HANDLER: 0
; COMPUTE_PGM_RSRC2:TGID_X_EN: 1
; COMPUTE_PGM_RSRC2:TGID_Y_EN: 0
; COMPUTE_PGM_RSRC2:TGID_Z_EN: 0
; COMPUTE_PGM_RSRC2:TIDIG_COMP_CNT: 0
; COMPUTE_PGM_RSRC3_GFX90A:ACCUM_OFFSET: 0
; COMPUTE_PGM_RSRC3_GFX90A:TG_SPLIT: 0
	.section	.text._ZN2ck27kernel_gemm_xdl_cshuffle_v3INS_28GridwiseGemm_xdl_cshuffle_v3INS_13tensor_layout4gemm8RowMajorENS3_11ColumnMajorES4_NS_9f8_fnuz_tES6_fDF16_DF16_NS_16tensor_operation12element_wise11PassThroughES9_S9_LNS7_6device18GemmSpecializationE0ELi256ELi224ELi256ELi128ELi16ELi16ELi16ELi16ELi7ELi4ENS_8SequenceIJLi8ELi32ELi1EEEENSC_IJLi1ELi0ELi2EEEESE_Li2ELi16ELi16ELb0ELi0ESD_SE_SE_Li2ELi16ELi16ELb0ELi0ELi1ELi2ENSC_IJLi1ELi32ELi1ELi8EEEELi4ELNS_26BlockGemmPipelineSchedulerE0ELNS_24BlockGemmPipelineVersionE2ES6_S6_Lb0ELb0ELb0ELi0ELb0EEELb1ELNS_25InMemoryDataOperationEnumE0ELi1ELNS_10TailNumberE10EEEvNT_8ArgumentE,"axG",@progbits,_ZN2ck27kernel_gemm_xdl_cshuffle_v3INS_28GridwiseGemm_xdl_cshuffle_v3INS_13tensor_layout4gemm8RowMajorENS3_11ColumnMajorES4_NS_9f8_fnuz_tES6_fDF16_DF16_NS_16tensor_operation12element_wise11PassThroughES9_S9_LNS7_6device18GemmSpecializationE0ELi256ELi224ELi256ELi128ELi16ELi16ELi16ELi16ELi7ELi4ENS_8SequenceIJLi8ELi32ELi1EEEENSC_IJLi1ELi0ELi2EEEESE_Li2ELi16ELi16ELb0ELi0ESD_SE_SE_Li2ELi16ELi16ELb0ELi0ELi1ELi2ENSC_IJLi1ELi32ELi1ELi8EEEELi4ELNS_26BlockGemmPipelineSchedulerE0ELNS_24BlockGemmPipelineVersionE2ES6_S6_Lb0ELb0ELb0ELi0ELb0EEELb1ELNS_25InMemoryDataOperationEnumE0ELi1ELNS_10TailNumberE10EEEvNT_8ArgumentE,comdat
	.protected	_ZN2ck27kernel_gemm_xdl_cshuffle_v3INS_28GridwiseGemm_xdl_cshuffle_v3INS_13tensor_layout4gemm8RowMajorENS3_11ColumnMajorES4_NS_9f8_fnuz_tES6_fDF16_DF16_NS_16tensor_operation12element_wise11PassThroughES9_S9_LNS7_6device18GemmSpecializationE0ELi256ELi224ELi256ELi128ELi16ELi16ELi16ELi16ELi7ELi4ENS_8SequenceIJLi8ELi32ELi1EEEENSC_IJLi1ELi0ELi2EEEESE_Li2ELi16ELi16ELb0ELi0ESD_SE_SE_Li2ELi16ELi16ELb0ELi0ELi1ELi2ENSC_IJLi1ELi32ELi1ELi8EEEELi4ELNS_26BlockGemmPipelineSchedulerE0ELNS_24BlockGemmPipelineVersionE2ES6_S6_Lb0ELb0ELb0ELi0ELb0EEELb1ELNS_25InMemoryDataOperationEnumE0ELi1ELNS_10TailNumberE10EEEvNT_8ArgumentE ; -- Begin function _ZN2ck27kernel_gemm_xdl_cshuffle_v3INS_28GridwiseGemm_xdl_cshuffle_v3INS_13tensor_layout4gemm8RowMajorENS3_11ColumnMajorES4_NS_9f8_fnuz_tES6_fDF16_DF16_NS_16tensor_operation12element_wise11PassThroughES9_S9_LNS7_6device18GemmSpecializationE0ELi256ELi224ELi256ELi128ELi16ELi16ELi16ELi16ELi7ELi4ENS_8SequenceIJLi8ELi32ELi1EEEENSC_IJLi1ELi0ELi2EEEESE_Li2ELi16ELi16ELb0ELi0ESD_SE_SE_Li2ELi16ELi16ELb0ELi0ELi1ELi2ENSC_IJLi1ELi32ELi1ELi8EEEELi4ELNS_26BlockGemmPipelineSchedulerE0ELNS_24BlockGemmPipelineVersionE2ES6_S6_Lb0ELb0ELb0ELi0ELb0EEELb1ELNS_25InMemoryDataOperationEnumE0ELi1ELNS_10TailNumberE10EEEvNT_8ArgumentE
	.globl	_ZN2ck27kernel_gemm_xdl_cshuffle_v3INS_28GridwiseGemm_xdl_cshuffle_v3INS_13tensor_layout4gemm8RowMajorENS3_11ColumnMajorES4_NS_9f8_fnuz_tES6_fDF16_DF16_NS_16tensor_operation12element_wise11PassThroughES9_S9_LNS7_6device18GemmSpecializationE0ELi256ELi224ELi256ELi128ELi16ELi16ELi16ELi16ELi7ELi4ENS_8SequenceIJLi8ELi32ELi1EEEENSC_IJLi1ELi0ELi2EEEESE_Li2ELi16ELi16ELb0ELi0ESD_SE_SE_Li2ELi16ELi16ELb0ELi0ELi1ELi2ENSC_IJLi1ELi32ELi1ELi8EEEELi4ELNS_26BlockGemmPipelineSchedulerE0ELNS_24BlockGemmPipelineVersionE2ES6_S6_Lb0ELb0ELb0ELi0ELb0EEELb1ELNS_25InMemoryDataOperationEnumE0ELi1ELNS_10TailNumberE10EEEvNT_8ArgumentE
	.p2align	8
	.type	_ZN2ck27kernel_gemm_xdl_cshuffle_v3INS_28GridwiseGemm_xdl_cshuffle_v3INS_13tensor_layout4gemm8RowMajorENS3_11ColumnMajorES4_NS_9f8_fnuz_tES6_fDF16_DF16_NS_16tensor_operation12element_wise11PassThroughES9_S9_LNS7_6device18GemmSpecializationE0ELi256ELi224ELi256ELi128ELi16ELi16ELi16ELi16ELi7ELi4ENS_8SequenceIJLi8ELi32ELi1EEEENSC_IJLi1ELi0ELi2EEEESE_Li2ELi16ELi16ELb0ELi0ESD_SE_SE_Li2ELi16ELi16ELb0ELi0ELi1ELi2ENSC_IJLi1ELi32ELi1ELi8EEEELi4ELNS_26BlockGemmPipelineSchedulerE0ELNS_24BlockGemmPipelineVersionE2ES6_S6_Lb0ELb0ELb0ELi0ELb0EEELb1ELNS_25InMemoryDataOperationEnumE0ELi1ELNS_10TailNumberE10EEEvNT_8ArgumentE,@function
_ZN2ck27kernel_gemm_xdl_cshuffle_v3INS_28GridwiseGemm_xdl_cshuffle_v3INS_13tensor_layout4gemm8RowMajorENS3_11ColumnMajorES4_NS_9f8_fnuz_tES6_fDF16_DF16_NS_16tensor_operation12element_wise11PassThroughES9_S9_LNS7_6device18GemmSpecializationE0ELi256ELi224ELi256ELi128ELi16ELi16ELi16ELi16ELi7ELi4ENS_8SequenceIJLi8ELi32ELi1EEEENSC_IJLi1ELi0ELi2EEEESE_Li2ELi16ELi16ELb0ELi0ESD_SE_SE_Li2ELi16ELi16ELb0ELi0ELi1ELi2ENSC_IJLi1ELi32ELi1ELi8EEEELi4ELNS_26BlockGemmPipelineSchedulerE0ELNS_24BlockGemmPipelineVersionE2ES6_S6_Lb0ELb0ELb0ELi0ELb0EEELb1ELNS_25InMemoryDataOperationEnumE0ELi1ELNS_10TailNumberE10EEEvNT_8ArgumentE: ; @_ZN2ck27kernel_gemm_xdl_cshuffle_v3INS_28GridwiseGemm_xdl_cshuffle_v3INS_13tensor_layout4gemm8RowMajorENS3_11ColumnMajorES4_NS_9f8_fnuz_tES6_fDF16_DF16_NS_16tensor_operation12element_wise11PassThroughES9_S9_LNS7_6device18GemmSpecializationE0ELi256ELi224ELi256ELi128ELi16ELi16ELi16ELi16ELi7ELi4ENS_8SequenceIJLi8ELi32ELi1EEEENSC_IJLi1ELi0ELi2EEEESE_Li2ELi16ELi16ELb0ELi0ESD_SE_SE_Li2ELi16ELi16ELb0ELi0ELi1ELi2ENSC_IJLi1ELi32ELi1ELi8EEEELi4ELNS_26BlockGemmPipelineSchedulerE0ELNS_24BlockGemmPipelineVersionE2ES6_S6_Lb0ELb0ELb0ELi0ELb0EEELb1ELNS_25InMemoryDataOperationEnumE0ELi1ELNS_10TailNumberE10EEEvNT_8ArgumentE
; %bb.0:
	s_endpgm
	.section	.rodata,"a",@progbits
	.p2align	6, 0x0
	.amdhsa_kernel _ZN2ck27kernel_gemm_xdl_cshuffle_v3INS_28GridwiseGemm_xdl_cshuffle_v3INS_13tensor_layout4gemm8RowMajorENS3_11ColumnMajorES4_NS_9f8_fnuz_tES6_fDF16_DF16_NS_16tensor_operation12element_wise11PassThroughES9_S9_LNS7_6device18GemmSpecializationE0ELi256ELi224ELi256ELi128ELi16ELi16ELi16ELi16ELi7ELi4ENS_8SequenceIJLi8ELi32ELi1EEEENSC_IJLi1ELi0ELi2EEEESE_Li2ELi16ELi16ELb0ELi0ESD_SE_SE_Li2ELi16ELi16ELb0ELi0ELi1ELi2ENSC_IJLi1ELi32ELi1ELi8EEEELi4ELNS_26BlockGemmPipelineSchedulerE0ELNS_24BlockGemmPipelineVersionE2ES6_S6_Lb0ELb0ELb0ELi0ELb0EEELb1ELNS_25InMemoryDataOperationEnumE0ELi1ELNS_10TailNumberE10EEEvNT_8ArgumentE
		.amdhsa_group_segment_fixed_size 0
		.amdhsa_private_segment_fixed_size 0
		.amdhsa_kernarg_size 112
		.amdhsa_user_sgpr_count 6
		.amdhsa_user_sgpr_private_segment_buffer 1
		.amdhsa_user_sgpr_dispatch_ptr 0
		.amdhsa_user_sgpr_queue_ptr 0
		.amdhsa_user_sgpr_kernarg_segment_ptr 1
		.amdhsa_user_sgpr_dispatch_id 0
		.amdhsa_user_sgpr_flat_scratch_init 0
		.amdhsa_user_sgpr_kernarg_preload_length 0
		.amdhsa_user_sgpr_kernarg_preload_offset 0
		.amdhsa_user_sgpr_private_segment_size 0
		.amdhsa_uses_dynamic_stack 0
		.amdhsa_system_sgpr_private_segment_wavefront_offset 0
		.amdhsa_system_sgpr_workgroup_id_x 1
		.amdhsa_system_sgpr_workgroup_id_y 0
		.amdhsa_system_sgpr_workgroup_id_z 0
		.amdhsa_system_sgpr_workgroup_info 0
		.amdhsa_system_vgpr_workitem_id 0
		.amdhsa_next_free_vgpr 1
		.amdhsa_next_free_sgpr 0
		.amdhsa_accum_offset 4
		.amdhsa_reserve_vcc 0
		.amdhsa_reserve_flat_scratch 0
		.amdhsa_float_round_mode_32 0
		.amdhsa_float_round_mode_16_64 0
		.amdhsa_float_denorm_mode_32 3
		.amdhsa_float_denorm_mode_16_64 3
		.amdhsa_dx10_clamp 1
		.amdhsa_ieee_mode 1
		.amdhsa_fp16_overflow 0
		.amdhsa_tg_split 0
		.amdhsa_exception_fp_ieee_invalid_op 0
		.amdhsa_exception_fp_denorm_src 0
		.amdhsa_exception_fp_ieee_div_zero 0
		.amdhsa_exception_fp_ieee_overflow 0
		.amdhsa_exception_fp_ieee_underflow 0
		.amdhsa_exception_fp_ieee_inexact 0
		.amdhsa_exception_int_div_zero 0
	.end_amdhsa_kernel
	.section	.text._ZN2ck27kernel_gemm_xdl_cshuffle_v3INS_28GridwiseGemm_xdl_cshuffle_v3INS_13tensor_layout4gemm8RowMajorENS3_11ColumnMajorES4_NS_9f8_fnuz_tES6_fDF16_DF16_NS_16tensor_operation12element_wise11PassThroughES9_S9_LNS7_6device18GemmSpecializationE0ELi256ELi224ELi256ELi128ELi16ELi16ELi16ELi16ELi7ELi4ENS_8SequenceIJLi8ELi32ELi1EEEENSC_IJLi1ELi0ELi2EEEESE_Li2ELi16ELi16ELb0ELi0ESD_SE_SE_Li2ELi16ELi16ELb0ELi0ELi1ELi2ENSC_IJLi1ELi32ELi1ELi8EEEELi4ELNS_26BlockGemmPipelineSchedulerE0ELNS_24BlockGemmPipelineVersionE2ES6_S6_Lb0ELb0ELb0ELi0ELb0EEELb1ELNS_25InMemoryDataOperationEnumE0ELi1ELNS_10TailNumberE10EEEvNT_8ArgumentE,"axG",@progbits,_ZN2ck27kernel_gemm_xdl_cshuffle_v3INS_28GridwiseGemm_xdl_cshuffle_v3INS_13tensor_layout4gemm8RowMajorENS3_11ColumnMajorES4_NS_9f8_fnuz_tES6_fDF16_DF16_NS_16tensor_operation12element_wise11PassThroughES9_S9_LNS7_6device18GemmSpecializationE0ELi256ELi224ELi256ELi128ELi16ELi16ELi16ELi16ELi7ELi4ENS_8SequenceIJLi8ELi32ELi1EEEENSC_IJLi1ELi0ELi2EEEESE_Li2ELi16ELi16ELb0ELi0ESD_SE_SE_Li2ELi16ELi16ELb0ELi0ELi1ELi2ENSC_IJLi1ELi32ELi1ELi8EEEELi4ELNS_26BlockGemmPipelineSchedulerE0ELNS_24BlockGemmPipelineVersionE2ES6_S6_Lb0ELb0ELb0ELi0ELb0EEELb1ELNS_25InMemoryDataOperationEnumE0ELi1ELNS_10TailNumberE10EEEvNT_8ArgumentE,comdat
.Lfunc_end6:
	.size	_ZN2ck27kernel_gemm_xdl_cshuffle_v3INS_28GridwiseGemm_xdl_cshuffle_v3INS_13tensor_layout4gemm8RowMajorENS3_11ColumnMajorES4_NS_9f8_fnuz_tES6_fDF16_DF16_NS_16tensor_operation12element_wise11PassThroughES9_S9_LNS7_6device18GemmSpecializationE0ELi256ELi224ELi256ELi128ELi16ELi16ELi16ELi16ELi7ELi4ENS_8SequenceIJLi8ELi32ELi1EEEENSC_IJLi1ELi0ELi2EEEESE_Li2ELi16ELi16ELb0ELi0ESD_SE_SE_Li2ELi16ELi16ELb0ELi0ELi1ELi2ENSC_IJLi1ELi32ELi1ELi8EEEELi4ELNS_26BlockGemmPipelineSchedulerE0ELNS_24BlockGemmPipelineVersionE2ES6_S6_Lb0ELb0ELb0ELi0ELb0EEELb1ELNS_25InMemoryDataOperationEnumE0ELi1ELNS_10TailNumberE10EEEvNT_8ArgumentE, .Lfunc_end6-_ZN2ck27kernel_gemm_xdl_cshuffle_v3INS_28GridwiseGemm_xdl_cshuffle_v3INS_13tensor_layout4gemm8RowMajorENS3_11ColumnMajorES4_NS_9f8_fnuz_tES6_fDF16_DF16_NS_16tensor_operation12element_wise11PassThroughES9_S9_LNS7_6device18GemmSpecializationE0ELi256ELi224ELi256ELi128ELi16ELi16ELi16ELi16ELi7ELi4ENS_8SequenceIJLi8ELi32ELi1EEEENSC_IJLi1ELi0ELi2EEEESE_Li2ELi16ELi16ELb0ELi0ESD_SE_SE_Li2ELi16ELi16ELb0ELi0ELi1ELi2ENSC_IJLi1ELi32ELi1ELi8EEEELi4ELNS_26BlockGemmPipelineSchedulerE0ELNS_24BlockGemmPipelineVersionE2ES6_S6_Lb0ELb0ELb0ELi0ELb0EEELb1ELNS_25InMemoryDataOperationEnumE0ELi1ELNS_10TailNumberE10EEEvNT_8ArgumentE
                                        ; -- End function
	.section	.AMDGPU.csdata,"",@progbits
; Kernel info:
; codeLenInByte = 4
; NumSgprs: 4
; NumVgprs: 0
; NumAgprs: 0
; TotalNumVgprs: 0
; ScratchSize: 0
; MemoryBound: 0
; FloatMode: 240
; IeeeMode: 1
; LDSByteSize: 0 bytes/workgroup (compile time only)
; SGPRBlocks: 0
; VGPRBlocks: 0
; NumSGPRsForWavesPerEU: 4
; NumVGPRsForWavesPerEU: 1
; AccumOffset: 4
; Occupancy: 8
; WaveLimiterHint : 0
; COMPUTE_PGM_RSRC2:SCRATCH_EN: 0
; COMPUTE_PGM_RSRC2:USER_SGPR: 6
; COMPUTE_PGM_RSRC2:TRAP_HANDLER: 0
; COMPUTE_PGM_RSRC2:TGID_X_EN: 1
; COMPUTE_PGM_RSRC2:TGID_Y_EN: 0
; COMPUTE_PGM_RSRC2:TGID_Z_EN: 0
; COMPUTE_PGM_RSRC2:TIDIG_COMP_CNT: 0
; COMPUTE_PGM_RSRC3_GFX90A:ACCUM_OFFSET: 0
; COMPUTE_PGM_RSRC3_GFX90A:TG_SPLIT: 0
	.text
	.p2alignl 6, 3212836864
	.fill 256, 4, 3212836864
	.type	__hip_cuid_e3e043bddb5c15ce,@object ; @__hip_cuid_e3e043bddb5c15ce
	.section	.bss,"aw",@nobits
	.globl	__hip_cuid_e3e043bddb5c15ce
__hip_cuid_e3e043bddb5c15ce:
	.byte	0                               ; 0x0
	.size	__hip_cuid_e3e043bddb5c15ce, 1

	.ident	"AMD clang version 19.0.0git (https://github.com/RadeonOpenCompute/llvm-project roc-6.4.0 25133 c7fe45cf4b819c5991fe208aaa96edf142730f1d)"
	.section	".note.GNU-stack","",@progbits
	.addrsig
	.addrsig_sym __hip_cuid_e3e043bddb5c15ce
	.amdgpu_metadata
---
amdhsa.kernels:
  - .agpr_count:     0
    .args:           []
    .group_segment_fixed_size: 0
    .kernarg_segment_align: 4
    .kernarg_segment_size: 0
    .language:       OpenCL C
    .language_version:
      - 2
      - 0
    .max_flat_workgroup_size: 1024
    .name:           _ZN2ckL12flush_icacheEv
    .private_segment_fixed_size: 0
    .sgpr_count:     4
    .sgpr_spill_count: 0
    .symbol:         _ZN2ckL12flush_icacheEv.kd
    .uniform_work_group_size: 1
    .uses_dynamic_stack: false
    .vgpr_count:     0
    .vgpr_spill_count: 0
    .wavefront_size: 64
  - .agpr_count:     4
    .args:
      - .offset:         0
        .size:           112
        .value_kind:     by_value
    .group_segment_fixed_size: 61440
    .kernarg_segment_align: 8
    .kernarg_segment_size: 112
    .language:       OpenCL C
    .language_version:
      - 2
      - 0
    .max_flat_workgroup_size: 256
    .name:           _ZN2ck27kernel_gemm_xdl_cshuffle_v3INS_28GridwiseGemm_xdl_cshuffle_v3INS_13tensor_layout4gemm8RowMajorENS3_11ColumnMajorES4_NS_9f8_fnuz_tES6_fDF16_DF16_NS_16tensor_operation12element_wise11PassThroughES9_S9_LNS7_6device18GemmSpecializationE0ELi256ELi224ELi256ELi128ELi16ELi16ELi16ELi16ELi7ELi8ENS_8SequenceIJLi8ELi32ELi1EEEENSC_IJLi1ELi0ELi2EEEESE_Li2ELi16ELi16ELb0ELi0ESD_SE_SE_Li2ELi16ELi16ELb0ELi0ELi1ELi2ENSC_IJLi1ELi32ELi1ELi8EEEELi4ELNS_26BlockGemmPipelineSchedulerE0ELNS_24BlockGemmPipelineVersionE2ES6_S6_Lb0ELb0ELb0ELi0ELb0EEELb1ELNS_25InMemoryDataOperationEnumE1ELi1ELNS_10TailNumberE10EEEvNT_8ArgumentE
    .private_segment_fixed_size: 1424
    .sgpr_count:     54
    .sgpr_spill_count: 0
    .symbol:         _ZN2ck27kernel_gemm_xdl_cshuffle_v3INS_28GridwiseGemm_xdl_cshuffle_v3INS_13tensor_layout4gemm8RowMajorENS3_11ColumnMajorES4_NS_9f8_fnuz_tES6_fDF16_DF16_NS_16tensor_operation12element_wise11PassThroughES9_S9_LNS7_6device18GemmSpecializationE0ELi256ELi224ELi256ELi128ELi16ELi16ELi16ELi16ELi7ELi8ENS_8SequenceIJLi8ELi32ELi1EEEENSC_IJLi1ELi0ELi2EEEESE_Li2ELi16ELi16ELb0ELi0ESD_SE_SE_Li2ELi16ELi16ELb0ELi0ELi1ELi2ENSC_IJLi1ELi32ELi1ELi8EEEELi4ELNS_26BlockGemmPipelineSchedulerE0ELNS_24BlockGemmPipelineVersionE2ES6_S6_Lb0ELb0ELb0ELi0ELb0EEELb1ELNS_25InMemoryDataOperationEnumE1ELi1ELNS_10TailNumberE10EEEvNT_8ArgumentE.kd
    .uniform_work_group_size: 1
    .uses_dynamic_stack: false
    .vgpr_count:     124
    .vgpr_spill_count: 0
    .wavefront_size: 64
  - .agpr_count:     4
    .args:
      - .offset:         0
        .size:           112
        .value_kind:     by_value
    .group_segment_fixed_size: 61440
    .kernarg_segment_align: 8
    .kernarg_segment_size: 112
    .language:       OpenCL C
    .language_version:
      - 2
      - 0
    .max_flat_workgroup_size: 256
    .name:           _ZN2ck27kernel_gemm_xdl_cshuffle_v3INS_28GridwiseGemm_xdl_cshuffle_v3INS_13tensor_layout4gemm8RowMajorENS3_11ColumnMajorES4_NS_9f8_fnuz_tES6_fDF16_DF16_NS_16tensor_operation12element_wise11PassThroughES9_S9_LNS7_6device18GemmSpecializationE0ELi256ELi224ELi256ELi128ELi16ELi16ELi16ELi16ELi7ELi8ENS_8SequenceIJLi8ELi32ELi1EEEENSC_IJLi1ELi0ELi2EEEESE_Li2ELi16ELi16ELb0ELi0ESD_SE_SE_Li2ELi16ELi16ELb0ELi0ELi1ELi2ENSC_IJLi1ELi32ELi1ELi8EEEELi4ELNS_26BlockGemmPipelineSchedulerE0ELNS_24BlockGemmPipelineVersionE2ES6_S6_Lb0ELb0ELb0ELi0ELb0EEELb1ELNS_25InMemoryDataOperationEnumE0ELi1ELNS_10TailNumberE10EEEvNT_8ArgumentE
    .private_segment_fixed_size: 1424
    .sgpr_count:     54
    .sgpr_spill_count: 0
    .symbol:         _ZN2ck27kernel_gemm_xdl_cshuffle_v3INS_28GridwiseGemm_xdl_cshuffle_v3INS_13tensor_layout4gemm8RowMajorENS3_11ColumnMajorES4_NS_9f8_fnuz_tES6_fDF16_DF16_NS_16tensor_operation12element_wise11PassThroughES9_S9_LNS7_6device18GemmSpecializationE0ELi256ELi224ELi256ELi128ELi16ELi16ELi16ELi16ELi7ELi8ENS_8SequenceIJLi8ELi32ELi1EEEENSC_IJLi1ELi0ELi2EEEESE_Li2ELi16ELi16ELb0ELi0ESD_SE_SE_Li2ELi16ELi16ELb0ELi0ELi1ELi2ENSC_IJLi1ELi32ELi1ELi8EEEELi4ELNS_26BlockGemmPipelineSchedulerE0ELNS_24BlockGemmPipelineVersionE2ES6_S6_Lb0ELb0ELb0ELi0ELb0EEELb1ELNS_25InMemoryDataOperationEnumE0ELi1ELNS_10TailNumberE10EEEvNT_8ArgumentE.kd
    .uniform_work_group_size: 1
    .uses_dynamic_stack: false
    .vgpr_count:     124
    .vgpr_spill_count: 0
    .wavefront_size: 64
  - .agpr_count:     0
    .args:
      - .offset:         0
        .size:           112
        .value_kind:     by_value
    .group_segment_fixed_size: 0
    .kernarg_segment_align: 8
    .kernarg_segment_size: 112
    .language:       OpenCL C
    .language_version:
      - 2
      - 0
    .max_flat_workgroup_size: 256
    .name:           _ZN2ck27kernel_gemm_xdl_cshuffle_v3INS_28GridwiseGemm_xdl_cshuffle_v3INS_13tensor_layout4gemm8RowMajorENS3_11ColumnMajorES4_NS_9f8_fnuz_tES6_fDF16_DF16_NS_16tensor_operation12element_wise11PassThroughES9_S9_LNS7_6device18GemmSpecializationE0ELi256ELi224ELi256ELi128ELi16ELi16ELi16ELi16ELi7ELi4ENS_8SequenceIJLi8ELi32ELi1EEEENSC_IJLi1ELi0ELi2EEEESE_Li2ELi16ELi16ELb0ELi0ESD_SE_SE_Li2ELi16ELi16ELb0ELi0ELi1ELi2ENSC_IJLi1ELi32ELi1ELi8EEEELi4ELNS_26BlockGemmPipelineSchedulerE0ELNS_24BlockGemmPipelineVersionE2ES6_S6_Lb0ELb0ELb0ELi0ELb0EEELb1ELNS_25InMemoryDataOperationEnumE1ELi1ELNS_10TailNumberE10EEEvNT_8ArgumentE
    .private_segment_fixed_size: 0
    .sgpr_count:     4
    .sgpr_spill_count: 0
    .symbol:         _ZN2ck27kernel_gemm_xdl_cshuffle_v3INS_28GridwiseGemm_xdl_cshuffle_v3INS_13tensor_layout4gemm8RowMajorENS3_11ColumnMajorES4_NS_9f8_fnuz_tES6_fDF16_DF16_NS_16tensor_operation12element_wise11PassThroughES9_S9_LNS7_6device18GemmSpecializationE0ELi256ELi224ELi256ELi128ELi16ELi16ELi16ELi16ELi7ELi4ENS_8SequenceIJLi8ELi32ELi1EEEENSC_IJLi1ELi0ELi2EEEESE_Li2ELi16ELi16ELb0ELi0ESD_SE_SE_Li2ELi16ELi16ELb0ELi0ELi1ELi2ENSC_IJLi1ELi32ELi1ELi8EEEELi4ELNS_26BlockGemmPipelineSchedulerE0ELNS_24BlockGemmPipelineVersionE2ES6_S6_Lb0ELb0ELb0ELi0ELb0EEELb1ELNS_25InMemoryDataOperationEnumE1ELi1ELNS_10TailNumberE10EEEvNT_8ArgumentE.kd
    .uniform_work_group_size: 1
    .uses_dynamic_stack: false
    .vgpr_count:     0
    .vgpr_spill_count: 0
    .wavefront_size: 64
  - .agpr_count:     0
    .args:
      - .offset:         0
        .size:           112
        .value_kind:     by_value
    .group_segment_fixed_size: 0
    .kernarg_segment_align: 8
    .kernarg_segment_size: 112
    .language:       OpenCL C
    .language_version:
      - 2
      - 0
    .max_flat_workgroup_size: 256
    .name:           _ZN2ck27kernel_gemm_xdl_cshuffle_v3INS_28GridwiseGemm_xdl_cshuffle_v3INS_13tensor_layout4gemm8RowMajorENS3_11ColumnMajorES4_NS_9f8_fnuz_tES6_fDF16_DF16_NS_16tensor_operation12element_wise11PassThroughES9_S9_LNS7_6device18GemmSpecializationE0ELi256ELi224ELi256ELi128ELi16ELi16ELi16ELi16ELi7ELi4ENS_8SequenceIJLi8ELi32ELi1EEEENSC_IJLi1ELi0ELi2EEEESE_Li2ELi16ELi16ELb0ELi0ESD_SE_SE_Li2ELi16ELi16ELb0ELi0ELi1ELi2ENSC_IJLi1ELi32ELi1ELi8EEEELi4ELNS_26BlockGemmPipelineSchedulerE0ELNS_24BlockGemmPipelineVersionE2ES6_S6_Lb0ELb0ELb0ELi0ELb0EEELb1ELNS_25InMemoryDataOperationEnumE0ELi1ELNS_10TailNumberE10EEEvNT_8ArgumentE
    .private_segment_fixed_size: 0
    .sgpr_count:     4
    .sgpr_spill_count: 0
    .symbol:         _ZN2ck27kernel_gemm_xdl_cshuffle_v3INS_28GridwiseGemm_xdl_cshuffle_v3INS_13tensor_layout4gemm8RowMajorENS3_11ColumnMajorES4_NS_9f8_fnuz_tES6_fDF16_DF16_NS_16tensor_operation12element_wise11PassThroughES9_S9_LNS7_6device18GemmSpecializationE0ELi256ELi224ELi256ELi128ELi16ELi16ELi16ELi16ELi7ELi4ENS_8SequenceIJLi8ELi32ELi1EEEENSC_IJLi1ELi0ELi2EEEESE_Li2ELi16ELi16ELb0ELi0ESD_SE_SE_Li2ELi16ELi16ELb0ELi0ELi1ELi2ENSC_IJLi1ELi32ELi1ELi8EEEELi4ELNS_26BlockGemmPipelineSchedulerE0ELNS_24BlockGemmPipelineVersionE2ES6_S6_Lb0ELb0ELb0ELi0ELb0EEELb1ELNS_25InMemoryDataOperationEnumE0ELi1ELNS_10TailNumberE10EEEvNT_8ArgumentE.kd
    .uniform_work_group_size: 1
    .uses_dynamic_stack: false
    .vgpr_count:     0
    .vgpr_spill_count: 0
    .wavefront_size: 64
amdhsa.target:   amdgcn-amd-amdhsa--gfx90a
amdhsa.version:
  - 1
  - 2
...

	.end_amdgpu_metadata
